;; amdgpu-corpus repo=ROCm/rocSOLVER kind=compiled arch=gfx950 opt=O3
	.amdgcn_target "amdgcn-amd-amdhsa--gfx950"
	.amdhsa_code_object_version 6
	.section	.text._ZN9rocsolver6v33100L18getri_kernel_smallILi1E19rocblas_complex_numIfEPS3_EEvT1_iilPiilS6_bb,"axG",@progbits,_ZN9rocsolver6v33100L18getri_kernel_smallILi1E19rocblas_complex_numIfEPS3_EEvT1_iilPiilS6_bb,comdat
	.globl	_ZN9rocsolver6v33100L18getri_kernel_smallILi1E19rocblas_complex_numIfEPS3_EEvT1_iilPiilS6_bb ; -- Begin function _ZN9rocsolver6v33100L18getri_kernel_smallILi1E19rocblas_complex_numIfEPS3_EEvT1_iilPiilS6_bb
	.p2align	8
	.type	_ZN9rocsolver6v33100L18getri_kernel_smallILi1E19rocblas_complex_numIfEPS3_EEvT1_iilPiilS6_bb,@function
_ZN9rocsolver6v33100L18getri_kernel_smallILi1E19rocblas_complex_numIfEPS3_EEvT1_iilPiilS6_bb: ; @_ZN9rocsolver6v33100L18getri_kernel_smallILi1E19rocblas_complex_numIfEPS3_EEvT1_iilPiilS6_bb
; %bb.0:
	v_cmp_eq_u32_e32 vcc, 0, v0
	s_and_saveexec_b64 s[4:5], vcc
	s_cbranch_execz .LBB0_15
; %bb.1:
	s_load_dword s4, s[0:1], 0x8
	s_load_dword s3, s[0:1], 0x38
	s_load_dwordx2 s[6:7], s[0:1], 0x0
	s_load_dwordx2 s[10:11], s[0:1], 0x10
	;; [unrolled: 1-line block ×3, first 2 shown]
	s_waitcnt lgkmcnt(0)
	s_ashr_i32 s5, s4, 31
	s_bitcmp1_b32 s3, 0
	s_cselect_b64 s[0:1], -1, 0
	s_ashr_i32 s3, s2, 31
	s_mul_hi_u32 s12, s10, s2
	s_mul_i32 s13, s10, s3
	s_add_i32 s12, s12, s13
	s_mul_i32 s11, s11, s2
	s_add_i32 s11, s12, s11
	s_mul_i32 s10, s10, s2
	s_lshl_b64 s[10:11], s[10:11], 3
	s_add_u32 s6, s6, s10
	s_addc_u32 s7, s7, s11
	s_lshl_b64 s[4:5], s[4:5], 3
	s_add_u32 s4, s6, s4
	s_addc_u32 s5, s7, s5
	s_load_dwordx2 s[6:7], s[4:5], 0x0
	s_and_b64 vcc, exec, s[0:1]
	s_cbranch_vccnz .LBB0_12
; %bb.2:
	s_lshl_b64 s[0:1], s[2:3], 2
	s_add_u32 s0, s8, s0
	s_addc_u32 s1, s9, s1
	s_load_dword s10, s[0:1], 0x0
	s_mov_b64 s[0:1], 0
	s_waitcnt lgkmcnt(0)
	s_cmp_eq_u32 s10, 0
	s_mov_b64 s[10:11], 0
	s_cbranch_scc0 .LBB0_4
; %bb.3:
	s_mov_b64 s[10:11], -1
.LBB0_4:
	s_and_b64 vcc, exec, s[0:1]
	s_cbranch_vccz .LBB0_13
.LBB0_5:
	s_waitcnt lgkmcnt(0)
	v_cmp_eq_f32_e64 s[0:1], s6, 0
	v_cmp_eq_f32_e64 s[12:13], s7, 0
	s_and_b64 s[0:1], s[0:1], s[12:13]
	v_mov_b32_e32 v0, 0
	s_andn2_b64 vcc, exec, s[0:1]
	ds_write_b32 v0, v0
	s_waitcnt lgkmcnt(0)
	; wave barrier
	s_cbranch_vccnz .LBB0_10
; %bb.6:
	ds_read_b32 v1, v0
	s_waitcnt lgkmcnt(0)
	v_cmp_ne_u32_e32 vcc, 0, v1
	v_cmp_gt_i32_e64 s[0:1], 2, v1
	s_and_b64 s[0:1], vcc, s[0:1]
	s_and_b64 vcc, exec, s[0:1]
	s_cbranch_vccnz .LBB0_10
; %bb.7:
	s_mov_b64 s[12:13], 0
	v_mov_b32_e32 v2, 1
	v_mov_b32_e32 v3, 0
.LBB0_8:                                ; =>This Inner Loop Header: Depth=1
	ds_cmpst_rtn_b32 v1, v3, v1, v2
	s_waitcnt lgkmcnt(0)
	v_cmp_ne_u32_e32 vcc, 0, v1
	v_cmp_gt_i32_e64 s[0:1], 2, v1
	s_and_b64 s[0:1], vcc, s[0:1]
	s_and_b64 s[0:1], exec, s[0:1]
	s_or_b64 s[12:13], s[0:1], s[12:13]
	s_andn2_b64 exec, exec, s[12:13]
	s_cbranch_execnz .LBB0_8
; %bb.9:
	s_or_b64 exec, exec, s[12:13]
.LBB0_10:
	; wave barrier
	ds_read_b32 v1, v0
	s_lshl_b64 s[0:1], s[2:3], 2
	s_add_u32 s0, s8, s0
	s_addc_u32 s1, s9, s1
	s_waitcnt lgkmcnt(0)
	v_cmp_ne_u32_e32 vcc, 0, v1
	global_store_dword v0, v1, s[0:1]
	s_cbranch_vccz .LBB0_16
; %bb.11:
                                        ; implicit-def: $vgpr0_vgpr1
	s_and_b64 vcc, exec, s[10:11]
	s_cbranch_vccnz .LBB0_14
	s_branch .LBB0_15
.LBB0_12:
	s_mov_b64 s[10:11], 0
	s_cbranch_execnz .LBB0_5
.LBB0_13:
	s_waitcnt lgkmcnt(0)
	v_mov_b64_e32 v[0:1], s[6:7]
	s_and_b64 vcc, exec, s[10:11]
	s_cbranch_vccz .LBB0_15
.LBB0_14:
	v_mov_b32_e32 v2, 0
	global_store_dwordx2 v2, v[0:1], s[4:5]
.LBB0_15:
	s_endpgm
.LBB0_16:
	v_mov_b32_e32 v0, s7
	v_cmp_ngt_f32_e64 s[0:1], |s6|, |v0|
	s_and_b64 vcc, exec, s[0:1]
	s_cbranch_vccz .LBB0_18
; %bb.17:
	v_mov_b32_e32 v0, s6
	v_div_scale_f32 v1, s[0:1], s7, s7, v0
	v_rcp_f32_e32 v2, v1
	v_mov_b32_e32 v3, s7
	v_fma_f32 v4, -v1, v2, 1.0
	v_fmac_f32_e32 v2, v4, v2
	v_div_scale_f32 v4, vcc, s6, v3, s6
	v_mul_f32_e32 v5, v4, v2
	v_fma_f32 v6, -v1, v5, v4
	v_fmac_f32_e32 v5, v6, v2
	v_fma_f32 v1, -v1, v5, v4
	v_div_fmas_f32 v1, v1, v2, v5
	v_div_fixup_f32 v0, v1, s7, v0
	v_fma_f32 v1, s6, v0, v3
	v_div_scale_f32 v2, s[0:1], v1, v1, 1.0
	v_rcp_f32_e32 v3, v2
	s_nop 0
	v_fma_f32 v4, -v2, v3, 1.0
	v_fmac_f32_e32 v3, v4, v3
	v_div_scale_f32 v4, vcc, 1.0, v1, 1.0
	v_mul_f32_e32 v5, v4, v3
	v_fma_f32 v6, -v2, v5, v4
	v_fmac_f32_e32 v5, v6, v3
	v_fma_f32 v2, -v2, v5, v4
	v_div_fmas_f32 v2, v2, v3, v5
	v_div_fixup_f32 v1, v2, v1, 1.0
	v_mul_f32_e32 v0, v0, v1
	v_xor_b32_e32 v1, 0x80000000, v1
	s_cbranch_execz .LBB0_19
	s_branch .LBB0_20
.LBB0_18:
                                        ; implicit-def: $vgpr0_vgpr1
.LBB0_19:
	v_mov_b32_e32 v0, s7
	v_div_scale_f32 v1, s[0:1], s6, s6, v0
	v_rcp_f32_e32 v2, v1
	v_mov_b32_e32 v3, s6
	v_fma_f32 v4, -v1, v2, 1.0
	v_fmac_f32_e32 v2, v4, v2
	v_div_scale_f32 v4, vcc, s7, v3, s7
	v_mul_f32_e32 v5, v4, v2
	v_fma_f32 v6, -v1, v5, v4
	v_fmac_f32_e32 v5, v6, v2
	v_fma_f32 v1, -v1, v5, v4
	v_div_fmas_f32 v1, v1, v2, v5
	v_div_fixup_f32 v1, v1, s6, v0
	v_fma_f32 v0, s7, v1, v3
	v_div_scale_f32 v2, s[0:1], v0, v0, 1.0
	v_rcp_f32_e32 v3, v2
	s_nop 0
	v_fma_f32 v4, -v2, v3, 1.0
	v_fmac_f32_e32 v3, v4, v3
	v_div_scale_f32 v4, vcc, 1.0, v0, 1.0
	v_mul_f32_e32 v5, v4, v3
	v_fma_f32 v6, -v2, v5, v4
	v_fmac_f32_e32 v5, v6, v3
	v_fma_f32 v2, -v2, v5, v4
	v_div_fmas_f32 v2, v2, v3, v5
	v_div_fixup_f32 v0, v2, v0, 1.0
	v_mul_f32_e64 v1, v1, -v0
.LBB0_20:
	s_cbranch_execnz .LBB0_14
	s_branch .LBB0_15
	.section	.rodata,"a",@progbits
	.p2align	6, 0x0
	.amdhsa_kernel _ZN9rocsolver6v33100L18getri_kernel_smallILi1E19rocblas_complex_numIfEPS3_EEvT1_iilPiilS6_bb
		.amdhsa_group_segment_fixed_size 4
		.amdhsa_private_segment_fixed_size 0
		.amdhsa_kernarg_size 60
		.amdhsa_user_sgpr_count 2
		.amdhsa_user_sgpr_dispatch_ptr 0
		.amdhsa_user_sgpr_queue_ptr 0
		.amdhsa_user_sgpr_kernarg_segment_ptr 1
		.amdhsa_user_sgpr_dispatch_id 0
		.amdhsa_user_sgpr_kernarg_preload_length 0
		.amdhsa_user_sgpr_kernarg_preload_offset 0
		.amdhsa_user_sgpr_private_segment_size 0
		.amdhsa_uses_dynamic_stack 0
		.amdhsa_enable_private_segment 0
		.amdhsa_system_sgpr_workgroup_id_x 1
		.amdhsa_system_sgpr_workgroup_id_y 0
		.amdhsa_system_sgpr_workgroup_id_z 0
		.amdhsa_system_sgpr_workgroup_info 0
		.amdhsa_system_vgpr_workitem_id 0
		.amdhsa_next_free_vgpr 7
		.amdhsa_next_free_sgpr 14
		.amdhsa_accum_offset 8
		.amdhsa_reserve_vcc 1
		.amdhsa_float_round_mode_32 0
		.amdhsa_float_round_mode_16_64 0
		.amdhsa_float_denorm_mode_32 3
		.amdhsa_float_denorm_mode_16_64 3
		.amdhsa_dx10_clamp 1
		.amdhsa_ieee_mode 1
		.amdhsa_fp16_overflow 0
		.amdhsa_tg_split 0
		.amdhsa_exception_fp_ieee_invalid_op 0
		.amdhsa_exception_fp_denorm_src 0
		.amdhsa_exception_fp_ieee_div_zero 0
		.amdhsa_exception_fp_ieee_overflow 0
		.amdhsa_exception_fp_ieee_underflow 0
		.amdhsa_exception_fp_ieee_inexact 0
		.amdhsa_exception_int_div_zero 0
	.end_amdhsa_kernel
	.section	.text._ZN9rocsolver6v33100L18getri_kernel_smallILi1E19rocblas_complex_numIfEPS3_EEvT1_iilPiilS6_bb,"axG",@progbits,_ZN9rocsolver6v33100L18getri_kernel_smallILi1E19rocblas_complex_numIfEPS3_EEvT1_iilPiilS6_bb,comdat
.Lfunc_end0:
	.size	_ZN9rocsolver6v33100L18getri_kernel_smallILi1E19rocblas_complex_numIfEPS3_EEvT1_iilPiilS6_bb, .Lfunc_end0-_ZN9rocsolver6v33100L18getri_kernel_smallILi1E19rocblas_complex_numIfEPS3_EEvT1_iilPiilS6_bb
                                        ; -- End function
	.set _ZN9rocsolver6v33100L18getri_kernel_smallILi1E19rocblas_complex_numIfEPS3_EEvT1_iilPiilS6_bb.num_vgpr, 7
	.set _ZN9rocsolver6v33100L18getri_kernel_smallILi1E19rocblas_complex_numIfEPS3_EEvT1_iilPiilS6_bb.num_agpr, 0
	.set _ZN9rocsolver6v33100L18getri_kernel_smallILi1E19rocblas_complex_numIfEPS3_EEvT1_iilPiilS6_bb.numbered_sgpr, 14
	.set _ZN9rocsolver6v33100L18getri_kernel_smallILi1E19rocblas_complex_numIfEPS3_EEvT1_iilPiilS6_bb.num_named_barrier, 0
	.set _ZN9rocsolver6v33100L18getri_kernel_smallILi1E19rocblas_complex_numIfEPS3_EEvT1_iilPiilS6_bb.private_seg_size, 0
	.set _ZN9rocsolver6v33100L18getri_kernel_smallILi1E19rocblas_complex_numIfEPS3_EEvT1_iilPiilS6_bb.uses_vcc, 1
	.set _ZN9rocsolver6v33100L18getri_kernel_smallILi1E19rocblas_complex_numIfEPS3_EEvT1_iilPiilS6_bb.uses_flat_scratch, 0
	.set _ZN9rocsolver6v33100L18getri_kernel_smallILi1E19rocblas_complex_numIfEPS3_EEvT1_iilPiilS6_bb.has_dyn_sized_stack, 0
	.set _ZN9rocsolver6v33100L18getri_kernel_smallILi1E19rocblas_complex_numIfEPS3_EEvT1_iilPiilS6_bb.has_recursion, 0
	.set _ZN9rocsolver6v33100L18getri_kernel_smallILi1E19rocblas_complex_numIfEPS3_EEvT1_iilPiilS6_bb.has_indirect_call, 0
	.section	.AMDGPU.csdata,"",@progbits
; Kernel info:
; codeLenInByte = 808
; TotalNumSgprs: 20
; NumVgprs: 7
; NumAgprs: 0
; TotalNumVgprs: 7
; ScratchSize: 0
; MemoryBound: 0
; FloatMode: 240
; IeeeMode: 1
; LDSByteSize: 4 bytes/workgroup (compile time only)
; SGPRBlocks: 2
; VGPRBlocks: 0
; NumSGPRsForWavesPerEU: 20
; NumVGPRsForWavesPerEU: 7
; AccumOffset: 8
; Occupancy: 8
; WaveLimiterHint : 0
; COMPUTE_PGM_RSRC2:SCRATCH_EN: 0
; COMPUTE_PGM_RSRC2:USER_SGPR: 2
; COMPUTE_PGM_RSRC2:TRAP_HANDLER: 0
; COMPUTE_PGM_RSRC2:TGID_X_EN: 1
; COMPUTE_PGM_RSRC2:TGID_Y_EN: 0
; COMPUTE_PGM_RSRC2:TGID_Z_EN: 0
; COMPUTE_PGM_RSRC2:TIDIG_COMP_CNT: 0
; COMPUTE_PGM_RSRC3_GFX90A:ACCUM_OFFSET: 1
; COMPUTE_PGM_RSRC3_GFX90A:TG_SPLIT: 0
	.section	.text._ZN9rocsolver6v33100L18getri_kernel_smallILi2E19rocblas_complex_numIfEPS3_EEvT1_iilPiilS6_bb,"axG",@progbits,_ZN9rocsolver6v33100L18getri_kernel_smallILi2E19rocblas_complex_numIfEPS3_EEvT1_iilPiilS6_bb,comdat
	.globl	_ZN9rocsolver6v33100L18getri_kernel_smallILi2E19rocblas_complex_numIfEPS3_EEvT1_iilPiilS6_bb ; -- Begin function _ZN9rocsolver6v33100L18getri_kernel_smallILi2E19rocblas_complex_numIfEPS3_EEvT1_iilPiilS6_bb
	.p2align	8
	.type	_ZN9rocsolver6v33100L18getri_kernel_smallILi2E19rocblas_complex_numIfEPS3_EEvT1_iilPiilS6_bb,@function
_ZN9rocsolver6v33100L18getri_kernel_smallILi2E19rocblas_complex_numIfEPS3_EEvT1_iilPiilS6_bb: ; @_ZN9rocsolver6v33100L18getri_kernel_smallILi2E19rocblas_complex_numIfEPS3_EEvT1_iilPiilS6_bb
; %bb.0:
	v_cmp_gt_u32_e32 vcc, 2, v0
	s_and_saveexec_b64 s[4:5], vcc
	s_cbranch_execz .LBB1_22
; %bb.1:
	s_load_dword s14, s[0:1], 0x38
	s_load_dwordx4 s[8:11], s[0:1], 0x10
	s_load_dwordx4 s[4:7], s[0:1], 0x28
	s_waitcnt lgkmcnt(0)
	s_bitcmp1_b32 s14, 8
	s_cselect_b64 s[12:13], -1, 0
	s_ashr_i32 s3, s2, 31
	s_bfe_u32 s14, s14, 0x10008
	s_cmp_eq_u32 s14, 0
                                        ; implicit-def: $sgpr14_sgpr15
	s_cbranch_scc1 .LBB1_3
; %bb.2:
	s_load_dword s14, s[0:1], 0x20
	s_mul_i32 s15, s4, s3
	s_mul_hi_u32 s16, s4, s2
	s_mul_i32 s5, s5, s2
	s_add_i32 s16, s16, s15
	s_add_i32 s5, s16, s5
	s_mul_i32 s4, s4, s2
	s_waitcnt lgkmcnt(0)
	s_ashr_i32 s15, s14, 31
	s_lshl_b64 s[4:5], s[4:5], 2
	s_add_u32 s10, s10, s4
	s_addc_u32 s11, s11, s5
	s_lshl_b64 s[4:5], s[14:15], 2
	s_add_u32 s14, s10, s4
	s_addc_u32 s15, s11, s5
.LBB1_3:
	s_load_dwordx4 s[16:19], s[0:1], 0x0
	s_load_dword s10, s[0:1], 0x38
	s_mul_i32 s4, s8, s3
	s_mul_hi_u32 s5, s8, s2
	s_add_i32 s4, s5, s4
	s_mul_i32 s5, s9, s2
	s_add_i32 s5, s4, s5
	s_mul_i32 s4, s8, s2
	s_waitcnt lgkmcnt(0)
	s_ashr_i32 s1, s18, 31
	s_lshl_b64 s[4:5], s[4:5], 3
	s_mov_b32 s0, s18
	s_add_u32 s4, s16, s4
	s_addc_u32 s5, s17, s5
	s_lshl_b64 s[0:1], s[0:1], 3
	s_add_u32 s0, s4, s0
	s_addc_u32 s1, s5, s1
	v_lshlrev_b32_e32 v2, 3, v0
	v_mov_b32_e32 v3, 0
	v_lshl_add_u64 v[4:5], s[0:1], 0, v[2:3]
	global_load_dwordx2 v[8:9], v2, s[0:1]
	s_ashr_i32 s1, s19, 31
	s_mov_b32 s0, s19
	v_lshl_add_u64 v[6:7], s[0:1], 3, v[4:5]
	global_load_dwordx2 v[10:11], v[6:7], off
	s_bitcmp0_b32 s10, 0
	s_mov_b64 s[4:5], -1
	s_waitcnt vmcnt(0)
	scratch_store_dwordx4 off, v[8:11], off
	s_cbranch_scc1 .LBB1_20
; %bb.4:
	v_cmp_eq_u32_e64 s[0:1], 0, v0
	s_and_saveexec_b64 s[4:5], s[0:1]
; %bb.5:
	v_mov_b32_e32 v1, 0
	ds_write_b32 v1, v1 offset:32
; %bb.6:
	s_or_b64 exec, exec, s[4:5]
	s_waitcnt lgkmcnt(0)
	; wave barrier
	scratch_load_dwordx2 v[8:9], v2, off
	s_waitcnt vmcnt(0)
	v_cmp_eq_f32_e32 vcc, 0, v8
	v_cmp_eq_f32_e64 s[4:5], 0, v9
	s_and_b64 s[4:5], vcc, s[4:5]
	s_and_saveexec_b64 s[8:9], s[4:5]
	s_cbranch_execz .LBB1_10
; %bb.7:
	v_mov_b32_e32 v1, 0
	ds_read_b32 v8, v1 offset:32
	v_add_u32_e32 v3, 1, v0
	s_waitcnt lgkmcnt(0)
	v_readfirstlane_b32 s4, v8
	s_cmp_eq_u32 s4, 0
	s_cselect_b64 s[10:11], -1, 0
	v_cmp_gt_i32_e32 vcc, s4, v3
	s_or_b64 s[10:11], s[10:11], vcc
	s_and_b64 exec, exec, s[10:11]
	s_cbranch_execz .LBB1_10
; %bb.8:
	s_mov_b64 s[10:11], 0
	v_mov_b32_e32 v8, s4
.LBB1_9:                                ; =>This Inner Loop Header: Depth=1
	ds_cmpst_rtn_b32 v8, v1, v8, v3 offset:32
	s_waitcnt lgkmcnt(0)
	v_cmp_ne_u32_e32 vcc, 0, v8
	v_cmp_le_i32_e64 s[4:5], v8, v3
	s_and_b64 s[4:5], vcc, s[4:5]
	s_and_b64 s[4:5], exec, s[4:5]
	s_or_b64 s[10:11], s[4:5], s[10:11]
	s_andn2_b64 exec, exec, s[10:11]
	s_cbranch_execnz .LBB1_9
.LBB1_10:
	s_or_b64 exec, exec, s[8:9]
	v_mov_b32_e32 v3, 0
	; wave barrier
	ds_read_b32 v1, v3 offset:32
	s_and_saveexec_b64 s[4:5], s[0:1]
	s_cbranch_execz .LBB1_12
; %bb.11:
	s_lshl_b64 s[8:9], s[2:3], 2
	s_add_u32 s8, s6, s8
	s_addc_u32 s9, s7, s9
	s_waitcnt lgkmcnt(0)
	global_store_dword v3, v1, s[8:9]
.LBB1_12:
	s_or_b64 exec, exec, s[4:5]
	s_waitcnt lgkmcnt(0)
	v_cmp_ne_u32_e32 vcc, 0, v1
	s_mov_b64 s[4:5], 0
	s_cbranch_vccnz .LBB1_20
; %bb.13:
	v_mov_b32_e32 v1, v2
	scratch_load_dwordx2 v[8:9], v1, off
                                        ; implicit-def: $vgpr11
                                        ; implicit-def: $vgpr12
	s_waitcnt vmcnt(0)
	v_cmp_ngt_f32_e64 s[4:5], |v8|, |v9|
	s_and_saveexec_b64 s[8:9], s[4:5]
	s_xor_b64 s[4:5], exec, s[8:9]
	s_cbranch_execz .LBB1_15
; %bb.14:
	v_div_scale_f32 v3, s[8:9], v9, v9, v8
	v_rcp_f32_e32 v10, v3
	v_div_scale_f32 v11, vcc, v8, v9, v8
	v_fma_f32 v12, -v3, v10, 1.0
	v_fmac_f32_e32 v10, v12, v10
	v_mul_f32_e32 v12, v11, v10
	v_fma_f32 v13, -v3, v12, v11
	v_fmac_f32_e32 v12, v13, v10
	v_fma_f32 v3, -v3, v12, v11
	v_div_fmas_f32 v3, v3, v10, v12
	v_div_fixup_f32 v3, v3, v9, v8
	v_fmac_f32_e32 v9, v8, v3
	v_div_scale_f32 v8, s[8:9], v9, v9, -1.0
	v_rcp_f32_e32 v10, v8
	s_nop 0
	v_fma_f32 v11, -v8, v10, 1.0
	v_fmac_f32_e32 v10, v11, v10
	v_div_scale_f32 v11, vcc, -1.0, v9, -1.0
	v_mul_f32_e32 v12, v11, v10
	v_fma_f32 v13, -v8, v12, v11
	v_fmac_f32_e32 v12, v13, v10
	v_fma_f32 v8, -v8, v12, v11
	v_div_fmas_f32 v8, v8, v10, v12
	v_div_fixup_f32 v11, v8, v9, -1.0
	v_mul_f32_e32 v12, v3, v11
	v_xor_b32_e32 v10, 0x80000000, v12
                                        ; implicit-def: $vgpr8_vgpr9
.LBB1_15:
	s_andn2_saveexec_b64 s[4:5], s[4:5]
	s_cbranch_execz .LBB1_17
; %bb.16:
	v_div_scale_f32 v3, s[8:9], v8, v8, v9
	v_rcp_f32_e32 v10, v3
	v_div_scale_f32 v11, vcc, v9, v8, v9
	v_fma_f32 v12, -v3, v10, 1.0
	v_fmac_f32_e32 v10, v12, v10
	v_mul_f32_e32 v12, v11, v10
	v_fma_f32 v13, -v3, v12, v11
	v_fmac_f32_e32 v12, v13, v10
	v_fma_f32 v3, -v3, v12, v11
	v_div_fmas_f32 v3, v3, v10, v12
	v_div_fixup_f32 v3, v3, v8, v9
	v_fmac_f32_e32 v8, v9, v3
	v_div_scale_f32 v9, s[8:9], v8, v8, 1.0
	v_rcp_f32_e32 v10, v9
	s_nop 0
	v_fma_f32 v11, -v9, v10, 1.0
	v_fmac_f32_e32 v10, v11, v10
	v_div_scale_f32 v11, vcc, 1.0, v8, 1.0
	v_mul_f32_e32 v12, v11, v10
	v_fma_f32 v13, -v9, v12, v11
	v_fmac_f32_e32 v12, v13, v10
	v_fma_f32 v9, -v9, v12, v11
	v_div_fmas_f32 v9, v9, v10, v12
	v_div_fixup_f32 v10, v9, v8, 1.0
	v_xor_b32_e32 v12, 0x80000000, v10
	v_mul_f32_e64 v11, v3, -v10
.LBB1_17:
	s_or_b64 exec, exec, s[4:5]
	scratch_store_dwordx2 v1, v[10:11], off
	scratch_load_dwordx2 v[8:9], off, off offset:8
	v_xor_b32_e32 v13, 0x80000000, v11
	s_waitcnt vmcnt(0)
	ds_write2_b64 v2, v[12:13], v[8:9] offset1:2
	s_waitcnt lgkmcnt(0)
	; wave barrier
	s_and_saveexec_b64 s[4:5], s[0:1]
	s_cbranch_execz .LBB1_19
; %bb.18:
	scratch_load_dwordx2 v[2:3], off, off
	v_mov_b32_e32 v1, 0
	ds_read2_b64 v[8:11], v1 offset0:1 offset1:2
	s_waitcnt vmcnt(0) lgkmcnt(0)
	v_pk_mul_f32 v[12:13], v[10:11], v[2:3] op_sel:[1,1] op_sel_hi:[0,1]
	v_pk_fma_f32 v[14:15], v[10:11], v[2:3], v[12:13] neg_lo:[0,0,1] neg_hi:[0,0,1]
	v_pk_fma_f32 v[2:3], v[10:11], v[2:3], v[12:13] op_sel_hi:[1,0,1]
	s_nop 0
	v_mov_b32_e32 v15, v3
	v_pk_add_f32 v[2:3], v[14:15], 0 op_sel_hi:[1,0]
	s_nop 0
	v_pk_mul_f32 v[10:11], v[2:3], v[8:9] op_sel:[1,1] op_sel_hi:[0,1]
	v_pk_fma_f32 v[12:13], v[2:3], v[8:9], v[10:11] neg_lo:[0,0,1] neg_hi:[0,0,1]
	v_pk_fma_f32 v[2:3], v[2:3], v[8:9], v[10:11] op_sel_hi:[1,0,1]
	s_nop 0
	v_mov_b32_e32 v13, v3
	scratch_store_dwordx2 off, v[12:13], off offset:8
.LBB1_19:
	s_or_b64 exec, exec, s[4:5]
	s_mov_b64 s[4:5], -1
	; wave barrier
.LBB1_20:
	s_and_b64 vcc, exec, s[4:5]
	s_cbranch_vccz .LBB1_22
; %bb.21:
	s_lshl_b64 s[0:1], s[2:3], 2
	s_add_u32 s0, s6, s0
	s_addc_u32 s1, s7, s1
	v_mov_b32_e32 v1, 0
	global_load_dword v1, v1, s[0:1]
	s_waitcnt vmcnt(0)
	v_cmp_ne_u32_e32 vcc, 0, v1
	s_cbranch_vccz .LBB1_23
.LBB1_22:
	s_endpgm
.LBB1_23:
	v_cmp_eq_u32_e32 vcc, 1, v0
	s_and_saveexec_b64 s[0:1], vcc
	s_cbranch_execz .LBB1_25
; %bb.24:
	scratch_load_dwordx2 v[0:1], off, off
	v_mov_b32_e32 v2, 0
	v_mov_b32_e32 v3, v2
	scratch_store_dwordx2 off, v[2:3], off
	s_waitcnt vmcnt(1)
	ds_write_b64 v2, v[0:1] offset:24
.LBB1_25:
	s_or_b64 exec, exec, s[0:1]
	s_waitcnt lgkmcnt(0)
	; wave barrier
	scratch_load_dwordx2 v[2:3], off, off offset:8
	scratch_load_dwordx2 v[0:1], off, off
	v_mov_b32_e32 v8, 0
	ds_read_b64 v[10:11], v8 offset:24
	s_and_b64 vcc, exec, s[12:13]
	s_waitcnt vmcnt(1) lgkmcnt(0)
	v_pk_mul_f32 v[12:13], v[10:11], v[2:3] op_sel:[1,1] op_sel_hi:[0,1]
	v_pk_fma_f32 v[14:15], v[10:11], v[2:3], v[12:13] neg_lo:[0,0,1] neg_hi:[0,0,1]
	v_pk_fma_f32 v[10:11], v[10:11], v[2:3], v[12:13] op_sel_hi:[1,0,1]
	s_nop 0
	v_mov_b32_e32 v15, v11
	v_pk_add_f32 v[10:11], v[14:15], 0 op_sel_hi:[1,0]
	s_waitcnt vmcnt(0)
	v_pk_add_f32 v[0:1], v[0:1], v[10:11] neg_lo:[0,1] neg_hi:[0,1]
	scratch_store_dwordx2 off, v[0:1], off
	s_cbranch_vccz .LBB1_28
; %bb.26:
	global_load_dword v8, v8, s[14:15]
	s_waitcnt vmcnt(0)
	v_readfirstlane_b32 s0, v8
	s_add_i32 s0, s0, -1
	s_cmp_lg_u32 s0, 0
	s_cbranch_scc0 .LBB1_28
; %bb.27:
	s_lshl_b32 s0, s0, 3
	s_nop 0
	scratch_load_dwordx2 v[2:3], off, s0
	s_waitcnt vmcnt(0)
	scratch_store_dwordx2 off, v[2:3], off
	scratch_store_dwordx2 off, v[0:1], s0
	scratch_load_dwordx4 v[0:3], off, off
.LBB1_28:
	s_waitcnt vmcnt(0)
	global_store_dwordx2 v[4:5], v[0:1], off
	global_store_dwordx2 v[6:7], v[2:3], off
	s_endpgm
	.section	.rodata,"a",@progbits
	.p2align	6, 0x0
	.amdhsa_kernel _ZN9rocsolver6v33100L18getri_kernel_smallILi2E19rocblas_complex_numIfEPS3_EEvT1_iilPiilS6_bb
		.amdhsa_group_segment_fixed_size 36
		.amdhsa_private_segment_fixed_size 32
		.amdhsa_kernarg_size 60
		.amdhsa_user_sgpr_count 2
		.amdhsa_user_sgpr_dispatch_ptr 0
		.amdhsa_user_sgpr_queue_ptr 0
		.amdhsa_user_sgpr_kernarg_segment_ptr 1
		.amdhsa_user_sgpr_dispatch_id 0
		.amdhsa_user_sgpr_kernarg_preload_length 0
		.amdhsa_user_sgpr_kernarg_preload_offset 0
		.amdhsa_user_sgpr_private_segment_size 0
		.amdhsa_uses_dynamic_stack 0
		.amdhsa_enable_private_segment 1
		.amdhsa_system_sgpr_workgroup_id_x 1
		.amdhsa_system_sgpr_workgroup_id_y 0
		.amdhsa_system_sgpr_workgroup_id_z 0
		.amdhsa_system_sgpr_workgroup_info 0
		.amdhsa_system_vgpr_workitem_id 0
		.amdhsa_next_free_vgpr 16
		.amdhsa_next_free_sgpr 20
		.amdhsa_accum_offset 16
		.amdhsa_reserve_vcc 1
		.amdhsa_float_round_mode_32 0
		.amdhsa_float_round_mode_16_64 0
		.amdhsa_float_denorm_mode_32 3
		.amdhsa_float_denorm_mode_16_64 3
		.amdhsa_dx10_clamp 1
		.amdhsa_ieee_mode 1
		.amdhsa_fp16_overflow 0
		.amdhsa_tg_split 0
		.amdhsa_exception_fp_ieee_invalid_op 0
		.amdhsa_exception_fp_denorm_src 0
		.amdhsa_exception_fp_ieee_div_zero 0
		.amdhsa_exception_fp_ieee_overflow 0
		.amdhsa_exception_fp_ieee_underflow 0
		.amdhsa_exception_fp_ieee_inexact 0
		.amdhsa_exception_int_div_zero 0
	.end_amdhsa_kernel
	.section	.text._ZN9rocsolver6v33100L18getri_kernel_smallILi2E19rocblas_complex_numIfEPS3_EEvT1_iilPiilS6_bb,"axG",@progbits,_ZN9rocsolver6v33100L18getri_kernel_smallILi2E19rocblas_complex_numIfEPS3_EEvT1_iilPiilS6_bb,comdat
.Lfunc_end1:
	.size	_ZN9rocsolver6v33100L18getri_kernel_smallILi2E19rocblas_complex_numIfEPS3_EEvT1_iilPiilS6_bb, .Lfunc_end1-_ZN9rocsolver6v33100L18getri_kernel_smallILi2E19rocblas_complex_numIfEPS3_EEvT1_iilPiilS6_bb
                                        ; -- End function
	.set _ZN9rocsolver6v33100L18getri_kernel_smallILi2E19rocblas_complex_numIfEPS3_EEvT1_iilPiilS6_bb.num_vgpr, 16
	.set _ZN9rocsolver6v33100L18getri_kernel_smallILi2E19rocblas_complex_numIfEPS3_EEvT1_iilPiilS6_bb.num_agpr, 0
	.set _ZN9rocsolver6v33100L18getri_kernel_smallILi2E19rocblas_complex_numIfEPS3_EEvT1_iilPiilS6_bb.numbered_sgpr, 20
	.set _ZN9rocsolver6v33100L18getri_kernel_smallILi2E19rocblas_complex_numIfEPS3_EEvT1_iilPiilS6_bb.num_named_barrier, 0
	.set _ZN9rocsolver6v33100L18getri_kernel_smallILi2E19rocblas_complex_numIfEPS3_EEvT1_iilPiilS6_bb.private_seg_size, 32
	.set _ZN9rocsolver6v33100L18getri_kernel_smallILi2E19rocblas_complex_numIfEPS3_EEvT1_iilPiilS6_bb.uses_vcc, 1
	.set _ZN9rocsolver6v33100L18getri_kernel_smallILi2E19rocblas_complex_numIfEPS3_EEvT1_iilPiilS6_bb.uses_flat_scratch, 0
	.set _ZN9rocsolver6v33100L18getri_kernel_smallILi2E19rocblas_complex_numIfEPS3_EEvT1_iilPiilS6_bb.has_dyn_sized_stack, 0
	.set _ZN9rocsolver6v33100L18getri_kernel_smallILi2E19rocblas_complex_numIfEPS3_EEvT1_iilPiilS6_bb.has_recursion, 0
	.set _ZN9rocsolver6v33100L18getri_kernel_smallILi2E19rocblas_complex_numIfEPS3_EEvT1_iilPiilS6_bb.has_indirect_call, 0
	.section	.AMDGPU.csdata,"",@progbits
; Kernel info:
; codeLenInByte = 1360
; TotalNumSgprs: 26
; NumVgprs: 16
; NumAgprs: 0
; TotalNumVgprs: 16
; ScratchSize: 32
; MemoryBound: 0
; FloatMode: 240
; IeeeMode: 1
; LDSByteSize: 36 bytes/workgroup (compile time only)
; SGPRBlocks: 3
; VGPRBlocks: 1
; NumSGPRsForWavesPerEU: 26
; NumVGPRsForWavesPerEU: 16
; AccumOffset: 16
; Occupancy: 8
; WaveLimiterHint : 0
; COMPUTE_PGM_RSRC2:SCRATCH_EN: 1
; COMPUTE_PGM_RSRC2:USER_SGPR: 2
; COMPUTE_PGM_RSRC2:TRAP_HANDLER: 0
; COMPUTE_PGM_RSRC2:TGID_X_EN: 1
; COMPUTE_PGM_RSRC2:TGID_Y_EN: 0
; COMPUTE_PGM_RSRC2:TGID_Z_EN: 0
; COMPUTE_PGM_RSRC2:TIDIG_COMP_CNT: 0
; COMPUTE_PGM_RSRC3_GFX90A:ACCUM_OFFSET: 3
; COMPUTE_PGM_RSRC3_GFX90A:TG_SPLIT: 0
	.section	.text._ZN9rocsolver6v33100L18getri_kernel_smallILi3E19rocblas_complex_numIfEPS3_EEvT1_iilPiilS6_bb,"axG",@progbits,_ZN9rocsolver6v33100L18getri_kernel_smallILi3E19rocblas_complex_numIfEPS3_EEvT1_iilPiilS6_bb,comdat
	.globl	_ZN9rocsolver6v33100L18getri_kernel_smallILi3E19rocblas_complex_numIfEPS3_EEvT1_iilPiilS6_bb ; -- Begin function _ZN9rocsolver6v33100L18getri_kernel_smallILi3E19rocblas_complex_numIfEPS3_EEvT1_iilPiilS6_bb
	.p2align	8
	.type	_ZN9rocsolver6v33100L18getri_kernel_smallILi3E19rocblas_complex_numIfEPS3_EEvT1_iilPiilS6_bb,@function
_ZN9rocsolver6v33100L18getri_kernel_smallILi3E19rocblas_complex_numIfEPS3_EEvT1_iilPiilS6_bb: ; @_ZN9rocsolver6v33100L18getri_kernel_smallILi3E19rocblas_complex_numIfEPS3_EEvT1_iilPiilS6_bb
; %bb.0:
	v_cmp_gt_u32_e32 vcc, 3, v0
	s_and_saveexec_b64 s[4:5], vcc
	s_cbranch_execz .LBB2_26
; %bb.1:
	s_load_dword s12, s[0:1], 0x38
	s_load_dwordx4 s[8:11], s[0:1], 0x10
	s_load_dwordx4 s[4:7], s[0:1], 0x28
	s_waitcnt lgkmcnt(0)
	s_bitcmp1_b32 s12, 8
	s_cselect_b64 s[14:15], -1, 0
	s_ashr_i32 s3, s2, 31
	s_bfe_u32 s12, s12, 0x10008
	s_cmp_eq_u32 s12, 0
                                        ; implicit-def: $sgpr12_sgpr13
	s_cbranch_scc1 .LBB2_3
; %bb.2:
	s_load_dword s12, s[0:1], 0x20
	s_mul_i32 s13, s4, s3
	s_mul_hi_u32 s16, s4, s2
	s_mul_i32 s5, s5, s2
	s_add_i32 s16, s16, s13
	s_add_i32 s5, s16, s5
	s_mul_i32 s4, s4, s2
	s_waitcnt lgkmcnt(0)
	s_ashr_i32 s13, s12, 31
	s_lshl_b64 s[4:5], s[4:5], 2
	s_add_u32 s10, s10, s4
	s_addc_u32 s11, s11, s5
	s_lshl_b64 s[4:5], s[12:13], 2
	s_add_u32 s12, s10, s4
	s_addc_u32 s13, s11, s5
.LBB2_3:
	s_load_dwordx4 s[16:19], s[0:1], 0x0
	s_load_dword s10, s[0:1], 0x38
	s_mul_i32 s4, s8, s3
	s_mul_hi_u32 s5, s8, s2
	s_add_i32 s4, s5, s4
	s_mul_i32 s5, s9, s2
	s_add_i32 s5, s4, s5
	s_mul_i32 s4, s8, s2
	s_waitcnt lgkmcnt(0)
	s_ashr_i32 s1, s18, 31
	s_lshl_b64 s[4:5], s[4:5], 3
	s_mov_b32 s0, s18
	s_add_u32 s4, s16, s4
	s_addc_u32 s5, s17, s5
	s_lshl_b64 s[0:1], s[0:1], 3
	s_add_u32 s0, s4, s0
	s_addc_u32 s1, s5, s1
	v_lshlrev_b32_e32 v2, 3, v0
	v_mov_b32_e32 v3, 0
	v_lshl_add_u64 v[4:5], s[0:1], 0, v[2:3]
	s_ashr_i32 s5, s19, 31
	s_mov_b32 s4, s19
	v_lshl_add_u64 v[6:7], s[4:5], 3, v[4:5]
	s_add_i32 s4, s19, s19
	v_add_u32_e32 v8, s4, v0
	v_ashrrev_i32_e32 v9, 31, v8
	global_load_dwordx2 v[12:13], v2, s[0:1]
	v_lshl_add_u64 v[8:9], v[8:9], 3, s[0:1]
	global_load_dwordx2 v[14:15], v[6:7], off
	global_load_dwordx2 v[10:11], v[8:9], off
	s_bitcmp0_b32 s10, 0
	s_mov_b64 s[4:5], -1
	s_waitcnt vmcnt(1)
	scratch_store_dwordx4 off, v[12:15], off
	s_waitcnt vmcnt(1)
	scratch_store_dwordx2 off, v[10:11], off offset:16
	s_cbranch_scc1 .LBB2_24
; %bb.4:
	v_cmp_eq_u32_e64 s[0:1], 0, v0
	s_and_saveexec_b64 s[4:5], s[0:1]
; %bb.5:
	v_mov_b32_e32 v1, 0
	ds_write_b32 v1, v1 offset:24
; %bb.6:
	s_or_b64 exec, exec, s[4:5]
	s_waitcnt lgkmcnt(0)
	; wave barrier
	scratch_load_dwordx2 v[10:11], v2, off
	s_waitcnt vmcnt(0)
	v_cmp_eq_f32_e32 vcc, 0, v10
	v_cmp_eq_f32_e64 s[4:5], 0, v11
	s_and_b64 s[4:5], vcc, s[4:5]
	s_and_saveexec_b64 s[8:9], s[4:5]
	s_cbranch_execz .LBB2_10
; %bb.7:
	v_mov_b32_e32 v1, 0
	ds_read_b32 v10, v1 offset:24
	v_add_u32_e32 v3, 1, v0
	s_waitcnt lgkmcnt(0)
	v_readfirstlane_b32 s4, v10
	s_cmp_eq_u32 s4, 0
	s_cselect_b64 s[10:11], -1, 0
	v_cmp_gt_i32_e32 vcc, s4, v3
	s_or_b64 s[10:11], s[10:11], vcc
	s_and_b64 exec, exec, s[10:11]
	s_cbranch_execz .LBB2_10
; %bb.8:
	s_mov_b64 s[10:11], 0
	v_mov_b32_e32 v10, s4
.LBB2_9:                                ; =>This Inner Loop Header: Depth=1
	ds_cmpst_rtn_b32 v10, v1, v10, v3 offset:24
	s_waitcnt lgkmcnt(0)
	v_cmp_ne_u32_e32 vcc, 0, v10
	v_cmp_le_i32_e64 s[4:5], v10, v3
	s_and_b64 s[4:5], vcc, s[4:5]
	s_and_b64 s[4:5], exec, s[4:5]
	s_or_b64 s[10:11], s[4:5], s[10:11]
	s_andn2_b64 exec, exec, s[10:11]
	s_cbranch_execnz .LBB2_9
.LBB2_10:
	s_or_b64 exec, exec, s[8:9]
	v_mov_b32_e32 v3, 0
	; wave barrier
	ds_read_b32 v1, v3 offset:24
	s_and_saveexec_b64 s[4:5], s[0:1]
	s_cbranch_execz .LBB2_12
; %bb.11:
	s_lshl_b64 s[8:9], s[2:3], 2
	s_add_u32 s8, s6, s8
	s_addc_u32 s9, s7, s9
	s_waitcnt lgkmcnt(0)
	global_store_dword v3, v1, s[8:9]
.LBB2_12:
	s_or_b64 exec, exec, s[4:5]
	s_waitcnt lgkmcnt(0)
	v_cmp_ne_u32_e32 vcc, 0, v1
	s_mov_b64 s[4:5], 0
	s_cbranch_vccnz .LBB2_24
; %bb.13:
	v_mov_b32_e32 v1, v2
	scratch_load_dwordx2 v[10:11], v1, off
                                        ; implicit-def: $vgpr13
                                        ; implicit-def: $vgpr14
	s_waitcnt vmcnt(0)
	v_cmp_ngt_f32_e64 s[4:5], |v10|, |v11|
	s_and_saveexec_b64 s[8:9], s[4:5]
	s_xor_b64 s[4:5], exec, s[8:9]
	s_cbranch_execz .LBB2_15
; %bb.14:
	v_div_scale_f32 v3, s[8:9], v11, v11, v10
	v_rcp_f32_e32 v12, v3
	v_div_scale_f32 v13, vcc, v10, v11, v10
	v_fma_f32 v14, -v3, v12, 1.0
	v_fmac_f32_e32 v12, v14, v12
	v_mul_f32_e32 v14, v13, v12
	v_fma_f32 v15, -v3, v14, v13
	v_fmac_f32_e32 v14, v15, v12
	v_fma_f32 v3, -v3, v14, v13
	v_div_fmas_f32 v3, v3, v12, v14
	v_div_fixup_f32 v3, v3, v11, v10
	v_fmac_f32_e32 v11, v10, v3
	v_div_scale_f32 v10, s[8:9], v11, v11, -1.0
	v_rcp_f32_e32 v12, v10
	s_nop 0
	v_fma_f32 v13, -v10, v12, 1.0
	v_fmac_f32_e32 v12, v13, v12
	v_div_scale_f32 v13, vcc, -1.0, v11, -1.0
	v_mul_f32_e32 v14, v13, v12
	v_fma_f32 v15, -v10, v14, v13
	v_fmac_f32_e32 v14, v15, v12
	v_fma_f32 v10, -v10, v14, v13
	v_div_fmas_f32 v10, v10, v12, v14
	v_div_fixup_f32 v13, v10, v11, -1.0
	v_mul_f32_e32 v14, v3, v13
	v_xor_b32_e32 v12, 0x80000000, v14
                                        ; implicit-def: $vgpr10_vgpr11
.LBB2_15:
	s_andn2_saveexec_b64 s[4:5], s[4:5]
	s_cbranch_execz .LBB2_17
; %bb.16:
	v_div_scale_f32 v3, s[8:9], v10, v10, v11
	v_rcp_f32_e32 v12, v3
	v_div_scale_f32 v13, vcc, v11, v10, v11
	v_fma_f32 v14, -v3, v12, 1.0
	v_fmac_f32_e32 v12, v14, v12
	v_mul_f32_e32 v14, v13, v12
	v_fma_f32 v15, -v3, v14, v13
	v_fmac_f32_e32 v14, v15, v12
	v_fma_f32 v3, -v3, v14, v13
	v_div_fmas_f32 v3, v3, v12, v14
	v_div_fixup_f32 v3, v3, v10, v11
	v_fmac_f32_e32 v10, v11, v3
	v_div_scale_f32 v11, s[8:9], v10, v10, 1.0
	v_rcp_f32_e32 v12, v11
	s_nop 0
	v_fma_f32 v13, -v11, v12, 1.0
	v_fmac_f32_e32 v12, v13, v12
	v_div_scale_f32 v13, vcc, 1.0, v10, 1.0
	v_mul_f32_e32 v14, v13, v12
	v_fma_f32 v15, -v11, v14, v13
	v_fmac_f32_e32 v14, v15, v12
	v_fma_f32 v11, -v11, v14, v13
	v_div_fmas_f32 v11, v11, v12, v14
	v_div_fixup_f32 v12, v11, v10, 1.0
	v_xor_b32_e32 v14, 0x80000000, v12
	v_mul_f32_e64 v13, v3, -v12
.LBB2_17:
	s_or_b64 exec, exec, s[4:5]
	scratch_store_dwordx2 v1, v[12:13], off
	scratch_load_dwordx2 v[10:11], off, off offset:8
	v_xor_b32_e32 v15, 0x80000000, v13
	v_add_u32_e32 v3, 32, v2
	s_waitcnt vmcnt(0)
	ds_write2_b64 v2, v[14:15], v[10:11] offset1:4
	s_waitcnt lgkmcnt(0)
	; wave barrier
	s_and_saveexec_b64 s[4:5], s[0:1]
	s_cbranch_execz .LBB2_19
; %bb.18:
	scratch_load_dwordx2 v[10:11], v1, off
	ds_read_b64 v[12:13], v3
	v_mov_b32_e32 v2, 0
	ds_read_b64 v[14:15], v2 offset:8
	s_waitcnt vmcnt(0) lgkmcnt(1)
	v_pk_mul_f32 v[16:17], v[12:13], v[10:11] op_sel:[1,1] op_sel_hi:[0,1]
	v_pk_fma_f32 v[18:19], v[12:13], v[10:11], v[16:17] neg_lo:[0,0,1] neg_hi:[0,0,1]
	v_pk_fma_f32 v[10:11], v[12:13], v[10:11], v[16:17] op_sel_hi:[1,0,1]
	s_nop 0
	v_mov_b32_e32 v19, v11
	v_pk_add_f32 v[10:11], v[18:19], 0 op_sel_hi:[1,0]
	s_waitcnt lgkmcnt(0)
	v_pk_mul_f32 v[12:13], v[10:11], v[14:15] op_sel:[1,1] op_sel_hi:[0,1]
	v_pk_fma_f32 v[16:17], v[10:11], v[14:15], v[12:13] neg_lo:[0,0,1] neg_hi:[0,0,1]
	v_pk_fma_f32 v[10:11], v[10:11], v[14:15], v[12:13] op_sel_hi:[1,0,1]
	s_nop 0
	v_mov_b32_e32 v17, v11
	scratch_store_dwordx2 off, v[16:17], off offset:8
.LBB2_19:
	s_or_b64 exec, exec, s[4:5]
	; wave barrier
	scratch_load_dwordx2 v[10:11], off, off offset:16
	v_cmp_ne_u32_e32 vcc, 2, v0
	s_waitcnt vmcnt(0)
	ds_write_b64 v3, v[10:11]
	s_waitcnt lgkmcnt(0)
	; wave barrier
	s_and_saveexec_b64 s[4:5], vcc
	s_cbranch_execz .LBB2_23
; %bb.20:
	scratch_load_dwordx2 v[10:11], v1, off
	ds_read_b64 v[2:3], v3
	s_waitcnt vmcnt(0) lgkmcnt(0)
	v_pk_mul_f32 v[12:13], v[2:3], v[10:11] op_sel:[1,1] op_sel_hi:[0,1]
	v_pk_fma_f32 v[14:15], v[2:3], v[10:11], v[12:13] neg_lo:[0,0,1] neg_hi:[0,0,1]
	v_pk_fma_f32 v[2:3], v[2:3], v[10:11], v[12:13] op_sel_hi:[1,0,1]
	s_nop 0
	v_mov_b32_e32 v15, v3
	v_pk_add_f32 v[2:3], v[14:15], 0 op_sel_hi:[1,0]
	s_and_saveexec_b64 s[8:9], s[0:1]
	s_cbranch_execz .LBB2_22
; %bb.21:
	scratch_load_dwordx2 v[10:11], off, off offset:8
	v_mov_b32_e32 v1, 0
	ds_read_b64 v[12:13], v1 offset:40
	s_waitcnt vmcnt(0) lgkmcnt(0)
	v_pk_mul_f32 v[14:15], v[12:13], v[10:11] op_sel:[1,1] op_sel_hi:[0,1]
	v_pk_fma_f32 v[16:17], v[12:13], v[10:11], v[14:15] neg_lo:[0,0,1] neg_hi:[0,0,1]
	v_pk_fma_f32 v[10:11], v[12:13], v[10:11], v[14:15] op_sel_hi:[1,0,1]
	s_nop 0
	v_mov_b32_e32 v17, v11
	v_pk_add_f32 v[2:3], v[2:3], v[16:17]
.LBB2_22:
	s_or_b64 exec, exec, s[8:9]
	v_mov_b32_e32 v1, 0
	ds_read_b64 v[10:11], v1 offset:16
	s_waitcnt lgkmcnt(0)
	v_pk_mul_f32 v[12:13], v[2:3], v[10:11] op_sel:[1,1] op_sel_hi:[0,1]
	v_pk_fma_f32 v[14:15], v[2:3], v[10:11], v[12:13] neg_lo:[0,0,1] neg_hi:[0,0,1]
	v_pk_fma_f32 v[2:3], v[2:3], v[10:11], v[12:13] op_sel_hi:[1,0,1]
	s_nop 0
	v_mov_b32_e32 v15, v3
	scratch_store_dwordx2 off, v[14:15], off offset:16
.LBB2_23:
	s_or_b64 exec, exec, s[4:5]
	s_mov_b64 s[4:5], -1
	; wave barrier
.LBB2_24:
	s_and_b64 vcc, exec, s[4:5]
	s_cbranch_vccz .LBB2_26
; %bb.25:
	s_lshl_b64 s[0:1], s[2:3], 2
	s_add_u32 s0, s6, s0
	s_addc_u32 s1, s7, s1
	v_mov_b32_e32 v1, 0
	global_load_dword v1, v1, s[0:1]
	s_waitcnt vmcnt(0)
	v_cmp_ne_u32_e32 vcc, 0, v1
	s_cbranch_vccz .LBB2_27
.LBB2_26:
	s_endpgm
.LBB2_27:
	v_lshl_add_u32 v1, v0, 3, 32
	v_cmp_eq_u32_e32 vcc, 2, v0
	s_and_saveexec_b64 s[0:1], vcc
	s_cbranch_execz .LBB2_29
; %bb.28:
	scratch_load_dwordx2 v[2:3], off, off offset:8
	v_mov_b32_e32 v10, 0
	v_mov_b32_e32 v11, v10
	scratch_store_dwordx2 off, v[10:11], off offset:8
	s_waitcnt vmcnt(1)
	ds_write_b64 v1, v[2:3]
.LBB2_29:
	s_or_b64 exec, exec, s[0:1]
	s_waitcnt lgkmcnt(0)
	; wave barrier
	scratch_load_dwordx2 v[2:3], off, off offset:16
	scratch_load_dwordx2 v[12:13], off, off offset:8
	v_mov_b32_e32 v10, 0
	ds_read_b64 v[14:15], v10 offset:48
	v_cmp_ne_u32_e32 vcc, 0, v0
	s_waitcnt vmcnt(1) lgkmcnt(0)
	v_pk_mul_f32 v[16:17], v[14:15], v[2:3] op_sel:[1,1] op_sel_hi:[0,1]
	v_pk_fma_f32 v[18:19], v[14:15], v[2:3], v[16:17] neg_lo:[0,0,1] neg_hi:[0,0,1]
	v_pk_fma_f32 v[2:3], v[14:15], v[2:3], v[16:17] op_sel_hi:[1,0,1]
	s_nop 0
	v_mov_b32_e32 v19, v3
	v_pk_add_f32 v[2:3], v[18:19], 0 op_sel_hi:[1,0]
	s_waitcnt vmcnt(0)
	v_pk_add_f32 v[2:3], v[12:13], v[2:3] neg_lo:[0,1] neg_hi:[0,1]
	scratch_store_dwordx2 off, v[2:3], off offset:8
	s_and_saveexec_b64 s[0:1], vcc
	s_cbranch_execz .LBB2_31
; %bb.30:
	scratch_load_dwordx2 v[2:3], off, off
	v_mov_b32_e32 v11, v10
	scratch_store_dwordx2 off, v[10:11], off
	s_waitcnt vmcnt(1)
	ds_write_b64 v1, v[2:3]
.LBB2_31:
	s_or_b64 exec, exec, s[0:1]
	s_waitcnt lgkmcnt(0)
	; wave barrier
	scratch_load_dwordx4 v[0:3], off, off offset:8
	scratch_load_dwordx2 v[14:15], off, off
	ds_read2_b64 v[10:13], v10 offset0:5 offset1:6
	s_and_b64 vcc, exec, s[14:15]
	s_waitcnt vmcnt(1) lgkmcnt(0)
	v_pk_mul_f32 v[16:17], v[10:11], v[0:1] op_sel:[1,1] op_sel_hi:[0,1]
	v_mov_b32_e32 v18, v3
	v_pk_fma_f32 v[20:21], v[10:11], v[0:1], v[16:17] neg_lo:[0,0,1] neg_hi:[0,0,1]
	v_pk_fma_f32 v[10:11], v[10:11], v[0:1], v[16:17] op_sel_hi:[1,0,1]
	v_pk_mul_f32 v[16:17], v[12:13], v[18:19] op_sel:[1,0] op_sel_hi:[0,0]
	v_mov_b32_e32 v21, v11
	v_pk_fma_f32 v[10:11], v[12:13], v[2:3], v[16:17] neg_lo:[0,0,1] neg_hi:[0,0,1]
	v_pk_fma_f32 v[2:3], v[12:13], v[2:3], v[16:17] op_sel_hi:[1,0,1]
	v_pk_add_f32 v[12:13], v[20:21], 0 op_sel_hi:[1,0]
	v_mov_b32_e32 v11, v3
	v_pk_add_f32 v[2:3], v[12:13], v[10:11]
	s_waitcnt vmcnt(0)
	v_pk_add_f32 v[2:3], v[14:15], v[2:3] neg_lo:[0,1] neg_hi:[0,1]
	scratch_store_dwordx2 off, v[2:3], off
	s_cbranch_vccz .LBB2_36
; %bb.32:
	v_mov_b32_e32 v10, 0
	global_load_dword v11, v10, s[12:13] offset:4
	s_waitcnt vmcnt(0)
	v_readfirstlane_b32 s0, v11
	s_add_i32 s0, s0, -1
	s_cmp_lg_u32 s0, 1
	s_cbranch_scc0 .LBB2_34
; %bb.33:
	s_lshl_b32 s0, s0, 3
	s_nop 0
	scratch_load_dwordx2 v[2:3], off, s0
	s_waitcnt vmcnt(0)
	scratch_store_dwordx2 off, v[2:3], off offset:8
	scratch_store_dwordx2 off, v[0:1], s0
	scratch_load_dwordx2 v[2:3], off, off
.LBB2_34:
	s_nop 0
	global_load_dword v0, v10, s[12:13]
	s_waitcnt vmcnt(0)
	v_readfirstlane_b32 s0, v0
	s_add_i32 s0, s0, -1
	s_cmp_eq_u32 s0, 0
	s_cbranch_scc1 .LBB2_36
; %bb.35:
	s_lshl_b32 s0, s0, 3
	s_nop 0
	scratch_load_dwordx2 v[0:1], off, s0
	s_waitcnt vmcnt(0)
	scratch_store_dwordx2 off, v[0:1], off
	scratch_store_dwordx2 off, v[2:3], s0
	scratch_load_dwordx2 v[2:3], off, off
.LBB2_36:
	s_nop 0
	scratch_load_dwordx4 v[10:13], off, off offset:8
	s_waitcnt vmcnt(1)
	global_store_dwordx2 v[4:5], v[2:3], off
	s_waitcnt vmcnt(1)
	global_store_dwordx2 v[6:7], v[10:11], off
	global_store_dwordx2 v[8:9], v[12:13], off
	s_endpgm
	.section	.rodata,"a",@progbits
	.p2align	6, 0x0
	.amdhsa_kernel _ZN9rocsolver6v33100L18getri_kernel_smallILi3E19rocblas_complex_numIfEPS3_EEvT1_iilPiilS6_bb
		.amdhsa_group_segment_fixed_size 56
		.amdhsa_private_segment_fixed_size 32
		.amdhsa_kernarg_size 60
		.amdhsa_user_sgpr_count 2
		.amdhsa_user_sgpr_dispatch_ptr 0
		.amdhsa_user_sgpr_queue_ptr 0
		.amdhsa_user_sgpr_kernarg_segment_ptr 1
		.amdhsa_user_sgpr_dispatch_id 0
		.amdhsa_user_sgpr_kernarg_preload_length 0
		.amdhsa_user_sgpr_kernarg_preload_offset 0
		.amdhsa_user_sgpr_private_segment_size 0
		.amdhsa_uses_dynamic_stack 0
		.amdhsa_enable_private_segment 1
		.amdhsa_system_sgpr_workgroup_id_x 1
		.amdhsa_system_sgpr_workgroup_id_y 0
		.amdhsa_system_sgpr_workgroup_id_z 0
		.amdhsa_system_sgpr_workgroup_info 0
		.amdhsa_system_vgpr_workitem_id 0
		.amdhsa_next_free_vgpr 22
		.amdhsa_next_free_sgpr 20
		.amdhsa_accum_offset 24
		.amdhsa_reserve_vcc 1
		.amdhsa_float_round_mode_32 0
		.amdhsa_float_round_mode_16_64 0
		.amdhsa_float_denorm_mode_32 3
		.amdhsa_float_denorm_mode_16_64 3
		.amdhsa_dx10_clamp 1
		.amdhsa_ieee_mode 1
		.amdhsa_fp16_overflow 0
		.amdhsa_tg_split 0
		.amdhsa_exception_fp_ieee_invalid_op 0
		.amdhsa_exception_fp_denorm_src 0
		.amdhsa_exception_fp_ieee_div_zero 0
		.amdhsa_exception_fp_ieee_overflow 0
		.amdhsa_exception_fp_ieee_underflow 0
		.amdhsa_exception_fp_ieee_inexact 0
		.amdhsa_exception_int_div_zero 0
	.end_amdhsa_kernel
	.section	.text._ZN9rocsolver6v33100L18getri_kernel_smallILi3E19rocblas_complex_numIfEPS3_EEvT1_iilPiilS6_bb,"axG",@progbits,_ZN9rocsolver6v33100L18getri_kernel_smallILi3E19rocblas_complex_numIfEPS3_EEvT1_iilPiilS6_bb,comdat
.Lfunc_end2:
	.size	_ZN9rocsolver6v33100L18getri_kernel_smallILi3E19rocblas_complex_numIfEPS3_EEvT1_iilPiilS6_bb, .Lfunc_end2-_ZN9rocsolver6v33100L18getri_kernel_smallILi3E19rocblas_complex_numIfEPS3_EEvT1_iilPiilS6_bb
                                        ; -- End function
	.set _ZN9rocsolver6v33100L18getri_kernel_smallILi3E19rocblas_complex_numIfEPS3_EEvT1_iilPiilS6_bb.num_vgpr, 22
	.set _ZN9rocsolver6v33100L18getri_kernel_smallILi3E19rocblas_complex_numIfEPS3_EEvT1_iilPiilS6_bb.num_agpr, 0
	.set _ZN9rocsolver6v33100L18getri_kernel_smallILi3E19rocblas_complex_numIfEPS3_EEvT1_iilPiilS6_bb.numbered_sgpr, 20
	.set _ZN9rocsolver6v33100L18getri_kernel_smallILi3E19rocblas_complex_numIfEPS3_EEvT1_iilPiilS6_bb.num_named_barrier, 0
	.set _ZN9rocsolver6v33100L18getri_kernel_smallILi3E19rocblas_complex_numIfEPS3_EEvT1_iilPiilS6_bb.private_seg_size, 32
	.set _ZN9rocsolver6v33100L18getri_kernel_smallILi3E19rocblas_complex_numIfEPS3_EEvT1_iilPiilS6_bb.uses_vcc, 1
	.set _ZN9rocsolver6v33100L18getri_kernel_smallILi3E19rocblas_complex_numIfEPS3_EEvT1_iilPiilS6_bb.uses_flat_scratch, 0
	.set _ZN9rocsolver6v33100L18getri_kernel_smallILi3E19rocblas_complex_numIfEPS3_EEvT1_iilPiilS6_bb.has_dyn_sized_stack, 0
	.set _ZN9rocsolver6v33100L18getri_kernel_smallILi3E19rocblas_complex_numIfEPS3_EEvT1_iilPiilS6_bb.has_recursion, 0
	.set _ZN9rocsolver6v33100L18getri_kernel_smallILi3E19rocblas_complex_numIfEPS3_EEvT1_iilPiilS6_bb.has_indirect_call, 0
	.section	.AMDGPU.csdata,"",@progbits
; Kernel info:
; codeLenInByte = 1932
; TotalNumSgprs: 26
; NumVgprs: 22
; NumAgprs: 0
; TotalNumVgprs: 22
; ScratchSize: 32
; MemoryBound: 0
; FloatMode: 240
; IeeeMode: 1
; LDSByteSize: 56 bytes/workgroup (compile time only)
; SGPRBlocks: 3
; VGPRBlocks: 2
; NumSGPRsForWavesPerEU: 26
; NumVGPRsForWavesPerEU: 22
; AccumOffset: 24
; Occupancy: 8
; WaveLimiterHint : 0
; COMPUTE_PGM_RSRC2:SCRATCH_EN: 1
; COMPUTE_PGM_RSRC2:USER_SGPR: 2
; COMPUTE_PGM_RSRC2:TRAP_HANDLER: 0
; COMPUTE_PGM_RSRC2:TGID_X_EN: 1
; COMPUTE_PGM_RSRC2:TGID_Y_EN: 0
; COMPUTE_PGM_RSRC2:TGID_Z_EN: 0
; COMPUTE_PGM_RSRC2:TIDIG_COMP_CNT: 0
; COMPUTE_PGM_RSRC3_GFX90A:ACCUM_OFFSET: 5
; COMPUTE_PGM_RSRC3_GFX90A:TG_SPLIT: 0
	.section	.text._ZN9rocsolver6v33100L18getri_kernel_smallILi4E19rocblas_complex_numIfEPS3_EEvT1_iilPiilS6_bb,"axG",@progbits,_ZN9rocsolver6v33100L18getri_kernel_smallILi4E19rocblas_complex_numIfEPS3_EEvT1_iilPiilS6_bb,comdat
	.globl	_ZN9rocsolver6v33100L18getri_kernel_smallILi4E19rocblas_complex_numIfEPS3_EEvT1_iilPiilS6_bb ; -- Begin function _ZN9rocsolver6v33100L18getri_kernel_smallILi4E19rocblas_complex_numIfEPS3_EEvT1_iilPiilS6_bb
	.p2align	8
	.type	_ZN9rocsolver6v33100L18getri_kernel_smallILi4E19rocblas_complex_numIfEPS3_EEvT1_iilPiilS6_bb,@function
_ZN9rocsolver6v33100L18getri_kernel_smallILi4E19rocblas_complex_numIfEPS3_EEvT1_iilPiilS6_bb: ; @_ZN9rocsolver6v33100L18getri_kernel_smallILi4E19rocblas_complex_numIfEPS3_EEvT1_iilPiilS6_bb
; %bb.0:
	v_cmp_gt_u32_e32 vcc, 4, v0
	s_and_saveexec_b64 s[4:5], vcc
	s_cbranch_execz .LBB3_30
; %bb.1:
	s_load_dword s12, s[0:1], 0x38
	s_load_dwordx4 s[8:11], s[0:1], 0x10
	s_load_dwordx4 s[4:7], s[0:1], 0x28
                                        ; implicit-def: $sgpr16_sgpr17
	s_waitcnt lgkmcnt(0)
	s_bitcmp1_b32 s12, 8
	s_cselect_b64 s[18:19], -1, 0
	s_ashr_i32 s3, s2, 31
	s_bfe_u32 s12, s12, 0x10008
	s_cmp_eq_u32 s12, 0
	s_cbranch_scc1 .LBB3_3
; %bb.2:
	s_load_dword s12, s[0:1], 0x20
	s_mul_i32 s13, s4, s3
	s_mul_hi_u32 s14, s4, s2
	s_mul_i32 s5, s5, s2
	s_add_i32 s14, s14, s13
	s_add_i32 s5, s14, s5
	s_mul_i32 s4, s4, s2
	s_waitcnt lgkmcnt(0)
	s_ashr_i32 s13, s12, 31
	s_lshl_b64 s[4:5], s[4:5], 2
	s_add_u32 s10, s10, s4
	s_addc_u32 s11, s11, s5
	s_lshl_b64 s[4:5], s[12:13], 2
	s_add_u32 s16, s10, s4
	s_addc_u32 s17, s11, s5
.LBB3_3:
	s_load_dwordx4 s[12:15], s[0:1], 0x0
	s_load_dword s10, s[0:1], 0x38
	s_mul_i32 s4, s8, s3
	s_mul_hi_u32 s5, s8, s2
	s_add_i32 s4, s5, s4
	s_mul_i32 s5, s9, s2
	s_add_i32 s5, s4, s5
	s_mul_i32 s4, s8, s2
	s_waitcnt lgkmcnt(0)
	s_ashr_i32 s1, s14, 31
	s_lshl_b64 s[4:5], s[4:5], 3
	s_mov_b32 s0, s14
	s_add_u32 s4, s12, s4
	s_addc_u32 s5, s13, s5
	s_lshl_b64 s[0:1], s[0:1], 3
	s_add_u32 s0, s4, s0
	s_addc_u32 s1, s5, s1
	v_lshlrev_b32_e32 v2, 3, v0
	v_mov_b32_e32 v3, 0
	v_lshl_add_u64 v[4:5], s[0:1], 0, v[2:3]
	s_ashr_i32 s5, s15, 31
	s_mov_b32 s4, s15
	v_lshl_add_u64 v[6:7], s[4:5], 3, v[4:5]
	s_add_i32 s4, s15, s15
	v_add_u32_e32 v10, s4, v0
	v_ashrrev_i32_e32 v11, 31, v10
	v_lshl_add_u64 v[8:9], v[10:11], 3, s[0:1]
	v_add_u32_e32 v10, s15, v10
	v_ashrrev_i32_e32 v11, 31, v10
	global_load_dwordx2 v[12:13], v2, s[0:1]
	v_lshl_add_u64 v[10:11], v[10:11], 3, s[0:1]
	global_load_dwordx2 v[14:15], v[6:7], off
	global_load_dwordx2 v[16:17], v[8:9], off
	;; [unrolled: 1-line block ×3, first 2 shown]
	s_bitcmp0_b32 s10, 0
	s_mov_b64 s[4:5], -1
	s_waitcnt vmcnt(2)
	scratch_store_dwordx4 off, v[12:15], off
	s_waitcnt vmcnt(1)
	scratch_store_dwordx4 off, v[16:19], off offset:16
	s_cbranch_scc1 .LBB3_28
; %bb.4:
	v_cmp_eq_u32_e64 s[0:1], 0, v0
	s_and_saveexec_b64 s[4:5], s[0:1]
; %bb.5:
	v_mov_b32_e32 v1, 0
	ds_write_b32 v1, v1 offset:64
; %bb.6:
	s_or_b64 exec, exec, s[4:5]
	s_waitcnt lgkmcnt(0)
	; wave barrier
	scratch_load_dwordx2 v[12:13], v2, off
	s_waitcnt vmcnt(0)
	v_cmp_eq_f32_e32 vcc, 0, v12
	v_cmp_eq_f32_e64 s[4:5], 0, v13
	s_and_b64 s[4:5], vcc, s[4:5]
	s_and_saveexec_b64 s[8:9], s[4:5]
	s_cbranch_execz .LBB3_10
; %bb.7:
	v_mov_b32_e32 v1, 0
	ds_read_b32 v12, v1 offset:64
	v_add_u32_e32 v3, 1, v0
	s_waitcnt lgkmcnt(0)
	v_readfirstlane_b32 s4, v12
	s_cmp_eq_u32 s4, 0
	s_cselect_b64 s[10:11], -1, 0
	v_cmp_gt_i32_e32 vcc, s4, v3
	s_or_b64 s[10:11], s[10:11], vcc
	s_and_b64 exec, exec, s[10:11]
	s_cbranch_execz .LBB3_10
; %bb.8:
	s_mov_b64 s[10:11], 0
	v_mov_b32_e32 v12, s4
.LBB3_9:                                ; =>This Inner Loop Header: Depth=1
	ds_cmpst_rtn_b32 v12, v1, v12, v3 offset:64
	s_waitcnt lgkmcnt(0)
	v_cmp_ne_u32_e32 vcc, 0, v12
	v_cmp_le_i32_e64 s[4:5], v12, v3
	s_and_b64 s[4:5], vcc, s[4:5]
	s_and_b64 s[4:5], exec, s[4:5]
	s_or_b64 s[10:11], s[4:5], s[10:11]
	s_andn2_b64 exec, exec, s[10:11]
	s_cbranch_execnz .LBB3_9
.LBB3_10:
	s_or_b64 exec, exec, s[8:9]
	v_mov_b32_e32 v3, 0
	; wave barrier
	ds_read_b32 v1, v3 offset:64
	s_and_saveexec_b64 s[4:5], s[0:1]
	s_cbranch_execz .LBB3_12
; %bb.11:
	s_lshl_b64 s[8:9], s[2:3], 2
	s_add_u32 s8, s6, s8
	s_addc_u32 s9, s7, s9
	s_waitcnt lgkmcnt(0)
	global_store_dword v3, v1, s[8:9]
.LBB3_12:
	s_or_b64 exec, exec, s[4:5]
	s_waitcnt lgkmcnt(0)
	v_cmp_ne_u32_e32 vcc, 0, v1
	s_mov_b64 s[4:5], 0
	s_cbranch_vccnz .LBB3_28
; %bb.13:
	v_mov_b32_e32 v1, v2
	scratch_load_dwordx2 v[12:13], v1, off
                                        ; implicit-def: $vgpr15
                                        ; implicit-def: $vgpr16
	s_waitcnt vmcnt(0)
	v_cmp_ngt_f32_e64 s[4:5], |v12|, |v13|
	s_and_saveexec_b64 s[8:9], s[4:5]
	s_xor_b64 s[4:5], exec, s[8:9]
	s_cbranch_execz .LBB3_15
; %bb.14:
	v_div_scale_f32 v3, s[8:9], v13, v13, v12
	v_rcp_f32_e32 v14, v3
	v_div_scale_f32 v15, vcc, v12, v13, v12
	v_fma_f32 v16, -v3, v14, 1.0
	v_fmac_f32_e32 v14, v16, v14
	v_mul_f32_e32 v16, v15, v14
	v_fma_f32 v17, -v3, v16, v15
	v_fmac_f32_e32 v16, v17, v14
	v_fma_f32 v3, -v3, v16, v15
	v_div_fmas_f32 v3, v3, v14, v16
	v_div_fixup_f32 v3, v3, v13, v12
	v_fmac_f32_e32 v13, v12, v3
	v_div_scale_f32 v12, s[8:9], v13, v13, -1.0
	v_rcp_f32_e32 v14, v12
	s_nop 0
	v_fma_f32 v15, -v12, v14, 1.0
	v_fmac_f32_e32 v14, v15, v14
	v_div_scale_f32 v15, vcc, -1.0, v13, -1.0
	v_mul_f32_e32 v16, v15, v14
	v_fma_f32 v17, -v12, v16, v15
	v_fmac_f32_e32 v16, v17, v14
	v_fma_f32 v12, -v12, v16, v15
	v_div_fmas_f32 v12, v12, v14, v16
	v_div_fixup_f32 v15, v12, v13, -1.0
	v_mul_f32_e32 v16, v3, v15
	v_xor_b32_e32 v14, 0x80000000, v16
                                        ; implicit-def: $vgpr12_vgpr13
.LBB3_15:
	s_andn2_saveexec_b64 s[4:5], s[4:5]
	s_cbranch_execz .LBB3_17
; %bb.16:
	v_div_scale_f32 v3, s[8:9], v12, v12, v13
	v_rcp_f32_e32 v14, v3
	v_div_scale_f32 v15, vcc, v13, v12, v13
	v_fma_f32 v16, -v3, v14, 1.0
	v_fmac_f32_e32 v14, v16, v14
	v_mul_f32_e32 v16, v15, v14
	v_fma_f32 v17, -v3, v16, v15
	v_fmac_f32_e32 v16, v17, v14
	v_fma_f32 v3, -v3, v16, v15
	v_div_fmas_f32 v3, v3, v14, v16
	v_div_fixup_f32 v3, v3, v12, v13
	v_fmac_f32_e32 v12, v13, v3
	v_div_scale_f32 v13, s[8:9], v12, v12, 1.0
	v_rcp_f32_e32 v14, v13
	s_nop 0
	v_fma_f32 v15, -v13, v14, 1.0
	v_fmac_f32_e32 v14, v15, v14
	v_div_scale_f32 v15, vcc, 1.0, v12, 1.0
	v_mul_f32_e32 v16, v15, v14
	v_fma_f32 v17, -v13, v16, v15
	v_fmac_f32_e32 v16, v17, v14
	v_fma_f32 v13, -v13, v16, v15
	v_div_fmas_f32 v13, v13, v14, v16
	v_div_fixup_f32 v14, v13, v12, 1.0
	v_xor_b32_e32 v16, 0x80000000, v14
	v_mul_f32_e64 v15, v3, -v14
.LBB3_17:
	s_or_b64 exec, exec, s[4:5]
	scratch_store_dwordx2 v1, v[14:15], off
	scratch_load_dwordx2 v[12:13], off, off offset:8
	v_xor_b32_e32 v17, 0x80000000, v15
	v_add_u32_e32 v14, 32, v2
	s_waitcnt vmcnt(0)
	ds_write2_b64 v2, v[16:17], v[12:13] offset1:4
	s_waitcnt lgkmcnt(0)
	; wave barrier
	s_and_saveexec_b64 s[4:5], s[0:1]
	s_cbranch_execz .LBB3_19
; %bb.18:
	scratch_load_dwordx2 v[12:13], v1, off
	ds_read_b64 v[16:17], v14
	v_mov_b32_e32 v3, 0
	ds_read_b64 v[18:19], v3 offset:8
	s_waitcnt vmcnt(0) lgkmcnt(1)
	v_pk_mul_f32 v[20:21], v[16:17], v[12:13] op_sel:[1,1] op_sel_hi:[0,1]
	v_pk_fma_f32 v[22:23], v[16:17], v[12:13], v[20:21] neg_lo:[0,0,1] neg_hi:[0,0,1]
	v_pk_fma_f32 v[12:13], v[16:17], v[12:13], v[20:21] op_sel_hi:[1,0,1]
	s_nop 0
	v_mov_b32_e32 v23, v13
	v_pk_add_f32 v[12:13], v[22:23], 0 op_sel_hi:[1,0]
	s_waitcnt lgkmcnt(0)
	v_pk_mul_f32 v[16:17], v[12:13], v[18:19] op_sel:[1,1] op_sel_hi:[0,1]
	v_pk_fma_f32 v[20:21], v[12:13], v[18:19], v[16:17] neg_lo:[0,0,1] neg_hi:[0,0,1]
	v_pk_fma_f32 v[12:13], v[12:13], v[18:19], v[16:17] op_sel_hi:[1,0,1]
	s_nop 0
	v_mov_b32_e32 v21, v13
	scratch_store_dwordx2 off, v[20:21], off offset:8
.LBB3_19:
	s_or_b64 exec, exec, s[4:5]
	; wave barrier
	scratch_load_dwordx2 v[12:13], off, off offset:16
	v_cmp_gt_u32_e32 vcc, 2, v0
	s_waitcnt vmcnt(0)
	ds_write_b64 v14, v[12:13]
	s_waitcnt lgkmcnt(0)
	; wave barrier
	s_and_saveexec_b64 s[4:5], vcc
	s_cbranch_execz .LBB3_23
; %bb.20:
	scratch_load_dwordx2 v[12:13], v1, off
	ds_read_b64 v[16:17], v14
	s_waitcnt vmcnt(0) lgkmcnt(0)
	v_pk_mul_f32 v[18:19], v[16:17], v[12:13] op_sel:[1,1] op_sel_hi:[0,1]
	v_pk_fma_f32 v[20:21], v[16:17], v[12:13], v[18:19] neg_lo:[0,0,1] neg_hi:[0,0,1]
	v_pk_fma_f32 v[12:13], v[16:17], v[12:13], v[18:19] op_sel_hi:[1,0,1]
	s_nop 0
	v_mov_b32_e32 v21, v13
	v_pk_add_f32 v[12:13], v[20:21], 0 op_sel_hi:[1,0]
	s_and_saveexec_b64 s[8:9], s[0:1]
	s_cbranch_execz .LBB3_22
; %bb.21:
	scratch_load_dwordx2 v[16:17], off, off offset:8
	v_mov_b32_e32 v1, 0
	ds_read_b64 v[18:19], v1 offset:40
	s_waitcnt vmcnt(0) lgkmcnt(0)
	v_pk_mul_f32 v[20:21], v[18:19], v[16:17] op_sel:[1,1] op_sel_hi:[0,1]
	v_pk_fma_f32 v[22:23], v[18:19], v[16:17], v[20:21] neg_lo:[0,0,1] neg_hi:[0,0,1]
	v_pk_fma_f32 v[16:17], v[18:19], v[16:17], v[20:21] op_sel_hi:[1,0,1]
	s_nop 0
	v_mov_b32_e32 v23, v17
	v_pk_add_f32 v[12:13], v[12:13], v[22:23]
.LBB3_22:
	s_or_b64 exec, exec, s[8:9]
	v_mov_b32_e32 v1, 0
	ds_read_b64 v[16:17], v1 offset:16
	s_waitcnt lgkmcnt(0)
	v_pk_mul_f32 v[18:19], v[12:13], v[16:17] op_sel:[1,1] op_sel_hi:[0,1]
	v_pk_fma_f32 v[20:21], v[12:13], v[16:17], v[18:19] neg_lo:[0,0,1] neg_hi:[0,0,1]
	v_pk_fma_f32 v[12:13], v[12:13], v[16:17], v[18:19] op_sel_hi:[1,0,1]
	s_nop 0
	v_mov_b32_e32 v21, v13
	scratch_store_dwordx2 off, v[20:21], off offset:16
.LBB3_23:
	s_or_b64 exec, exec, s[4:5]
	; wave barrier
	scratch_load_dwordx2 v[12:13], off, off offset:24
	v_cmp_ne_u32_e32 vcc, 3, v0
	s_waitcnt vmcnt(0)
	ds_write_b64 v14, v[12:13]
	s_waitcnt lgkmcnt(0)
	; wave barrier
	s_and_saveexec_b64 s[0:1], vcc
	s_cbranch_execz .LBB3_27
; %bb.24:
	v_mov_b32_e32 v12, v2
	v_mov_b32_e32 v2, 0
	v_add_u32_e32 v1, -1, v0
	s_mov_b64 s[4:5], 0
	v_mov_b32_e32 v3, v2
.LBB3_25:                               ; =>This Inner Loop Header: Depth=1
	scratch_load_dwordx2 v[16:17], v12, off
	ds_read_b64 v[18:19], v14
	v_add_u32_e32 v1, 1, v1
	v_cmp_lt_u32_e32 vcc, 1, v1
	v_add_u32_e32 v14, 8, v14
	v_add_u32_e32 v12, 8, v12
	s_or_b64 s[4:5], vcc, s[4:5]
	s_waitcnt vmcnt(0) lgkmcnt(0)
	v_pk_mul_f32 v[20:21], v[18:19], v[16:17] op_sel:[1,1] op_sel_hi:[0,1]
	v_pk_fma_f32 v[22:23], v[18:19], v[16:17], v[20:21] neg_lo:[0,0,1] neg_hi:[0,0,1]
	v_pk_fma_f32 v[16:17], v[18:19], v[16:17], v[20:21] op_sel_hi:[1,0,1]
	s_nop 0
	v_mov_b32_e32 v23, v17
	v_pk_add_f32 v[2:3], v[2:3], v[22:23]
	s_andn2_b64 exec, exec, s[4:5]
	s_cbranch_execnz .LBB3_25
; %bb.26:
	s_or_b64 exec, exec, s[4:5]
	v_mov_b32_e32 v1, 0
	ds_read_b64 v[12:13], v1 offset:24
	s_waitcnt lgkmcnt(0)
	v_pk_mul_f32 v[14:15], v[2:3], v[12:13] op_sel:[1,1] op_sel_hi:[0,1]
	v_pk_fma_f32 v[16:17], v[2:3], v[12:13], v[14:15] neg_lo:[0,0,1] neg_hi:[0,0,1]
	v_pk_fma_f32 v[2:3], v[2:3], v[12:13], v[14:15] op_sel_hi:[1,0,1]
	s_nop 0
	v_mov_b32_e32 v17, v3
	scratch_store_dwordx2 off, v[16:17], off offset:24
.LBB3_27:
	s_or_b64 exec, exec, s[0:1]
	s_mov_b64 s[4:5], -1
	; wave barrier
.LBB3_28:
	s_and_b64 vcc, exec, s[4:5]
	s_cbranch_vccz .LBB3_30
; %bb.29:
	s_lshl_b64 s[0:1], s[2:3], 2
	s_add_u32 s0, s6, s0
	s_addc_u32 s1, s7, s1
	v_mov_b32_e32 v1, 0
	global_load_dword v1, v1, s[0:1]
	s_waitcnt vmcnt(0)
	v_cmp_ne_u32_e32 vcc, 0, v1
	s_cbranch_vccz .LBB3_31
.LBB3_30:
	s_endpgm
.LBB3_31:
	v_lshl_add_u32 v1, v0, 3, 32
	v_cmp_eq_u32_e32 vcc, 3, v0
	s_and_saveexec_b64 s[0:1], vcc
	s_cbranch_execz .LBB3_33
; %bb.32:
	scratch_load_dwordx2 v[2:3], off, off offset:16
	v_mov_b32_e32 v12, 0
	v_mov_b32_e32 v13, v12
	scratch_store_dwordx2 off, v[12:13], off offset:16
	s_waitcnt vmcnt(1)
	ds_write_b64 v1, v[2:3]
.LBB3_33:
	s_or_b64 exec, exec, s[0:1]
	s_waitcnt lgkmcnt(0)
	; wave barrier
	scratch_load_dwordx2 v[12:13], off, off offset:24
	scratch_load_dwordx2 v[14:15], off, off offset:16
	v_mov_b32_e32 v2, 0
	ds_read_b64 v[16:17], v2 offset:56
	v_cmp_lt_u32_e32 vcc, 1, v0
	s_waitcnt vmcnt(1) lgkmcnt(0)
	v_pk_mul_f32 v[18:19], v[16:17], v[12:13] op_sel:[1,1] op_sel_hi:[0,1]
	v_pk_fma_f32 v[20:21], v[16:17], v[12:13], v[18:19] neg_lo:[0,0,1] neg_hi:[0,0,1]
	v_pk_fma_f32 v[12:13], v[16:17], v[12:13], v[18:19] op_sel_hi:[1,0,1]
	s_nop 0
	v_mov_b32_e32 v21, v13
	v_pk_add_f32 v[12:13], v[20:21], 0 op_sel_hi:[1,0]
	s_waitcnt vmcnt(0)
	v_pk_add_f32 v[12:13], v[14:15], v[12:13] neg_lo:[0,1] neg_hi:[0,1]
	scratch_store_dwordx2 off, v[12:13], off offset:16
	s_and_saveexec_b64 s[0:1], vcc
	s_cbranch_execz .LBB3_35
; %bb.34:
	scratch_load_dwordx2 v[12:13], off, off offset:8
	v_mov_b32_e32 v3, v2
	scratch_store_dwordx2 off, v[2:3], off offset:8
	s_waitcnt vmcnt(1)
	ds_write_b64 v1, v[12:13]
.LBB3_35:
	s_or_b64 exec, exec, s[0:1]
	s_waitcnt lgkmcnt(0)
	; wave barrier
	scratch_load_dwordx4 v[12:15], off, off offset:16
	scratch_load_dwordx2 v[20:21], off, off offset:8
	ds_read_b128 v[16:19], v2 offset:48
	v_cmp_ne_u32_e32 vcc, 0, v0
	s_waitcnt vmcnt(1) lgkmcnt(0)
	v_pk_mul_f32 v[2:3], v[16:17], v[12:13] op_sel:[1,1] op_sel_hi:[0,1]
	v_mov_b32_e32 v22, v15
	v_pk_fma_f32 v[24:25], v[16:17], v[12:13], v[2:3] neg_lo:[0,0,1] neg_hi:[0,0,1]
	v_pk_fma_f32 v[2:3], v[16:17], v[12:13], v[2:3] op_sel_hi:[1,0,1]
	v_pk_mul_f32 v[12:13], v[18:19], v[22:23] op_sel:[1,0] op_sel_hi:[0,0]
	v_mov_b32_e32 v25, v3
	v_pk_fma_f32 v[2:3], v[18:19], v[14:15], v[12:13] neg_lo:[0,0,1] neg_hi:[0,0,1]
	v_pk_fma_f32 v[12:13], v[18:19], v[14:15], v[12:13] op_sel_hi:[1,0,1]
	v_pk_add_f32 v[14:15], v[24:25], 0 op_sel_hi:[1,0]
	v_mov_b32_e32 v3, v13
	v_pk_add_f32 v[2:3], v[14:15], v[2:3]
	s_waitcnt vmcnt(0)
	v_pk_add_f32 v[2:3], v[20:21], v[2:3] neg_lo:[0,1] neg_hi:[0,1]
	scratch_store_dwordx2 off, v[2:3], off offset:8
	s_and_saveexec_b64 s[0:1], vcc
	s_cbranch_execz .LBB3_37
; %bb.36:
	scratch_load_dwordx2 v[2:3], off, off
	v_mov_b32_e32 v12, 0
	v_mov_b32_e32 v13, v12
	scratch_store_dwordx2 off, v[12:13], off
	s_waitcnt vmcnt(1)
	ds_write_b64 v1, v[2:3]
.LBB3_37:
	s_or_b64 exec, exec, s[0:1]
	s_waitcnt lgkmcnt(0)
	; wave barrier
	scratch_load_dwordx4 v[0:3], off, off offset:8
	scratch_load_dwordx2 v[18:19], off, off offset:24
	scratch_load_dwordx2 v[20:21], off, off
	v_mov_b32_e32 v12, 0
	ds_read2_b64 v[14:17], v12 offset0:5 offset1:6
	ds_read_b64 v[22:23], v12 offset:56
	s_and_b64 vcc, exec, s[18:19]
	s_waitcnt vmcnt(2) lgkmcnt(1)
	v_pk_mul_f32 v[24:25], v[14:15], v[0:1] op_sel:[1,1] op_sel_hi:[0,1]
	v_mov_b32_e32 v26, v3
	v_pk_fma_f32 v[30:31], v[14:15], v[0:1], v[24:25] neg_lo:[0,0,1] neg_hi:[0,0,1]
	v_pk_fma_f32 v[0:1], v[14:15], v[0:1], v[24:25] op_sel_hi:[1,0,1]
	v_pk_mul_f32 v[14:15], v[16:17], v[26:27] op_sel:[1,0] op_sel_hi:[0,0]
	s_waitcnt vmcnt(1) lgkmcnt(0)
	v_pk_mul_f32 v[28:29], v[22:23], v[18:19] op_sel:[1,1] op_sel_hi:[0,1]
	v_mov_b32_e32 v31, v1
	v_pk_fma_f32 v[0:1], v[16:17], v[2:3], v[14:15] neg_lo:[0,0,1] neg_hi:[0,0,1]
	v_pk_fma_f32 v[14:15], v[16:17], v[2:3], v[14:15] op_sel_hi:[1,0,1]
	v_pk_fma_f32 v[24:25], v[22:23], v[18:19], v[28:29] neg_lo:[0,0,1] neg_hi:[0,0,1]
	v_pk_fma_f32 v[18:19], v[22:23], v[18:19], v[28:29] op_sel_hi:[1,0,1]
	v_pk_add_f32 v[16:17], v[30:31], 0 op_sel_hi:[1,0]
	v_mov_b32_e32 v1, v15
	v_mov_b32_e32 v25, v19
	v_pk_add_f32 v[0:1], v[16:17], v[0:1]
	s_nop 0
	v_pk_add_f32 v[0:1], v[0:1], v[24:25]
	s_waitcnt vmcnt(0)
	v_pk_add_f32 v[0:1], v[20:21], v[0:1] neg_lo:[0,1] neg_hi:[0,1]
	scratch_store_dwordx2 off, v[0:1], off
	s_cbranch_vccz .LBB3_44
; %bb.38:
	global_load_dword v0, v12, s[16:17] offset:8
	s_waitcnt vmcnt(0)
	v_readfirstlane_b32 s0, v0
	s_add_i32 s0, s0, -1
	s_cmp_lg_u32 s0, 2
	s_cbranch_scc0 .LBB3_40
; %bb.39:
	s_lshl_b32 s0, s0, 3
	s_nop 0
	scratch_load_dwordx2 v[0:1], off, s0
	s_waitcnt vmcnt(0)
	scratch_store_dwordx2 off, v[0:1], off offset:16
	scratch_store_dwordx2 off, v[2:3], s0
.LBB3_40:
	v_mov_b32_e32 v0, 0
	global_load_dword v1, v0, s[16:17] offset:4
	s_waitcnt vmcnt(0)
	v_readfirstlane_b32 s0, v1
	s_add_i32 s0, s0, -1
	s_cmp_eq_u32 s0, 1
	s_cbranch_scc1 .LBB3_42
; %bb.41:
	s_lshl_b32 s0, s0, 3
	s_nop 0
	scratch_load_dwordx2 v[2:3], off, s0
	scratch_load_dwordx2 v[12:13], off, off offset:8
	s_waitcnt vmcnt(1)
	scratch_store_dwordx2 off, v[2:3], off offset:8
	s_waitcnt vmcnt(1)
	scratch_store_dwordx2 off, v[12:13], s0
.LBB3_42:
	global_load_dword v2, v0, s[16:17]
	s_nop 0
	scratch_load_dwordx2 v[0:1], off, off
	s_waitcnt vmcnt(1)
	v_readfirstlane_b32 s0, v2
	s_add_i32 s0, s0, -1
	s_cmp_eq_u32 s0, 0
	s_cbranch_scc1 .LBB3_44
; %bb.43:
	s_lshl_b32 s0, s0, 3
	s_nop 0
	scratch_load_dwordx2 v[2:3], off, s0
	s_waitcnt vmcnt(0)
	scratch_store_dwordx2 off, v[2:3], off
	scratch_store_dwordx2 off, v[0:1], s0
	scratch_load_dwordx2 v[0:1], off, off
.LBB3_44:
	s_nop 0
	scratch_load_dwordx4 v[12:15], off, off offset:8
	scratch_load_dwordx2 v[2:3], off, off offset:24
	s_waitcnt vmcnt(2)
	global_store_dwordx2 v[4:5], v[0:1], off
	s_waitcnt vmcnt(2)
	global_store_dwordx2 v[6:7], v[12:13], off
	global_store_dwordx2 v[8:9], v[14:15], off
	s_waitcnt vmcnt(3)
	global_store_dwordx2 v[10:11], v[2:3], off
	s_endpgm
	.section	.rodata,"a",@progbits
	.p2align	6, 0x0
	.amdhsa_kernel _ZN9rocsolver6v33100L18getri_kernel_smallILi4E19rocblas_complex_numIfEPS3_EEvT1_iilPiilS6_bb
		.amdhsa_group_segment_fixed_size 68
		.amdhsa_private_segment_fixed_size 48
		.amdhsa_kernarg_size 60
		.amdhsa_user_sgpr_count 2
		.amdhsa_user_sgpr_dispatch_ptr 0
		.amdhsa_user_sgpr_queue_ptr 0
		.amdhsa_user_sgpr_kernarg_segment_ptr 1
		.amdhsa_user_sgpr_dispatch_id 0
		.amdhsa_user_sgpr_kernarg_preload_length 0
		.amdhsa_user_sgpr_kernarg_preload_offset 0
		.amdhsa_user_sgpr_private_segment_size 0
		.amdhsa_uses_dynamic_stack 0
		.amdhsa_enable_private_segment 1
		.amdhsa_system_sgpr_workgroup_id_x 1
		.amdhsa_system_sgpr_workgroup_id_y 0
		.amdhsa_system_sgpr_workgroup_id_z 0
		.amdhsa_system_sgpr_workgroup_info 0
		.amdhsa_system_vgpr_workitem_id 0
		.amdhsa_next_free_vgpr 32
		.amdhsa_next_free_sgpr 20
		.amdhsa_accum_offset 32
		.amdhsa_reserve_vcc 1
		.amdhsa_float_round_mode_32 0
		.amdhsa_float_round_mode_16_64 0
		.amdhsa_float_denorm_mode_32 3
		.amdhsa_float_denorm_mode_16_64 3
		.amdhsa_dx10_clamp 1
		.amdhsa_ieee_mode 1
		.amdhsa_fp16_overflow 0
		.amdhsa_tg_split 0
		.amdhsa_exception_fp_ieee_invalid_op 0
		.amdhsa_exception_fp_denorm_src 0
		.amdhsa_exception_fp_ieee_div_zero 0
		.amdhsa_exception_fp_ieee_overflow 0
		.amdhsa_exception_fp_ieee_underflow 0
		.amdhsa_exception_fp_ieee_inexact 0
		.amdhsa_exception_int_div_zero 0
	.end_amdhsa_kernel
	.section	.text._ZN9rocsolver6v33100L18getri_kernel_smallILi4E19rocblas_complex_numIfEPS3_EEvT1_iilPiilS6_bb,"axG",@progbits,_ZN9rocsolver6v33100L18getri_kernel_smallILi4E19rocblas_complex_numIfEPS3_EEvT1_iilPiilS6_bb,comdat
.Lfunc_end3:
	.size	_ZN9rocsolver6v33100L18getri_kernel_smallILi4E19rocblas_complex_numIfEPS3_EEvT1_iilPiilS6_bb, .Lfunc_end3-_ZN9rocsolver6v33100L18getri_kernel_smallILi4E19rocblas_complex_numIfEPS3_EEvT1_iilPiilS6_bb
                                        ; -- End function
	.set _ZN9rocsolver6v33100L18getri_kernel_smallILi4E19rocblas_complex_numIfEPS3_EEvT1_iilPiilS6_bb.num_vgpr, 32
	.set _ZN9rocsolver6v33100L18getri_kernel_smallILi4E19rocblas_complex_numIfEPS3_EEvT1_iilPiilS6_bb.num_agpr, 0
	.set _ZN9rocsolver6v33100L18getri_kernel_smallILi4E19rocblas_complex_numIfEPS3_EEvT1_iilPiilS6_bb.numbered_sgpr, 20
	.set _ZN9rocsolver6v33100L18getri_kernel_smallILi4E19rocblas_complex_numIfEPS3_EEvT1_iilPiilS6_bb.num_named_barrier, 0
	.set _ZN9rocsolver6v33100L18getri_kernel_smallILi4E19rocblas_complex_numIfEPS3_EEvT1_iilPiilS6_bb.private_seg_size, 48
	.set _ZN9rocsolver6v33100L18getri_kernel_smallILi4E19rocblas_complex_numIfEPS3_EEvT1_iilPiilS6_bb.uses_vcc, 1
	.set _ZN9rocsolver6v33100L18getri_kernel_smallILi4E19rocblas_complex_numIfEPS3_EEvT1_iilPiilS6_bb.uses_flat_scratch, 0
	.set _ZN9rocsolver6v33100L18getri_kernel_smallILi4E19rocblas_complex_numIfEPS3_EEvT1_iilPiilS6_bb.has_dyn_sized_stack, 0
	.set _ZN9rocsolver6v33100L18getri_kernel_smallILi4E19rocblas_complex_numIfEPS3_EEvT1_iilPiilS6_bb.has_recursion, 0
	.set _ZN9rocsolver6v33100L18getri_kernel_smallILi4E19rocblas_complex_numIfEPS3_EEvT1_iilPiilS6_bb.has_indirect_call, 0
	.section	.AMDGPU.csdata,"",@progbits
; Kernel info:
; codeLenInByte = 2504
; TotalNumSgprs: 26
; NumVgprs: 32
; NumAgprs: 0
; TotalNumVgprs: 32
; ScratchSize: 48
; MemoryBound: 0
; FloatMode: 240
; IeeeMode: 1
; LDSByteSize: 68 bytes/workgroup (compile time only)
; SGPRBlocks: 3
; VGPRBlocks: 3
; NumSGPRsForWavesPerEU: 26
; NumVGPRsForWavesPerEU: 32
; AccumOffset: 32
; Occupancy: 8
; WaveLimiterHint : 0
; COMPUTE_PGM_RSRC2:SCRATCH_EN: 1
; COMPUTE_PGM_RSRC2:USER_SGPR: 2
; COMPUTE_PGM_RSRC2:TRAP_HANDLER: 0
; COMPUTE_PGM_RSRC2:TGID_X_EN: 1
; COMPUTE_PGM_RSRC2:TGID_Y_EN: 0
; COMPUTE_PGM_RSRC2:TGID_Z_EN: 0
; COMPUTE_PGM_RSRC2:TIDIG_COMP_CNT: 0
; COMPUTE_PGM_RSRC3_GFX90A:ACCUM_OFFSET: 7
; COMPUTE_PGM_RSRC3_GFX90A:TG_SPLIT: 0
	.section	.text._ZN9rocsolver6v33100L18getri_kernel_smallILi5E19rocblas_complex_numIfEPS3_EEvT1_iilPiilS6_bb,"axG",@progbits,_ZN9rocsolver6v33100L18getri_kernel_smallILi5E19rocblas_complex_numIfEPS3_EEvT1_iilPiilS6_bb,comdat
	.globl	_ZN9rocsolver6v33100L18getri_kernel_smallILi5E19rocblas_complex_numIfEPS3_EEvT1_iilPiilS6_bb ; -- Begin function _ZN9rocsolver6v33100L18getri_kernel_smallILi5E19rocblas_complex_numIfEPS3_EEvT1_iilPiilS6_bb
	.p2align	8
	.type	_ZN9rocsolver6v33100L18getri_kernel_smallILi5E19rocblas_complex_numIfEPS3_EEvT1_iilPiilS6_bb,@function
_ZN9rocsolver6v33100L18getri_kernel_smallILi5E19rocblas_complex_numIfEPS3_EEvT1_iilPiilS6_bb: ; @_ZN9rocsolver6v33100L18getri_kernel_smallILi5E19rocblas_complex_numIfEPS3_EEvT1_iilPiilS6_bb
; %bb.0:
	v_cmp_gt_u32_e32 vcc, 5, v0
	s_and_saveexec_b64 s[4:5], vcc
	s_cbranch_execz .LBB4_34
; %bb.1:
	s_load_dword s8, s[0:1], 0x38
	s_load_dwordx4 s[12:15], s[0:1], 0x10
	s_load_dwordx4 s[4:7], s[0:1], 0x28
                                        ; implicit-def: $sgpr16_sgpr17
	s_waitcnt lgkmcnt(0)
	s_bitcmp1_b32 s8, 8
	s_cselect_b64 s[18:19], -1, 0
	s_ashr_i32 s3, s2, 31
	s_bfe_u32 s8, s8, 0x10008
	s_cmp_eq_u32 s8, 0
	s_cbranch_scc1 .LBB4_3
; %bb.2:
	s_load_dword s8, s[0:1], 0x20
	s_mul_i32 s9, s4, s3
	s_mul_hi_u32 s10, s4, s2
	s_mul_i32 s5, s5, s2
	s_add_i32 s10, s10, s9
	s_add_i32 s5, s10, s5
	s_mul_i32 s4, s4, s2
	s_waitcnt lgkmcnt(0)
	s_ashr_i32 s9, s8, 31
	s_lshl_b64 s[4:5], s[4:5], 2
	s_add_u32 s10, s14, s4
	s_addc_u32 s11, s15, s5
	s_lshl_b64 s[4:5], s[8:9], 2
	s_add_u32 s16, s10, s4
	s_addc_u32 s17, s11, s5
.LBB4_3:
	s_load_dwordx4 s[8:11], s[0:1], 0x0
	s_load_dword s14, s[0:1], 0x38
	s_mul_i32 s4, s12, s3
	s_mul_hi_u32 s5, s12, s2
	s_add_i32 s4, s5, s4
	s_mul_i32 s5, s13, s2
	s_add_i32 s5, s4, s5
	s_mul_i32 s4, s12, s2
	s_waitcnt lgkmcnt(0)
	s_ashr_i32 s1, s10, 31
	s_lshl_b64 s[4:5], s[4:5], 3
	s_mov_b32 s0, s10
	s_add_u32 s4, s8, s4
	s_addc_u32 s5, s9, s5
	s_lshl_b64 s[0:1], s[0:1], 3
	s_add_u32 s0, s4, s0
	s_addc_u32 s1, s5, s1
	v_lshlrev_b32_e32 v2, 3, v0
	v_mov_b32_e32 v3, 0
	v_lshl_add_u64 v[4:5], s[0:1], 0, v[2:3]
	s_ashr_i32 s5, s11, 31
	s_mov_b32 s4, s11
	v_lshl_add_u64 v[6:7], s[4:5], 3, v[4:5]
	s_add_i32 s4, s11, s11
	v_add_u32_e32 v10, s4, v0
	v_add_u32_e32 v12, s11, v10
	v_ashrrev_i32_e32 v11, 31, v10
	v_ashrrev_i32_e32 v13, 31, v12
	v_lshl_add_u64 v[8:9], v[10:11], 3, s[0:1]
	v_lshl_add_u64 v[10:11], v[12:13], 3, s[0:1]
	v_add_u32_e32 v12, s11, v12
	v_ashrrev_i32_e32 v13, 31, v12
	global_load_dwordx2 v[16:17], v2, s[0:1]
	v_lshl_add_u64 v[12:13], v[12:13], 3, s[0:1]
	global_load_dwordx2 v[18:19], v[6:7], off
	global_load_dwordx2 v[20:21], v[8:9], off
	global_load_dwordx2 v[22:23], v[10:11], off
	global_load_dwordx2 v[14:15], v[12:13], off
	s_bitcmp0_b32 s14, 0
	s_mov_b64 s[4:5], -1
	s_waitcnt vmcnt(3)
	scratch_store_dwordx4 off, v[16:19], off
	s_waitcnt vmcnt(2)
	scratch_store_dwordx4 off, v[20:23], off offset:16
	s_waitcnt vmcnt(2)
	scratch_store_dwordx2 off, v[14:15], off offset:32
	s_cbranch_scc1 .LBB4_32
; %bb.4:
	v_cmp_eq_u32_e64 s[0:1], 0, v0
	s_and_saveexec_b64 s[4:5], s[0:1]
; %bb.5:
	v_mov_b32_e32 v1, 0
	ds_write_b32 v1, v1 offset:40
; %bb.6:
	s_or_b64 exec, exec, s[4:5]
	s_waitcnt lgkmcnt(0)
	; wave barrier
	scratch_load_dwordx2 v[14:15], v2, off
	s_waitcnt vmcnt(0)
	v_cmp_eq_f32_e32 vcc, 0, v14
	v_cmp_eq_f32_e64 s[4:5], 0, v15
	s_and_b64 s[4:5], vcc, s[4:5]
	s_and_saveexec_b64 s[8:9], s[4:5]
	s_cbranch_execz .LBB4_10
; %bb.7:
	v_mov_b32_e32 v1, 0
	ds_read_b32 v14, v1 offset:40
	v_add_u32_e32 v3, 1, v0
	s_waitcnt lgkmcnt(0)
	v_readfirstlane_b32 s4, v14
	s_cmp_eq_u32 s4, 0
	s_cselect_b64 s[10:11], -1, 0
	v_cmp_gt_i32_e32 vcc, s4, v3
	s_or_b64 s[10:11], s[10:11], vcc
	s_and_b64 exec, exec, s[10:11]
	s_cbranch_execz .LBB4_10
; %bb.8:
	s_mov_b64 s[10:11], 0
	v_mov_b32_e32 v14, s4
.LBB4_9:                                ; =>This Inner Loop Header: Depth=1
	ds_cmpst_rtn_b32 v14, v1, v14, v3 offset:40
	s_waitcnt lgkmcnt(0)
	v_cmp_ne_u32_e32 vcc, 0, v14
	v_cmp_le_i32_e64 s[4:5], v14, v3
	s_and_b64 s[4:5], vcc, s[4:5]
	s_and_b64 s[4:5], exec, s[4:5]
	s_or_b64 s[10:11], s[4:5], s[10:11]
	s_andn2_b64 exec, exec, s[10:11]
	s_cbranch_execnz .LBB4_9
.LBB4_10:
	s_or_b64 exec, exec, s[8:9]
	v_mov_b32_e32 v3, 0
	; wave barrier
	ds_read_b32 v1, v3 offset:40
	s_and_saveexec_b64 s[4:5], s[0:1]
	s_cbranch_execz .LBB4_12
; %bb.11:
	s_lshl_b64 s[8:9], s[2:3], 2
	s_add_u32 s8, s6, s8
	s_addc_u32 s9, s7, s9
	s_waitcnt lgkmcnt(0)
	global_store_dword v3, v1, s[8:9]
.LBB4_12:
	s_or_b64 exec, exec, s[4:5]
	s_waitcnt lgkmcnt(0)
	v_cmp_ne_u32_e32 vcc, 0, v1
	s_mov_b64 s[4:5], 0
	s_cbranch_vccnz .LBB4_32
; %bb.13:
	v_mov_b32_e32 v3, v2
	scratch_load_dwordx2 v[14:15], v3, off
                                        ; implicit-def: $vgpr17
                                        ; implicit-def: $vgpr18
	s_waitcnt vmcnt(0)
	v_cmp_ngt_f32_e64 s[4:5], |v14|, |v15|
	s_and_saveexec_b64 s[8:9], s[4:5]
	s_xor_b64 s[4:5], exec, s[8:9]
	s_cbranch_execz .LBB4_15
; %bb.14:
	v_div_scale_f32 v1, s[8:9], v15, v15, v14
	v_rcp_f32_e32 v16, v1
	v_div_scale_f32 v17, vcc, v14, v15, v14
	v_fma_f32 v18, -v1, v16, 1.0
	v_fmac_f32_e32 v16, v18, v16
	v_mul_f32_e32 v18, v17, v16
	v_fma_f32 v19, -v1, v18, v17
	v_fmac_f32_e32 v18, v19, v16
	v_fma_f32 v1, -v1, v18, v17
	v_div_fmas_f32 v1, v1, v16, v18
	v_div_fixup_f32 v1, v1, v15, v14
	v_fmac_f32_e32 v15, v14, v1
	v_div_scale_f32 v14, s[8:9], v15, v15, -1.0
	v_rcp_f32_e32 v16, v14
	s_nop 0
	v_fma_f32 v17, -v14, v16, 1.0
	v_fmac_f32_e32 v16, v17, v16
	v_div_scale_f32 v17, vcc, -1.0, v15, -1.0
	v_mul_f32_e32 v18, v17, v16
	v_fma_f32 v19, -v14, v18, v17
	v_fmac_f32_e32 v18, v19, v16
	v_fma_f32 v14, -v14, v18, v17
	v_div_fmas_f32 v14, v14, v16, v18
	v_div_fixup_f32 v17, v14, v15, -1.0
	v_mul_f32_e32 v18, v1, v17
	v_xor_b32_e32 v16, 0x80000000, v18
                                        ; implicit-def: $vgpr14_vgpr15
.LBB4_15:
	s_andn2_saveexec_b64 s[4:5], s[4:5]
	s_cbranch_execz .LBB4_17
; %bb.16:
	v_div_scale_f32 v1, s[8:9], v14, v14, v15
	v_rcp_f32_e32 v16, v1
	v_div_scale_f32 v17, vcc, v15, v14, v15
	v_fma_f32 v18, -v1, v16, 1.0
	v_fmac_f32_e32 v16, v18, v16
	v_mul_f32_e32 v18, v17, v16
	v_fma_f32 v19, -v1, v18, v17
	v_fmac_f32_e32 v18, v19, v16
	v_fma_f32 v1, -v1, v18, v17
	v_div_fmas_f32 v1, v1, v16, v18
	v_div_fixup_f32 v1, v1, v14, v15
	v_fmac_f32_e32 v14, v15, v1
	v_div_scale_f32 v15, s[8:9], v14, v14, 1.0
	v_rcp_f32_e32 v16, v15
	s_nop 0
	v_fma_f32 v17, -v15, v16, 1.0
	v_fmac_f32_e32 v16, v17, v16
	v_div_scale_f32 v17, vcc, 1.0, v14, 1.0
	v_mul_f32_e32 v18, v17, v16
	v_fma_f32 v19, -v15, v18, v17
	v_fmac_f32_e32 v18, v19, v16
	v_fma_f32 v15, -v15, v18, v17
	v_div_fmas_f32 v15, v15, v16, v18
	v_div_fixup_f32 v16, v15, v14, 1.0
	v_xor_b32_e32 v18, 0x80000000, v16
	v_mul_f32_e64 v17, v1, -v16
.LBB4_17:
	s_or_b64 exec, exec, s[4:5]
	scratch_store_dwordx2 v3, v[16:17], off
	scratch_load_dwordx2 v[14:15], off, off offset:8
	v_xor_b32_e32 v19, 0x80000000, v17
	v_add_u32_e32 v1, 48, v2
	s_waitcnt vmcnt(0)
	ds_write2_b64 v2, v[18:19], v[14:15] offset1:6
	s_waitcnt lgkmcnt(0)
	; wave barrier
	s_and_saveexec_b64 s[4:5], s[0:1]
	s_cbranch_execz .LBB4_19
; %bb.18:
	scratch_load_dwordx2 v[14:15], v3, off
	ds_read_b64 v[16:17], v1
	v_mov_b32_e32 v18, 0
	ds_read_b64 v[18:19], v18 offset:8
	s_waitcnt vmcnt(0) lgkmcnt(1)
	v_pk_mul_f32 v[20:21], v[16:17], v[14:15] op_sel:[1,1] op_sel_hi:[0,1]
	v_pk_fma_f32 v[22:23], v[16:17], v[14:15], v[20:21] neg_lo:[0,0,1] neg_hi:[0,0,1]
	v_pk_fma_f32 v[14:15], v[16:17], v[14:15], v[20:21] op_sel_hi:[1,0,1]
	s_nop 0
	v_mov_b32_e32 v23, v15
	v_pk_add_f32 v[14:15], v[22:23], 0 op_sel_hi:[1,0]
	s_waitcnt lgkmcnt(0)
	v_pk_mul_f32 v[16:17], v[14:15], v[18:19] op_sel:[1,1] op_sel_hi:[0,1]
	v_pk_fma_f32 v[20:21], v[14:15], v[18:19], v[16:17] neg_lo:[0,0,1] neg_hi:[0,0,1]
	v_pk_fma_f32 v[14:15], v[14:15], v[18:19], v[16:17] op_sel_hi:[1,0,1]
	s_nop 0
	v_mov_b32_e32 v21, v15
	scratch_store_dwordx2 off, v[20:21], off offset:8
.LBB4_19:
	s_or_b64 exec, exec, s[4:5]
	; wave barrier
	scratch_load_dwordx2 v[14:15], off, off offset:16
	v_cmp_gt_u32_e32 vcc, 2, v0
	s_waitcnt vmcnt(0)
	ds_write_b64 v1, v[14:15]
	s_waitcnt lgkmcnt(0)
	; wave barrier
	s_and_saveexec_b64 s[4:5], vcc
	s_cbranch_execz .LBB4_23
; %bb.20:
	scratch_load_dwordx2 v[14:15], v3, off
	ds_read_b64 v[16:17], v1
	s_waitcnt vmcnt(0) lgkmcnt(0)
	v_pk_mul_f32 v[18:19], v[16:17], v[14:15] op_sel:[1,1] op_sel_hi:[0,1]
	v_pk_fma_f32 v[20:21], v[16:17], v[14:15], v[18:19] neg_lo:[0,0,1] neg_hi:[0,0,1]
	v_pk_fma_f32 v[14:15], v[16:17], v[14:15], v[18:19] op_sel_hi:[1,0,1]
	s_nop 0
	v_mov_b32_e32 v21, v15
	v_pk_add_f32 v[14:15], v[20:21], 0 op_sel_hi:[1,0]
	s_and_saveexec_b64 s[8:9], s[0:1]
	s_cbranch_execz .LBB4_22
; %bb.21:
	scratch_load_dwordx2 v[16:17], off, off offset:8
	v_mov_b32_e32 v3, 0
	ds_read_b64 v[18:19], v3 offset:56
	s_waitcnt vmcnt(0) lgkmcnt(0)
	v_pk_mul_f32 v[20:21], v[18:19], v[16:17] op_sel:[1,1] op_sel_hi:[0,1]
	v_pk_fma_f32 v[22:23], v[18:19], v[16:17], v[20:21] neg_lo:[0,0,1] neg_hi:[0,0,1]
	v_pk_fma_f32 v[16:17], v[18:19], v[16:17], v[20:21] op_sel_hi:[1,0,1]
	s_nop 0
	v_mov_b32_e32 v23, v17
	v_pk_add_f32 v[14:15], v[14:15], v[22:23]
.LBB4_22:
	s_or_b64 exec, exec, s[8:9]
	v_mov_b32_e32 v3, 0
	ds_read_b64 v[16:17], v3 offset:16
	s_waitcnt lgkmcnt(0)
	v_pk_mul_f32 v[18:19], v[14:15], v[16:17] op_sel:[1,1] op_sel_hi:[0,1]
	v_pk_fma_f32 v[20:21], v[14:15], v[16:17], v[18:19] neg_lo:[0,0,1] neg_hi:[0,0,1]
	v_pk_fma_f32 v[14:15], v[14:15], v[16:17], v[18:19] op_sel_hi:[1,0,1]
	s_nop 0
	v_mov_b32_e32 v21, v15
	scratch_store_dwordx2 off, v[20:21], off offset:16
.LBB4_23:
	s_or_b64 exec, exec, s[4:5]
	; wave barrier
	scratch_load_dwordx2 v[14:15], off, off offset:24
	v_cmp_gt_u32_e32 vcc, 3, v0
	v_add_u32_e32 v16, -1, v0
	s_waitcnt vmcnt(0)
	ds_write_b64 v1, v[14:15]
	s_waitcnt lgkmcnt(0)
	; wave barrier
	s_and_saveexec_b64 s[0:1], vcc
	s_cbranch_execz .LBB4_27
; %bb.24:
	v_mov_b32_e32 v14, 0
	v_add_u32_e32 v3, -1, v0
	v_add_u32_e32 v17, 48, v2
	v_mov_b32_e32 v18, v2
	s_mov_b64 s[4:5], 0
	v_mov_b32_e32 v15, v14
.LBB4_25:                               ; =>This Inner Loop Header: Depth=1
	scratch_load_dwordx2 v[20:21], v18, off
	ds_read_b64 v[22:23], v17
	v_add_u32_e32 v3, 1, v3
	v_cmp_lt_u32_e32 vcc, 1, v3
	v_add_u32_e32 v17, 8, v17
	v_add_u32_e32 v18, 8, v18
	s_or_b64 s[4:5], vcc, s[4:5]
	s_waitcnt vmcnt(0) lgkmcnt(0)
	v_pk_mul_f32 v[24:25], v[22:23], v[20:21] op_sel:[1,1] op_sel_hi:[0,1]
	v_pk_fma_f32 v[26:27], v[22:23], v[20:21], v[24:25] neg_lo:[0,0,1] neg_hi:[0,0,1]
	v_pk_fma_f32 v[20:21], v[22:23], v[20:21], v[24:25] op_sel_hi:[1,0,1]
	s_nop 0
	v_mov_b32_e32 v27, v21
	v_pk_add_f32 v[14:15], v[14:15], v[26:27]
	s_andn2_b64 exec, exec, s[4:5]
	s_cbranch_execnz .LBB4_25
; %bb.26:
	s_or_b64 exec, exec, s[4:5]
	v_mov_b32_e32 v3, 0
	ds_read_b64 v[18:19], v3 offset:24
	s_waitcnt lgkmcnt(0)
	v_pk_mul_f32 v[20:21], v[14:15], v[18:19] op_sel:[1,1] op_sel_hi:[0,1]
	v_pk_fma_f32 v[22:23], v[14:15], v[18:19], v[20:21] neg_lo:[0,0,1] neg_hi:[0,0,1]
	v_pk_fma_f32 v[14:15], v[14:15], v[18:19], v[20:21] op_sel_hi:[1,0,1]
	s_nop 0
	v_mov_b32_e32 v23, v15
	scratch_store_dwordx2 off, v[22:23], off offset:24
.LBB4_27:
	s_or_b64 exec, exec, s[0:1]
	; wave barrier
	scratch_load_dwordx2 v[14:15], off, off offset:32
	v_cmp_ne_u32_e32 vcc, 4, v0
	s_waitcnt vmcnt(0)
	ds_write_b64 v1, v[14:15]
	s_waitcnt lgkmcnt(0)
	; wave barrier
	s_and_saveexec_b64 s[0:1], vcc
	s_cbranch_execz .LBB4_31
; %bb.28:
	v_mov_b32_e32 v14, v2
	v_mov_b32_e32 v2, 0
	s_mov_b64 s[4:5], 0
	v_mov_b32_e32 v3, v2
.LBB4_29:                               ; =>This Inner Loop Header: Depth=1
	scratch_load_dwordx2 v[18:19], v14, off
	ds_read_b64 v[20:21], v1
	v_add_u32_e32 v16, 1, v16
	v_cmp_lt_u32_e32 vcc, 2, v16
	v_add_u32_e32 v1, 8, v1
	v_add_u32_e32 v14, 8, v14
	s_or_b64 s[4:5], vcc, s[4:5]
	s_waitcnt vmcnt(0) lgkmcnt(0)
	v_pk_mul_f32 v[22:23], v[20:21], v[18:19] op_sel:[1,1] op_sel_hi:[0,1]
	v_pk_fma_f32 v[24:25], v[20:21], v[18:19], v[22:23] neg_lo:[0,0,1] neg_hi:[0,0,1]
	v_pk_fma_f32 v[18:19], v[20:21], v[18:19], v[22:23] op_sel_hi:[1,0,1]
	s_nop 0
	v_mov_b32_e32 v25, v19
	v_pk_add_f32 v[2:3], v[2:3], v[24:25]
	s_andn2_b64 exec, exec, s[4:5]
	s_cbranch_execnz .LBB4_29
; %bb.30:
	s_or_b64 exec, exec, s[4:5]
	v_mov_b32_e32 v1, 0
	ds_read_b64 v[14:15], v1 offset:32
	s_waitcnt lgkmcnt(0)
	v_pk_mul_f32 v[16:17], v[2:3], v[14:15] op_sel:[1,1] op_sel_hi:[0,1]
	v_pk_fma_f32 v[18:19], v[2:3], v[14:15], v[16:17] neg_lo:[0,0,1] neg_hi:[0,0,1]
	v_pk_fma_f32 v[2:3], v[2:3], v[14:15], v[16:17] op_sel_hi:[1,0,1]
	s_nop 0
	v_mov_b32_e32 v19, v3
	scratch_store_dwordx2 off, v[18:19], off offset:32
.LBB4_31:
	s_or_b64 exec, exec, s[0:1]
	s_mov_b64 s[4:5], -1
	; wave barrier
.LBB4_32:
	s_and_b64 vcc, exec, s[4:5]
	s_cbranch_vccz .LBB4_34
; %bb.33:
	s_lshl_b64 s[0:1], s[2:3], 2
	s_add_u32 s0, s6, s0
	s_addc_u32 s1, s7, s1
	v_mov_b32_e32 v1, 0
	global_load_dword v1, v1, s[0:1]
	s_waitcnt vmcnt(0)
	v_cmp_ne_u32_e32 vcc, 0, v1
	s_cbranch_vccz .LBB4_35
.LBB4_34:
	s_endpgm
.LBB4_35:
	v_lshl_add_u32 v1, v0, 3, 48
	v_cmp_eq_u32_e32 vcc, 4, v0
	s_and_saveexec_b64 s[0:1], vcc
	s_cbranch_execz .LBB4_37
; %bb.36:
	scratch_load_dwordx2 v[2:3], off, off offset:24
	v_mov_b32_e32 v14, 0
	v_mov_b32_e32 v15, v14
	scratch_store_dwordx2 off, v[14:15], off offset:24
	s_waitcnt vmcnt(1)
	ds_write_b64 v1, v[2:3]
.LBB4_37:
	s_or_b64 exec, exec, s[0:1]
	s_waitcnt lgkmcnt(0)
	; wave barrier
	scratch_load_dwordx2 v[14:15], off, off offset:32
	scratch_load_dwordx2 v[16:17], off, off offset:24
	v_mov_b32_e32 v2, 0
	ds_read_b64 v[18:19], v2 offset:80
	v_cmp_lt_u32_e32 vcc, 2, v0
	s_waitcnt vmcnt(1) lgkmcnt(0)
	v_pk_mul_f32 v[20:21], v[18:19], v[14:15] op_sel:[1,1] op_sel_hi:[0,1]
	v_pk_fma_f32 v[22:23], v[18:19], v[14:15], v[20:21] neg_lo:[0,0,1] neg_hi:[0,0,1]
	v_pk_fma_f32 v[14:15], v[18:19], v[14:15], v[20:21] op_sel_hi:[1,0,1]
	s_nop 0
	v_mov_b32_e32 v23, v15
	v_pk_add_f32 v[14:15], v[22:23], 0 op_sel_hi:[1,0]
	s_waitcnt vmcnt(0)
	v_pk_add_f32 v[14:15], v[16:17], v[14:15] neg_lo:[0,1] neg_hi:[0,1]
	scratch_store_dwordx2 off, v[14:15], off offset:24
	s_and_saveexec_b64 s[0:1], vcc
	s_cbranch_execz .LBB4_39
; %bb.38:
	scratch_load_dwordx2 v[14:15], off, off offset:16
	v_mov_b32_e32 v3, v2
	scratch_store_dwordx2 off, v[2:3], off offset:16
	s_waitcnt vmcnt(1)
	ds_write_b64 v1, v[14:15]
.LBB4_39:
	s_or_b64 exec, exec, s[0:1]
	s_waitcnt lgkmcnt(0)
	; wave barrier
	scratch_load_dwordx4 v[14:17], off, off offset:24
	scratch_load_dwordx2 v[22:23], off, off offset:16
	ds_read2_b64 v[18:21], v2 offset0:9 offset1:10
	v_cmp_lt_u32_e32 vcc, 1, v0
	s_waitcnt vmcnt(1) lgkmcnt(0)
	v_pk_mul_f32 v[2:3], v[18:19], v[14:15] op_sel:[1,1] op_sel_hi:[0,1]
	v_mov_b32_e32 v24, v17
	v_pk_fma_f32 v[26:27], v[18:19], v[14:15], v[2:3] neg_lo:[0,0,1] neg_hi:[0,0,1]
	v_pk_fma_f32 v[2:3], v[18:19], v[14:15], v[2:3] op_sel_hi:[1,0,1]
	v_pk_mul_f32 v[14:15], v[20:21], v[24:25] op_sel:[1,0] op_sel_hi:[0,0]
	v_mov_b32_e32 v27, v3
	v_pk_fma_f32 v[2:3], v[20:21], v[16:17], v[14:15] neg_lo:[0,0,1] neg_hi:[0,0,1]
	v_pk_fma_f32 v[14:15], v[20:21], v[16:17], v[14:15] op_sel_hi:[1,0,1]
	v_pk_add_f32 v[16:17], v[26:27], 0 op_sel_hi:[1,0]
	v_mov_b32_e32 v3, v15
	v_pk_add_f32 v[2:3], v[16:17], v[2:3]
	s_waitcnt vmcnt(0)
	v_pk_add_f32 v[2:3], v[22:23], v[2:3] neg_lo:[0,1] neg_hi:[0,1]
	scratch_store_dwordx2 off, v[2:3], off offset:16
	s_and_saveexec_b64 s[0:1], vcc
	s_cbranch_execz .LBB4_41
; %bb.40:
	scratch_load_dwordx2 v[2:3], off, off offset:8
	v_mov_b32_e32 v14, 0
	v_mov_b32_e32 v15, v14
	scratch_store_dwordx2 off, v[14:15], off offset:8
	s_waitcnt vmcnt(1)
	ds_write_b64 v1, v[2:3]
.LBB4_41:
	s_or_b64 exec, exec, s[0:1]
	s_waitcnt lgkmcnt(0)
	; wave barrier
	scratch_load_dwordx4 v[16:19], off, off offset:16
	scratch_load_dwordx2 v[2:3], off, off offset:32
	scratch_load_dwordx2 v[24:25], off, off offset:8
	v_mov_b32_e32 v14, 0
	ds_read_b128 v[20:23], v14 offset:64
	ds_read_b64 v[26:27], v14 offset:80
	v_cmp_ne_u32_e32 vcc, 0, v0
	s_waitcnt vmcnt(2) lgkmcnt(1)
	v_pk_mul_f32 v[28:29], v[20:21], v[16:17] op_sel:[1,1] op_sel_hi:[0,1]
	v_mov_b32_e32 v30, v19
	s_waitcnt vmcnt(1) lgkmcnt(0)
	v_pk_mul_f32 v[32:33], v[26:27], v[2:3] op_sel:[1,1] op_sel_hi:[0,1]
	v_pk_fma_f32 v[34:35], v[20:21], v[16:17], v[28:29] neg_lo:[0,0,1] neg_hi:[0,0,1]
	v_pk_fma_f32 v[16:17], v[20:21], v[16:17], v[28:29] op_sel_hi:[1,0,1]
	v_pk_mul_f32 v[20:21], v[22:23], v[30:31] op_sel:[1,0] op_sel_hi:[0,0]
	v_pk_fma_f32 v[28:29], v[26:27], v[2:3], v[32:33] neg_lo:[0,0,1] neg_hi:[0,0,1]
	v_pk_fma_f32 v[2:3], v[26:27], v[2:3], v[32:33] op_sel_hi:[1,0,1]
	v_mov_b32_e32 v35, v17
	v_pk_fma_f32 v[16:17], v[22:23], v[18:19], v[20:21] neg_lo:[0,0,1] neg_hi:[0,0,1]
	v_pk_fma_f32 v[18:19], v[22:23], v[18:19], v[20:21] op_sel_hi:[1,0,1]
	v_mov_b32_e32 v29, v3
	v_pk_add_f32 v[2:3], v[34:35], 0 op_sel_hi:[1,0]
	v_mov_b32_e32 v17, v19
	v_pk_add_f32 v[2:3], v[2:3], v[16:17]
	s_nop 0
	v_pk_add_f32 v[2:3], v[2:3], v[28:29]
	s_waitcnt vmcnt(0)
	v_pk_add_f32 v[2:3], v[24:25], v[2:3] neg_lo:[0,1] neg_hi:[0,1]
	scratch_store_dwordx2 off, v[2:3], off offset:8
	s_and_saveexec_b64 s[0:1], vcc
	s_cbranch_execz .LBB4_43
; %bb.42:
	scratch_load_dwordx2 v[2:3], off, off
	v_mov_b32_e32 v15, v14
	scratch_store_dwordx2 off, v[14:15], off
	s_waitcnt vmcnt(1)
	ds_write_b64 v1, v[2:3]
.LBB4_43:
	s_or_b64 exec, exec, s[0:1]
	s_waitcnt lgkmcnt(0)
	; wave barrier
	scratch_load_dwordx4 v[16:19], off, off offset:8
	scratch_load_dwordx4 v[0:3], off, off offset:24
	scratch_load_dwordx2 v[28:29], off, off
	ds_read2_b64 v[20:23], v14 offset0:7 offset1:8
	ds_read2_b64 v[24:27], v14 offset0:9 offset1:10
	s_and_b64 vcc, exec, s[18:19]
	s_waitcnt vmcnt(2) lgkmcnt(1)
	v_pk_mul_f32 v[14:15], v[20:21], v[16:17] op_sel:[1,1] op_sel_hi:[0,1]
	v_mov_b32_e32 v30, v19
	s_waitcnt vmcnt(1)
	v_mov_b32_e32 v34, v3
	v_pk_fma_f32 v[36:37], v[20:21], v[16:17], v[14:15] neg_lo:[0,0,1] neg_hi:[0,0,1]
	v_pk_fma_f32 v[14:15], v[20:21], v[16:17], v[14:15] op_sel_hi:[1,0,1]
	v_pk_mul_f32 v[16:17], v[22:23], v[30:31] op_sel:[1,0] op_sel_hi:[0,0]
	s_waitcnt lgkmcnt(0)
	v_pk_mul_f32 v[32:33], v[24:25], v[0:1] op_sel:[1,1] op_sel_hi:[0,1]
	v_pk_mul_f32 v[30:31], v[26:27], v[34:35] op_sel:[1,0] op_sel_hi:[0,0]
	v_mov_b32_e32 v37, v15
	v_pk_fma_f32 v[14:15], v[22:23], v[18:19], v[16:17] neg_lo:[0,0,1] neg_hi:[0,0,1]
	v_pk_fma_f32 v[16:17], v[22:23], v[18:19], v[16:17] op_sel_hi:[1,0,1]
	v_pk_fma_f32 v[20:21], v[24:25], v[0:1], v[32:33] neg_lo:[0,0,1] neg_hi:[0,0,1]
	v_pk_fma_f32 v[24:25], v[24:25], v[0:1], v[32:33] op_sel_hi:[1,0,1]
	v_pk_fma_f32 v[18:19], v[26:27], v[2:3], v[30:31] neg_lo:[0,0,1] neg_hi:[0,0,1]
	v_pk_fma_f32 v[2:3], v[26:27], v[2:3], v[30:31] op_sel_hi:[1,0,1]
	v_pk_add_f32 v[22:23], v[36:37], 0 op_sel_hi:[1,0]
	v_mov_b32_e32 v15, v17
	v_mov_b32_e32 v21, v25
	v_mov_b32_e32 v19, v3
	v_pk_add_f32 v[2:3], v[22:23], v[14:15]
	s_nop 0
	v_pk_add_f32 v[2:3], v[2:3], v[20:21]
	s_nop 0
	v_pk_add_f32 v[2:3], v[2:3], v[18:19]
	s_waitcnt vmcnt(0)
	v_pk_add_f32 v[2:3], v[28:29], v[2:3] neg_lo:[0,1] neg_hi:[0,1]
	scratch_store_dwordx2 off, v[2:3], off
	s_cbranch_vccz .LBB4_52
; %bb.44:
	v_mov_b32_e32 v2, 0
	global_load_dword v3, v2, s[16:17] offset:12
	s_waitcnt vmcnt(0)
	v_readfirstlane_b32 s0, v3
	s_add_i32 s0, s0, -1
	s_cmp_lg_u32 s0, 3
	s_cbranch_scc0 .LBB4_46
; %bb.45:
	s_lshl_b32 s0, s0, 3
	s_nop 0
	scratch_load_dwordx2 v[14:15], off, s0
	s_waitcnt vmcnt(0)
	scratch_store_dwordx2 off, v[14:15], off offset:24
	scratch_store_dwordx2 off, v[0:1], s0
.LBB4_46:
	global_load_dword v0, v2, s[16:17] offset:8
	s_waitcnt vmcnt(0)
	v_readfirstlane_b32 s0, v0
	s_add_i32 s0, s0, -1
	s_cmp_eq_u32 s0, 2
	s_cbranch_scc1 .LBB4_48
; %bb.47:
	s_lshl_b32 s0, s0, 3
	s_nop 0
	scratch_load_dwordx2 v[0:1], off, s0
	scratch_load_dwordx2 v[2:3], off, off offset:16
	s_waitcnt vmcnt(1)
	scratch_store_dwordx2 off, v[0:1], off offset:16
	s_waitcnt vmcnt(1)
	scratch_store_dwordx2 off, v[2:3], s0
.LBB4_48:
	v_mov_b32_e32 v0, 0
	global_load_dword v1, v0, s[16:17] offset:4
	s_waitcnt vmcnt(0)
	v_readfirstlane_b32 s0, v1
	s_add_i32 s0, s0, -1
	s_cmp_eq_u32 s0, 1
	s_cbranch_scc1 .LBB4_50
; %bb.49:
	s_lshl_b32 s0, s0, 3
	s_nop 0
	scratch_load_dwordx2 v[2:3], off, s0
	scratch_load_dwordx2 v[14:15], off, off offset:8
	s_waitcnt vmcnt(1)
	scratch_store_dwordx2 off, v[2:3], off offset:8
	s_waitcnt vmcnt(1)
	scratch_store_dwordx2 off, v[14:15], s0
.LBB4_50:
	global_load_dword v0, v0, s[16:17]
	s_nop 0
	scratch_load_dwordx2 v[2:3], off, off
	s_waitcnt vmcnt(1)
	v_readfirstlane_b32 s0, v0
	s_add_i32 s0, s0, -1
	s_cmp_eq_u32 s0, 0
	s_cbranch_scc1 .LBB4_52
; %bb.51:
	s_lshl_b32 s0, s0, 3
	s_nop 0
	scratch_load_dwordx2 v[0:1], off, s0
	s_waitcnt vmcnt(0)
	scratch_store_dwordx2 off, v[0:1], off
	scratch_store_dwordx2 off, v[2:3], s0
	scratch_load_dwordx2 v[2:3], off, off
.LBB4_52:
	s_nop 0
	scratch_load_dwordx4 v[14:17], off, off offset:8
	scratch_load_dwordx4 v[18:21], off, off offset:24
	s_waitcnt vmcnt(2)
	global_store_dwordx2 v[4:5], v[2:3], off
	s_waitcnt vmcnt(2)
	global_store_dwordx2 v[6:7], v[14:15], off
	global_store_dwordx2 v[8:9], v[16:17], off
	s_waitcnt vmcnt(3)
	global_store_dwordx2 v[10:11], v[18:19], off
	global_store_dwordx2 v[12:13], v[20:21], off
	s_endpgm
	.section	.rodata,"a",@progbits
	.p2align	6, 0x0
	.amdhsa_kernel _ZN9rocsolver6v33100L18getri_kernel_smallILi5E19rocblas_complex_numIfEPS3_EEvT1_iilPiilS6_bb
		.amdhsa_group_segment_fixed_size 88
		.amdhsa_private_segment_fixed_size 48
		.amdhsa_kernarg_size 60
		.amdhsa_user_sgpr_count 2
		.amdhsa_user_sgpr_dispatch_ptr 0
		.amdhsa_user_sgpr_queue_ptr 0
		.amdhsa_user_sgpr_kernarg_segment_ptr 1
		.amdhsa_user_sgpr_dispatch_id 0
		.amdhsa_user_sgpr_kernarg_preload_length 0
		.amdhsa_user_sgpr_kernarg_preload_offset 0
		.amdhsa_user_sgpr_private_segment_size 0
		.amdhsa_uses_dynamic_stack 0
		.amdhsa_enable_private_segment 1
		.amdhsa_system_sgpr_workgroup_id_x 1
		.amdhsa_system_sgpr_workgroup_id_y 0
		.amdhsa_system_sgpr_workgroup_id_z 0
		.amdhsa_system_sgpr_workgroup_info 0
		.amdhsa_system_vgpr_workitem_id 0
		.amdhsa_next_free_vgpr 38
		.amdhsa_next_free_sgpr 20
		.amdhsa_accum_offset 40
		.amdhsa_reserve_vcc 1
		.amdhsa_float_round_mode_32 0
		.amdhsa_float_round_mode_16_64 0
		.amdhsa_float_denorm_mode_32 3
		.amdhsa_float_denorm_mode_16_64 3
		.amdhsa_dx10_clamp 1
		.amdhsa_ieee_mode 1
		.amdhsa_fp16_overflow 0
		.amdhsa_tg_split 0
		.amdhsa_exception_fp_ieee_invalid_op 0
		.amdhsa_exception_fp_denorm_src 0
		.amdhsa_exception_fp_ieee_div_zero 0
		.amdhsa_exception_fp_ieee_overflow 0
		.amdhsa_exception_fp_ieee_underflow 0
		.amdhsa_exception_fp_ieee_inexact 0
		.amdhsa_exception_int_div_zero 0
	.end_amdhsa_kernel
	.section	.text._ZN9rocsolver6v33100L18getri_kernel_smallILi5E19rocblas_complex_numIfEPS3_EEvT1_iilPiilS6_bb,"axG",@progbits,_ZN9rocsolver6v33100L18getri_kernel_smallILi5E19rocblas_complex_numIfEPS3_EEvT1_iilPiilS6_bb,comdat
.Lfunc_end4:
	.size	_ZN9rocsolver6v33100L18getri_kernel_smallILi5E19rocblas_complex_numIfEPS3_EEvT1_iilPiilS6_bb, .Lfunc_end4-_ZN9rocsolver6v33100L18getri_kernel_smallILi5E19rocblas_complex_numIfEPS3_EEvT1_iilPiilS6_bb
                                        ; -- End function
	.set _ZN9rocsolver6v33100L18getri_kernel_smallILi5E19rocblas_complex_numIfEPS3_EEvT1_iilPiilS6_bb.num_vgpr, 38
	.set _ZN9rocsolver6v33100L18getri_kernel_smallILi5E19rocblas_complex_numIfEPS3_EEvT1_iilPiilS6_bb.num_agpr, 0
	.set _ZN9rocsolver6v33100L18getri_kernel_smallILi5E19rocblas_complex_numIfEPS3_EEvT1_iilPiilS6_bb.numbered_sgpr, 20
	.set _ZN9rocsolver6v33100L18getri_kernel_smallILi5E19rocblas_complex_numIfEPS3_EEvT1_iilPiilS6_bb.num_named_barrier, 0
	.set _ZN9rocsolver6v33100L18getri_kernel_smallILi5E19rocblas_complex_numIfEPS3_EEvT1_iilPiilS6_bb.private_seg_size, 48
	.set _ZN9rocsolver6v33100L18getri_kernel_smallILi5E19rocblas_complex_numIfEPS3_EEvT1_iilPiilS6_bb.uses_vcc, 1
	.set _ZN9rocsolver6v33100L18getri_kernel_smallILi5E19rocblas_complex_numIfEPS3_EEvT1_iilPiilS6_bb.uses_flat_scratch, 0
	.set _ZN9rocsolver6v33100L18getri_kernel_smallILi5E19rocblas_complex_numIfEPS3_EEvT1_iilPiilS6_bb.has_dyn_sized_stack, 0
	.set _ZN9rocsolver6v33100L18getri_kernel_smallILi5E19rocblas_complex_numIfEPS3_EEvT1_iilPiilS6_bb.has_recursion, 0
	.set _ZN9rocsolver6v33100L18getri_kernel_smallILi5E19rocblas_complex_numIfEPS3_EEvT1_iilPiilS6_bb.has_indirect_call, 0
	.section	.AMDGPU.csdata,"",@progbits
; Kernel info:
; codeLenInByte = 3124
; TotalNumSgprs: 26
; NumVgprs: 38
; NumAgprs: 0
; TotalNumVgprs: 38
; ScratchSize: 48
; MemoryBound: 0
; FloatMode: 240
; IeeeMode: 1
; LDSByteSize: 88 bytes/workgroup (compile time only)
; SGPRBlocks: 3
; VGPRBlocks: 4
; NumSGPRsForWavesPerEU: 26
; NumVGPRsForWavesPerEU: 38
; AccumOffset: 40
; Occupancy: 8
; WaveLimiterHint : 0
; COMPUTE_PGM_RSRC2:SCRATCH_EN: 1
; COMPUTE_PGM_RSRC2:USER_SGPR: 2
; COMPUTE_PGM_RSRC2:TRAP_HANDLER: 0
; COMPUTE_PGM_RSRC2:TGID_X_EN: 1
; COMPUTE_PGM_RSRC2:TGID_Y_EN: 0
; COMPUTE_PGM_RSRC2:TGID_Z_EN: 0
; COMPUTE_PGM_RSRC2:TIDIG_COMP_CNT: 0
; COMPUTE_PGM_RSRC3_GFX90A:ACCUM_OFFSET: 9
; COMPUTE_PGM_RSRC3_GFX90A:TG_SPLIT: 0
	.section	.text._ZN9rocsolver6v33100L18getri_kernel_smallILi6E19rocblas_complex_numIfEPS3_EEvT1_iilPiilS6_bb,"axG",@progbits,_ZN9rocsolver6v33100L18getri_kernel_smallILi6E19rocblas_complex_numIfEPS3_EEvT1_iilPiilS6_bb,comdat
	.globl	_ZN9rocsolver6v33100L18getri_kernel_smallILi6E19rocblas_complex_numIfEPS3_EEvT1_iilPiilS6_bb ; -- Begin function _ZN9rocsolver6v33100L18getri_kernel_smallILi6E19rocblas_complex_numIfEPS3_EEvT1_iilPiilS6_bb
	.p2align	8
	.type	_ZN9rocsolver6v33100L18getri_kernel_smallILi6E19rocblas_complex_numIfEPS3_EEvT1_iilPiilS6_bb,@function
_ZN9rocsolver6v33100L18getri_kernel_smallILi6E19rocblas_complex_numIfEPS3_EEvT1_iilPiilS6_bb: ; @_ZN9rocsolver6v33100L18getri_kernel_smallILi6E19rocblas_complex_numIfEPS3_EEvT1_iilPiilS6_bb
; %bb.0:
	v_cmp_gt_u32_e32 vcc, 6, v0
	s_and_saveexec_b64 s[4:5], vcc
	s_cbranch_execz .LBB5_38
; %bb.1:
	s_load_dword s8, s[0:1], 0x38
	s_load_dwordx4 s[12:15], s[0:1], 0x10
	s_load_dwordx4 s[4:7], s[0:1], 0x28
                                        ; implicit-def: $sgpr16_sgpr17
	s_waitcnt lgkmcnt(0)
	s_bitcmp1_b32 s8, 8
	s_cselect_b64 s[18:19], -1, 0
	s_ashr_i32 s3, s2, 31
	s_bfe_u32 s8, s8, 0x10008
	s_cmp_eq_u32 s8, 0
	s_cbranch_scc1 .LBB5_3
; %bb.2:
	s_load_dword s8, s[0:1], 0x20
	s_mul_i32 s9, s4, s3
	s_mul_hi_u32 s10, s4, s2
	s_mul_i32 s5, s5, s2
	s_add_i32 s10, s10, s9
	s_add_i32 s5, s10, s5
	s_mul_i32 s4, s4, s2
	s_waitcnt lgkmcnt(0)
	s_ashr_i32 s9, s8, 31
	s_lshl_b64 s[4:5], s[4:5], 2
	s_add_u32 s10, s14, s4
	s_addc_u32 s11, s15, s5
	s_lshl_b64 s[4:5], s[8:9], 2
	s_add_u32 s16, s10, s4
	s_addc_u32 s17, s11, s5
.LBB5_3:
	s_load_dwordx4 s[8:11], s[0:1], 0x0
	s_load_dword s14, s[0:1], 0x38
	s_mul_i32 s4, s12, s3
	s_mul_hi_u32 s5, s12, s2
	s_add_i32 s4, s5, s4
	s_mul_i32 s5, s13, s2
	s_add_i32 s5, s4, s5
	s_mul_i32 s4, s12, s2
	s_waitcnt lgkmcnt(0)
	s_ashr_i32 s1, s10, 31
	s_lshl_b64 s[4:5], s[4:5], 3
	s_mov_b32 s0, s10
	s_add_u32 s4, s8, s4
	s_addc_u32 s5, s9, s5
	s_lshl_b64 s[0:1], s[0:1], 3
	s_add_u32 s0, s4, s0
	s_addc_u32 s1, s5, s1
	v_lshlrev_b32_e32 v2, 3, v0
	v_mov_b32_e32 v3, 0
	v_lshl_add_u64 v[4:5], s[0:1], 0, v[2:3]
	s_ashr_i32 s5, s11, 31
	s_mov_b32 s4, s11
	v_lshl_add_u64 v[6:7], s[4:5], 3, v[4:5]
	s_add_i32 s4, s11, s11
	v_add_u32_e32 v10, s4, v0
	v_add_u32_e32 v12, s11, v10
	;; [unrolled: 1-line block ×3, first 2 shown]
	v_ashrrev_i32_e32 v11, 31, v10
	v_ashrrev_i32_e32 v13, 31, v12
	;; [unrolled: 1-line block ×3, first 2 shown]
	v_lshl_add_u64 v[8:9], v[10:11], 3, s[0:1]
	v_lshl_add_u64 v[10:11], v[12:13], 3, s[0:1]
	;; [unrolled: 1-line block ×3, first 2 shown]
	v_add_u32_e32 v14, s11, v14
	global_load_dwordx2 v[16:17], v2, s[0:1]
	global_load_dwordx2 v[18:19], v[6:7], off
	global_load_dwordx2 v[20:21], v[8:9], off
	global_load_dwordx2 v[22:23], v[10:11], off
	global_load_dwordx2 v[24:25], v[12:13], off
	v_ashrrev_i32_e32 v15, 31, v14
	v_lshl_add_u64 v[14:15], v[14:15], 3, s[0:1]
	global_load_dwordx2 v[26:27], v[14:15], off
	s_bitcmp0_b32 s14, 0
	s_mov_b64 s[4:5], -1
	s_waitcnt vmcnt(4)
	scratch_store_dwordx4 off, v[16:19], off
	s_waitcnt vmcnt(3)
	scratch_store_dwordx4 off, v[20:23], off offset:16
	s_waitcnt vmcnt(2)
	scratch_store_dwordx4 off, v[24:27], off offset:32
	s_cbranch_scc1 .LBB5_36
; %bb.4:
	v_cmp_eq_u32_e64 s[0:1], 0, v0
	s_and_saveexec_b64 s[4:5], s[0:1]
; %bb.5:
	v_mov_b32_e32 v1, 0
	ds_write_b32 v1, v1 offset:96
; %bb.6:
	s_or_b64 exec, exec, s[4:5]
	s_waitcnt lgkmcnt(0)
	; wave barrier
	scratch_load_dwordx2 v[16:17], v2, off
	s_waitcnt vmcnt(0)
	v_cmp_eq_f32_e32 vcc, 0, v16
	v_cmp_eq_f32_e64 s[4:5], 0, v17
	s_and_b64 s[4:5], vcc, s[4:5]
	s_and_saveexec_b64 s[8:9], s[4:5]
	s_cbranch_execz .LBB5_10
; %bb.7:
	v_mov_b32_e32 v1, 0
	ds_read_b32 v16, v1 offset:96
	v_add_u32_e32 v3, 1, v0
	s_waitcnt lgkmcnt(0)
	v_readfirstlane_b32 s4, v16
	s_cmp_eq_u32 s4, 0
	s_cselect_b64 s[10:11], -1, 0
	v_cmp_gt_i32_e32 vcc, s4, v3
	s_or_b64 s[10:11], s[10:11], vcc
	s_and_b64 exec, exec, s[10:11]
	s_cbranch_execz .LBB5_10
; %bb.8:
	s_mov_b64 s[10:11], 0
	v_mov_b32_e32 v16, s4
.LBB5_9:                                ; =>This Inner Loop Header: Depth=1
	ds_cmpst_rtn_b32 v16, v1, v16, v3 offset:96
	s_waitcnt lgkmcnt(0)
	v_cmp_ne_u32_e32 vcc, 0, v16
	v_cmp_le_i32_e64 s[4:5], v16, v3
	s_and_b64 s[4:5], vcc, s[4:5]
	s_and_b64 s[4:5], exec, s[4:5]
	s_or_b64 s[10:11], s[4:5], s[10:11]
	s_andn2_b64 exec, exec, s[10:11]
	s_cbranch_execnz .LBB5_9
.LBB5_10:
	s_or_b64 exec, exec, s[8:9]
	v_mov_b32_e32 v3, 0
	; wave barrier
	ds_read_b32 v1, v3 offset:96
	s_and_saveexec_b64 s[4:5], s[0:1]
	s_cbranch_execz .LBB5_12
; %bb.11:
	s_lshl_b64 s[8:9], s[2:3], 2
	s_add_u32 s8, s6, s8
	s_addc_u32 s9, s7, s9
	s_waitcnt lgkmcnt(0)
	global_store_dword v3, v1, s[8:9]
.LBB5_12:
	s_or_b64 exec, exec, s[4:5]
	s_waitcnt lgkmcnt(0)
	v_cmp_ne_u32_e32 vcc, 0, v1
	s_mov_b64 s[4:5], 0
	s_cbranch_vccnz .LBB5_36
; %bb.13:
	v_mov_b32_e32 v3, v2
	scratch_load_dwordx2 v[16:17], v3, off
                                        ; implicit-def: $vgpr19
                                        ; implicit-def: $vgpr20
	s_waitcnt vmcnt(0)
	v_cmp_ngt_f32_e64 s[4:5], |v16|, |v17|
	s_and_saveexec_b64 s[8:9], s[4:5]
	s_xor_b64 s[4:5], exec, s[8:9]
	s_cbranch_execz .LBB5_15
; %bb.14:
	v_div_scale_f32 v1, s[8:9], v17, v17, v16
	v_rcp_f32_e32 v18, v1
	v_div_scale_f32 v19, vcc, v16, v17, v16
	v_fma_f32 v20, -v1, v18, 1.0
	v_fmac_f32_e32 v18, v20, v18
	v_mul_f32_e32 v20, v19, v18
	v_fma_f32 v21, -v1, v20, v19
	v_fmac_f32_e32 v20, v21, v18
	v_fma_f32 v1, -v1, v20, v19
	v_div_fmas_f32 v1, v1, v18, v20
	v_div_fixup_f32 v1, v1, v17, v16
	v_fmac_f32_e32 v17, v16, v1
	v_div_scale_f32 v16, s[8:9], v17, v17, -1.0
	v_rcp_f32_e32 v18, v16
	s_nop 0
	v_fma_f32 v19, -v16, v18, 1.0
	v_fmac_f32_e32 v18, v19, v18
	v_div_scale_f32 v19, vcc, -1.0, v17, -1.0
	v_mul_f32_e32 v20, v19, v18
	v_fma_f32 v21, -v16, v20, v19
	v_fmac_f32_e32 v20, v21, v18
	v_fma_f32 v16, -v16, v20, v19
	v_div_fmas_f32 v16, v16, v18, v20
	v_div_fixup_f32 v19, v16, v17, -1.0
	v_mul_f32_e32 v20, v1, v19
	v_xor_b32_e32 v18, 0x80000000, v20
                                        ; implicit-def: $vgpr16_vgpr17
.LBB5_15:
	s_andn2_saveexec_b64 s[4:5], s[4:5]
	s_cbranch_execz .LBB5_17
; %bb.16:
	v_div_scale_f32 v1, s[8:9], v16, v16, v17
	v_rcp_f32_e32 v18, v1
	v_div_scale_f32 v19, vcc, v17, v16, v17
	v_fma_f32 v20, -v1, v18, 1.0
	v_fmac_f32_e32 v18, v20, v18
	v_mul_f32_e32 v20, v19, v18
	v_fma_f32 v21, -v1, v20, v19
	v_fmac_f32_e32 v20, v21, v18
	v_fma_f32 v1, -v1, v20, v19
	v_div_fmas_f32 v1, v1, v18, v20
	v_div_fixup_f32 v1, v1, v16, v17
	v_fmac_f32_e32 v16, v17, v1
	v_div_scale_f32 v17, s[8:9], v16, v16, 1.0
	v_rcp_f32_e32 v18, v17
	s_nop 0
	v_fma_f32 v19, -v17, v18, 1.0
	v_fmac_f32_e32 v18, v19, v18
	v_div_scale_f32 v19, vcc, 1.0, v16, 1.0
	v_mul_f32_e32 v20, v19, v18
	v_fma_f32 v21, -v17, v20, v19
	v_fmac_f32_e32 v20, v21, v18
	v_fma_f32 v17, -v17, v20, v19
	v_div_fmas_f32 v17, v17, v18, v20
	v_div_fixup_f32 v18, v17, v16, 1.0
	v_xor_b32_e32 v20, 0x80000000, v18
	v_mul_f32_e64 v19, v1, -v18
.LBB5_17:
	s_or_b64 exec, exec, s[4:5]
	scratch_store_dwordx2 v3, v[18:19], off
	scratch_load_dwordx2 v[16:17], off, off offset:8
	v_xor_b32_e32 v21, 0x80000000, v19
	v_add_u32_e32 v1, 48, v2
	s_waitcnt vmcnt(0)
	ds_write2_b64 v2, v[20:21], v[16:17] offset1:6
	s_waitcnt lgkmcnt(0)
	; wave barrier
	s_and_saveexec_b64 s[4:5], s[0:1]
	s_cbranch_execz .LBB5_19
; %bb.18:
	scratch_load_dwordx2 v[16:17], v3, off
	ds_read_b64 v[18:19], v1
	v_mov_b32_e32 v20, 0
	ds_read_b64 v[20:21], v20 offset:8
	s_waitcnt vmcnt(0) lgkmcnt(1)
	v_pk_mul_f32 v[22:23], v[18:19], v[16:17] op_sel:[1,1] op_sel_hi:[0,1]
	v_pk_fma_f32 v[24:25], v[18:19], v[16:17], v[22:23] neg_lo:[0,0,1] neg_hi:[0,0,1]
	v_pk_fma_f32 v[16:17], v[18:19], v[16:17], v[22:23] op_sel_hi:[1,0,1]
	s_nop 0
	v_mov_b32_e32 v25, v17
	v_pk_add_f32 v[16:17], v[24:25], 0 op_sel_hi:[1,0]
	s_waitcnt lgkmcnt(0)
	v_pk_mul_f32 v[18:19], v[16:17], v[20:21] op_sel:[1,1] op_sel_hi:[0,1]
	v_pk_fma_f32 v[22:23], v[16:17], v[20:21], v[18:19] neg_lo:[0,0,1] neg_hi:[0,0,1]
	v_pk_fma_f32 v[16:17], v[16:17], v[20:21], v[18:19] op_sel_hi:[1,0,1]
	s_nop 0
	v_mov_b32_e32 v23, v17
	scratch_store_dwordx2 off, v[22:23], off offset:8
.LBB5_19:
	s_or_b64 exec, exec, s[4:5]
	; wave barrier
	scratch_load_dwordx2 v[16:17], off, off offset:16
	v_cmp_gt_u32_e32 vcc, 2, v0
	s_waitcnt vmcnt(0)
	ds_write_b64 v1, v[16:17]
	s_waitcnt lgkmcnt(0)
	; wave barrier
	s_and_saveexec_b64 s[4:5], vcc
	s_cbranch_execz .LBB5_23
; %bb.20:
	scratch_load_dwordx2 v[16:17], v3, off
	ds_read_b64 v[18:19], v1
	s_waitcnt vmcnt(0) lgkmcnt(0)
	v_pk_mul_f32 v[20:21], v[18:19], v[16:17] op_sel:[1,1] op_sel_hi:[0,1]
	v_pk_fma_f32 v[22:23], v[18:19], v[16:17], v[20:21] neg_lo:[0,0,1] neg_hi:[0,0,1]
	v_pk_fma_f32 v[16:17], v[18:19], v[16:17], v[20:21] op_sel_hi:[1,0,1]
	s_nop 0
	v_mov_b32_e32 v23, v17
	v_pk_add_f32 v[16:17], v[22:23], 0 op_sel_hi:[1,0]
	s_and_saveexec_b64 s[8:9], s[0:1]
	s_cbranch_execz .LBB5_22
; %bb.21:
	scratch_load_dwordx2 v[18:19], off, off offset:8
	v_mov_b32_e32 v3, 0
	ds_read_b64 v[20:21], v3 offset:56
	s_waitcnt vmcnt(0) lgkmcnt(0)
	v_pk_mul_f32 v[22:23], v[20:21], v[18:19] op_sel:[1,1] op_sel_hi:[0,1]
	v_pk_fma_f32 v[24:25], v[20:21], v[18:19], v[22:23] neg_lo:[0,0,1] neg_hi:[0,0,1]
	v_pk_fma_f32 v[18:19], v[20:21], v[18:19], v[22:23] op_sel_hi:[1,0,1]
	s_nop 0
	v_mov_b32_e32 v25, v19
	v_pk_add_f32 v[16:17], v[16:17], v[24:25]
.LBB5_22:
	s_or_b64 exec, exec, s[8:9]
	v_mov_b32_e32 v3, 0
	ds_read_b64 v[18:19], v3 offset:16
	s_waitcnt lgkmcnt(0)
	v_pk_mul_f32 v[20:21], v[16:17], v[18:19] op_sel:[1,1] op_sel_hi:[0,1]
	v_pk_fma_f32 v[22:23], v[16:17], v[18:19], v[20:21] neg_lo:[0,0,1] neg_hi:[0,0,1]
	v_pk_fma_f32 v[16:17], v[16:17], v[18:19], v[20:21] op_sel_hi:[1,0,1]
	s_nop 0
	v_mov_b32_e32 v23, v17
	scratch_store_dwordx2 off, v[22:23], off offset:16
.LBB5_23:
	s_or_b64 exec, exec, s[4:5]
	; wave barrier
	scratch_load_dwordx2 v[16:17], off, off offset:24
	v_cmp_gt_u32_e32 vcc, 3, v0
	v_add_u32_e32 v18, -1, v0
	s_waitcnt vmcnt(0)
	ds_write_b64 v1, v[16:17]
	s_waitcnt lgkmcnt(0)
	; wave barrier
	s_and_saveexec_b64 s[0:1], vcc
	s_cbranch_execz .LBB5_27
; %bb.24:
	v_mov_b32_e32 v16, 0
	v_add_u32_e32 v3, -1, v0
	v_add_u32_e32 v19, 48, v2
	v_mov_b32_e32 v20, v2
	s_mov_b64 s[4:5], 0
	v_mov_b32_e32 v17, v16
.LBB5_25:                               ; =>This Inner Loop Header: Depth=1
	scratch_load_dwordx2 v[22:23], v20, off
	ds_read_b64 v[24:25], v19
	v_add_u32_e32 v3, 1, v3
	v_cmp_lt_u32_e32 vcc, 1, v3
	v_add_u32_e32 v19, 8, v19
	v_add_u32_e32 v20, 8, v20
	s_or_b64 s[4:5], vcc, s[4:5]
	s_waitcnt vmcnt(0) lgkmcnt(0)
	v_pk_mul_f32 v[26:27], v[24:25], v[22:23] op_sel:[1,1] op_sel_hi:[0,1]
	v_pk_fma_f32 v[28:29], v[24:25], v[22:23], v[26:27] neg_lo:[0,0,1] neg_hi:[0,0,1]
	v_pk_fma_f32 v[22:23], v[24:25], v[22:23], v[26:27] op_sel_hi:[1,0,1]
	s_nop 0
	v_mov_b32_e32 v29, v23
	v_pk_add_f32 v[16:17], v[16:17], v[28:29]
	s_andn2_b64 exec, exec, s[4:5]
	s_cbranch_execnz .LBB5_25
; %bb.26:
	s_or_b64 exec, exec, s[4:5]
	v_mov_b32_e32 v3, 0
	ds_read_b64 v[20:21], v3 offset:24
	s_waitcnt lgkmcnt(0)
	v_pk_mul_f32 v[22:23], v[16:17], v[20:21] op_sel:[1,1] op_sel_hi:[0,1]
	v_pk_fma_f32 v[24:25], v[16:17], v[20:21], v[22:23] neg_lo:[0,0,1] neg_hi:[0,0,1]
	v_pk_fma_f32 v[16:17], v[16:17], v[20:21], v[22:23] op_sel_hi:[1,0,1]
	s_nop 0
	v_mov_b32_e32 v25, v17
	scratch_store_dwordx2 off, v[24:25], off offset:24
.LBB5_27:
	s_or_b64 exec, exec, s[0:1]
	; wave barrier
	scratch_load_dwordx2 v[16:17], off, off offset:32
	v_cmp_gt_u32_e32 vcc, 4, v0
	s_waitcnt vmcnt(0)
	ds_write_b64 v1, v[16:17]
	s_waitcnt lgkmcnt(0)
	; wave barrier
	s_and_saveexec_b64 s[0:1], vcc
	s_cbranch_execz .LBB5_31
; %bb.28:
	v_mov_b32_e32 v16, 0
	v_add_u32_e32 v3, -1, v0
	v_add_u32_e32 v19, 48, v2
	v_mov_b32_e32 v20, v2
	s_mov_b64 s[4:5], 0
	v_mov_b32_e32 v17, v16
.LBB5_29:                               ; =>This Inner Loop Header: Depth=1
	scratch_load_dwordx2 v[22:23], v20, off
	ds_read_b64 v[24:25], v19
	v_add_u32_e32 v3, 1, v3
	v_cmp_lt_u32_e32 vcc, 2, v3
	v_add_u32_e32 v19, 8, v19
	v_add_u32_e32 v20, 8, v20
	s_or_b64 s[4:5], vcc, s[4:5]
	s_waitcnt vmcnt(0) lgkmcnt(0)
	v_pk_mul_f32 v[26:27], v[24:25], v[22:23] op_sel:[1,1] op_sel_hi:[0,1]
	v_pk_fma_f32 v[28:29], v[24:25], v[22:23], v[26:27] neg_lo:[0,0,1] neg_hi:[0,0,1]
	v_pk_fma_f32 v[22:23], v[24:25], v[22:23], v[26:27] op_sel_hi:[1,0,1]
	s_nop 0
	v_mov_b32_e32 v29, v23
	v_pk_add_f32 v[16:17], v[16:17], v[28:29]
	s_andn2_b64 exec, exec, s[4:5]
	s_cbranch_execnz .LBB5_29
; %bb.30:
	s_or_b64 exec, exec, s[4:5]
	v_mov_b32_e32 v3, 0
	ds_read_b64 v[20:21], v3 offset:32
	s_waitcnt lgkmcnt(0)
	v_pk_mul_f32 v[22:23], v[16:17], v[20:21] op_sel:[1,1] op_sel_hi:[0,1]
	v_pk_fma_f32 v[24:25], v[16:17], v[20:21], v[22:23] neg_lo:[0,0,1] neg_hi:[0,0,1]
	v_pk_fma_f32 v[16:17], v[16:17], v[20:21], v[22:23] op_sel_hi:[1,0,1]
	s_nop 0
	v_mov_b32_e32 v25, v17
	scratch_store_dwordx2 off, v[24:25], off offset:32
.LBB5_31:
	s_or_b64 exec, exec, s[0:1]
	; wave barrier
	scratch_load_dwordx2 v[16:17], off, off offset:40
	v_cmp_ne_u32_e32 vcc, 5, v0
	s_waitcnt vmcnt(0)
	ds_write_b64 v1, v[16:17]
	s_waitcnt lgkmcnt(0)
	; wave barrier
	s_and_saveexec_b64 s[0:1], vcc
	s_cbranch_execz .LBB5_35
; %bb.32:
	v_mov_b32_e32 v16, v2
	v_mov_b32_e32 v2, 0
	s_mov_b64 s[4:5], 0
	v_mov_b32_e32 v3, v2
.LBB5_33:                               ; =>This Inner Loop Header: Depth=1
	scratch_load_dwordx2 v[20:21], v16, off
	ds_read_b64 v[22:23], v1
	v_add_u32_e32 v18, 1, v18
	v_cmp_lt_u32_e32 vcc, 3, v18
	v_add_u32_e32 v1, 8, v1
	v_add_u32_e32 v16, 8, v16
	s_or_b64 s[4:5], vcc, s[4:5]
	s_waitcnt vmcnt(0) lgkmcnt(0)
	v_pk_mul_f32 v[24:25], v[22:23], v[20:21] op_sel:[1,1] op_sel_hi:[0,1]
	v_pk_fma_f32 v[26:27], v[22:23], v[20:21], v[24:25] neg_lo:[0,0,1] neg_hi:[0,0,1]
	v_pk_fma_f32 v[20:21], v[22:23], v[20:21], v[24:25] op_sel_hi:[1,0,1]
	s_nop 0
	v_mov_b32_e32 v27, v21
	v_pk_add_f32 v[2:3], v[2:3], v[26:27]
	s_andn2_b64 exec, exec, s[4:5]
	s_cbranch_execnz .LBB5_33
; %bb.34:
	s_or_b64 exec, exec, s[4:5]
	v_mov_b32_e32 v1, 0
	ds_read_b64 v[16:17], v1 offset:40
	s_waitcnt lgkmcnt(0)
	v_pk_mul_f32 v[18:19], v[2:3], v[16:17] op_sel:[1,1] op_sel_hi:[0,1]
	v_pk_fma_f32 v[20:21], v[2:3], v[16:17], v[18:19] neg_lo:[0,0,1] neg_hi:[0,0,1]
	v_pk_fma_f32 v[2:3], v[2:3], v[16:17], v[18:19] op_sel_hi:[1,0,1]
	s_nop 0
	v_mov_b32_e32 v21, v3
	scratch_store_dwordx2 off, v[20:21], off offset:40
.LBB5_35:
	s_or_b64 exec, exec, s[0:1]
	s_mov_b64 s[4:5], -1
	; wave barrier
.LBB5_36:
	s_and_b64 vcc, exec, s[4:5]
	s_cbranch_vccz .LBB5_38
; %bb.37:
	s_lshl_b64 s[0:1], s[2:3], 2
	s_add_u32 s0, s6, s0
	s_addc_u32 s1, s7, s1
	v_mov_b32_e32 v1, 0
	global_load_dword v1, v1, s[0:1]
	s_waitcnt vmcnt(0)
	v_cmp_ne_u32_e32 vcc, 0, v1
	s_cbranch_vccz .LBB5_39
.LBB5_38:
	s_endpgm
.LBB5_39:
	v_lshl_add_u32 v1, v0, 3, 48
	v_cmp_eq_u32_e32 vcc, 5, v0
	s_and_saveexec_b64 s[0:1], vcc
	s_cbranch_execz .LBB5_41
; %bb.40:
	scratch_load_dwordx2 v[2:3], off, off offset:32
	v_mov_b32_e32 v16, 0
	v_mov_b32_e32 v17, v16
	scratch_store_dwordx2 off, v[16:17], off offset:32
	s_waitcnt vmcnt(1)
	ds_write_b64 v1, v[2:3]
.LBB5_41:
	s_or_b64 exec, exec, s[0:1]
	s_waitcnt lgkmcnt(0)
	; wave barrier
	scratch_load_dwordx2 v[16:17], off, off offset:40
	scratch_load_dwordx2 v[18:19], off, off offset:32
	v_mov_b32_e32 v2, 0
	ds_read_b64 v[20:21], v2 offset:88
	v_cmp_lt_u32_e32 vcc, 3, v0
	s_waitcnt vmcnt(1) lgkmcnt(0)
	v_pk_mul_f32 v[22:23], v[20:21], v[16:17] op_sel:[1,1] op_sel_hi:[0,1]
	v_pk_fma_f32 v[24:25], v[20:21], v[16:17], v[22:23] neg_lo:[0,0,1] neg_hi:[0,0,1]
	v_pk_fma_f32 v[16:17], v[20:21], v[16:17], v[22:23] op_sel_hi:[1,0,1]
	s_nop 0
	v_mov_b32_e32 v25, v17
	v_pk_add_f32 v[16:17], v[24:25], 0 op_sel_hi:[1,0]
	s_waitcnt vmcnt(0)
	v_pk_add_f32 v[16:17], v[18:19], v[16:17] neg_lo:[0,1] neg_hi:[0,1]
	scratch_store_dwordx2 off, v[16:17], off offset:32
	s_and_saveexec_b64 s[0:1], vcc
	s_cbranch_execz .LBB5_43
; %bb.42:
	scratch_load_dwordx2 v[16:17], off, off offset:24
	v_mov_b32_e32 v3, v2
	scratch_store_dwordx2 off, v[2:3], off offset:24
	s_waitcnt vmcnt(1)
	ds_write_b64 v1, v[16:17]
.LBB5_43:
	s_or_b64 exec, exec, s[0:1]
	s_waitcnt lgkmcnt(0)
	; wave barrier
	scratch_load_dwordx4 v[16:19], off, off offset:32
	scratch_load_dwordx2 v[24:25], off, off offset:24
	ds_read_b128 v[20:23], v2 offset:80
	v_cmp_lt_u32_e32 vcc, 2, v0
	s_waitcnt vmcnt(1) lgkmcnt(0)
	v_pk_mul_f32 v[2:3], v[20:21], v[16:17] op_sel:[1,1] op_sel_hi:[0,1]
	v_mov_b32_e32 v26, v19
	v_pk_fma_f32 v[28:29], v[20:21], v[16:17], v[2:3] neg_lo:[0,0,1] neg_hi:[0,0,1]
	v_pk_fma_f32 v[2:3], v[20:21], v[16:17], v[2:3] op_sel_hi:[1,0,1]
	v_pk_mul_f32 v[16:17], v[22:23], v[26:27] op_sel:[1,0] op_sel_hi:[0,0]
	v_mov_b32_e32 v29, v3
	v_pk_fma_f32 v[2:3], v[22:23], v[18:19], v[16:17] neg_lo:[0,0,1] neg_hi:[0,0,1]
	v_pk_fma_f32 v[16:17], v[22:23], v[18:19], v[16:17] op_sel_hi:[1,0,1]
	v_pk_add_f32 v[18:19], v[28:29], 0 op_sel_hi:[1,0]
	v_mov_b32_e32 v3, v17
	v_pk_add_f32 v[2:3], v[18:19], v[2:3]
	s_waitcnt vmcnt(0)
	v_pk_add_f32 v[2:3], v[24:25], v[2:3] neg_lo:[0,1] neg_hi:[0,1]
	scratch_store_dwordx2 off, v[2:3], off offset:24
	s_and_saveexec_b64 s[0:1], vcc
	s_cbranch_execz .LBB5_45
; %bb.44:
	scratch_load_dwordx2 v[2:3], off, off offset:16
	v_mov_b32_e32 v16, 0
	v_mov_b32_e32 v17, v16
	scratch_store_dwordx2 off, v[16:17], off offset:16
	s_waitcnt vmcnt(1)
	ds_write_b64 v1, v[2:3]
.LBB5_45:
	s_or_b64 exec, exec, s[0:1]
	s_waitcnt lgkmcnt(0)
	; wave barrier
	scratch_load_dwordx4 v[16:19], off, off offset:24
	scratch_load_dwordx2 v[24:25], off, off offset:40
	scratch_load_dwordx2 v[26:27], off, off offset:16
	v_mov_b32_e32 v2, 0
	ds_read2_b64 v[20:23], v2 offset0:9 offset1:10
	ds_read_b64 v[28:29], v2 offset:88
	v_cmp_lt_u32_e32 vcc, 1, v0
	s_waitcnt vmcnt(2) lgkmcnt(1)
	v_pk_mul_f32 v[30:31], v[20:21], v[16:17] op_sel:[1,1] op_sel_hi:[0,1]
	v_mov_b32_e32 v32, v19
	v_pk_fma_f32 v[36:37], v[20:21], v[16:17], v[30:31] neg_lo:[0,0,1] neg_hi:[0,0,1]
	v_pk_fma_f32 v[16:17], v[20:21], v[16:17], v[30:31] op_sel_hi:[1,0,1]
	v_pk_mul_f32 v[20:21], v[22:23], v[32:33] op_sel:[1,0] op_sel_hi:[0,0]
	s_waitcnt vmcnt(1) lgkmcnt(0)
	v_pk_mul_f32 v[34:35], v[28:29], v[24:25] op_sel:[1,1] op_sel_hi:[0,1]
	v_mov_b32_e32 v37, v17
	v_pk_fma_f32 v[16:17], v[22:23], v[18:19], v[20:21] neg_lo:[0,0,1] neg_hi:[0,0,1]
	v_pk_fma_f32 v[18:19], v[22:23], v[18:19], v[20:21] op_sel_hi:[1,0,1]
	v_pk_fma_f32 v[30:31], v[28:29], v[24:25], v[34:35] neg_lo:[0,0,1] neg_hi:[0,0,1]
	v_pk_fma_f32 v[24:25], v[28:29], v[24:25], v[34:35] op_sel_hi:[1,0,1]
	v_pk_add_f32 v[20:21], v[36:37], 0 op_sel_hi:[1,0]
	v_mov_b32_e32 v17, v19
	v_mov_b32_e32 v31, v25
	v_pk_add_f32 v[16:17], v[20:21], v[16:17]
	s_nop 0
	v_pk_add_f32 v[16:17], v[16:17], v[30:31]
	s_waitcnt vmcnt(0)
	v_pk_add_f32 v[16:17], v[26:27], v[16:17] neg_lo:[0,1] neg_hi:[0,1]
	scratch_store_dwordx2 off, v[16:17], off offset:16
	s_and_saveexec_b64 s[0:1], vcc
	s_cbranch_execz .LBB5_47
; %bb.46:
	scratch_load_dwordx2 v[16:17], off, off offset:8
	v_mov_b32_e32 v3, v2
	scratch_store_dwordx2 off, v[2:3], off offset:8
	s_waitcnt vmcnt(1)
	ds_write_b64 v1, v[16:17]
.LBB5_47:
	s_or_b64 exec, exec, s[0:1]
	s_waitcnt lgkmcnt(0)
	; wave barrier
	scratch_load_dwordx4 v[16:19], off, off offset:16
	scratch_load_dwordx4 v[20:23], off, off offset:32
	scratch_load_dwordx2 v[32:33], off, off offset:8
	ds_read_b128 v[24:27], v2 offset:64
	ds_read_b128 v[28:31], v2 offset:80
	v_cmp_ne_u32_e32 vcc, 0, v0
	s_waitcnt vmcnt(2) lgkmcnt(1)
	v_pk_mul_f32 v[2:3], v[24:25], v[16:17] op_sel:[1,1] op_sel_hi:[0,1]
	v_mov_b32_e32 v34, v19
	s_waitcnt vmcnt(1) lgkmcnt(0)
	v_pk_mul_f32 v[36:37], v[28:29], v[20:21] op_sel:[1,1] op_sel_hi:[0,1]
	v_mov_b32_e32 v38, v23
	v_pk_fma_f32 v[40:41], v[24:25], v[16:17], v[2:3] neg_lo:[0,0,1] neg_hi:[0,0,1]
	v_pk_fma_f32 v[2:3], v[24:25], v[16:17], v[2:3] op_sel_hi:[1,0,1]
	v_pk_mul_f32 v[16:17], v[26:27], v[34:35] op_sel:[1,0] op_sel_hi:[0,0]
	v_pk_fma_f32 v[24:25], v[28:29], v[20:21], v[36:37] neg_lo:[0,0,1] neg_hi:[0,0,1]
	v_pk_fma_f32 v[20:21], v[28:29], v[20:21], v[36:37] op_sel_hi:[1,0,1]
	v_pk_mul_f32 v[28:29], v[30:31], v[38:39] op_sel:[1,0] op_sel_hi:[0,0]
	v_mov_b32_e32 v41, v3
	v_pk_fma_f32 v[2:3], v[26:27], v[18:19], v[16:17] neg_lo:[0,0,1] neg_hi:[0,0,1]
	v_pk_fma_f32 v[16:17], v[26:27], v[18:19], v[16:17] op_sel_hi:[1,0,1]
	v_mov_b32_e32 v25, v21
	v_pk_fma_f32 v[18:19], v[30:31], v[22:23], v[28:29] neg_lo:[0,0,1] neg_hi:[0,0,1]
	v_pk_fma_f32 v[20:21], v[30:31], v[22:23], v[28:29] op_sel_hi:[1,0,1]
	v_pk_add_f32 v[22:23], v[40:41], 0 op_sel_hi:[1,0]
	v_mov_b32_e32 v3, v17
	v_pk_add_f32 v[2:3], v[22:23], v[2:3]
	v_mov_b32_e32 v19, v21
	v_pk_add_f32 v[2:3], v[2:3], v[24:25]
	s_nop 0
	v_pk_add_f32 v[2:3], v[2:3], v[18:19]
	s_waitcnt vmcnt(0)
	v_pk_add_f32 v[2:3], v[32:33], v[2:3] neg_lo:[0,1] neg_hi:[0,1]
	scratch_store_dwordx2 off, v[2:3], off offset:8
	s_and_saveexec_b64 s[0:1], vcc
	s_cbranch_execz .LBB5_49
; %bb.48:
	scratch_load_dwordx2 v[2:3], off, off
	v_mov_b32_e32 v16, 0
	v_mov_b32_e32 v17, v16
	scratch_store_dwordx2 off, v[16:17], off
	s_waitcnt vmcnt(1)
	ds_write_b64 v1, v[2:3]
.LBB5_49:
	s_or_b64 exec, exec, s[0:1]
	s_waitcnt lgkmcnt(0)
	; wave barrier
	scratch_load_dwordx4 v[18:21], off, off offset:8
	scratch_load_dwordx4 v[0:3], off, off offset:24
	scratch_load_dwordx2 v[30:31], off, off offset:40
	scratch_load_dwordx2 v[32:33], off, off
	v_mov_b32_e32 v16, 0
	ds_read2_b64 v[22:25], v16 offset0:7 offset1:8
	ds_read2_b64 v[26:29], v16 offset0:9 offset1:10
	ds_read_b64 v[34:35], v16 offset:88
	s_and_b64 vcc, exec, s[18:19]
	s_waitcnt vmcnt(3) lgkmcnt(2)
	v_pk_mul_f32 v[36:37], v[22:23], v[18:19] op_sel:[1,1] op_sel_hi:[0,1]
	v_mov_b32_e32 v38, v21
	v_pk_fma_f32 v[46:47], v[22:23], v[18:19], v[36:37] neg_lo:[0,0,1] neg_hi:[0,0,1]
	v_pk_fma_f32 v[18:19], v[22:23], v[18:19], v[36:37] op_sel_hi:[1,0,1]
	v_pk_mul_f32 v[22:23], v[24:25], v[38:39] op_sel:[1,0] op_sel_hi:[0,0]
	s_waitcnt vmcnt(2) lgkmcnt(1)
	v_pk_mul_f32 v[40:41], v[26:27], v[0:1] op_sel:[1,1] op_sel_hi:[0,1]
	v_mov_b32_e32 v42, v3
	v_mov_b32_e32 v47, v19
	v_pk_fma_f32 v[18:19], v[24:25], v[20:21], v[22:23] neg_lo:[0,0,1] neg_hi:[0,0,1]
	v_pk_fma_f32 v[20:21], v[24:25], v[20:21], v[22:23] op_sel_hi:[1,0,1]
	v_pk_fma_f32 v[36:37], v[26:27], v[0:1], v[40:41] neg_lo:[0,0,1] neg_hi:[0,0,1]
	v_pk_fma_f32 v[0:1], v[26:27], v[0:1], v[40:41] op_sel_hi:[1,0,1]
	v_pk_mul_f32 v[26:27], v[28:29], v[42:43] op_sel:[1,0] op_sel_hi:[0,0]
	v_pk_add_f32 v[24:25], v[46:47], 0 op_sel_hi:[1,0]
	v_mov_b32_e32 v19, v21
	s_waitcnt vmcnt(1) lgkmcnt(0)
	v_pk_mul_f32 v[44:45], v[34:35], v[30:31] op_sel:[1,1] op_sel_hi:[0,1]
	v_mov_b32_e32 v37, v1
	v_pk_fma_f32 v[0:1], v[28:29], v[2:3], v[26:27] neg_lo:[0,0,1] neg_hi:[0,0,1]
	v_pk_fma_f32 v[22:23], v[28:29], v[2:3], v[26:27] op_sel_hi:[1,0,1]
	v_pk_add_f32 v[18:19], v[24:25], v[18:19]
	v_pk_fma_f32 v[38:39], v[34:35], v[30:31], v[44:45] neg_lo:[0,0,1] neg_hi:[0,0,1]
	v_pk_fma_f32 v[30:31], v[34:35], v[30:31], v[44:45] op_sel_hi:[1,0,1]
	v_mov_b32_e32 v1, v23
	v_pk_add_f32 v[18:19], v[18:19], v[36:37]
	v_mov_b32_e32 v39, v31
	v_pk_add_f32 v[0:1], v[18:19], v[0:1]
	s_nop 0
	v_pk_add_f32 v[0:1], v[0:1], v[38:39]
	s_waitcnt vmcnt(0)
	v_pk_add_f32 v[0:1], v[32:33], v[0:1] neg_lo:[0,1] neg_hi:[0,1]
	scratch_store_dwordx2 off, v[0:1], off
	s_cbranch_vccz .LBB5_60
; %bb.50:
	global_load_dword v0, v16, s[16:17] offset:16
	s_waitcnt vmcnt(0)
	v_readfirstlane_b32 s0, v0
	s_add_i32 s0, s0, -1
	s_cmp_lg_u32 s0, 4
	s_cbranch_scc0 .LBB5_52
; %bb.51:
	s_lshl_b32 s0, s0, 3
	s_nop 0
	scratch_load_dwordx2 v[0:1], off, s0
	s_waitcnt vmcnt(0)
	scratch_store_dwordx2 off, v[0:1], off offset:32
	scratch_store_dwordx2 off, v[2:3], s0
.LBB5_52:
	v_mov_b32_e32 v0, 0
	global_load_dword v1, v0, s[16:17] offset:12
	s_waitcnt vmcnt(0)
	v_readfirstlane_b32 s0, v1
	s_add_i32 s0, s0, -1
	s_cmp_eq_u32 s0, 3
	s_cbranch_scc1 .LBB5_54
; %bb.53:
	s_lshl_b32 s0, s0, 3
	s_nop 0
	scratch_load_dwordx2 v[2:3], off, s0
	scratch_load_dwordx2 v[16:17], off, off offset:24
	s_waitcnt vmcnt(1)
	scratch_store_dwordx2 off, v[2:3], off offset:24
	s_waitcnt vmcnt(1)
	scratch_store_dwordx2 off, v[16:17], s0
.LBB5_54:
	global_load_dword v0, v0, s[16:17] offset:8
	s_waitcnt vmcnt(0)
	v_readfirstlane_b32 s0, v0
	s_add_i32 s0, s0, -1
	s_cmp_eq_u32 s0, 2
	s_cbranch_scc1 .LBB5_56
; %bb.55:
	s_lshl_b32 s0, s0, 3
	s_nop 0
	scratch_load_dwordx2 v[0:1], off, s0
	scratch_load_dwordx2 v[2:3], off, off offset:16
	s_waitcnt vmcnt(1)
	scratch_store_dwordx2 off, v[0:1], off offset:16
	s_waitcnt vmcnt(1)
	scratch_store_dwordx2 off, v[2:3], s0
.LBB5_56:
	v_mov_b32_e32 v0, 0
	global_load_dword v1, v0, s[16:17] offset:4
	s_waitcnt vmcnt(0)
	v_readfirstlane_b32 s0, v1
	s_add_i32 s0, s0, -1
	s_cmp_eq_u32 s0, 1
	s_cbranch_scc1 .LBB5_58
; %bb.57:
	s_lshl_b32 s0, s0, 3
	s_nop 0
	scratch_load_dwordx2 v[2:3], off, s0
	scratch_load_dwordx2 v[16:17], off, off offset:8
	s_waitcnt vmcnt(1)
	scratch_store_dwordx2 off, v[2:3], off offset:8
	s_waitcnt vmcnt(1)
	scratch_store_dwordx2 off, v[16:17], s0
.LBB5_58:
	global_load_dword v2, v0, s[16:17]
	s_nop 0
	scratch_load_dwordx2 v[0:1], off, off
	s_waitcnt vmcnt(1)
	v_readfirstlane_b32 s0, v2
	s_add_i32 s0, s0, -1
	s_cmp_eq_u32 s0, 0
	s_cbranch_scc1 .LBB5_60
; %bb.59:
	s_lshl_b32 s0, s0, 3
	s_nop 0
	scratch_load_dwordx2 v[2:3], off, s0
	s_waitcnt vmcnt(0)
	scratch_store_dwordx2 off, v[2:3], off
	scratch_store_dwordx2 off, v[0:1], s0
	scratch_load_dwordx2 v[0:1], off, off
.LBB5_60:
	s_nop 0
	scratch_load_dwordx4 v[16:19], off, off offset:8
	scratch_load_dwordx4 v[20:23], off, off offset:24
	scratch_load_dwordx2 v[2:3], off, off offset:40
	s_waitcnt vmcnt(3)
	global_store_dwordx2 v[4:5], v[0:1], off
	s_waitcnt vmcnt(3)
	global_store_dwordx2 v[6:7], v[16:17], off
	global_store_dwordx2 v[8:9], v[18:19], off
	s_waitcnt vmcnt(4)
	global_store_dwordx2 v[10:11], v[20:21], off
	;; [unrolled: 3-line block ×3, first 2 shown]
	s_endpgm
	.section	.rodata,"a",@progbits
	.p2align	6, 0x0
	.amdhsa_kernel _ZN9rocsolver6v33100L18getri_kernel_smallILi6E19rocblas_complex_numIfEPS3_EEvT1_iilPiilS6_bb
		.amdhsa_group_segment_fixed_size 100
		.amdhsa_private_segment_fixed_size 64
		.amdhsa_kernarg_size 60
		.amdhsa_user_sgpr_count 2
		.amdhsa_user_sgpr_dispatch_ptr 0
		.amdhsa_user_sgpr_queue_ptr 0
		.amdhsa_user_sgpr_kernarg_segment_ptr 1
		.amdhsa_user_sgpr_dispatch_id 0
		.amdhsa_user_sgpr_kernarg_preload_length 0
		.amdhsa_user_sgpr_kernarg_preload_offset 0
		.amdhsa_user_sgpr_private_segment_size 0
		.amdhsa_uses_dynamic_stack 0
		.amdhsa_enable_private_segment 1
		.amdhsa_system_sgpr_workgroup_id_x 1
		.amdhsa_system_sgpr_workgroup_id_y 0
		.amdhsa_system_sgpr_workgroup_id_z 0
		.amdhsa_system_sgpr_workgroup_info 0
		.amdhsa_system_vgpr_workitem_id 0
		.amdhsa_next_free_vgpr 48
		.amdhsa_next_free_sgpr 20
		.amdhsa_accum_offset 48
		.amdhsa_reserve_vcc 1
		.amdhsa_float_round_mode_32 0
		.amdhsa_float_round_mode_16_64 0
		.amdhsa_float_denorm_mode_32 3
		.amdhsa_float_denorm_mode_16_64 3
		.amdhsa_dx10_clamp 1
		.amdhsa_ieee_mode 1
		.amdhsa_fp16_overflow 0
		.amdhsa_tg_split 0
		.amdhsa_exception_fp_ieee_invalid_op 0
		.amdhsa_exception_fp_denorm_src 0
		.amdhsa_exception_fp_ieee_div_zero 0
		.amdhsa_exception_fp_ieee_overflow 0
		.amdhsa_exception_fp_ieee_underflow 0
		.amdhsa_exception_fp_ieee_inexact 0
		.amdhsa_exception_int_div_zero 0
	.end_amdhsa_kernel
	.section	.text._ZN9rocsolver6v33100L18getri_kernel_smallILi6E19rocblas_complex_numIfEPS3_EEvT1_iilPiilS6_bb,"axG",@progbits,_ZN9rocsolver6v33100L18getri_kernel_smallILi6E19rocblas_complex_numIfEPS3_EEvT1_iilPiilS6_bb,comdat
.Lfunc_end5:
	.size	_ZN9rocsolver6v33100L18getri_kernel_smallILi6E19rocblas_complex_numIfEPS3_EEvT1_iilPiilS6_bb, .Lfunc_end5-_ZN9rocsolver6v33100L18getri_kernel_smallILi6E19rocblas_complex_numIfEPS3_EEvT1_iilPiilS6_bb
                                        ; -- End function
	.set _ZN9rocsolver6v33100L18getri_kernel_smallILi6E19rocblas_complex_numIfEPS3_EEvT1_iilPiilS6_bb.num_vgpr, 48
	.set _ZN9rocsolver6v33100L18getri_kernel_smallILi6E19rocblas_complex_numIfEPS3_EEvT1_iilPiilS6_bb.num_agpr, 0
	.set _ZN9rocsolver6v33100L18getri_kernel_smallILi6E19rocblas_complex_numIfEPS3_EEvT1_iilPiilS6_bb.numbered_sgpr, 20
	.set _ZN9rocsolver6v33100L18getri_kernel_smallILi6E19rocblas_complex_numIfEPS3_EEvT1_iilPiilS6_bb.num_named_barrier, 0
	.set _ZN9rocsolver6v33100L18getri_kernel_smallILi6E19rocblas_complex_numIfEPS3_EEvT1_iilPiilS6_bb.private_seg_size, 64
	.set _ZN9rocsolver6v33100L18getri_kernel_smallILi6E19rocblas_complex_numIfEPS3_EEvT1_iilPiilS6_bb.uses_vcc, 1
	.set _ZN9rocsolver6v33100L18getri_kernel_smallILi6E19rocblas_complex_numIfEPS3_EEvT1_iilPiilS6_bb.uses_flat_scratch, 0
	.set _ZN9rocsolver6v33100L18getri_kernel_smallILi6E19rocblas_complex_numIfEPS3_EEvT1_iilPiilS6_bb.has_dyn_sized_stack, 0
	.set _ZN9rocsolver6v33100L18getri_kernel_smallILi6E19rocblas_complex_numIfEPS3_EEvT1_iilPiilS6_bb.has_recursion, 0
	.set _ZN9rocsolver6v33100L18getri_kernel_smallILi6E19rocblas_complex_numIfEPS3_EEvT1_iilPiilS6_bb.has_indirect_call, 0
	.section	.AMDGPU.csdata,"",@progbits
; Kernel info:
; codeLenInByte = 3788
; TotalNumSgprs: 26
; NumVgprs: 48
; NumAgprs: 0
; TotalNumVgprs: 48
; ScratchSize: 64
; MemoryBound: 0
; FloatMode: 240
; IeeeMode: 1
; LDSByteSize: 100 bytes/workgroup (compile time only)
; SGPRBlocks: 3
; VGPRBlocks: 5
; NumSGPRsForWavesPerEU: 26
; NumVGPRsForWavesPerEU: 48
; AccumOffset: 48
; Occupancy: 8
; WaveLimiterHint : 0
; COMPUTE_PGM_RSRC2:SCRATCH_EN: 1
; COMPUTE_PGM_RSRC2:USER_SGPR: 2
; COMPUTE_PGM_RSRC2:TRAP_HANDLER: 0
; COMPUTE_PGM_RSRC2:TGID_X_EN: 1
; COMPUTE_PGM_RSRC2:TGID_Y_EN: 0
; COMPUTE_PGM_RSRC2:TGID_Z_EN: 0
; COMPUTE_PGM_RSRC2:TIDIG_COMP_CNT: 0
; COMPUTE_PGM_RSRC3_GFX90A:ACCUM_OFFSET: 11
; COMPUTE_PGM_RSRC3_GFX90A:TG_SPLIT: 0
	.section	.text._ZN9rocsolver6v33100L18getri_kernel_smallILi7E19rocblas_complex_numIfEPS3_EEvT1_iilPiilS6_bb,"axG",@progbits,_ZN9rocsolver6v33100L18getri_kernel_smallILi7E19rocblas_complex_numIfEPS3_EEvT1_iilPiilS6_bb,comdat
	.globl	_ZN9rocsolver6v33100L18getri_kernel_smallILi7E19rocblas_complex_numIfEPS3_EEvT1_iilPiilS6_bb ; -- Begin function _ZN9rocsolver6v33100L18getri_kernel_smallILi7E19rocblas_complex_numIfEPS3_EEvT1_iilPiilS6_bb
	.p2align	8
	.type	_ZN9rocsolver6v33100L18getri_kernel_smallILi7E19rocblas_complex_numIfEPS3_EEvT1_iilPiilS6_bb,@function
_ZN9rocsolver6v33100L18getri_kernel_smallILi7E19rocblas_complex_numIfEPS3_EEvT1_iilPiilS6_bb: ; @_ZN9rocsolver6v33100L18getri_kernel_smallILi7E19rocblas_complex_numIfEPS3_EEvT1_iilPiilS6_bb
; %bb.0:
	v_cmp_gt_u32_e32 vcc, 7, v0
	s_and_saveexec_b64 s[4:5], vcc
	s_cbranch_execz .LBB6_42
; %bb.1:
	s_load_dword s8, s[0:1], 0x38
	s_load_dwordx4 s[12:15], s[0:1], 0x10
	s_load_dwordx4 s[4:7], s[0:1], 0x28
                                        ; implicit-def: $sgpr16_sgpr17
	s_waitcnt lgkmcnt(0)
	s_bitcmp1_b32 s8, 8
	s_cselect_b64 s[18:19], -1, 0
	s_ashr_i32 s3, s2, 31
	s_bfe_u32 s8, s8, 0x10008
	s_cmp_eq_u32 s8, 0
	s_cbranch_scc1 .LBB6_3
; %bb.2:
	s_load_dword s8, s[0:1], 0x20
	s_mul_i32 s9, s4, s3
	s_mul_hi_u32 s10, s4, s2
	s_mul_i32 s5, s5, s2
	s_add_i32 s10, s10, s9
	s_add_i32 s5, s10, s5
	s_mul_i32 s4, s4, s2
	s_waitcnt lgkmcnt(0)
	s_ashr_i32 s9, s8, 31
	s_lshl_b64 s[4:5], s[4:5], 2
	s_add_u32 s10, s14, s4
	s_addc_u32 s11, s15, s5
	s_lshl_b64 s[4:5], s[8:9], 2
	s_add_u32 s16, s10, s4
	s_addc_u32 s17, s11, s5
.LBB6_3:
	s_load_dwordx4 s[8:11], s[0:1], 0x0
	s_load_dword s14, s[0:1], 0x38
	s_mul_i32 s4, s12, s3
	s_mul_hi_u32 s5, s12, s2
	s_add_i32 s4, s5, s4
	s_mul_i32 s5, s13, s2
	s_add_i32 s5, s4, s5
	s_mul_i32 s4, s12, s2
	s_waitcnt lgkmcnt(0)
	s_ashr_i32 s1, s10, 31
	s_lshl_b64 s[4:5], s[4:5], 3
	s_mov_b32 s0, s10
	s_add_u32 s4, s8, s4
	s_addc_u32 s5, s9, s5
	s_lshl_b64 s[0:1], s[0:1], 3
	s_add_u32 s0, s4, s0
	s_addc_u32 s1, s5, s1
	v_lshlrev_b32_e32 v2, 3, v0
	v_mov_b32_e32 v3, 0
	v_lshl_add_u64 v[4:5], s[0:1], 0, v[2:3]
	s_ashr_i32 s5, s11, 31
	s_mov_b32 s4, s11
	v_lshl_add_u64 v[6:7], s[4:5], 3, v[4:5]
	s_add_i32 s4, s11, s11
	v_add_u32_e32 v10, s4, v0
	v_add_u32_e32 v12, s11, v10
	;; [unrolled: 1-line block ×4, first 2 shown]
	v_ashrrev_i32_e32 v11, 31, v10
	v_ashrrev_i32_e32 v13, 31, v12
	;; [unrolled: 1-line block ×4, first 2 shown]
	v_lshl_add_u64 v[8:9], v[10:11], 3, s[0:1]
	v_lshl_add_u64 v[10:11], v[12:13], 3, s[0:1]
	;; [unrolled: 1-line block ×4, first 2 shown]
	v_add_u32_e32 v16, s11, v16
	v_ashrrev_i32_e32 v17, 31, v16
	global_load_dwordx2 v[20:21], v2, s[0:1]
	global_load_dwordx2 v[22:23], v[6:7], off
	global_load_dwordx2 v[24:25], v[8:9], off
	;; [unrolled: 1-line block ×4, first 2 shown]
	v_lshl_add_u64 v[16:17], v[16:17], 3, s[0:1]
	global_load_dwordx2 v[30:31], v[14:15], off
	global_load_dwordx2 v[18:19], v[16:17], off
	s_bitcmp0_b32 s14, 0
	s_mov_b64 s[4:5], -1
	s_waitcnt vmcnt(5)
	scratch_store_dwordx4 off, v[20:23], off
	s_waitcnt vmcnt(4)
	scratch_store_dwordx4 off, v[24:27], off offset:16
	s_waitcnt vmcnt(3)
	scratch_store_dwordx4 off, v[28:31], off offset:32
	s_waitcnt vmcnt(3)
	scratch_store_dwordx2 off, v[18:19], off offset:48
	s_cbranch_scc1 .LBB6_40
; %bb.4:
	v_cmp_eq_u32_e64 s[0:1], 0, v0
	s_and_saveexec_b64 s[4:5], s[0:1]
; %bb.5:
	v_mov_b32_e32 v1, 0
	ds_write_b32 v1, v1 offset:56
; %bb.6:
	s_or_b64 exec, exec, s[4:5]
	s_waitcnt lgkmcnt(0)
	; wave barrier
	scratch_load_dwordx2 v[18:19], v2, off
	s_waitcnt vmcnt(0)
	v_cmp_eq_f32_e32 vcc, 0, v18
	v_cmp_eq_f32_e64 s[4:5], 0, v19
	s_and_b64 s[4:5], vcc, s[4:5]
	s_and_saveexec_b64 s[8:9], s[4:5]
	s_cbranch_execz .LBB6_10
; %bb.7:
	v_mov_b32_e32 v1, 0
	ds_read_b32 v18, v1 offset:56
	v_add_u32_e32 v3, 1, v0
	s_waitcnt lgkmcnt(0)
	v_readfirstlane_b32 s4, v18
	s_cmp_eq_u32 s4, 0
	s_cselect_b64 s[10:11], -1, 0
	v_cmp_gt_i32_e32 vcc, s4, v3
	s_or_b64 s[10:11], s[10:11], vcc
	s_and_b64 exec, exec, s[10:11]
	s_cbranch_execz .LBB6_10
; %bb.8:
	s_mov_b64 s[10:11], 0
	v_mov_b32_e32 v18, s4
.LBB6_9:                                ; =>This Inner Loop Header: Depth=1
	ds_cmpst_rtn_b32 v18, v1, v18, v3 offset:56
	s_waitcnt lgkmcnt(0)
	v_cmp_ne_u32_e32 vcc, 0, v18
	v_cmp_le_i32_e64 s[4:5], v18, v3
	s_and_b64 s[4:5], vcc, s[4:5]
	s_and_b64 s[4:5], exec, s[4:5]
	s_or_b64 s[10:11], s[4:5], s[10:11]
	s_andn2_b64 exec, exec, s[10:11]
	s_cbranch_execnz .LBB6_9
.LBB6_10:
	s_or_b64 exec, exec, s[8:9]
	v_mov_b32_e32 v3, 0
	; wave barrier
	ds_read_b32 v1, v3 offset:56
	s_and_saveexec_b64 s[4:5], s[0:1]
	s_cbranch_execz .LBB6_12
; %bb.11:
	s_lshl_b64 s[8:9], s[2:3], 2
	s_add_u32 s8, s6, s8
	s_addc_u32 s9, s7, s9
	s_waitcnt lgkmcnt(0)
	global_store_dword v3, v1, s[8:9]
.LBB6_12:
	s_or_b64 exec, exec, s[4:5]
	s_waitcnt lgkmcnt(0)
	v_cmp_ne_u32_e32 vcc, 0, v1
	s_mov_b64 s[4:5], 0
	s_cbranch_vccnz .LBB6_40
; %bb.13:
	v_mov_b32_e32 v3, v2
	scratch_load_dwordx2 v[18:19], v3, off
                                        ; implicit-def: $vgpr21
                                        ; implicit-def: $vgpr22
	s_waitcnt vmcnt(0)
	v_cmp_ngt_f32_e64 s[4:5], |v18|, |v19|
	s_and_saveexec_b64 s[8:9], s[4:5]
	s_xor_b64 s[4:5], exec, s[8:9]
	s_cbranch_execz .LBB6_15
; %bb.14:
	v_div_scale_f32 v1, s[8:9], v19, v19, v18
	v_rcp_f32_e32 v20, v1
	v_div_scale_f32 v21, vcc, v18, v19, v18
	v_fma_f32 v22, -v1, v20, 1.0
	v_fmac_f32_e32 v20, v22, v20
	v_mul_f32_e32 v22, v21, v20
	v_fma_f32 v23, -v1, v22, v21
	v_fmac_f32_e32 v22, v23, v20
	v_fma_f32 v1, -v1, v22, v21
	v_div_fmas_f32 v1, v1, v20, v22
	v_div_fixup_f32 v1, v1, v19, v18
	v_fmac_f32_e32 v19, v18, v1
	v_div_scale_f32 v18, s[8:9], v19, v19, -1.0
	v_rcp_f32_e32 v20, v18
	s_nop 0
	v_fma_f32 v21, -v18, v20, 1.0
	v_fmac_f32_e32 v20, v21, v20
	v_div_scale_f32 v21, vcc, -1.0, v19, -1.0
	v_mul_f32_e32 v22, v21, v20
	v_fma_f32 v23, -v18, v22, v21
	v_fmac_f32_e32 v22, v23, v20
	v_fma_f32 v18, -v18, v22, v21
	v_div_fmas_f32 v18, v18, v20, v22
	v_div_fixup_f32 v21, v18, v19, -1.0
	v_mul_f32_e32 v22, v1, v21
	v_xor_b32_e32 v20, 0x80000000, v22
                                        ; implicit-def: $vgpr18_vgpr19
.LBB6_15:
	s_andn2_saveexec_b64 s[4:5], s[4:5]
	s_cbranch_execz .LBB6_17
; %bb.16:
	v_div_scale_f32 v1, s[8:9], v18, v18, v19
	v_rcp_f32_e32 v20, v1
	v_div_scale_f32 v21, vcc, v19, v18, v19
	v_fma_f32 v22, -v1, v20, 1.0
	v_fmac_f32_e32 v20, v22, v20
	v_mul_f32_e32 v22, v21, v20
	v_fma_f32 v23, -v1, v22, v21
	v_fmac_f32_e32 v22, v23, v20
	v_fma_f32 v1, -v1, v22, v21
	v_div_fmas_f32 v1, v1, v20, v22
	v_div_fixup_f32 v1, v1, v18, v19
	v_fmac_f32_e32 v18, v19, v1
	v_div_scale_f32 v19, s[8:9], v18, v18, 1.0
	v_rcp_f32_e32 v20, v19
	s_nop 0
	v_fma_f32 v21, -v19, v20, 1.0
	v_fmac_f32_e32 v20, v21, v20
	v_div_scale_f32 v21, vcc, 1.0, v18, 1.0
	v_mul_f32_e32 v22, v21, v20
	v_fma_f32 v23, -v19, v22, v21
	v_fmac_f32_e32 v22, v23, v20
	v_fma_f32 v19, -v19, v22, v21
	v_div_fmas_f32 v19, v19, v20, v22
	v_div_fixup_f32 v20, v19, v18, 1.0
	v_xor_b32_e32 v22, 0x80000000, v20
	v_mul_f32_e64 v21, v1, -v20
.LBB6_17:
	s_or_b64 exec, exec, s[4:5]
	scratch_store_dwordx2 v3, v[20:21], off
	scratch_load_dwordx2 v[18:19], off, off offset:8
	v_xor_b32_e32 v23, 0x80000000, v21
	v_add_u32_e32 v1, 64, v2
	s_waitcnt vmcnt(0)
	ds_write2_b64 v2, v[22:23], v[18:19] offset1:8
	s_waitcnt lgkmcnt(0)
	; wave barrier
	s_and_saveexec_b64 s[4:5], s[0:1]
	s_cbranch_execz .LBB6_19
; %bb.18:
	scratch_load_dwordx2 v[18:19], v3, off
	ds_read_b64 v[20:21], v1
	v_mov_b32_e32 v22, 0
	ds_read_b64 v[22:23], v22 offset:8
	s_waitcnt vmcnt(0) lgkmcnt(1)
	v_pk_mul_f32 v[24:25], v[20:21], v[18:19] op_sel:[1,1] op_sel_hi:[0,1]
	v_pk_fma_f32 v[26:27], v[20:21], v[18:19], v[24:25] neg_lo:[0,0,1] neg_hi:[0,0,1]
	v_pk_fma_f32 v[18:19], v[20:21], v[18:19], v[24:25] op_sel_hi:[1,0,1]
	s_nop 0
	v_mov_b32_e32 v27, v19
	v_pk_add_f32 v[18:19], v[26:27], 0 op_sel_hi:[1,0]
	s_waitcnt lgkmcnt(0)
	v_pk_mul_f32 v[20:21], v[18:19], v[22:23] op_sel:[1,1] op_sel_hi:[0,1]
	v_pk_fma_f32 v[24:25], v[18:19], v[22:23], v[20:21] neg_lo:[0,0,1] neg_hi:[0,0,1]
	v_pk_fma_f32 v[18:19], v[18:19], v[22:23], v[20:21] op_sel_hi:[1,0,1]
	s_nop 0
	v_mov_b32_e32 v25, v19
	scratch_store_dwordx2 off, v[24:25], off offset:8
.LBB6_19:
	s_or_b64 exec, exec, s[4:5]
	; wave barrier
	scratch_load_dwordx2 v[18:19], off, off offset:16
	v_cmp_gt_u32_e32 vcc, 2, v0
	s_waitcnt vmcnt(0)
	ds_write_b64 v1, v[18:19]
	s_waitcnt lgkmcnt(0)
	; wave barrier
	s_and_saveexec_b64 s[4:5], vcc
	s_cbranch_execz .LBB6_23
; %bb.20:
	scratch_load_dwordx2 v[18:19], v3, off
	ds_read_b64 v[20:21], v1
	s_waitcnt vmcnt(0) lgkmcnt(0)
	v_pk_mul_f32 v[22:23], v[20:21], v[18:19] op_sel:[1,1] op_sel_hi:[0,1]
	v_pk_fma_f32 v[24:25], v[20:21], v[18:19], v[22:23] neg_lo:[0,0,1] neg_hi:[0,0,1]
	v_pk_fma_f32 v[18:19], v[20:21], v[18:19], v[22:23] op_sel_hi:[1,0,1]
	s_nop 0
	v_mov_b32_e32 v25, v19
	v_pk_add_f32 v[18:19], v[24:25], 0 op_sel_hi:[1,0]
	s_and_saveexec_b64 s[8:9], s[0:1]
	s_cbranch_execz .LBB6_22
; %bb.21:
	scratch_load_dwordx2 v[20:21], off, off offset:8
	v_mov_b32_e32 v3, 0
	ds_read_b64 v[22:23], v3 offset:72
	s_waitcnt vmcnt(0) lgkmcnt(0)
	v_pk_mul_f32 v[24:25], v[22:23], v[20:21] op_sel:[1,1] op_sel_hi:[0,1]
	v_pk_fma_f32 v[26:27], v[22:23], v[20:21], v[24:25] neg_lo:[0,0,1] neg_hi:[0,0,1]
	v_pk_fma_f32 v[20:21], v[22:23], v[20:21], v[24:25] op_sel_hi:[1,0,1]
	s_nop 0
	v_mov_b32_e32 v27, v21
	v_pk_add_f32 v[18:19], v[18:19], v[26:27]
.LBB6_22:
	s_or_b64 exec, exec, s[8:9]
	v_mov_b32_e32 v3, 0
	ds_read_b64 v[20:21], v3 offset:16
	s_waitcnt lgkmcnt(0)
	v_pk_mul_f32 v[22:23], v[18:19], v[20:21] op_sel:[1,1] op_sel_hi:[0,1]
	v_pk_fma_f32 v[24:25], v[18:19], v[20:21], v[22:23] neg_lo:[0,0,1] neg_hi:[0,0,1]
	v_pk_fma_f32 v[18:19], v[18:19], v[20:21], v[22:23] op_sel_hi:[1,0,1]
	s_nop 0
	v_mov_b32_e32 v25, v19
	scratch_store_dwordx2 off, v[24:25], off offset:16
.LBB6_23:
	s_or_b64 exec, exec, s[4:5]
	; wave barrier
	scratch_load_dwordx2 v[18:19], off, off offset:24
	v_cmp_gt_u32_e32 vcc, 3, v0
	v_add_u32_e32 v20, -1, v0
	s_waitcnt vmcnt(0)
	ds_write_b64 v1, v[18:19]
	s_waitcnt lgkmcnt(0)
	; wave barrier
	s_and_saveexec_b64 s[0:1], vcc
	s_cbranch_execz .LBB6_27
; %bb.24:
	v_mov_b32_e32 v18, 0
	v_add_u32_e32 v3, -1, v0
	v_add_u32_e32 v21, 64, v2
	v_mov_b32_e32 v22, v2
	s_mov_b64 s[4:5], 0
	v_mov_b32_e32 v19, v18
.LBB6_25:                               ; =>This Inner Loop Header: Depth=1
	scratch_load_dwordx2 v[24:25], v22, off
	ds_read_b64 v[26:27], v21
	v_add_u32_e32 v3, 1, v3
	v_cmp_lt_u32_e32 vcc, 1, v3
	v_add_u32_e32 v21, 8, v21
	v_add_u32_e32 v22, 8, v22
	s_or_b64 s[4:5], vcc, s[4:5]
	s_waitcnt vmcnt(0) lgkmcnt(0)
	v_pk_mul_f32 v[28:29], v[26:27], v[24:25] op_sel:[1,1] op_sel_hi:[0,1]
	v_pk_fma_f32 v[30:31], v[26:27], v[24:25], v[28:29] neg_lo:[0,0,1] neg_hi:[0,0,1]
	v_pk_fma_f32 v[24:25], v[26:27], v[24:25], v[28:29] op_sel_hi:[1,0,1]
	s_nop 0
	v_mov_b32_e32 v31, v25
	v_pk_add_f32 v[18:19], v[18:19], v[30:31]
	s_andn2_b64 exec, exec, s[4:5]
	s_cbranch_execnz .LBB6_25
; %bb.26:
	s_or_b64 exec, exec, s[4:5]
	v_mov_b32_e32 v3, 0
	ds_read_b64 v[22:23], v3 offset:24
	s_waitcnt lgkmcnt(0)
	v_pk_mul_f32 v[24:25], v[18:19], v[22:23] op_sel:[1,1] op_sel_hi:[0,1]
	v_pk_fma_f32 v[26:27], v[18:19], v[22:23], v[24:25] neg_lo:[0,0,1] neg_hi:[0,0,1]
	v_pk_fma_f32 v[18:19], v[18:19], v[22:23], v[24:25] op_sel_hi:[1,0,1]
	s_nop 0
	v_mov_b32_e32 v27, v19
	scratch_store_dwordx2 off, v[26:27], off offset:24
.LBB6_27:
	s_or_b64 exec, exec, s[0:1]
	; wave barrier
	scratch_load_dwordx2 v[18:19], off, off offset:32
	v_cmp_gt_u32_e32 vcc, 4, v0
	s_waitcnt vmcnt(0)
	ds_write_b64 v1, v[18:19]
	s_waitcnt lgkmcnt(0)
	; wave barrier
	s_and_saveexec_b64 s[0:1], vcc
	s_cbranch_execz .LBB6_31
; %bb.28:
	v_mov_b32_e32 v18, 0
	v_add_u32_e32 v3, -1, v0
	v_add_u32_e32 v21, 64, v2
	v_mov_b32_e32 v22, v2
	s_mov_b64 s[4:5], 0
	v_mov_b32_e32 v19, v18
.LBB6_29:                               ; =>This Inner Loop Header: Depth=1
	scratch_load_dwordx2 v[24:25], v22, off
	ds_read_b64 v[26:27], v21
	v_add_u32_e32 v3, 1, v3
	v_cmp_lt_u32_e32 vcc, 2, v3
	v_add_u32_e32 v21, 8, v21
	v_add_u32_e32 v22, 8, v22
	s_or_b64 s[4:5], vcc, s[4:5]
	s_waitcnt vmcnt(0) lgkmcnt(0)
	v_pk_mul_f32 v[28:29], v[26:27], v[24:25] op_sel:[1,1] op_sel_hi:[0,1]
	v_pk_fma_f32 v[30:31], v[26:27], v[24:25], v[28:29] neg_lo:[0,0,1] neg_hi:[0,0,1]
	v_pk_fma_f32 v[24:25], v[26:27], v[24:25], v[28:29] op_sel_hi:[1,0,1]
	s_nop 0
	v_mov_b32_e32 v31, v25
	v_pk_add_f32 v[18:19], v[18:19], v[30:31]
	s_andn2_b64 exec, exec, s[4:5]
	s_cbranch_execnz .LBB6_29
; %bb.30:
	s_or_b64 exec, exec, s[4:5]
	v_mov_b32_e32 v3, 0
	ds_read_b64 v[22:23], v3 offset:32
	s_waitcnt lgkmcnt(0)
	v_pk_mul_f32 v[24:25], v[18:19], v[22:23] op_sel:[1,1] op_sel_hi:[0,1]
	v_pk_fma_f32 v[26:27], v[18:19], v[22:23], v[24:25] neg_lo:[0,0,1] neg_hi:[0,0,1]
	v_pk_fma_f32 v[18:19], v[18:19], v[22:23], v[24:25] op_sel_hi:[1,0,1]
	s_nop 0
	v_mov_b32_e32 v27, v19
	scratch_store_dwordx2 off, v[26:27], off offset:32
.LBB6_31:
	s_or_b64 exec, exec, s[0:1]
	; wave barrier
	scratch_load_dwordx2 v[18:19], off, off offset:40
	v_cmp_gt_u32_e32 vcc, 5, v0
	s_waitcnt vmcnt(0)
	ds_write_b64 v1, v[18:19]
	s_waitcnt lgkmcnt(0)
	; wave barrier
	s_and_saveexec_b64 s[0:1], vcc
	s_cbranch_execz .LBB6_35
; %bb.32:
	v_mov_b32_e32 v18, 0
	v_add_u32_e32 v3, -1, v0
	v_add_u32_e32 v21, 64, v2
	v_mov_b32_e32 v22, v2
	s_mov_b64 s[4:5], 0
	v_mov_b32_e32 v19, v18
.LBB6_33:                               ; =>This Inner Loop Header: Depth=1
	scratch_load_dwordx2 v[24:25], v22, off
	ds_read_b64 v[26:27], v21
	v_add_u32_e32 v3, 1, v3
	v_cmp_lt_u32_e32 vcc, 3, v3
	v_add_u32_e32 v21, 8, v21
	v_add_u32_e32 v22, 8, v22
	s_or_b64 s[4:5], vcc, s[4:5]
	s_waitcnt vmcnt(0) lgkmcnt(0)
	v_pk_mul_f32 v[28:29], v[26:27], v[24:25] op_sel:[1,1] op_sel_hi:[0,1]
	v_pk_fma_f32 v[30:31], v[26:27], v[24:25], v[28:29] neg_lo:[0,0,1] neg_hi:[0,0,1]
	v_pk_fma_f32 v[24:25], v[26:27], v[24:25], v[28:29] op_sel_hi:[1,0,1]
	s_nop 0
	v_mov_b32_e32 v31, v25
	v_pk_add_f32 v[18:19], v[18:19], v[30:31]
	s_andn2_b64 exec, exec, s[4:5]
	s_cbranch_execnz .LBB6_33
; %bb.34:
	s_or_b64 exec, exec, s[4:5]
	v_mov_b32_e32 v3, 0
	ds_read_b64 v[22:23], v3 offset:40
	s_waitcnt lgkmcnt(0)
	v_pk_mul_f32 v[24:25], v[18:19], v[22:23] op_sel:[1,1] op_sel_hi:[0,1]
	v_pk_fma_f32 v[26:27], v[18:19], v[22:23], v[24:25] neg_lo:[0,0,1] neg_hi:[0,0,1]
	v_pk_fma_f32 v[18:19], v[18:19], v[22:23], v[24:25] op_sel_hi:[1,0,1]
	s_nop 0
	v_mov_b32_e32 v27, v19
	scratch_store_dwordx2 off, v[26:27], off offset:40
.LBB6_35:
	s_or_b64 exec, exec, s[0:1]
	; wave barrier
	scratch_load_dwordx2 v[18:19], off, off offset:48
	v_cmp_ne_u32_e32 vcc, 6, v0
	s_waitcnt vmcnt(0)
	ds_write_b64 v1, v[18:19]
	s_waitcnt lgkmcnt(0)
	; wave barrier
	s_and_saveexec_b64 s[0:1], vcc
	s_cbranch_execz .LBB6_39
; %bb.36:
	v_mov_b32_e32 v18, v2
	v_mov_b32_e32 v2, 0
	s_mov_b64 s[4:5], 0
	v_mov_b32_e32 v3, v2
.LBB6_37:                               ; =>This Inner Loop Header: Depth=1
	scratch_load_dwordx2 v[22:23], v18, off
	ds_read_b64 v[24:25], v1
	v_add_u32_e32 v20, 1, v20
	v_cmp_lt_u32_e32 vcc, 4, v20
	v_add_u32_e32 v1, 8, v1
	v_add_u32_e32 v18, 8, v18
	s_or_b64 s[4:5], vcc, s[4:5]
	s_waitcnt vmcnt(0) lgkmcnt(0)
	v_pk_mul_f32 v[26:27], v[24:25], v[22:23] op_sel:[1,1] op_sel_hi:[0,1]
	v_pk_fma_f32 v[28:29], v[24:25], v[22:23], v[26:27] neg_lo:[0,0,1] neg_hi:[0,0,1]
	v_pk_fma_f32 v[22:23], v[24:25], v[22:23], v[26:27] op_sel_hi:[1,0,1]
	s_nop 0
	v_mov_b32_e32 v29, v23
	v_pk_add_f32 v[2:3], v[2:3], v[28:29]
	s_andn2_b64 exec, exec, s[4:5]
	s_cbranch_execnz .LBB6_37
; %bb.38:
	s_or_b64 exec, exec, s[4:5]
	v_mov_b32_e32 v1, 0
	ds_read_b64 v[18:19], v1 offset:48
	s_waitcnt lgkmcnt(0)
	v_pk_mul_f32 v[20:21], v[2:3], v[18:19] op_sel:[1,1] op_sel_hi:[0,1]
	v_pk_fma_f32 v[22:23], v[2:3], v[18:19], v[20:21] neg_lo:[0,0,1] neg_hi:[0,0,1]
	v_pk_fma_f32 v[2:3], v[2:3], v[18:19], v[20:21] op_sel_hi:[1,0,1]
	s_nop 0
	v_mov_b32_e32 v23, v3
	scratch_store_dwordx2 off, v[22:23], off offset:48
.LBB6_39:
	s_or_b64 exec, exec, s[0:1]
	s_mov_b64 s[4:5], -1
	; wave barrier
.LBB6_40:
	s_and_b64 vcc, exec, s[4:5]
	s_cbranch_vccz .LBB6_42
; %bb.41:
	s_lshl_b64 s[0:1], s[2:3], 2
	s_add_u32 s0, s6, s0
	s_addc_u32 s1, s7, s1
	v_mov_b32_e32 v1, 0
	global_load_dword v1, v1, s[0:1]
	s_waitcnt vmcnt(0)
	v_cmp_ne_u32_e32 vcc, 0, v1
	s_cbranch_vccz .LBB6_43
.LBB6_42:
	s_endpgm
.LBB6_43:
	v_lshl_add_u32 v1, v0, 3, 64
	v_cmp_eq_u32_e32 vcc, 6, v0
	s_and_saveexec_b64 s[0:1], vcc
	s_cbranch_execz .LBB6_45
; %bb.44:
	scratch_load_dwordx2 v[2:3], off, off offset:40
	v_mov_b32_e32 v18, 0
	v_mov_b32_e32 v19, v18
	scratch_store_dwordx2 off, v[18:19], off offset:40
	s_waitcnt vmcnt(1)
	ds_write_b64 v1, v[2:3]
.LBB6_45:
	s_or_b64 exec, exec, s[0:1]
	s_waitcnt lgkmcnt(0)
	; wave barrier
	scratch_load_dwordx2 v[18:19], off, off offset:48
	scratch_load_dwordx2 v[20:21], off, off offset:40
	v_mov_b32_e32 v2, 0
	ds_read_b64 v[22:23], v2 offset:112
	v_cmp_lt_u32_e32 vcc, 4, v0
	s_waitcnt vmcnt(1) lgkmcnt(0)
	v_pk_mul_f32 v[24:25], v[22:23], v[18:19] op_sel:[1,1] op_sel_hi:[0,1]
	v_pk_fma_f32 v[26:27], v[22:23], v[18:19], v[24:25] neg_lo:[0,0,1] neg_hi:[0,0,1]
	v_pk_fma_f32 v[18:19], v[22:23], v[18:19], v[24:25] op_sel_hi:[1,0,1]
	s_nop 0
	v_mov_b32_e32 v27, v19
	v_pk_add_f32 v[18:19], v[26:27], 0 op_sel_hi:[1,0]
	s_waitcnt vmcnt(0)
	v_pk_add_f32 v[18:19], v[20:21], v[18:19] neg_lo:[0,1] neg_hi:[0,1]
	scratch_store_dwordx2 off, v[18:19], off offset:40
	s_and_saveexec_b64 s[0:1], vcc
	s_cbranch_execz .LBB6_47
; %bb.46:
	scratch_load_dwordx2 v[18:19], off, off offset:32
	v_mov_b32_e32 v3, v2
	scratch_store_dwordx2 off, v[2:3], off offset:32
	s_waitcnt vmcnt(1)
	ds_write_b64 v1, v[18:19]
.LBB6_47:
	s_or_b64 exec, exec, s[0:1]
	s_waitcnt lgkmcnt(0)
	; wave barrier
	scratch_load_dwordx4 v[18:21], off, off offset:40
	scratch_load_dwordx2 v[26:27], off, off offset:32
	ds_read2_b64 v[22:25], v2 offset0:13 offset1:14
	v_cmp_lt_u32_e32 vcc, 3, v0
	s_waitcnt vmcnt(1) lgkmcnt(0)
	v_pk_mul_f32 v[2:3], v[22:23], v[18:19] op_sel:[1,1] op_sel_hi:[0,1]
	v_mov_b32_e32 v28, v21
	v_pk_fma_f32 v[30:31], v[22:23], v[18:19], v[2:3] neg_lo:[0,0,1] neg_hi:[0,0,1]
	v_pk_fma_f32 v[2:3], v[22:23], v[18:19], v[2:3] op_sel_hi:[1,0,1]
	v_pk_mul_f32 v[18:19], v[24:25], v[28:29] op_sel:[1,0] op_sel_hi:[0,0]
	v_mov_b32_e32 v31, v3
	v_pk_fma_f32 v[2:3], v[24:25], v[20:21], v[18:19] neg_lo:[0,0,1] neg_hi:[0,0,1]
	v_pk_fma_f32 v[18:19], v[24:25], v[20:21], v[18:19] op_sel_hi:[1,0,1]
	v_pk_add_f32 v[20:21], v[30:31], 0 op_sel_hi:[1,0]
	v_mov_b32_e32 v3, v19
	v_pk_add_f32 v[2:3], v[20:21], v[2:3]
	s_waitcnt vmcnt(0)
	v_pk_add_f32 v[2:3], v[26:27], v[2:3] neg_lo:[0,1] neg_hi:[0,1]
	scratch_store_dwordx2 off, v[2:3], off offset:32
	s_and_saveexec_b64 s[0:1], vcc
	s_cbranch_execz .LBB6_49
; %bb.48:
	scratch_load_dwordx2 v[2:3], off, off offset:24
	v_mov_b32_e32 v18, 0
	v_mov_b32_e32 v19, v18
	scratch_store_dwordx2 off, v[18:19], off offset:24
	s_waitcnt vmcnt(1)
	ds_write_b64 v1, v[2:3]
.LBB6_49:
	s_or_b64 exec, exec, s[0:1]
	s_waitcnt lgkmcnt(0)
	; wave barrier
	scratch_load_dwordx4 v[18:21], off, off offset:32
	scratch_load_dwordx2 v[26:27], off, off offset:48
	scratch_load_dwordx2 v[28:29], off, off offset:24
	v_mov_b32_e32 v2, 0
	ds_read_b128 v[22:25], v2 offset:96
	ds_read_b64 v[30:31], v2 offset:112
	v_cmp_lt_u32_e32 vcc, 2, v0
	s_waitcnt vmcnt(2) lgkmcnt(1)
	v_pk_mul_f32 v[32:33], v[22:23], v[18:19] op_sel:[1,1] op_sel_hi:[0,1]
	v_mov_b32_e32 v34, v21
	v_pk_fma_f32 v[38:39], v[22:23], v[18:19], v[32:33] neg_lo:[0,0,1] neg_hi:[0,0,1]
	v_pk_fma_f32 v[18:19], v[22:23], v[18:19], v[32:33] op_sel_hi:[1,0,1]
	v_pk_mul_f32 v[22:23], v[24:25], v[34:35] op_sel:[1,0] op_sel_hi:[0,0]
	s_waitcnt vmcnt(1) lgkmcnt(0)
	v_pk_mul_f32 v[36:37], v[30:31], v[26:27] op_sel:[1,1] op_sel_hi:[0,1]
	v_mov_b32_e32 v39, v19
	v_pk_fma_f32 v[18:19], v[24:25], v[20:21], v[22:23] neg_lo:[0,0,1] neg_hi:[0,0,1]
	v_pk_fma_f32 v[20:21], v[24:25], v[20:21], v[22:23] op_sel_hi:[1,0,1]
	v_pk_fma_f32 v[32:33], v[30:31], v[26:27], v[36:37] neg_lo:[0,0,1] neg_hi:[0,0,1]
	v_pk_fma_f32 v[26:27], v[30:31], v[26:27], v[36:37] op_sel_hi:[1,0,1]
	v_pk_add_f32 v[22:23], v[38:39], 0 op_sel_hi:[1,0]
	v_mov_b32_e32 v19, v21
	v_mov_b32_e32 v33, v27
	v_pk_add_f32 v[18:19], v[22:23], v[18:19]
	s_nop 0
	v_pk_add_f32 v[18:19], v[18:19], v[32:33]
	s_waitcnt vmcnt(0)
	v_pk_add_f32 v[18:19], v[28:29], v[18:19] neg_lo:[0,1] neg_hi:[0,1]
	scratch_store_dwordx2 off, v[18:19], off offset:24
	s_and_saveexec_b64 s[0:1], vcc
	s_cbranch_execz .LBB6_51
; %bb.50:
	scratch_load_dwordx2 v[18:19], off, off offset:16
	v_mov_b32_e32 v3, v2
	scratch_store_dwordx2 off, v[2:3], off offset:16
	s_waitcnt vmcnt(1)
	ds_write_b64 v1, v[18:19]
.LBB6_51:
	s_or_b64 exec, exec, s[0:1]
	s_waitcnt lgkmcnt(0)
	; wave barrier
	scratch_load_dwordx4 v[18:21], off, off offset:24
	scratch_load_dwordx4 v[22:25], off, off offset:40
	scratch_load_dwordx2 v[34:35], off, off offset:16
	ds_read2_b64 v[26:29], v2 offset0:11 offset1:12
	ds_read2_b64 v[30:33], v2 offset0:13 offset1:14
	v_cmp_lt_u32_e32 vcc, 1, v0
	s_waitcnt vmcnt(2) lgkmcnt(1)
	v_pk_mul_f32 v[2:3], v[26:27], v[18:19] op_sel:[1,1] op_sel_hi:[0,1]
	v_mov_b32_e32 v36, v21
	s_waitcnt vmcnt(1) lgkmcnt(0)
	v_pk_mul_f32 v[38:39], v[30:31], v[22:23] op_sel:[1,1] op_sel_hi:[0,1]
	v_mov_b32_e32 v40, v25
	v_pk_fma_f32 v[42:43], v[26:27], v[18:19], v[2:3] neg_lo:[0,0,1] neg_hi:[0,0,1]
	v_pk_fma_f32 v[2:3], v[26:27], v[18:19], v[2:3] op_sel_hi:[1,0,1]
	v_pk_mul_f32 v[18:19], v[28:29], v[36:37] op_sel:[1,0] op_sel_hi:[0,0]
	v_pk_fma_f32 v[26:27], v[30:31], v[22:23], v[38:39] neg_lo:[0,0,1] neg_hi:[0,0,1]
	v_pk_fma_f32 v[22:23], v[30:31], v[22:23], v[38:39] op_sel_hi:[1,0,1]
	v_pk_mul_f32 v[30:31], v[32:33], v[40:41] op_sel:[1,0] op_sel_hi:[0,0]
	v_mov_b32_e32 v43, v3
	v_pk_fma_f32 v[2:3], v[28:29], v[20:21], v[18:19] neg_lo:[0,0,1] neg_hi:[0,0,1]
	v_pk_fma_f32 v[18:19], v[28:29], v[20:21], v[18:19] op_sel_hi:[1,0,1]
	v_mov_b32_e32 v27, v23
	v_pk_fma_f32 v[20:21], v[32:33], v[24:25], v[30:31] neg_lo:[0,0,1] neg_hi:[0,0,1]
	v_pk_fma_f32 v[22:23], v[32:33], v[24:25], v[30:31] op_sel_hi:[1,0,1]
	v_pk_add_f32 v[24:25], v[42:43], 0 op_sel_hi:[1,0]
	v_mov_b32_e32 v3, v19
	v_pk_add_f32 v[2:3], v[24:25], v[2:3]
	v_mov_b32_e32 v21, v23
	v_pk_add_f32 v[2:3], v[2:3], v[26:27]
	s_nop 0
	v_pk_add_f32 v[2:3], v[2:3], v[20:21]
	s_waitcnt vmcnt(0)
	v_pk_add_f32 v[2:3], v[34:35], v[2:3] neg_lo:[0,1] neg_hi:[0,1]
	scratch_store_dwordx2 off, v[2:3], off offset:16
	s_and_saveexec_b64 s[0:1], vcc
	s_cbranch_execz .LBB6_53
; %bb.52:
	scratch_load_dwordx2 v[2:3], off, off offset:8
	v_mov_b32_e32 v18, 0
	v_mov_b32_e32 v19, v18
	scratch_store_dwordx2 off, v[18:19], off offset:8
	s_waitcnt vmcnt(1)
	ds_write_b64 v1, v[2:3]
.LBB6_53:
	s_or_b64 exec, exec, s[0:1]
	s_waitcnt lgkmcnt(0)
	; wave barrier
	scratch_load_dwordx4 v[20:23], off, off offset:16
	scratch_load_dwordx4 v[24:27], off, off offset:32
	scratch_load_dwordx2 v[2:3], off, off offset:48
	scratch_load_dwordx2 v[36:37], off, off offset:8
	v_mov_b32_e32 v18, 0
	ds_read_b128 v[28:31], v18 offset:80
	ds_read_b128 v[32:35], v18 offset:96
	ds_read_b64 v[38:39], v18 offset:112
	v_cmp_ne_u32_e32 vcc, 0, v0
	s_waitcnt vmcnt(3) lgkmcnt(2)
	v_pk_mul_f32 v[40:41], v[28:29], v[20:21] op_sel:[1,1] op_sel_hi:[0,1]
	v_mov_b32_e32 v42, v23
	s_waitcnt vmcnt(1) lgkmcnt(0)
	v_pk_mul_f32 v[48:49], v[38:39], v[2:3] op_sel:[1,1] op_sel_hi:[0,1]
	v_pk_fma_f32 v[50:51], v[28:29], v[20:21], v[40:41] neg_lo:[0,0,1] neg_hi:[0,0,1]
	v_pk_fma_f32 v[20:21], v[28:29], v[20:21], v[40:41] op_sel_hi:[1,0,1]
	v_pk_mul_f32 v[28:29], v[30:31], v[42:43] op_sel:[1,0] op_sel_hi:[0,0]
	v_pk_mul_f32 v[44:45], v[32:33], v[24:25] op_sel:[1,1] op_sel_hi:[0,1]
	v_mov_b32_e32 v46, v27
	v_pk_fma_f32 v[42:43], v[38:39], v[2:3], v[48:49] neg_lo:[0,0,1] neg_hi:[0,0,1]
	v_pk_fma_f32 v[2:3], v[38:39], v[2:3], v[48:49] op_sel_hi:[1,0,1]
	v_mov_b32_e32 v51, v21
	v_pk_fma_f32 v[20:21], v[30:31], v[22:23], v[28:29] neg_lo:[0,0,1] neg_hi:[0,0,1]
	v_pk_fma_f32 v[22:23], v[30:31], v[22:23], v[28:29] op_sel_hi:[1,0,1]
	v_pk_fma_f32 v[40:41], v[32:33], v[24:25], v[44:45] neg_lo:[0,0,1] neg_hi:[0,0,1]
	v_pk_fma_f32 v[24:25], v[32:33], v[24:25], v[44:45] op_sel_hi:[1,0,1]
	v_pk_mul_f32 v[32:33], v[34:35], v[46:47] op_sel:[1,0] op_sel_hi:[0,0]
	v_mov_b32_e32 v43, v3
	v_pk_add_f32 v[2:3], v[50:51], 0 op_sel_hi:[1,0]
	v_mov_b32_e32 v21, v23
	v_mov_b32_e32 v41, v25
	v_pk_fma_f32 v[24:25], v[34:35], v[26:27], v[32:33] neg_lo:[0,0,1] neg_hi:[0,0,1]
	v_pk_fma_f32 v[26:27], v[34:35], v[26:27], v[32:33] op_sel_hi:[1,0,1]
	v_pk_add_f32 v[2:3], v[2:3], v[20:21]
	v_mov_b32_e32 v25, v27
	v_pk_add_f32 v[2:3], v[2:3], v[40:41]
	s_nop 0
	v_pk_add_f32 v[2:3], v[2:3], v[24:25]
	s_nop 0
	v_pk_add_f32 v[2:3], v[2:3], v[42:43]
	s_waitcnt vmcnt(0)
	v_pk_add_f32 v[2:3], v[36:37], v[2:3] neg_lo:[0,1] neg_hi:[0,1]
	scratch_store_dwordx2 off, v[2:3], off offset:8
	s_and_saveexec_b64 s[0:1], vcc
	s_cbranch_execz .LBB6_55
; %bb.54:
	scratch_load_dwordx2 v[2:3], off, off
	v_mov_b32_e32 v19, v18
	scratch_store_dwordx2 off, v[18:19], off
	s_waitcnt vmcnt(1)
	ds_write_b64 v1, v[2:3]
.LBB6_55:
	s_or_b64 exec, exec, s[0:1]
	s_waitcnt lgkmcnt(0)
	; wave barrier
	scratch_load_dwordx4 v[20:23], off, off offset:8
	scratch_load_dwordx4 v[24:27], off, off offset:24
	;; [unrolled: 1-line block ×3, first 2 shown]
	scratch_load_dwordx2 v[40:41], off, off
	ds_read2_b64 v[28:31], v18 offset0:9 offset1:10
	ds_read2_b64 v[32:35], v18 offset0:11 offset1:12
	;; [unrolled: 1-line block ×3, first 2 shown]
	s_and_b64 vcc, exec, s[18:19]
	s_waitcnt vmcnt(3) lgkmcnt(2)
	v_pk_mul_f32 v[18:19], v[28:29], v[20:21] op_sel:[1,1] op_sel_hi:[0,1]
	v_mov_b32_e32 v42, v23
	s_waitcnt vmcnt(2) lgkmcnt(1)
	v_pk_mul_f32 v[44:45], v[32:33], v[24:25] op_sel:[1,1] op_sel_hi:[0,1]
	v_mov_b32_e32 v46, v27
	s_waitcnt vmcnt(1)
	v_mov_b32_e32 v50, v3
	v_pk_fma_f32 v[52:53], v[28:29], v[20:21], v[18:19] neg_lo:[0,0,1] neg_hi:[0,0,1]
	v_pk_fma_f32 v[18:19], v[28:29], v[20:21], v[18:19] op_sel_hi:[1,0,1]
	v_pk_mul_f32 v[20:21], v[30:31], v[42:43] op_sel:[1,0] op_sel_hi:[0,0]
	v_pk_fma_f32 v[28:29], v[32:33], v[24:25], v[44:45] neg_lo:[0,0,1] neg_hi:[0,0,1]
	v_pk_fma_f32 v[24:25], v[32:33], v[24:25], v[44:45] op_sel_hi:[1,0,1]
	v_pk_mul_f32 v[32:33], v[34:35], v[46:47] op_sel:[1,0] op_sel_hi:[0,0]
	s_waitcnt lgkmcnt(0)
	v_pk_mul_f32 v[44:45], v[38:39], v[50:51] op_sel:[1,0] op_sel_hi:[0,0]
	v_mov_b32_e32 v53, v19
	v_pk_fma_f32 v[18:19], v[30:31], v[22:23], v[20:21] neg_lo:[0,0,1] neg_hi:[0,0,1]
	v_pk_fma_f32 v[20:21], v[30:31], v[22:23], v[20:21] op_sel_hi:[1,0,1]
	v_mov_b32_e32 v29, v25
	v_pk_fma_f32 v[22:23], v[34:35], v[26:27], v[32:33] neg_lo:[0,0,1] neg_hi:[0,0,1]
	v_pk_fma_f32 v[24:25], v[34:35], v[26:27], v[32:33] op_sel_hi:[1,0,1]
	v_pk_fma_f32 v[26:27], v[38:39], v[2:3], v[44:45] neg_lo:[0,0,1] neg_hi:[0,0,1]
	v_pk_fma_f32 v[2:3], v[38:39], v[2:3], v[44:45] op_sel_hi:[1,0,1]
	v_pk_add_f32 v[30:31], v[52:53], 0 op_sel_hi:[1,0]
	v_mov_b32_e32 v19, v21
	v_pk_mul_f32 v[48:49], v[36:37], v[0:1] op_sel:[1,1] op_sel_hi:[0,1]
	v_mov_b32_e32 v27, v3
	v_pk_add_f32 v[2:3], v[30:31], v[18:19]
	v_pk_fma_f32 v[42:43], v[36:37], v[0:1], v[48:49] neg_lo:[0,0,1] neg_hi:[0,0,1]
	v_pk_fma_f32 v[36:37], v[36:37], v[0:1], v[48:49] op_sel_hi:[1,0,1]
	v_mov_b32_e32 v23, v25
	v_pk_add_f32 v[2:3], v[2:3], v[28:29]
	v_mov_b32_e32 v43, v37
	v_pk_add_f32 v[2:3], v[2:3], v[22:23]
	s_nop 0
	v_pk_add_f32 v[2:3], v[2:3], v[42:43]
	s_nop 0
	v_pk_add_f32 v[2:3], v[2:3], v[26:27]
	s_waitcnt vmcnt(0)
	v_pk_add_f32 v[2:3], v[40:41], v[2:3] neg_lo:[0,1] neg_hi:[0,1]
	scratch_store_dwordx2 off, v[2:3], off
	s_cbranch_vccz .LBB6_68
; %bb.56:
	v_mov_b32_e32 v2, 0
	global_load_dword v3, v2, s[16:17] offset:20
	s_waitcnt vmcnt(0)
	v_readfirstlane_b32 s0, v3
	s_add_i32 s0, s0, -1
	s_cmp_lg_u32 s0, 5
	s_cbranch_scc0 .LBB6_58
; %bb.57:
	s_lshl_b32 s0, s0, 3
	s_nop 0
	scratch_load_dwordx2 v[18:19], off, s0
	s_waitcnt vmcnt(0)
	scratch_store_dwordx2 off, v[18:19], off offset:40
	scratch_store_dwordx2 off, v[0:1], s0
.LBB6_58:
	global_load_dword v0, v2, s[16:17] offset:16
	s_waitcnt vmcnt(0)
	v_readfirstlane_b32 s0, v0
	s_add_i32 s0, s0, -1
	s_cmp_eq_u32 s0, 4
	s_cbranch_scc1 .LBB6_60
; %bb.59:
	s_lshl_b32 s0, s0, 3
	s_nop 0
	scratch_load_dwordx2 v[0:1], off, s0
	scratch_load_dwordx2 v[2:3], off, off offset:32
	s_waitcnt vmcnt(1)
	scratch_store_dwordx2 off, v[0:1], off offset:32
	s_waitcnt vmcnt(1)
	scratch_store_dwordx2 off, v[2:3], s0
.LBB6_60:
	v_mov_b32_e32 v0, 0
	global_load_dword v1, v0, s[16:17] offset:12
	s_waitcnt vmcnt(0)
	v_readfirstlane_b32 s0, v1
	s_add_i32 s0, s0, -1
	s_cmp_eq_u32 s0, 3
	s_cbranch_scc1 .LBB6_62
; %bb.61:
	s_lshl_b32 s0, s0, 3
	s_nop 0
	scratch_load_dwordx2 v[2:3], off, s0
	scratch_load_dwordx2 v[18:19], off, off offset:24
	s_waitcnt vmcnt(1)
	scratch_store_dwordx2 off, v[2:3], off offset:24
	s_waitcnt vmcnt(1)
	scratch_store_dwordx2 off, v[18:19], s0
.LBB6_62:
	global_load_dword v0, v0, s[16:17] offset:8
	s_waitcnt vmcnt(0)
	v_readfirstlane_b32 s0, v0
	s_add_i32 s0, s0, -1
	s_cmp_eq_u32 s0, 2
	s_cbranch_scc1 .LBB6_64
; %bb.63:
	s_lshl_b32 s0, s0, 3
	s_nop 0
	scratch_load_dwordx2 v[0:1], off, s0
	scratch_load_dwordx2 v[2:3], off, off offset:16
	s_waitcnt vmcnt(1)
	scratch_store_dwordx2 off, v[0:1], off offset:16
	s_waitcnt vmcnt(1)
	scratch_store_dwordx2 off, v[2:3], s0
.LBB6_64:
	v_mov_b32_e32 v0, 0
	global_load_dword v1, v0, s[16:17] offset:4
	s_waitcnt vmcnt(0)
	v_readfirstlane_b32 s0, v1
	s_add_i32 s0, s0, -1
	s_cmp_eq_u32 s0, 1
	s_cbranch_scc1 .LBB6_66
; %bb.65:
	s_lshl_b32 s0, s0, 3
	s_nop 0
	scratch_load_dwordx2 v[2:3], off, s0
	scratch_load_dwordx2 v[18:19], off, off offset:8
	s_waitcnt vmcnt(1)
	scratch_store_dwordx2 off, v[2:3], off offset:8
	s_waitcnt vmcnt(1)
	scratch_store_dwordx2 off, v[18:19], s0
.LBB6_66:
	global_load_dword v0, v0, s[16:17]
	s_nop 0
	scratch_load_dwordx2 v[2:3], off, off
	s_waitcnt vmcnt(1)
	v_readfirstlane_b32 s0, v0
	s_add_i32 s0, s0, -1
	s_cmp_eq_u32 s0, 0
	s_cbranch_scc1 .LBB6_68
; %bb.67:
	s_lshl_b32 s0, s0, 3
	s_nop 0
	scratch_load_dwordx2 v[0:1], off, s0
	s_waitcnt vmcnt(0)
	scratch_store_dwordx2 off, v[0:1], off
	scratch_store_dwordx2 off, v[2:3], s0
	scratch_load_dwordx2 v[2:3], off, off
.LBB6_68:
	s_nop 0
	scratch_load_dwordx4 v[18:21], off, off offset:8
	scratch_load_dwordx4 v[22:25], off, off offset:24
	;; [unrolled: 1-line block ×3, first 2 shown]
	s_waitcnt vmcnt(3)
	global_store_dwordx2 v[4:5], v[2:3], off
	s_waitcnt vmcnt(3)
	global_store_dwordx2 v[6:7], v[18:19], off
	global_store_dwordx2 v[8:9], v[20:21], off
	s_waitcnt vmcnt(4)
	global_store_dwordx2 v[10:11], v[22:23], off
	;; [unrolled: 3-line block ×3, first 2 shown]
	global_store_dwordx2 v[16:17], v[28:29], off
	s_endpgm
	.section	.rodata,"a",@progbits
	.p2align	6, 0x0
	.amdhsa_kernel _ZN9rocsolver6v33100L18getri_kernel_smallILi7E19rocblas_complex_numIfEPS3_EEvT1_iilPiilS6_bb
		.amdhsa_group_segment_fixed_size 120
		.amdhsa_private_segment_fixed_size 64
		.amdhsa_kernarg_size 60
		.amdhsa_user_sgpr_count 2
		.amdhsa_user_sgpr_dispatch_ptr 0
		.amdhsa_user_sgpr_queue_ptr 0
		.amdhsa_user_sgpr_kernarg_segment_ptr 1
		.amdhsa_user_sgpr_dispatch_id 0
		.amdhsa_user_sgpr_kernarg_preload_length 0
		.amdhsa_user_sgpr_kernarg_preload_offset 0
		.amdhsa_user_sgpr_private_segment_size 0
		.amdhsa_uses_dynamic_stack 0
		.amdhsa_enable_private_segment 1
		.amdhsa_system_sgpr_workgroup_id_x 1
		.amdhsa_system_sgpr_workgroup_id_y 0
		.amdhsa_system_sgpr_workgroup_id_z 0
		.amdhsa_system_sgpr_workgroup_info 0
		.amdhsa_system_vgpr_workitem_id 0
		.amdhsa_next_free_vgpr 54
		.amdhsa_next_free_sgpr 20
		.amdhsa_accum_offset 56
		.amdhsa_reserve_vcc 1
		.amdhsa_float_round_mode_32 0
		.amdhsa_float_round_mode_16_64 0
		.amdhsa_float_denorm_mode_32 3
		.amdhsa_float_denorm_mode_16_64 3
		.amdhsa_dx10_clamp 1
		.amdhsa_ieee_mode 1
		.amdhsa_fp16_overflow 0
		.amdhsa_tg_split 0
		.amdhsa_exception_fp_ieee_invalid_op 0
		.amdhsa_exception_fp_denorm_src 0
		.amdhsa_exception_fp_ieee_div_zero 0
		.amdhsa_exception_fp_ieee_overflow 0
		.amdhsa_exception_fp_ieee_underflow 0
		.amdhsa_exception_fp_ieee_inexact 0
		.amdhsa_exception_int_div_zero 0
	.end_amdhsa_kernel
	.section	.text._ZN9rocsolver6v33100L18getri_kernel_smallILi7E19rocblas_complex_numIfEPS3_EEvT1_iilPiilS6_bb,"axG",@progbits,_ZN9rocsolver6v33100L18getri_kernel_smallILi7E19rocblas_complex_numIfEPS3_EEvT1_iilPiilS6_bb,comdat
.Lfunc_end6:
	.size	_ZN9rocsolver6v33100L18getri_kernel_smallILi7E19rocblas_complex_numIfEPS3_EEvT1_iilPiilS6_bb, .Lfunc_end6-_ZN9rocsolver6v33100L18getri_kernel_smallILi7E19rocblas_complex_numIfEPS3_EEvT1_iilPiilS6_bb
                                        ; -- End function
	.set _ZN9rocsolver6v33100L18getri_kernel_smallILi7E19rocblas_complex_numIfEPS3_EEvT1_iilPiilS6_bb.num_vgpr, 54
	.set _ZN9rocsolver6v33100L18getri_kernel_smallILi7E19rocblas_complex_numIfEPS3_EEvT1_iilPiilS6_bb.num_agpr, 0
	.set _ZN9rocsolver6v33100L18getri_kernel_smallILi7E19rocblas_complex_numIfEPS3_EEvT1_iilPiilS6_bb.numbered_sgpr, 20
	.set _ZN9rocsolver6v33100L18getri_kernel_smallILi7E19rocblas_complex_numIfEPS3_EEvT1_iilPiilS6_bb.num_named_barrier, 0
	.set _ZN9rocsolver6v33100L18getri_kernel_smallILi7E19rocblas_complex_numIfEPS3_EEvT1_iilPiilS6_bb.private_seg_size, 64
	.set _ZN9rocsolver6v33100L18getri_kernel_smallILi7E19rocblas_complex_numIfEPS3_EEvT1_iilPiilS6_bb.uses_vcc, 1
	.set _ZN9rocsolver6v33100L18getri_kernel_smallILi7E19rocblas_complex_numIfEPS3_EEvT1_iilPiilS6_bb.uses_flat_scratch, 0
	.set _ZN9rocsolver6v33100L18getri_kernel_smallILi7E19rocblas_complex_numIfEPS3_EEvT1_iilPiilS6_bb.has_dyn_sized_stack, 0
	.set _ZN9rocsolver6v33100L18getri_kernel_smallILi7E19rocblas_complex_numIfEPS3_EEvT1_iilPiilS6_bb.has_recursion, 0
	.set _ZN9rocsolver6v33100L18getri_kernel_smallILi7E19rocblas_complex_numIfEPS3_EEvT1_iilPiilS6_bb.has_indirect_call, 0
	.section	.AMDGPU.csdata,"",@progbits
; Kernel info:
; codeLenInByte = 4504
; TotalNumSgprs: 26
; NumVgprs: 54
; NumAgprs: 0
; TotalNumVgprs: 54
; ScratchSize: 64
; MemoryBound: 0
; FloatMode: 240
; IeeeMode: 1
; LDSByteSize: 120 bytes/workgroup (compile time only)
; SGPRBlocks: 3
; VGPRBlocks: 6
; NumSGPRsForWavesPerEU: 26
; NumVGPRsForWavesPerEU: 54
; AccumOffset: 56
; Occupancy: 8
; WaveLimiterHint : 0
; COMPUTE_PGM_RSRC2:SCRATCH_EN: 1
; COMPUTE_PGM_RSRC2:USER_SGPR: 2
; COMPUTE_PGM_RSRC2:TRAP_HANDLER: 0
; COMPUTE_PGM_RSRC2:TGID_X_EN: 1
; COMPUTE_PGM_RSRC2:TGID_Y_EN: 0
; COMPUTE_PGM_RSRC2:TGID_Z_EN: 0
; COMPUTE_PGM_RSRC2:TIDIG_COMP_CNT: 0
; COMPUTE_PGM_RSRC3_GFX90A:ACCUM_OFFSET: 13
; COMPUTE_PGM_RSRC3_GFX90A:TG_SPLIT: 0
	.section	.text._ZN9rocsolver6v33100L18getri_kernel_smallILi8E19rocblas_complex_numIfEPS3_EEvT1_iilPiilS6_bb,"axG",@progbits,_ZN9rocsolver6v33100L18getri_kernel_smallILi8E19rocblas_complex_numIfEPS3_EEvT1_iilPiilS6_bb,comdat
	.globl	_ZN9rocsolver6v33100L18getri_kernel_smallILi8E19rocblas_complex_numIfEPS3_EEvT1_iilPiilS6_bb ; -- Begin function _ZN9rocsolver6v33100L18getri_kernel_smallILi8E19rocblas_complex_numIfEPS3_EEvT1_iilPiilS6_bb
	.p2align	8
	.type	_ZN9rocsolver6v33100L18getri_kernel_smallILi8E19rocblas_complex_numIfEPS3_EEvT1_iilPiilS6_bb,@function
_ZN9rocsolver6v33100L18getri_kernel_smallILi8E19rocblas_complex_numIfEPS3_EEvT1_iilPiilS6_bb: ; @_ZN9rocsolver6v33100L18getri_kernel_smallILi8E19rocblas_complex_numIfEPS3_EEvT1_iilPiilS6_bb
; %bb.0:
	v_cmp_gt_u32_e32 vcc, 8, v0
	s_and_saveexec_b64 s[4:5], vcc
	s_cbranch_execz .LBB7_46
; %bb.1:
	s_load_dword s8, s[0:1], 0x38
	s_load_dwordx4 s[12:15], s[0:1], 0x10
	s_load_dwordx4 s[4:7], s[0:1], 0x28
                                        ; implicit-def: $sgpr16_sgpr17
	s_waitcnt lgkmcnt(0)
	s_bitcmp1_b32 s8, 8
	s_cselect_b64 s[18:19], -1, 0
	s_ashr_i32 s3, s2, 31
	s_bfe_u32 s8, s8, 0x10008
	s_cmp_eq_u32 s8, 0
	s_cbranch_scc1 .LBB7_3
; %bb.2:
	s_load_dword s8, s[0:1], 0x20
	s_mul_i32 s9, s4, s3
	s_mul_hi_u32 s10, s4, s2
	s_mul_i32 s5, s5, s2
	s_add_i32 s10, s10, s9
	s_add_i32 s5, s10, s5
	s_mul_i32 s4, s4, s2
	s_waitcnt lgkmcnt(0)
	s_ashr_i32 s9, s8, 31
	s_lshl_b64 s[4:5], s[4:5], 2
	s_add_u32 s10, s14, s4
	s_addc_u32 s11, s15, s5
	s_lshl_b64 s[4:5], s[8:9], 2
	s_add_u32 s16, s10, s4
	s_addc_u32 s17, s11, s5
.LBB7_3:
	s_load_dwordx4 s[8:11], s[0:1], 0x0
	s_load_dword s14, s[0:1], 0x38
	s_mul_i32 s4, s12, s3
	s_mul_hi_u32 s5, s12, s2
	s_add_i32 s4, s5, s4
	s_mul_i32 s5, s13, s2
	s_add_i32 s5, s4, s5
	s_mul_i32 s4, s12, s2
	s_waitcnt lgkmcnt(0)
	s_ashr_i32 s1, s10, 31
	s_lshl_b64 s[4:5], s[4:5], 3
	s_mov_b32 s0, s10
	s_add_u32 s4, s8, s4
	s_addc_u32 s5, s9, s5
	s_lshl_b64 s[0:1], s[0:1], 3
	s_add_u32 s0, s4, s0
	s_addc_u32 s1, s5, s1
	v_lshlrev_b32_e32 v18, 3, v0
	v_mov_b32_e32 v19, 0
	v_lshl_add_u64 v[2:3], s[0:1], 0, v[18:19]
	s_ashr_i32 s5, s11, 31
	s_mov_b32 s4, s11
	v_lshl_add_u64 v[4:5], s[4:5], 3, v[2:3]
	s_add_i32 s4, s11, s11
	v_add_u32_e32 v8, s4, v0
	v_add_u32_e32 v10, s11, v8
	;; [unrolled: 1-line block ×5, first 2 shown]
	v_ashrrev_i32_e32 v9, 31, v8
	v_ashrrev_i32_e32 v11, 31, v10
	;; [unrolled: 1-line block ×5, first 2 shown]
	v_lshl_add_u64 v[6:7], v[8:9], 3, s[0:1]
	v_lshl_add_u64 v[8:9], v[10:11], 3, s[0:1]
	;; [unrolled: 1-line block ×5, first 2 shown]
	v_add_u32_e32 v16, s11, v16
	v_ashrrev_i32_e32 v17, 31, v16
	global_load_dwordx2 v[20:21], v18, s[0:1]
	global_load_dwordx2 v[22:23], v[4:5], off
	global_load_dwordx2 v[24:25], v[6:7], off
	;; [unrolled: 1-line block ×4, first 2 shown]
	v_lshl_add_u64 v[16:17], v[16:17], 3, s[0:1]
	global_load_dwordx2 v[30:31], v[12:13], off
	global_load_dwordx2 v[32:33], v[14:15], off
	;; [unrolled: 1-line block ×3, first 2 shown]
	s_bitcmp0_b32 s14, 0
	s_mov_b64 s[4:5], -1
	s_waitcnt vmcnt(6)
	scratch_store_dwordx4 off, v[20:23], off
	s_waitcnt vmcnt(5)
	scratch_store_dwordx4 off, v[24:27], off offset:16
	s_waitcnt vmcnt(4)
	scratch_store_dwordx4 off, v[28:31], off offset:32
	;; [unrolled: 2-line block ×3, first 2 shown]
	s_cbranch_scc1 .LBB7_44
; %bb.4:
	v_cmp_eq_u32_e64 s[0:1], 0, v0
	s_and_saveexec_b64 s[4:5], s[0:1]
; %bb.5:
	v_mov_b32_e32 v1, 0
	ds_write_b32 v1, v1 offset:128
; %bb.6:
	s_or_b64 exec, exec, s[4:5]
	s_waitcnt lgkmcnt(0)
	; wave barrier
	scratch_load_dwordx2 v[20:21], v18, off
	s_waitcnt vmcnt(0)
	v_cmp_eq_f32_e32 vcc, 0, v20
	v_cmp_eq_f32_e64 s[4:5], 0, v21
	s_and_b64 s[4:5], vcc, s[4:5]
	s_and_saveexec_b64 s[8:9], s[4:5]
	s_cbranch_execz .LBB7_10
; %bb.7:
	v_mov_b32_e32 v1, 0
	ds_read_b32 v20, v1 offset:128
	v_add_u32_e32 v19, 1, v0
	s_waitcnt lgkmcnt(0)
	v_readfirstlane_b32 s4, v20
	s_cmp_eq_u32 s4, 0
	s_cselect_b64 s[10:11], -1, 0
	v_cmp_gt_i32_e32 vcc, s4, v19
	s_or_b64 s[10:11], s[10:11], vcc
	s_and_b64 exec, exec, s[10:11]
	s_cbranch_execz .LBB7_10
; %bb.8:
	s_mov_b64 s[10:11], 0
	v_mov_b32_e32 v20, s4
.LBB7_9:                                ; =>This Inner Loop Header: Depth=1
	ds_cmpst_rtn_b32 v20, v1, v20, v19 offset:128
	s_waitcnt lgkmcnt(0)
	v_cmp_ne_u32_e32 vcc, 0, v20
	v_cmp_le_i32_e64 s[4:5], v20, v19
	s_and_b64 s[4:5], vcc, s[4:5]
	s_and_b64 s[4:5], exec, s[4:5]
	s_or_b64 s[10:11], s[4:5], s[10:11]
	s_andn2_b64 exec, exec, s[10:11]
	s_cbranch_execnz .LBB7_9
.LBB7_10:
	s_or_b64 exec, exec, s[8:9]
	v_mov_b32_e32 v19, 0
	; wave barrier
	ds_read_b32 v1, v19 offset:128
	s_and_saveexec_b64 s[4:5], s[0:1]
	s_cbranch_execz .LBB7_12
; %bb.11:
	s_lshl_b64 s[8:9], s[2:3], 2
	s_add_u32 s8, s6, s8
	s_addc_u32 s9, s7, s9
	s_waitcnt lgkmcnt(0)
	global_store_dword v19, v1, s[8:9]
.LBB7_12:
	s_or_b64 exec, exec, s[4:5]
	s_waitcnt lgkmcnt(0)
	v_cmp_ne_u32_e32 vcc, 0, v1
	s_mov_b64 s[4:5], 0
	s_cbranch_vccnz .LBB7_44
; %bb.13:
	v_mov_b32_e32 v19, v18
	scratch_load_dwordx2 v[20:21], v19, off
                                        ; implicit-def: $vgpr23
                                        ; implicit-def: $vgpr24
	s_waitcnt vmcnt(0)
	v_cmp_ngt_f32_e64 s[4:5], |v20|, |v21|
	s_and_saveexec_b64 s[8:9], s[4:5]
	s_xor_b64 s[4:5], exec, s[8:9]
	s_cbranch_execz .LBB7_15
; %bb.14:
	v_div_scale_f32 v1, s[8:9], v21, v21, v20
	v_rcp_f32_e32 v22, v1
	v_div_scale_f32 v23, vcc, v20, v21, v20
	v_fma_f32 v24, -v1, v22, 1.0
	v_fmac_f32_e32 v22, v24, v22
	v_mul_f32_e32 v24, v23, v22
	v_fma_f32 v25, -v1, v24, v23
	v_fmac_f32_e32 v24, v25, v22
	v_fma_f32 v1, -v1, v24, v23
	v_div_fmas_f32 v1, v1, v22, v24
	v_div_fixup_f32 v1, v1, v21, v20
	v_fmac_f32_e32 v21, v20, v1
	v_div_scale_f32 v20, s[8:9], v21, v21, -1.0
	v_rcp_f32_e32 v22, v20
	s_nop 0
	v_fma_f32 v23, -v20, v22, 1.0
	v_fmac_f32_e32 v22, v23, v22
	v_div_scale_f32 v23, vcc, -1.0, v21, -1.0
	v_mul_f32_e32 v24, v23, v22
	v_fma_f32 v25, -v20, v24, v23
	v_fmac_f32_e32 v24, v25, v22
	v_fma_f32 v20, -v20, v24, v23
	v_div_fmas_f32 v20, v20, v22, v24
	v_div_fixup_f32 v23, v20, v21, -1.0
	v_mul_f32_e32 v24, v1, v23
	v_xor_b32_e32 v22, 0x80000000, v24
                                        ; implicit-def: $vgpr20_vgpr21
.LBB7_15:
	s_andn2_saveexec_b64 s[4:5], s[4:5]
	s_cbranch_execz .LBB7_17
; %bb.16:
	v_div_scale_f32 v1, s[8:9], v20, v20, v21
	v_rcp_f32_e32 v22, v1
	v_div_scale_f32 v23, vcc, v21, v20, v21
	v_fma_f32 v24, -v1, v22, 1.0
	v_fmac_f32_e32 v22, v24, v22
	v_mul_f32_e32 v24, v23, v22
	v_fma_f32 v25, -v1, v24, v23
	v_fmac_f32_e32 v24, v25, v22
	v_fma_f32 v1, -v1, v24, v23
	v_div_fmas_f32 v1, v1, v22, v24
	v_div_fixup_f32 v1, v1, v20, v21
	v_fmac_f32_e32 v20, v21, v1
	v_div_scale_f32 v21, s[8:9], v20, v20, 1.0
	v_rcp_f32_e32 v22, v21
	s_nop 0
	v_fma_f32 v23, -v21, v22, 1.0
	v_fmac_f32_e32 v22, v23, v22
	v_div_scale_f32 v23, vcc, 1.0, v20, 1.0
	v_mul_f32_e32 v24, v23, v22
	v_fma_f32 v25, -v21, v24, v23
	v_fmac_f32_e32 v24, v25, v22
	v_fma_f32 v21, -v21, v24, v23
	v_div_fmas_f32 v21, v21, v22, v24
	v_div_fixup_f32 v22, v21, v20, 1.0
	v_xor_b32_e32 v24, 0x80000000, v22
	v_mul_f32_e64 v23, v1, -v22
.LBB7_17:
	s_or_b64 exec, exec, s[4:5]
	scratch_store_dwordx2 v19, v[22:23], off
	scratch_load_dwordx2 v[20:21], off, off offset:8
	v_xor_b32_e32 v25, 0x80000000, v23
	v_add_u32_e32 v1, 64, v18
	s_waitcnt vmcnt(0)
	ds_write2_b64 v18, v[24:25], v[20:21] offset1:8
	s_waitcnt lgkmcnt(0)
	; wave barrier
	s_and_saveexec_b64 s[4:5], s[0:1]
	s_cbranch_execz .LBB7_19
; %bb.18:
	scratch_load_dwordx2 v[20:21], v19, off
	ds_read_b64 v[22:23], v1
	v_mov_b32_e32 v24, 0
	ds_read_b64 v[24:25], v24 offset:8
	s_waitcnt vmcnt(0) lgkmcnt(1)
	v_pk_mul_f32 v[26:27], v[22:23], v[20:21] op_sel:[1,1] op_sel_hi:[0,1]
	v_pk_fma_f32 v[28:29], v[22:23], v[20:21], v[26:27] neg_lo:[0,0,1] neg_hi:[0,0,1]
	v_pk_fma_f32 v[20:21], v[22:23], v[20:21], v[26:27] op_sel_hi:[1,0,1]
	s_nop 0
	v_mov_b32_e32 v29, v21
	v_pk_add_f32 v[20:21], v[28:29], 0 op_sel_hi:[1,0]
	s_waitcnt lgkmcnt(0)
	v_pk_mul_f32 v[22:23], v[20:21], v[24:25] op_sel:[1,1] op_sel_hi:[0,1]
	v_pk_fma_f32 v[26:27], v[20:21], v[24:25], v[22:23] neg_lo:[0,0,1] neg_hi:[0,0,1]
	v_pk_fma_f32 v[20:21], v[20:21], v[24:25], v[22:23] op_sel_hi:[1,0,1]
	s_nop 0
	v_mov_b32_e32 v27, v21
	scratch_store_dwordx2 off, v[26:27], off offset:8
.LBB7_19:
	s_or_b64 exec, exec, s[4:5]
	; wave barrier
	scratch_load_dwordx2 v[20:21], off, off offset:16
	v_cmp_gt_u32_e32 vcc, 2, v0
	s_waitcnt vmcnt(0)
	ds_write_b64 v1, v[20:21]
	s_waitcnt lgkmcnt(0)
	; wave barrier
	s_and_saveexec_b64 s[4:5], vcc
	s_cbranch_execz .LBB7_23
; %bb.20:
	scratch_load_dwordx2 v[20:21], v19, off
	ds_read_b64 v[22:23], v1
	s_waitcnt vmcnt(0) lgkmcnt(0)
	v_pk_mul_f32 v[24:25], v[22:23], v[20:21] op_sel:[1,1] op_sel_hi:[0,1]
	v_pk_fma_f32 v[26:27], v[22:23], v[20:21], v[24:25] neg_lo:[0,0,1] neg_hi:[0,0,1]
	v_pk_fma_f32 v[20:21], v[22:23], v[20:21], v[24:25] op_sel_hi:[1,0,1]
	s_nop 0
	v_mov_b32_e32 v27, v21
	v_pk_add_f32 v[20:21], v[26:27], 0 op_sel_hi:[1,0]
	s_and_saveexec_b64 s[8:9], s[0:1]
	s_cbranch_execz .LBB7_22
; %bb.21:
	scratch_load_dwordx2 v[22:23], off, off offset:8
	v_mov_b32_e32 v19, 0
	ds_read_b64 v[24:25], v19 offset:72
	s_waitcnt vmcnt(0) lgkmcnt(0)
	v_pk_mul_f32 v[26:27], v[24:25], v[22:23] op_sel:[1,1] op_sel_hi:[0,1]
	v_pk_fma_f32 v[28:29], v[24:25], v[22:23], v[26:27] neg_lo:[0,0,1] neg_hi:[0,0,1]
	v_pk_fma_f32 v[22:23], v[24:25], v[22:23], v[26:27] op_sel_hi:[1,0,1]
	s_nop 0
	v_mov_b32_e32 v29, v23
	v_pk_add_f32 v[20:21], v[20:21], v[28:29]
.LBB7_22:
	s_or_b64 exec, exec, s[8:9]
	v_mov_b32_e32 v19, 0
	ds_read_b64 v[22:23], v19 offset:16
	s_waitcnt lgkmcnt(0)
	v_pk_mul_f32 v[24:25], v[20:21], v[22:23] op_sel:[1,1] op_sel_hi:[0,1]
	v_pk_fma_f32 v[26:27], v[20:21], v[22:23], v[24:25] neg_lo:[0,0,1] neg_hi:[0,0,1]
	v_pk_fma_f32 v[20:21], v[20:21], v[22:23], v[24:25] op_sel_hi:[1,0,1]
	s_nop 0
	v_mov_b32_e32 v27, v21
	scratch_store_dwordx2 off, v[26:27], off offset:16
.LBB7_23:
	s_or_b64 exec, exec, s[4:5]
	; wave barrier
	scratch_load_dwordx2 v[20:21], off, off offset:24
	v_cmp_gt_u32_e32 vcc, 3, v0
	v_add_u32_e32 v22, -1, v0
	s_waitcnt vmcnt(0)
	ds_write_b64 v1, v[20:21]
	s_waitcnt lgkmcnt(0)
	; wave barrier
	s_and_saveexec_b64 s[0:1], vcc
	s_cbranch_execz .LBB7_27
; %bb.24:
	v_mov_b32_e32 v20, 0
	v_add_u32_e32 v19, -1, v0
	v_add_u32_e32 v23, 64, v18
	v_mov_b32_e32 v24, v18
	s_mov_b64 s[4:5], 0
	v_mov_b32_e32 v21, v20
.LBB7_25:                               ; =>This Inner Loop Header: Depth=1
	scratch_load_dwordx2 v[26:27], v24, off
	ds_read_b64 v[28:29], v23
	v_add_u32_e32 v19, 1, v19
	v_cmp_lt_u32_e32 vcc, 1, v19
	v_add_u32_e32 v23, 8, v23
	v_add_u32_e32 v24, 8, v24
	s_or_b64 s[4:5], vcc, s[4:5]
	s_waitcnt vmcnt(0) lgkmcnt(0)
	v_pk_mul_f32 v[30:31], v[28:29], v[26:27] op_sel:[1,1] op_sel_hi:[0,1]
	v_pk_fma_f32 v[32:33], v[28:29], v[26:27], v[30:31] neg_lo:[0,0,1] neg_hi:[0,0,1]
	v_pk_fma_f32 v[26:27], v[28:29], v[26:27], v[30:31] op_sel_hi:[1,0,1]
	s_nop 0
	v_mov_b32_e32 v33, v27
	v_pk_add_f32 v[20:21], v[20:21], v[32:33]
	s_andn2_b64 exec, exec, s[4:5]
	s_cbranch_execnz .LBB7_25
; %bb.26:
	s_or_b64 exec, exec, s[4:5]
	v_mov_b32_e32 v19, 0
	ds_read_b64 v[24:25], v19 offset:24
	s_waitcnt lgkmcnt(0)
	v_pk_mul_f32 v[26:27], v[20:21], v[24:25] op_sel:[1,1] op_sel_hi:[0,1]
	v_pk_fma_f32 v[28:29], v[20:21], v[24:25], v[26:27] neg_lo:[0,0,1] neg_hi:[0,0,1]
	v_pk_fma_f32 v[20:21], v[20:21], v[24:25], v[26:27] op_sel_hi:[1,0,1]
	s_nop 0
	v_mov_b32_e32 v29, v21
	scratch_store_dwordx2 off, v[28:29], off offset:24
.LBB7_27:
	s_or_b64 exec, exec, s[0:1]
	; wave barrier
	scratch_load_dwordx2 v[20:21], off, off offset:32
	v_cmp_gt_u32_e32 vcc, 4, v0
	s_waitcnt vmcnt(0)
	ds_write_b64 v1, v[20:21]
	s_waitcnt lgkmcnt(0)
	; wave barrier
	s_and_saveexec_b64 s[0:1], vcc
	s_cbranch_execz .LBB7_31
; %bb.28:
	v_mov_b32_e32 v20, 0
	v_add_u32_e32 v19, -1, v0
	v_add_u32_e32 v23, 64, v18
	v_mov_b32_e32 v24, v18
	s_mov_b64 s[4:5], 0
	v_mov_b32_e32 v21, v20
.LBB7_29:                               ; =>This Inner Loop Header: Depth=1
	scratch_load_dwordx2 v[26:27], v24, off
	ds_read_b64 v[28:29], v23
	v_add_u32_e32 v19, 1, v19
	v_cmp_lt_u32_e32 vcc, 2, v19
	v_add_u32_e32 v23, 8, v23
	v_add_u32_e32 v24, 8, v24
	s_or_b64 s[4:5], vcc, s[4:5]
	s_waitcnt vmcnt(0) lgkmcnt(0)
	v_pk_mul_f32 v[30:31], v[28:29], v[26:27] op_sel:[1,1] op_sel_hi:[0,1]
	v_pk_fma_f32 v[32:33], v[28:29], v[26:27], v[30:31] neg_lo:[0,0,1] neg_hi:[0,0,1]
	v_pk_fma_f32 v[26:27], v[28:29], v[26:27], v[30:31] op_sel_hi:[1,0,1]
	s_nop 0
	v_mov_b32_e32 v33, v27
	v_pk_add_f32 v[20:21], v[20:21], v[32:33]
	s_andn2_b64 exec, exec, s[4:5]
	s_cbranch_execnz .LBB7_29
; %bb.30:
	s_or_b64 exec, exec, s[4:5]
	v_mov_b32_e32 v19, 0
	ds_read_b64 v[24:25], v19 offset:32
	s_waitcnt lgkmcnt(0)
	v_pk_mul_f32 v[26:27], v[20:21], v[24:25] op_sel:[1,1] op_sel_hi:[0,1]
	v_pk_fma_f32 v[28:29], v[20:21], v[24:25], v[26:27] neg_lo:[0,0,1] neg_hi:[0,0,1]
	v_pk_fma_f32 v[20:21], v[20:21], v[24:25], v[26:27] op_sel_hi:[1,0,1]
	s_nop 0
	v_mov_b32_e32 v29, v21
	scratch_store_dwordx2 off, v[28:29], off offset:32
.LBB7_31:
	s_or_b64 exec, exec, s[0:1]
	; wave barrier
	scratch_load_dwordx2 v[20:21], off, off offset:40
	v_cmp_gt_u32_e32 vcc, 5, v0
	;; [unrolled: 46-line block ×3, first 2 shown]
	s_waitcnt vmcnt(0)
	ds_write_b64 v1, v[20:21]
	s_waitcnt lgkmcnt(0)
	; wave barrier
	s_and_saveexec_b64 s[0:1], vcc
	s_cbranch_execz .LBB7_39
; %bb.36:
	v_mov_b32_e32 v20, 0
	v_add_u32_e32 v19, -1, v0
	v_add_u32_e32 v23, 64, v18
	v_mov_b32_e32 v24, v18
	s_mov_b64 s[4:5], 0
	v_mov_b32_e32 v21, v20
.LBB7_37:                               ; =>This Inner Loop Header: Depth=1
	scratch_load_dwordx2 v[26:27], v24, off
	ds_read_b64 v[28:29], v23
	v_add_u32_e32 v19, 1, v19
	v_cmp_lt_u32_e32 vcc, 4, v19
	v_add_u32_e32 v23, 8, v23
	v_add_u32_e32 v24, 8, v24
	s_or_b64 s[4:5], vcc, s[4:5]
	s_waitcnt vmcnt(0) lgkmcnt(0)
	v_pk_mul_f32 v[30:31], v[28:29], v[26:27] op_sel:[1,1] op_sel_hi:[0,1]
	v_pk_fma_f32 v[32:33], v[28:29], v[26:27], v[30:31] neg_lo:[0,0,1] neg_hi:[0,0,1]
	v_pk_fma_f32 v[26:27], v[28:29], v[26:27], v[30:31] op_sel_hi:[1,0,1]
	s_nop 0
	v_mov_b32_e32 v33, v27
	v_pk_add_f32 v[20:21], v[20:21], v[32:33]
	s_andn2_b64 exec, exec, s[4:5]
	s_cbranch_execnz .LBB7_37
; %bb.38:
	s_or_b64 exec, exec, s[4:5]
	v_mov_b32_e32 v19, 0
	ds_read_b64 v[24:25], v19 offset:48
	s_waitcnt lgkmcnt(0)
	v_pk_mul_f32 v[26:27], v[20:21], v[24:25] op_sel:[1,1] op_sel_hi:[0,1]
	v_pk_fma_f32 v[28:29], v[20:21], v[24:25], v[26:27] neg_lo:[0,0,1] neg_hi:[0,0,1]
	v_pk_fma_f32 v[20:21], v[20:21], v[24:25], v[26:27] op_sel_hi:[1,0,1]
	s_nop 0
	v_mov_b32_e32 v29, v21
	scratch_store_dwordx2 off, v[28:29], off offset:48
.LBB7_39:
	s_or_b64 exec, exec, s[0:1]
	; wave barrier
	scratch_load_dwordx2 v[20:21], off, off offset:56
	v_cmp_ne_u32_e32 vcc, 7, v0
	s_waitcnt vmcnt(0)
	ds_write_b64 v1, v[20:21]
	s_waitcnt lgkmcnt(0)
	; wave barrier
	s_and_saveexec_b64 s[0:1], vcc
	s_cbranch_execz .LBB7_43
; %bb.40:
	v_mov_b32_e32 v20, v18
	v_mov_b32_e32 v18, 0
	s_mov_b64 s[4:5], 0
	v_mov_b32_e32 v19, v18
.LBB7_41:                               ; =>This Inner Loop Header: Depth=1
	scratch_load_dwordx2 v[24:25], v20, off
	ds_read_b64 v[26:27], v1
	v_add_u32_e32 v22, 1, v22
	v_cmp_lt_u32_e32 vcc, 5, v22
	v_add_u32_e32 v1, 8, v1
	v_add_u32_e32 v20, 8, v20
	s_or_b64 s[4:5], vcc, s[4:5]
	s_waitcnt vmcnt(0) lgkmcnt(0)
	v_pk_mul_f32 v[28:29], v[26:27], v[24:25] op_sel:[1,1] op_sel_hi:[0,1]
	v_pk_fma_f32 v[30:31], v[26:27], v[24:25], v[28:29] neg_lo:[0,0,1] neg_hi:[0,0,1]
	v_pk_fma_f32 v[24:25], v[26:27], v[24:25], v[28:29] op_sel_hi:[1,0,1]
	s_nop 0
	v_mov_b32_e32 v31, v25
	v_pk_add_f32 v[18:19], v[18:19], v[30:31]
	s_andn2_b64 exec, exec, s[4:5]
	s_cbranch_execnz .LBB7_41
; %bb.42:
	s_or_b64 exec, exec, s[4:5]
	v_mov_b32_e32 v1, 0
	ds_read_b64 v[20:21], v1 offset:56
	s_waitcnt lgkmcnt(0)
	v_pk_mul_f32 v[22:23], v[18:19], v[20:21] op_sel:[1,1] op_sel_hi:[0,1]
	v_pk_fma_f32 v[24:25], v[18:19], v[20:21], v[22:23] neg_lo:[0,0,1] neg_hi:[0,0,1]
	v_pk_fma_f32 v[18:19], v[18:19], v[20:21], v[22:23] op_sel_hi:[1,0,1]
	s_nop 0
	v_mov_b32_e32 v25, v19
	scratch_store_dwordx2 off, v[24:25], off offset:56
.LBB7_43:
	s_or_b64 exec, exec, s[0:1]
	s_mov_b64 s[4:5], -1
	; wave barrier
.LBB7_44:
	s_and_b64 vcc, exec, s[4:5]
	s_cbranch_vccz .LBB7_46
; %bb.45:
	s_lshl_b64 s[0:1], s[2:3], 2
	s_add_u32 s0, s6, s0
	s_addc_u32 s1, s7, s1
	v_mov_b32_e32 v1, 0
	global_load_dword v1, v1, s[0:1]
	s_waitcnt vmcnt(0)
	v_cmp_ne_u32_e32 vcc, 0, v1
	s_cbranch_vccz .LBB7_47
.LBB7_46:
	s_endpgm
.LBB7_47:
	v_lshl_add_u32 v1, v0, 3, 64
	v_cmp_eq_u32_e32 vcc, 7, v0
	s_and_saveexec_b64 s[0:1], vcc
	s_cbranch_execz .LBB7_49
; %bb.48:
	scratch_load_dwordx2 v[18:19], off, off offset:48
	v_mov_b32_e32 v20, 0
	v_mov_b32_e32 v21, v20
	scratch_store_dwordx2 off, v[20:21], off offset:48
	s_waitcnt vmcnt(1)
	ds_write_b64 v1, v[18:19]
.LBB7_49:
	s_or_b64 exec, exec, s[0:1]
	s_waitcnt lgkmcnt(0)
	; wave barrier
	scratch_load_dwordx2 v[20:21], off, off offset:56
	scratch_load_dwordx2 v[22:23], off, off offset:48
	v_mov_b32_e32 v18, 0
	ds_read_b64 v[24:25], v18 offset:120
	v_cmp_lt_u32_e32 vcc, 5, v0
	s_waitcnt vmcnt(1) lgkmcnt(0)
	v_pk_mul_f32 v[26:27], v[24:25], v[20:21] op_sel:[1,1] op_sel_hi:[0,1]
	v_pk_fma_f32 v[28:29], v[24:25], v[20:21], v[26:27] neg_lo:[0,0,1] neg_hi:[0,0,1]
	v_pk_fma_f32 v[20:21], v[24:25], v[20:21], v[26:27] op_sel_hi:[1,0,1]
	s_nop 0
	v_mov_b32_e32 v29, v21
	v_pk_add_f32 v[20:21], v[28:29], 0 op_sel_hi:[1,0]
	s_waitcnt vmcnt(0)
	v_pk_add_f32 v[20:21], v[22:23], v[20:21] neg_lo:[0,1] neg_hi:[0,1]
	scratch_store_dwordx2 off, v[20:21], off offset:48
	s_and_saveexec_b64 s[0:1], vcc
	s_cbranch_execz .LBB7_51
; %bb.50:
	scratch_load_dwordx2 v[20:21], off, off offset:40
	v_mov_b32_e32 v19, v18
	scratch_store_dwordx2 off, v[18:19], off offset:40
	s_waitcnt vmcnt(1)
	ds_write_b64 v1, v[20:21]
.LBB7_51:
	s_or_b64 exec, exec, s[0:1]
	s_waitcnt lgkmcnt(0)
	; wave barrier
	scratch_load_dwordx4 v[20:23], off, off offset:48
	scratch_load_dwordx2 v[28:29], off, off offset:40
	ds_read_b128 v[24:27], v18 offset:112
	v_cmp_lt_u32_e32 vcc, 4, v0
	s_waitcnt vmcnt(1) lgkmcnt(0)
	v_pk_mul_f32 v[18:19], v[24:25], v[20:21] op_sel:[1,1] op_sel_hi:[0,1]
	v_mov_b32_e32 v30, v23
	v_pk_fma_f32 v[32:33], v[24:25], v[20:21], v[18:19] neg_lo:[0,0,1] neg_hi:[0,0,1]
	v_pk_fma_f32 v[18:19], v[24:25], v[20:21], v[18:19] op_sel_hi:[1,0,1]
	v_pk_mul_f32 v[20:21], v[26:27], v[30:31] op_sel:[1,0] op_sel_hi:[0,0]
	v_mov_b32_e32 v33, v19
	v_pk_fma_f32 v[18:19], v[26:27], v[22:23], v[20:21] neg_lo:[0,0,1] neg_hi:[0,0,1]
	v_pk_fma_f32 v[20:21], v[26:27], v[22:23], v[20:21] op_sel_hi:[1,0,1]
	v_pk_add_f32 v[22:23], v[32:33], 0 op_sel_hi:[1,0]
	v_mov_b32_e32 v19, v21
	v_pk_add_f32 v[18:19], v[22:23], v[18:19]
	s_waitcnt vmcnt(0)
	v_pk_add_f32 v[18:19], v[28:29], v[18:19] neg_lo:[0,1] neg_hi:[0,1]
	scratch_store_dwordx2 off, v[18:19], off offset:40
	s_and_saveexec_b64 s[0:1], vcc
	s_cbranch_execz .LBB7_53
; %bb.52:
	scratch_load_dwordx2 v[18:19], off, off offset:32
	v_mov_b32_e32 v20, 0
	v_mov_b32_e32 v21, v20
	scratch_store_dwordx2 off, v[20:21], off offset:32
	s_waitcnt vmcnt(1)
	ds_write_b64 v1, v[18:19]
.LBB7_53:
	s_or_b64 exec, exec, s[0:1]
	s_waitcnt lgkmcnt(0)
	; wave barrier
	scratch_load_dwordx4 v[20:23], off, off offset:40
	scratch_load_dwordx2 v[28:29], off, off offset:56
	scratch_load_dwordx2 v[30:31], off, off offset:32
	v_mov_b32_e32 v18, 0
	ds_read2_b64 v[24:27], v18 offset0:13 offset1:14
	ds_read_b64 v[32:33], v18 offset:120
	v_cmp_lt_u32_e32 vcc, 3, v0
	s_waitcnt vmcnt(2) lgkmcnt(1)
	v_pk_mul_f32 v[34:35], v[24:25], v[20:21] op_sel:[1,1] op_sel_hi:[0,1]
	v_mov_b32_e32 v36, v23
	v_pk_fma_f32 v[40:41], v[24:25], v[20:21], v[34:35] neg_lo:[0,0,1] neg_hi:[0,0,1]
	v_pk_fma_f32 v[20:21], v[24:25], v[20:21], v[34:35] op_sel_hi:[1,0,1]
	v_pk_mul_f32 v[24:25], v[26:27], v[36:37] op_sel:[1,0] op_sel_hi:[0,0]
	s_waitcnt vmcnt(1) lgkmcnt(0)
	v_pk_mul_f32 v[38:39], v[32:33], v[28:29] op_sel:[1,1] op_sel_hi:[0,1]
	v_mov_b32_e32 v41, v21
	v_pk_fma_f32 v[20:21], v[26:27], v[22:23], v[24:25] neg_lo:[0,0,1] neg_hi:[0,0,1]
	v_pk_fma_f32 v[22:23], v[26:27], v[22:23], v[24:25] op_sel_hi:[1,0,1]
	v_pk_fma_f32 v[34:35], v[32:33], v[28:29], v[38:39] neg_lo:[0,0,1] neg_hi:[0,0,1]
	v_pk_fma_f32 v[28:29], v[32:33], v[28:29], v[38:39] op_sel_hi:[1,0,1]
	v_pk_add_f32 v[24:25], v[40:41], 0 op_sel_hi:[1,0]
	v_mov_b32_e32 v21, v23
	v_mov_b32_e32 v35, v29
	v_pk_add_f32 v[20:21], v[24:25], v[20:21]
	s_nop 0
	v_pk_add_f32 v[20:21], v[20:21], v[34:35]
	s_waitcnt vmcnt(0)
	v_pk_add_f32 v[20:21], v[30:31], v[20:21] neg_lo:[0,1] neg_hi:[0,1]
	scratch_store_dwordx2 off, v[20:21], off offset:32
	s_and_saveexec_b64 s[0:1], vcc
	s_cbranch_execz .LBB7_55
; %bb.54:
	scratch_load_dwordx2 v[20:21], off, off offset:24
	v_mov_b32_e32 v19, v18
	scratch_store_dwordx2 off, v[18:19], off offset:24
	s_waitcnt vmcnt(1)
	ds_write_b64 v1, v[20:21]
.LBB7_55:
	s_or_b64 exec, exec, s[0:1]
	s_waitcnt lgkmcnt(0)
	; wave barrier
	scratch_load_dwordx4 v[20:23], off, off offset:32
	scratch_load_dwordx4 v[24:27], off, off offset:48
	scratch_load_dwordx2 v[36:37], off, off offset:24
	ds_read_b128 v[28:31], v18 offset:96
	ds_read_b128 v[32:35], v18 offset:112
	v_cmp_lt_u32_e32 vcc, 2, v0
	s_waitcnt vmcnt(2) lgkmcnt(1)
	v_pk_mul_f32 v[18:19], v[28:29], v[20:21] op_sel:[1,1] op_sel_hi:[0,1]
	v_mov_b32_e32 v38, v23
	s_waitcnt vmcnt(1) lgkmcnt(0)
	v_pk_mul_f32 v[40:41], v[32:33], v[24:25] op_sel:[1,1] op_sel_hi:[0,1]
	v_mov_b32_e32 v42, v27
	v_pk_fma_f32 v[44:45], v[28:29], v[20:21], v[18:19] neg_lo:[0,0,1] neg_hi:[0,0,1]
	v_pk_fma_f32 v[18:19], v[28:29], v[20:21], v[18:19] op_sel_hi:[1,0,1]
	v_pk_mul_f32 v[20:21], v[30:31], v[38:39] op_sel:[1,0] op_sel_hi:[0,0]
	v_pk_fma_f32 v[28:29], v[32:33], v[24:25], v[40:41] neg_lo:[0,0,1] neg_hi:[0,0,1]
	v_pk_fma_f32 v[24:25], v[32:33], v[24:25], v[40:41] op_sel_hi:[1,0,1]
	v_pk_mul_f32 v[32:33], v[34:35], v[42:43] op_sel:[1,0] op_sel_hi:[0,0]
	v_mov_b32_e32 v45, v19
	v_pk_fma_f32 v[18:19], v[30:31], v[22:23], v[20:21] neg_lo:[0,0,1] neg_hi:[0,0,1]
	v_pk_fma_f32 v[20:21], v[30:31], v[22:23], v[20:21] op_sel_hi:[1,0,1]
	v_mov_b32_e32 v29, v25
	v_pk_fma_f32 v[22:23], v[34:35], v[26:27], v[32:33] neg_lo:[0,0,1] neg_hi:[0,0,1]
	v_pk_fma_f32 v[24:25], v[34:35], v[26:27], v[32:33] op_sel_hi:[1,0,1]
	v_pk_add_f32 v[26:27], v[44:45], 0 op_sel_hi:[1,0]
	v_mov_b32_e32 v19, v21
	v_pk_add_f32 v[18:19], v[26:27], v[18:19]
	v_mov_b32_e32 v23, v25
	v_pk_add_f32 v[18:19], v[18:19], v[28:29]
	s_nop 0
	v_pk_add_f32 v[18:19], v[18:19], v[22:23]
	s_waitcnt vmcnt(0)
	v_pk_add_f32 v[18:19], v[36:37], v[18:19] neg_lo:[0,1] neg_hi:[0,1]
	scratch_store_dwordx2 off, v[18:19], off offset:24
	s_and_saveexec_b64 s[0:1], vcc
	s_cbranch_execz .LBB7_57
; %bb.56:
	scratch_load_dwordx2 v[18:19], off, off offset:16
	v_mov_b32_e32 v20, 0
	v_mov_b32_e32 v21, v20
	scratch_store_dwordx2 off, v[20:21], off offset:16
	s_waitcnt vmcnt(1)
	ds_write_b64 v1, v[18:19]
.LBB7_57:
	s_or_b64 exec, exec, s[0:1]
	s_waitcnt lgkmcnt(0)
	; wave barrier
	scratch_load_dwordx4 v[20:23], off, off offset:24
	scratch_load_dwordx4 v[24:27], off, off offset:40
	scratch_load_dwordx2 v[36:37], off, off offset:56
	scratch_load_dwordx2 v[38:39], off, off offset:16
	v_mov_b32_e32 v18, 0
	ds_read2_b64 v[28:31], v18 offset0:11 offset1:12
	ds_read2_b64 v[32:35], v18 offset0:13 offset1:14
	ds_read_b64 v[40:41], v18 offset:120
	v_cmp_lt_u32_e32 vcc, 1, v0
	s_waitcnt vmcnt(3) lgkmcnt(2)
	v_pk_mul_f32 v[42:43], v[28:29], v[20:21] op_sel:[1,1] op_sel_hi:[0,1]
	v_mov_b32_e32 v44, v23
	v_pk_fma_f32 v[52:53], v[28:29], v[20:21], v[42:43] neg_lo:[0,0,1] neg_hi:[0,0,1]
	v_pk_fma_f32 v[20:21], v[28:29], v[20:21], v[42:43] op_sel_hi:[1,0,1]
	v_pk_mul_f32 v[28:29], v[30:31], v[44:45] op_sel:[1,0] op_sel_hi:[0,0]
	s_waitcnt vmcnt(2) lgkmcnt(1)
	v_pk_mul_f32 v[46:47], v[32:33], v[24:25] op_sel:[1,1] op_sel_hi:[0,1]
	v_mov_b32_e32 v48, v27
	v_mov_b32_e32 v53, v21
	v_pk_fma_f32 v[20:21], v[30:31], v[22:23], v[28:29] neg_lo:[0,0,1] neg_hi:[0,0,1]
	v_pk_fma_f32 v[22:23], v[30:31], v[22:23], v[28:29] op_sel_hi:[1,0,1]
	v_pk_fma_f32 v[42:43], v[32:33], v[24:25], v[46:47] neg_lo:[0,0,1] neg_hi:[0,0,1]
	v_pk_fma_f32 v[24:25], v[32:33], v[24:25], v[46:47] op_sel_hi:[1,0,1]
	v_pk_mul_f32 v[32:33], v[34:35], v[48:49] op_sel:[1,0] op_sel_hi:[0,0]
	v_pk_add_f32 v[28:29], v[52:53], 0 op_sel_hi:[1,0]
	v_mov_b32_e32 v21, v23
	s_waitcnt vmcnt(1) lgkmcnt(0)
	v_pk_mul_f32 v[50:51], v[40:41], v[36:37] op_sel:[1,1] op_sel_hi:[0,1]
	v_mov_b32_e32 v43, v25
	v_pk_fma_f32 v[24:25], v[34:35], v[26:27], v[32:33] neg_lo:[0,0,1] neg_hi:[0,0,1]
	v_pk_fma_f32 v[26:27], v[34:35], v[26:27], v[32:33] op_sel_hi:[1,0,1]
	v_pk_add_f32 v[20:21], v[28:29], v[20:21]
	v_pk_fma_f32 v[44:45], v[40:41], v[36:37], v[50:51] neg_lo:[0,0,1] neg_hi:[0,0,1]
	v_pk_fma_f32 v[36:37], v[40:41], v[36:37], v[50:51] op_sel_hi:[1,0,1]
	v_mov_b32_e32 v25, v27
	v_pk_add_f32 v[20:21], v[20:21], v[42:43]
	v_mov_b32_e32 v45, v37
	v_pk_add_f32 v[20:21], v[20:21], v[24:25]
	s_nop 0
	v_pk_add_f32 v[20:21], v[20:21], v[44:45]
	s_waitcnt vmcnt(0)
	v_pk_add_f32 v[20:21], v[38:39], v[20:21] neg_lo:[0,1] neg_hi:[0,1]
	scratch_store_dwordx2 off, v[20:21], off offset:16
	s_and_saveexec_b64 s[0:1], vcc
	s_cbranch_execz .LBB7_59
; %bb.58:
	scratch_load_dwordx2 v[20:21], off, off offset:8
	v_mov_b32_e32 v19, v18
	scratch_store_dwordx2 off, v[18:19], off offset:8
	s_waitcnt vmcnt(1)
	ds_write_b64 v1, v[20:21]
.LBB7_59:
	s_or_b64 exec, exec, s[0:1]
	s_waitcnt lgkmcnt(0)
	; wave barrier
	scratch_load_dwordx4 v[20:23], off, off offset:16
	scratch_load_dwordx4 v[24:27], off, off offset:32
	;; [unrolled: 1-line block ×3, first 2 shown]
	scratch_load_dwordx2 v[44:45], off, off offset:8
	ds_read_b128 v[32:35], v18 offset:80
	ds_read_b128 v[36:39], v18 offset:96
	;; [unrolled: 1-line block ×3, first 2 shown]
	v_cmp_ne_u32_e32 vcc, 0, v0
	s_waitcnt vmcnt(3) lgkmcnt(2)
	v_pk_mul_f32 v[18:19], v[32:33], v[20:21] op_sel:[1,1] op_sel_hi:[0,1]
	v_mov_b32_e32 v46, v23
	s_waitcnt vmcnt(2) lgkmcnt(1)
	v_pk_mul_f32 v[48:49], v[36:37], v[24:25] op_sel:[1,1] op_sel_hi:[0,1]
	v_mov_b32_e32 v50, v27
	;; [unrolled: 3-line block ×3, first 2 shown]
	v_pk_fma_f32 v[56:57], v[32:33], v[20:21], v[18:19] neg_lo:[0,0,1] neg_hi:[0,0,1]
	v_pk_fma_f32 v[18:19], v[32:33], v[20:21], v[18:19] op_sel_hi:[1,0,1]
	v_pk_mul_f32 v[20:21], v[34:35], v[46:47] op_sel:[1,0] op_sel_hi:[0,0]
	v_pk_fma_f32 v[32:33], v[36:37], v[24:25], v[48:49] neg_lo:[0,0,1] neg_hi:[0,0,1]
	v_pk_fma_f32 v[24:25], v[36:37], v[24:25], v[48:49] op_sel_hi:[1,0,1]
	v_pk_mul_f32 v[36:37], v[38:39], v[50:51] op_sel:[1,0] op_sel_hi:[0,0]
	;; [unrolled: 3-line block ×3, first 2 shown]
	v_mov_b32_e32 v57, v19
	v_pk_fma_f32 v[18:19], v[34:35], v[22:23], v[20:21] neg_lo:[0,0,1] neg_hi:[0,0,1]
	v_pk_fma_f32 v[20:21], v[34:35], v[22:23], v[20:21] op_sel_hi:[1,0,1]
	v_mov_b32_e32 v33, v25
	v_pk_fma_f32 v[22:23], v[38:39], v[26:27], v[36:37] neg_lo:[0,0,1] neg_hi:[0,0,1]
	v_pk_fma_f32 v[24:25], v[38:39], v[26:27], v[36:37] op_sel_hi:[1,0,1]
	;; [unrolled: 3-line block ×3, first 2 shown]
	v_pk_add_f32 v[30:31], v[56:57], 0 op_sel_hi:[1,0]
	v_mov_b32_e32 v19, v21
	v_pk_add_f32 v[18:19], v[30:31], v[18:19]
	v_mov_b32_e32 v23, v25
	v_pk_add_f32 v[18:19], v[18:19], v[32:33]
	v_mov_b32_e32 v27, v29
	v_pk_add_f32 v[18:19], v[18:19], v[22:23]
	s_nop 0
	v_pk_add_f32 v[18:19], v[18:19], v[46:47]
	s_nop 0
	v_pk_add_f32 v[18:19], v[18:19], v[26:27]
	s_waitcnt vmcnt(0)
	v_pk_add_f32 v[18:19], v[44:45], v[18:19] neg_lo:[0,1] neg_hi:[0,1]
	scratch_store_dwordx2 off, v[18:19], off offset:8
	s_and_saveexec_b64 s[0:1], vcc
	s_cbranch_execz .LBB7_61
; %bb.60:
	scratch_load_dwordx2 v[18:19], off, off
	v_mov_b32_e32 v20, 0
	v_mov_b32_e32 v21, v20
	scratch_store_dwordx2 off, v[20:21], off
	s_waitcnt vmcnt(1)
	ds_write_b64 v1, v[18:19]
.LBB7_61:
	s_or_b64 exec, exec, s[0:1]
	s_waitcnt lgkmcnt(0)
	; wave barrier
	scratch_load_dwordx4 v[20:23], off, off offset:8
	scratch_load_dwordx4 v[24:27], off, off offset:24
	scratch_load_dwordx4 v[28:31], off, off offset:40
	scratch_load_dwordx2 v[0:1], off, off offset:56
	scratch_load_dwordx2 v[44:45], off, off
	v_mov_b32_e32 v18, 0
	ds_read2_b64 v[32:35], v18 offset0:9 offset1:10
	ds_read2_b64 v[36:39], v18 offset0:11 offset1:12
	;; [unrolled: 1-line block ×3, first 2 shown]
	ds_read_b64 v[46:47], v18 offset:120
	s_and_b64 vcc, exec, s[18:19]
	s_waitcnt vmcnt(4) lgkmcnt(3)
	v_pk_mul_f32 v[48:49], v[32:33], v[20:21] op_sel:[1,1] op_sel_hi:[0,1]
	v_mov_b32_e32 v50, v23
	s_waitcnt vmcnt(3) lgkmcnt(2)
	v_pk_mul_f32 v[52:53], v[36:37], v[24:25] op_sel:[1,1] op_sel_hi:[0,1]
	s_waitcnt vmcnt(1) lgkmcnt(0)
	v_pk_mul_f32 v[60:61], v[46:47], v[0:1] op_sel:[1,1] op_sel_hi:[0,1]
	v_pk_fma_f32 v[62:63], v[32:33], v[20:21], v[48:49] neg_lo:[0,0,1] neg_hi:[0,0,1]
	v_pk_fma_f32 v[20:21], v[32:33], v[20:21], v[48:49] op_sel_hi:[1,0,1]
	v_pk_mul_f32 v[32:33], v[34:35], v[50:51] op_sel:[1,0] op_sel_hi:[0,0]
	v_mov_b32_e32 v54, v27
	v_pk_fma_f32 v[48:49], v[36:37], v[24:25], v[52:53] neg_lo:[0,0,1] neg_hi:[0,0,1]
	v_pk_fma_f32 v[24:25], v[36:37], v[24:25], v[52:53] op_sel_hi:[1,0,1]
	v_pk_fma_f32 v[52:53], v[46:47], v[0:1], v[60:61] neg_lo:[0,0,1] neg_hi:[0,0,1]
	v_pk_fma_f32 v[0:1], v[46:47], v[0:1], v[60:61] op_sel_hi:[1,0,1]
	v_mov_b32_e32 v63, v21
	v_pk_fma_f32 v[20:21], v[34:35], v[22:23], v[32:33] neg_lo:[0,0,1] neg_hi:[0,0,1]
	v_pk_fma_f32 v[22:23], v[34:35], v[22:23], v[32:33] op_sel_hi:[1,0,1]
	v_pk_mul_f32 v[36:37], v[38:39], v[54:55] op_sel:[1,0] op_sel_hi:[0,0]
	v_mov_b32_e32 v53, v1
	v_pk_add_f32 v[0:1], v[62:63], 0 op_sel_hi:[1,0]
	v_mov_b32_e32 v21, v23
	v_pk_mul_f32 v[56:57], v[40:41], v[28:29] op_sel:[1,1] op_sel_hi:[0,1]
	v_mov_b32_e32 v58, v31
	v_mov_b32_e32 v49, v25
	v_pk_fma_f32 v[24:25], v[38:39], v[26:27], v[36:37] neg_lo:[0,0,1] neg_hi:[0,0,1]
	v_pk_fma_f32 v[26:27], v[38:39], v[26:27], v[36:37] op_sel_hi:[1,0,1]
	v_pk_add_f32 v[0:1], v[0:1], v[20:21]
	v_pk_fma_f32 v[50:51], v[40:41], v[28:29], v[56:57] neg_lo:[0,0,1] neg_hi:[0,0,1]
	v_pk_fma_f32 v[28:29], v[40:41], v[28:29], v[56:57] op_sel_hi:[1,0,1]
	v_pk_mul_f32 v[40:41], v[42:43], v[58:59] op_sel:[1,0] op_sel_hi:[0,0]
	v_mov_b32_e32 v25, v27
	v_pk_add_f32 v[0:1], v[0:1], v[48:49]
	v_mov_b32_e32 v51, v29
	v_pk_fma_f32 v[28:29], v[42:43], v[30:31], v[40:41] neg_lo:[0,0,1] neg_hi:[0,0,1]
	v_pk_fma_f32 v[30:31], v[42:43], v[30:31], v[40:41] op_sel_hi:[1,0,1]
	v_pk_add_f32 v[0:1], v[0:1], v[24:25]
	v_mov_b32_e32 v29, v31
	v_pk_add_f32 v[0:1], v[0:1], v[50:51]
	s_nop 0
	v_pk_add_f32 v[0:1], v[0:1], v[28:29]
	s_nop 0
	v_pk_add_f32 v[0:1], v[0:1], v[52:53]
	s_waitcnt vmcnt(0)
	v_pk_add_f32 v[0:1], v[44:45], v[0:1] neg_lo:[0,1] neg_hi:[0,1]
	scratch_store_dwordx2 off, v[0:1], off
	s_cbranch_vccz .LBB7_76
; %bb.62:
	global_load_dword v0, v18, s[16:17] offset:24
	s_waitcnt vmcnt(0)
	v_readfirstlane_b32 s0, v0
	s_add_i32 s0, s0, -1
	s_cmp_lg_u32 s0, 6
	s_cbranch_scc0 .LBB7_64
; %bb.63:
	s_lshl_b32 s0, s0, 3
	s_nop 0
	scratch_load_dwordx2 v[0:1], off, s0
	scratch_load_dwordx2 v[18:19], off, off offset:48
	s_waitcnt vmcnt(1)
	scratch_store_dwordx2 off, v[0:1], off offset:48
	s_waitcnt vmcnt(1)
	scratch_store_dwordx2 off, v[18:19], s0
.LBB7_64:
	v_mov_b32_e32 v0, 0
	global_load_dword v1, v0, s[16:17] offset:20
	s_waitcnt vmcnt(0)
	v_readfirstlane_b32 s0, v1
	s_add_i32 s0, s0, -1
	s_cmp_eq_u32 s0, 5
	s_cbranch_scc1 .LBB7_66
; %bb.65:
	s_lshl_b32 s0, s0, 3
	s_nop 0
	scratch_load_dwordx2 v[18:19], off, s0
	scratch_load_dwordx2 v[20:21], off, off offset:40
	s_waitcnt vmcnt(1)
	scratch_store_dwordx2 off, v[18:19], off offset:40
	s_waitcnt vmcnt(1)
	scratch_store_dwordx2 off, v[20:21], s0
.LBB7_66:
	global_load_dword v0, v0, s[16:17] offset:16
	s_waitcnt vmcnt(0)
	v_readfirstlane_b32 s0, v0
	s_add_i32 s0, s0, -1
	s_cmp_eq_u32 s0, 4
	s_cbranch_scc1 .LBB7_68
; %bb.67:
	s_lshl_b32 s0, s0, 3
	s_nop 0
	scratch_load_dwordx2 v[0:1], off, s0
	scratch_load_dwordx2 v[18:19], off, off offset:32
	s_waitcnt vmcnt(1)
	scratch_store_dwordx2 off, v[0:1], off offset:32
	s_waitcnt vmcnt(1)
	scratch_store_dwordx2 off, v[18:19], s0
.LBB7_68:
	v_mov_b32_e32 v0, 0
	global_load_dword v1, v0, s[16:17] offset:12
	s_waitcnt vmcnt(0)
	v_readfirstlane_b32 s0, v1
	s_add_i32 s0, s0, -1
	s_cmp_eq_u32 s0, 3
	s_cbranch_scc1 .LBB7_70
; %bb.69:
	s_lshl_b32 s0, s0, 3
	s_nop 0
	scratch_load_dwordx2 v[18:19], off, s0
	scratch_load_dwordx2 v[20:21], off, off offset:24
	s_waitcnt vmcnt(1)
	scratch_store_dwordx2 off, v[18:19], off offset:24
	s_waitcnt vmcnt(1)
	scratch_store_dwordx2 off, v[20:21], s0
.LBB7_70:
	global_load_dword v0, v0, s[16:17] offset:8
	s_waitcnt vmcnt(0)
	v_readfirstlane_b32 s0, v0
	s_add_i32 s0, s0, -1
	s_cmp_eq_u32 s0, 2
	s_cbranch_scc1 .LBB7_72
; %bb.71:
	s_lshl_b32 s0, s0, 3
	s_nop 0
	scratch_load_dwordx2 v[0:1], off, s0
	scratch_load_dwordx2 v[18:19], off, off offset:16
	s_waitcnt vmcnt(1)
	scratch_store_dwordx2 off, v[0:1], off offset:16
	s_waitcnt vmcnt(1)
	scratch_store_dwordx2 off, v[18:19], s0
.LBB7_72:
	v_mov_b32_e32 v0, 0
	global_load_dword v1, v0, s[16:17] offset:4
	s_waitcnt vmcnt(0)
	v_readfirstlane_b32 s0, v1
	s_add_i32 s0, s0, -1
	s_cmp_eq_u32 s0, 1
	s_cbranch_scc1 .LBB7_74
; %bb.73:
	s_lshl_b32 s0, s0, 3
	s_nop 0
	scratch_load_dwordx2 v[18:19], off, s0
	scratch_load_dwordx2 v[20:21], off, off offset:8
	s_waitcnt vmcnt(1)
	scratch_store_dwordx2 off, v[18:19], off offset:8
	s_waitcnt vmcnt(1)
	scratch_store_dwordx2 off, v[20:21], s0
.LBB7_74:
	global_load_dword v18, v0, s[16:17]
	s_nop 0
	scratch_load_dwordx2 v[0:1], off, off
	s_waitcnt vmcnt(1)
	v_readfirstlane_b32 s0, v18
	s_add_i32 s0, s0, -1
	s_cmp_eq_u32 s0, 0
	s_cbranch_scc1 .LBB7_76
; %bb.75:
	s_lshl_b32 s0, s0, 3
	s_nop 0
	scratch_load_dwordx2 v[18:19], off, s0
	s_waitcnt vmcnt(0)
	scratch_store_dwordx2 off, v[18:19], off
	scratch_store_dwordx2 off, v[0:1], s0
	scratch_load_dwordx2 v[0:1], off, off
.LBB7_76:
	s_nop 0
	scratch_load_dwordx4 v[20:23], off, off offset:8
	scratch_load_dwordx4 v[24:27], off, off offset:24
	scratch_load_dwordx4 v[28:31], off, off offset:40
	scratch_load_dwordx2 v[18:19], off, off offset:56
	s_waitcnt vmcnt(4)
	global_store_dwordx2 v[2:3], v[0:1], off
	s_waitcnt vmcnt(4)
	global_store_dwordx2 v[4:5], v[20:21], off
	global_store_dwordx2 v[6:7], v[22:23], off
	s_waitcnt vmcnt(5)
	global_store_dwordx2 v[8:9], v[24:25], off
	;; [unrolled: 3-line block ×4, first 2 shown]
	s_endpgm
	.section	.rodata,"a",@progbits
	.p2align	6, 0x0
	.amdhsa_kernel _ZN9rocsolver6v33100L18getri_kernel_smallILi8E19rocblas_complex_numIfEPS3_EEvT1_iilPiilS6_bb
		.amdhsa_group_segment_fixed_size 132
		.amdhsa_private_segment_fixed_size 80
		.amdhsa_kernarg_size 60
		.amdhsa_user_sgpr_count 2
		.amdhsa_user_sgpr_dispatch_ptr 0
		.amdhsa_user_sgpr_queue_ptr 0
		.amdhsa_user_sgpr_kernarg_segment_ptr 1
		.amdhsa_user_sgpr_dispatch_id 0
		.amdhsa_user_sgpr_kernarg_preload_length 0
		.amdhsa_user_sgpr_kernarg_preload_offset 0
		.amdhsa_user_sgpr_private_segment_size 0
		.amdhsa_uses_dynamic_stack 0
		.amdhsa_enable_private_segment 1
		.amdhsa_system_sgpr_workgroup_id_x 1
		.amdhsa_system_sgpr_workgroup_id_y 0
		.amdhsa_system_sgpr_workgroup_id_z 0
		.amdhsa_system_sgpr_workgroup_info 0
		.amdhsa_system_vgpr_workitem_id 0
		.amdhsa_next_free_vgpr 64
		.amdhsa_next_free_sgpr 20
		.amdhsa_accum_offset 64
		.amdhsa_reserve_vcc 1
		.amdhsa_float_round_mode_32 0
		.amdhsa_float_round_mode_16_64 0
		.amdhsa_float_denorm_mode_32 3
		.amdhsa_float_denorm_mode_16_64 3
		.amdhsa_dx10_clamp 1
		.amdhsa_ieee_mode 1
		.amdhsa_fp16_overflow 0
		.amdhsa_tg_split 0
		.amdhsa_exception_fp_ieee_invalid_op 0
		.amdhsa_exception_fp_denorm_src 0
		.amdhsa_exception_fp_ieee_div_zero 0
		.amdhsa_exception_fp_ieee_overflow 0
		.amdhsa_exception_fp_ieee_underflow 0
		.amdhsa_exception_fp_ieee_inexact 0
		.amdhsa_exception_int_div_zero 0
	.end_amdhsa_kernel
	.section	.text._ZN9rocsolver6v33100L18getri_kernel_smallILi8E19rocblas_complex_numIfEPS3_EEvT1_iilPiilS6_bb,"axG",@progbits,_ZN9rocsolver6v33100L18getri_kernel_smallILi8E19rocblas_complex_numIfEPS3_EEvT1_iilPiilS6_bb,comdat
.Lfunc_end7:
	.size	_ZN9rocsolver6v33100L18getri_kernel_smallILi8E19rocblas_complex_numIfEPS3_EEvT1_iilPiilS6_bb, .Lfunc_end7-_ZN9rocsolver6v33100L18getri_kernel_smallILi8E19rocblas_complex_numIfEPS3_EEvT1_iilPiilS6_bb
                                        ; -- End function
	.set _ZN9rocsolver6v33100L18getri_kernel_smallILi8E19rocblas_complex_numIfEPS3_EEvT1_iilPiilS6_bb.num_vgpr, 64
	.set _ZN9rocsolver6v33100L18getri_kernel_smallILi8E19rocblas_complex_numIfEPS3_EEvT1_iilPiilS6_bb.num_agpr, 0
	.set _ZN9rocsolver6v33100L18getri_kernel_smallILi8E19rocblas_complex_numIfEPS3_EEvT1_iilPiilS6_bb.numbered_sgpr, 20
	.set _ZN9rocsolver6v33100L18getri_kernel_smallILi8E19rocblas_complex_numIfEPS3_EEvT1_iilPiilS6_bb.num_named_barrier, 0
	.set _ZN9rocsolver6v33100L18getri_kernel_smallILi8E19rocblas_complex_numIfEPS3_EEvT1_iilPiilS6_bb.private_seg_size, 80
	.set _ZN9rocsolver6v33100L18getri_kernel_smallILi8E19rocblas_complex_numIfEPS3_EEvT1_iilPiilS6_bb.uses_vcc, 1
	.set _ZN9rocsolver6v33100L18getri_kernel_smallILi8E19rocblas_complex_numIfEPS3_EEvT1_iilPiilS6_bb.uses_flat_scratch, 0
	.set _ZN9rocsolver6v33100L18getri_kernel_smallILi8E19rocblas_complex_numIfEPS3_EEvT1_iilPiilS6_bb.has_dyn_sized_stack, 0
	.set _ZN9rocsolver6v33100L18getri_kernel_smallILi8E19rocblas_complex_numIfEPS3_EEvT1_iilPiilS6_bb.has_recursion, 0
	.set _ZN9rocsolver6v33100L18getri_kernel_smallILi8E19rocblas_complex_numIfEPS3_EEvT1_iilPiilS6_bb.has_indirect_call, 0
	.section	.AMDGPU.csdata,"",@progbits
; Kernel info:
; codeLenInByte = 5280
; TotalNumSgprs: 26
; NumVgprs: 64
; NumAgprs: 0
; TotalNumVgprs: 64
; ScratchSize: 80
; MemoryBound: 0
; FloatMode: 240
; IeeeMode: 1
; LDSByteSize: 132 bytes/workgroup (compile time only)
; SGPRBlocks: 3
; VGPRBlocks: 7
; NumSGPRsForWavesPerEU: 26
; NumVGPRsForWavesPerEU: 64
; AccumOffset: 64
; Occupancy: 8
; WaveLimiterHint : 0
; COMPUTE_PGM_RSRC2:SCRATCH_EN: 1
; COMPUTE_PGM_RSRC2:USER_SGPR: 2
; COMPUTE_PGM_RSRC2:TRAP_HANDLER: 0
; COMPUTE_PGM_RSRC2:TGID_X_EN: 1
; COMPUTE_PGM_RSRC2:TGID_Y_EN: 0
; COMPUTE_PGM_RSRC2:TGID_Z_EN: 0
; COMPUTE_PGM_RSRC2:TIDIG_COMP_CNT: 0
; COMPUTE_PGM_RSRC3_GFX90A:ACCUM_OFFSET: 15
; COMPUTE_PGM_RSRC3_GFX90A:TG_SPLIT: 0
	.section	.text._ZN9rocsolver6v33100L18getri_kernel_smallILi9E19rocblas_complex_numIfEPS3_EEvT1_iilPiilS6_bb,"axG",@progbits,_ZN9rocsolver6v33100L18getri_kernel_smallILi9E19rocblas_complex_numIfEPS3_EEvT1_iilPiilS6_bb,comdat
	.globl	_ZN9rocsolver6v33100L18getri_kernel_smallILi9E19rocblas_complex_numIfEPS3_EEvT1_iilPiilS6_bb ; -- Begin function _ZN9rocsolver6v33100L18getri_kernel_smallILi9E19rocblas_complex_numIfEPS3_EEvT1_iilPiilS6_bb
	.p2align	8
	.type	_ZN9rocsolver6v33100L18getri_kernel_smallILi9E19rocblas_complex_numIfEPS3_EEvT1_iilPiilS6_bb,@function
_ZN9rocsolver6v33100L18getri_kernel_smallILi9E19rocblas_complex_numIfEPS3_EEvT1_iilPiilS6_bb: ; @_ZN9rocsolver6v33100L18getri_kernel_smallILi9E19rocblas_complex_numIfEPS3_EEvT1_iilPiilS6_bb
; %bb.0:
	v_cmp_gt_u32_e32 vcc, 9, v0
	s_and_saveexec_b64 s[4:5], vcc
	s_cbranch_execz .LBB8_50
; %bb.1:
	s_load_dword s8, s[0:1], 0x38
	s_load_dwordx4 s[12:15], s[0:1], 0x10
	s_load_dwordx4 s[4:7], s[0:1], 0x28
                                        ; implicit-def: $sgpr16_sgpr17
	s_waitcnt lgkmcnt(0)
	s_bitcmp1_b32 s8, 8
	s_cselect_b64 s[18:19], -1, 0
	s_ashr_i32 s3, s2, 31
	s_bfe_u32 s8, s8, 0x10008
	s_cmp_eq_u32 s8, 0
	s_cbranch_scc1 .LBB8_3
; %bb.2:
	s_load_dword s8, s[0:1], 0x20
	s_mul_i32 s9, s4, s3
	s_mul_hi_u32 s10, s4, s2
	s_mul_i32 s5, s5, s2
	s_add_i32 s10, s10, s9
	s_add_i32 s5, s10, s5
	s_mul_i32 s4, s4, s2
	s_waitcnt lgkmcnt(0)
	s_ashr_i32 s9, s8, 31
	s_lshl_b64 s[4:5], s[4:5], 2
	s_add_u32 s10, s14, s4
	s_addc_u32 s11, s15, s5
	s_lshl_b64 s[4:5], s[8:9], 2
	s_add_u32 s16, s10, s4
	s_addc_u32 s17, s11, s5
.LBB8_3:
	s_load_dwordx4 s[8:11], s[0:1], 0x0
	s_load_dword s14, s[0:1], 0x38
	s_mul_i32 s4, s12, s3
	s_mul_hi_u32 s5, s12, s2
	s_add_i32 s4, s5, s4
	s_mul_i32 s5, s13, s2
	s_add_i32 s5, s4, s5
	s_mul_i32 s4, s12, s2
	s_waitcnt lgkmcnt(0)
	s_ashr_i32 s1, s10, 31
	s_lshl_b64 s[4:5], s[4:5], 3
	s_mov_b32 s0, s10
	s_add_u32 s4, s8, s4
	s_addc_u32 s5, s9, s5
	s_lshl_b64 s[0:1], s[0:1], 3
	s_add_u32 s0, s4, s0
	s_addc_u32 s1, s5, s1
	v_lshlrev_b32_e32 v20, 3, v0
	v_mov_b32_e32 v21, 0
	v_lshl_add_u64 v[2:3], s[0:1], 0, v[20:21]
	s_ashr_i32 s5, s11, 31
	s_mov_b32 s4, s11
	v_lshl_add_u64 v[4:5], s[4:5], 3, v[2:3]
	s_add_i32 s4, s11, s11
	v_add_u32_e32 v8, s4, v0
	v_add_u32_e32 v10, s11, v8
	;; [unrolled: 1-line block ×6, first 2 shown]
	v_ashrrev_i32_e32 v9, 31, v8
	v_ashrrev_i32_e32 v11, 31, v10
	;; [unrolled: 1-line block ×6, first 2 shown]
	v_lshl_add_u64 v[6:7], v[8:9], 3, s[0:1]
	v_lshl_add_u64 v[8:9], v[10:11], 3, s[0:1]
	;; [unrolled: 1-line block ×6, first 2 shown]
	v_add_u32_e32 v18, s11, v18
	v_ashrrev_i32_e32 v19, 31, v18
	global_load_dwordx2 v[24:25], v20, s[0:1]
	global_load_dwordx2 v[26:27], v[4:5], off
	global_load_dwordx2 v[28:29], v[6:7], off
	;; [unrolled: 1-line block ×4, first 2 shown]
	v_lshl_add_u64 v[18:19], v[18:19], 3, s[0:1]
	global_load_dwordx2 v[34:35], v[12:13], off
	global_load_dwordx2 v[36:37], v[14:15], off
	;; [unrolled: 1-line block ×4, first 2 shown]
	s_bitcmp0_b32 s14, 0
	s_mov_b64 s[4:5], -1
	s_waitcnt vmcnt(7)
	scratch_store_dwordx4 off, v[24:27], off
	s_waitcnt vmcnt(6)
	scratch_store_dwordx4 off, v[28:31], off offset:16
	s_waitcnt vmcnt(5)
	scratch_store_dwordx4 off, v[32:35], off offset:32
	;; [unrolled: 2-line block ×3, first 2 shown]
	s_waitcnt vmcnt(4)
	scratch_store_dwordx2 off, v[22:23], off offset:64
	s_cbranch_scc1 .LBB8_48
; %bb.4:
	v_cmp_eq_u32_e64 s[0:1], 0, v0
	s_and_saveexec_b64 s[4:5], s[0:1]
; %bb.5:
	v_mov_b32_e32 v1, 0
	ds_write_b32 v1, v1 offset:72
; %bb.6:
	s_or_b64 exec, exec, s[4:5]
	s_waitcnt lgkmcnt(0)
	; wave barrier
	scratch_load_dwordx2 v[22:23], v20, off
	s_waitcnt vmcnt(0)
	v_cmp_eq_f32_e32 vcc, 0, v22
	v_cmp_eq_f32_e64 s[4:5], 0, v23
	s_and_b64 s[4:5], vcc, s[4:5]
	s_and_saveexec_b64 s[8:9], s[4:5]
	s_cbranch_execz .LBB8_10
; %bb.7:
	v_mov_b32_e32 v1, 0
	ds_read_b32 v22, v1 offset:72
	v_add_u32_e32 v21, 1, v0
	s_waitcnt lgkmcnt(0)
	v_readfirstlane_b32 s4, v22
	s_cmp_eq_u32 s4, 0
	s_cselect_b64 s[10:11], -1, 0
	v_cmp_gt_i32_e32 vcc, s4, v21
	s_or_b64 s[10:11], s[10:11], vcc
	s_and_b64 exec, exec, s[10:11]
	s_cbranch_execz .LBB8_10
; %bb.8:
	s_mov_b64 s[10:11], 0
	v_mov_b32_e32 v22, s4
.LBB8_9:                                ; =>This Inner Loop Header: Depth=1
	ds_cmpst_rtn_b32 v22, v1, v22, v21 offset:72
	s_waitcnt lgkmcnt(0)
	v_cmp_ne_u32_e32 vcc, 0, v22
	v_cmp_le_i32_e64 s[4:5], v22, v21
	s_and_b64 s[4:5], vcc, s[4:5]
	s_and_b64 s[4:5], exec, s[4:5]
	s_or_b64 s[10:11], s[4:5], s[10:11]
	s_andn2_b64 exec, exec, s[10:11]
	s_cbranch_execnz .LBB8_9
.LBB8_10:
	s_or_b64 exec, exec, s[8:9]
	v_mov_b32_e32 v21, 0
	; wave barrier
	ds_read_b32 v1, v21 offset:72
	s_and_saveexec_b64 s[4:5], s[0:1]
	s_cbranch_execz .LBB8_12
; %bb.11:
	s_lshl_b64 s[8:9], s[2:3], 2
	s_add_u32 s8, s6, s8
	s_addc_u32 s9, s7, s9
	s_waitcnt lgkmcnt(0)
	global_store_dword v21, v1, s[8:9]
.LBB8_12:
	s_or_b64 exec, exec, s[4:5]
	s_waitcnt lgkmcnt(0)
	v_cmp_ne_u32_e32 vcc, 0, v1
	s_mov_b64 s[4:5], 0
	s_cbranch_vccnz .LBB8_48
; %bb.13:
	v_mov_b32_e32 v21, v20
	scratch_load_dwordx2 v[22:23], v21, off
                                        ; implicit-def: $vgpr25
                                        ; implicit-def: $vgpr26
	s_waitcnt vmcnt(0)
	v_cmp_ngt_f32_e64 s[4:5], |v22|, |v23|
	s_and_saveexec_b64 s[8:9], s[4:5]
	s_xor_b64 s[4:5], exec, s[8:9]
	s_cbranch_execz .LBB8_15
; %bb.14:
	v_div_scale_f32 v1, s[8:9], v23, v23, v22
	v_rcp_f32_e32 v24, v1
	v_div_scale_f32 v25, vcc, v22, v23, v22
	v_fma_f32 v26, -v1, v24, 1.0
	v_fmac_f32_e32 v24, v26, v24
	v_mul_f32_e32 v26, v25, v24
	v_fma_f32 v27, -v1, v26, v25
	v_fmac_f32_e32 v26, v27, v24
	v_fma_f32 v1, -v1, v26, v25
	v_div_fmas_f32 v1, v1, v24, v26
	v_div_fixup_f32 v1, v1, v23, v22
	v_fmac_f32_e32 v23, v22, v1
	v_div_scale_f32 v22, s[8:9], v23, v23, -1.0
	v_rcp_f32_e32 v24, v22
	s_nop 0
	v_fma_f32 v25, -v22, v24, 1.0
	v_fmac_f32_e32 v24, v25, v24
	v_div_scale_f32 v25, vcc, -1.0, v23, -1.0
	v_mul_f32_e32 v26, v25, v24
	v_fma_f32 v27, -v22, v26, v25
	v_fmac_f32_e32 v26, v27, v24
	v_fma_f32 v22, -v22, v26, v25
	v_div_fmas_f32 v22, v22, v24, v26
	v_div_fixup_f32 v25, v22, v23, -1.0
	v_mul_f32_e32 v26, v1, v25
	v_xor_b32_e32 v24, 0x80000000, v26
                                        ; implicit-def: $vgpr22_vgpr23
.LBB8_15:
	s_andn2_saveexec_b64 s[4:5], s[4:5]
	s_cbranch_execz .LBB8_17
; %bb.16:
	v_div_scale_f32 v1, s[8:9], v22, v22, v23
	v_rcp_f32_e32 v24, v1
	v_div_scale_f32 v25, vcc, v23, v22, v23
	v_fma_f32 v26, -v1, v24, 1.0
	v_fmac_f32_e32 v24, v26, v24
	v_mul_f32_e32 v26, v25, v24
	v_fma_f32 v27, -v1, v26, v25
	v_fmac_f32_e32 v26, v27, v24
	v_fma_f32 v1, -v1, v26, v25
	v_div_fmas_f32 v1, v1, v24, v26
	v_div_fixup_f32 v1, v1, v22, v23
	v_fmac_f32_e32 v22, v23, v1
	v_div_scale_f32 v23, s[8:9], v22, v22, 1.0
	v_rcp_f32_e32 v24, v23
	s_nop 0
	v_fma_f32 v25, -v23, v24, 1.0
	v_fmac_f32_e32 v24, v25, v24
	v_div_scale_f32 v25, vcc, 1.0, v22, 1.0
	v_mul_f32_e32 v26, v25, v24
	v_fma_f32 v27, -v23, v26, v25
	v_fmac_f32_e32 v26, v27, v24
	v_fma_f32 v23, -v23, v26, v25
	v_div_fmas_f32 v23, v23, v24, v26
	v_div_fixup_f32 v24, v23, v22, 1.0
	v_xor_b32_e32 v26, 0x80000000, v24
	v_mul_f32_e64 v25, v1, -v24
.LBB8_17:
	s_or_b64 exec, exec, s[4:5]
	scratch_store_dwordx2 v21, v[24:25], off
	scratch_load_dwordx2 v[22:23], off, off offset:8
	v_xor_b32_e32 v27, 0x80000000, v25
	v_add_u32_e32 v1, 0x50, v20
	s_waitcnt vmcnt(0)
	ds_write2_b64 v20, v[26:27], v[22:23] offset1:10
	s_waitcnt lgkmcnt(0)
	; wave barrier
	s_and_saveexec_b64 s[4:5], s[0:1]
	s_cbranch_execz .LBB8_19
; %bb.18:
	scratch_load_dwordx2 v[22:23], v21, off
	ds_read_b64 v[24:25], v1
	v_mov_b32_e32 v26, 0
	ds_read_b64 v[26:27], v26 offset:8
	s_waitcnt vmcnt(0) lgkmcnt(1)
	v_pk_mul_f32 v[28:29], v[24:25], v[22:23] op_sel:[1,1] op_sel_hi:[0,1]
	v_pk_fma_f32 v[30:31], v[24:25], v[22:23], v[28:29] neg_lo:[0,0,1] neg_hi:[0,0,1]
	v_pk_fma_f32 v[22:23], v[24:25], v[22:23], v[28:29] op_sel_hi:[1,0,1]
	s_nop 0
	v_mov_b32_e32 v31, v23
	v_pk_add_f32 v[22:23], v[30:31], 0 op_sel_hi:[1,0]
	s_waitcnt lgkmcnt(0)
	v_pk_mul_f32 v[24:25], v[22:23], v[26:27] op_sel:[1,1] op_sel_hi:[0,1]
	v_pk_fma_f32 v[28:29], v[22:23], v[26:27], v[24:25] neg_lo:[0,0,1] neg_hi:[0,0,1]
	v_pk_fma_f32 v[22:23], v[22:23], v[26:27], v[24:25] op_sel_hi:[1,0,1]
	s_nop 0
	v_mov_b32_e32 v29, v23
	scratch_store_dwordx2 off, v[28:29], off offset:8
.LBB8_19:
	s_or_b64 exec, exec, s[4:5]
	; wave barrier
	scratch_load_dwordx2 v[22:23], off, off offset:16
	v_cmp_gt_u32_e32 vcc, 2, v0
	s_waitcnt vmcnt(0)
	ds_write_b64 v1, v[22:23]
	s_waitcnt lgkmcnt(0)
	; wave barrier
	s_and_saveexec_b64 s[4:5], vcc
	s_cbranch_execz .LBB8_23
; %bb.20:
	scratch_load_dwordx2 v[22:23], v21, off
	ds_read_b64 v[24:25], v1
	s_waitcnt vmcnt(0) lgkmcnt(0)
	v_pk_mul_f32 v[26:27], v[24:25], v[22:23] op_sel:[1,1] op_sel_hi:[0,1]
	v_pk_fma_f32 v[28:29], v[24:25], v[22:23], v[26:27] neg_lo:[0,0,1] neg_hi:[0,0,1]
	v_pk_fma_f32 v[22:23], v[24:25], v[22:23], v[26:27] op_sel_hi:[1,0,1]
	s_nop 0
	v_mov_b32_e32 v29, v23
	v_pk_add_f32 v[22:23], v[28:29], 0 op_sel_hi:[1,0]
	s_and_saveexec_b64 s[8:9], s[0:1]
	s_cbranch_execz .LBB8_22
; %bb.21:
	scratch_load_dwordx2 v[24:25], off, off offset:8
	v_mov_b32_e32 v21, 0
	ds_read_b64 v[26:27], v21 offset:88
	s_waitcnt vmcnt(0) lgkmcnt(0)
	v_pk_mul_f32 v[28:29], v[26:27], v[24:25] op_sel:[1,1] op_sel_hi:[0,1]
	v_pk_fma_f32 v[30:31], v[26:27], v[24:25], v[28:29] neg_lo:[0,0,1] neg_hi:[0,0,1]
	v_pk_fma_f32 v[24:25], v[26:27], v[24:25], v[28:29] op_sel_hi:[1,0,1]
	s_nop 0
	v_mov_b32_e32 v31, v25
	v_pk_add_f32 v[22:23], v[22:23], v[30:31]
.LBB8_22:
	s_or_b64 exec, exec, s[8:9]
	v_mov_b32_e32 v21, 0
	ds_read_b64 v[24:25], v21 offset:16
	s_waitcnt lgkmcnt(0)
	v_pk_mul_f32 v[26:27], v[22:23], v[24:25] op_sel:[1,1] op_sel_hi:[0,1]
	v_pk_fma_f32 v[28:29], v[22:23], v[24:25], v[26:27] neg_lo:[0,0,1] neg_hi:[0,0,1]
	v_pk_fma_f32 v[22:23], v[22:23], v[24:25], v[26:27] op_sel_hi:[1,0,1]
	s_nop 0
	v_mov_b32_e32 v29, v23
	scratch_store_dwordx2 off, v[28:29], off offset:16
.LBB8_23:
	s_or_b64 exec, exec, s[4:5]
	; wave barrier
	scratch_load_dwordx2 v[22:23], off, off offset:24
	v_cmp_gt_u32_e32 vcc, 3, v0
	v_add_u32_e32 v24, -1, v0
	s_waitcnt vmcnt(0)
	ds_write_b64 v1, v[22:23]
	s_waitcnt lgkmcnt(0)
	; wave barrier
	s_and_saveexec_b64 s[0:1], vcc
	s_cbranch_execz .LBB8_27
; %bb.24:
	v_mov_b32_e32 v22, 0
	v_add_u32_e32 v21, -1, v0
	v_add_u32_e32 v25, 0x50, v20
	v_mov_b32_e32 v26, v20
	s_mov_b64 s[4:5], 0
	v_mov_b32_e32 v23, v22
.LBB8_25:                               ; =>This Inner Loop Header: Depth=1
	scratch_load_dwordx2 v[28:29], v26, off
	ds_read_b64 v[30:31], v25
	v_add_u32_e32 v21, 1, v21
	v_cmp_lt_u32_e32 vcc, 1, v21
	v_add_u32_e32 v25, 8, v25
	v_add_u32_e32 v26, 8, v26
	s_or_b64 s[4:5], vcc, s[4:5]
	s_waitcnt vmcnt(0) lgkmcnt(0)
	v_pk_mul_f32 v[32:33], v[30:31], v[28:29] op_sel:[1,1] op_sel_hi:[0,1]
	v_pk_fma_f32 v[34:35], v[30:31], v[28:29], v[32:33] neg_lo:[0,0,1] neg_hi:[0,0,1]
	v_pk_fma_f32 v[28:29], v[30:31], v[28:29], v[32:33] op_sel_hi:[1,0,1]
	s_nop 0
	v_mov_b32_e32 v35, v29
	v_pk_add_f32 v[22:23], v[22:23], v[34:35]
	s_andn2_b64 exec, exec, s[4:5]
	s_cbranch_execnz .LBB8_25
; %bb.26:
	s_or_b64 exec, exec, s[4:5]
	v_mov_b32_e32 v21, 0
	ds_read_b64 v[26:27], v21 offset:24
	s_waitcnt lgkmcnt(0)
	v_pk_mul_f32 v[28:29], v[22:23], v[26:27] op_sel:[1,1] op_sel_hi:[0,1]
	v_pk_fma_f32 v[30:31], v[22:23], v[26:27], v[28:29] neg_lo:[0,0,1] neg_hi:[0,0,1]
	v_pk_fma_f32 v[22:23], v[22:23], v[26:27], v[28:29] op_sel_hi:[1,0,1]
	s_nop 0
	v_mov_b32_e32 v31, v23
	scratch_store_dwordx2 off, v[30:31], off offset:24
.LBB8_27:
	s_or_b64 exec, exec, s[0:1]
	; wave barrier
	scratch_load_dwordx2 v[22:23], off, off offset:32
	v_cmp_gt_u32_e32 vcc, 4, v0
	s_waitcnt vmcnt(0)
	ds_write_b64 v1, v[22:23]
	s_waitcnt lgkmcnt(0)
	; wave barrier
	s_and_saveexec_b64 s[0:1], vcc
	s_cbranch_execz .LBB8_31
; %bb.28:
	v_mov_b32_e32 v22, 0
	v_add_u32_e32 v21, -1, v0
	v_add_u32_e32 v25, 0x50, v20
	v_mov_b32_e32 v26, v20
	s_mov_b64 s[4:5], 0
	v_mov_b32_e32 v23, v22
.LBB8_29:                               ; =>This Inner Loop Header: Depth=1
	scratch_load_dwordx2 v[28:29], v26, off
	ds_read_b64 v[30:31], v25
	v_add_u32_e32 v21, 1, v21
	v_cmp_lt_u32_e32 vcc, 2, v21
	v_add_u32_e32 v25, 8, v25
	v_add_u32_e32 v26, 8, v26
	s_or_b64 s[4:5], vcc, s[4:5]
	s_waitcnt vmcnt(0) lgkmcnt(0)
	v_pk_mul_f32 v[32:33], v[30:31], v[28:29] op_sel:[1,1] op_sel_hi:[0,1]
	v_pk_fma_f32 v[34:35], v[30:31], v[28:29], v[32:33] neg_lo:[0,0,1] neg_hi:[0,0,1]
	v_pk_fma_f32 v[28:29], v[30:31], v[28:29], v[32:33] op_sel_hi:[1,0,1]
	s_nop 0
	v_mov_b32_e32 v35, v29
	v_pk_add_f32 v[22:23], v[22:23], v[34:35]
	s_andn2_b64 exec, exec, s[4:5]
	s_cbranch_execnz .LBB8_29
; %bb.30:
	s_or_b64 exec, exec, s[4:5]
	v_mov_b32_e32 v21, 0
	ds_read_b64 v[26:27], v21 offset:32
	s_waitcnt lgkmcnt(0)
	v_pk_mul_f32 v[28:29], v[22:23], v[26:27] op_sel:[1,1] op_sel_hi:[0,1]
	v_pk_fma_f32 v[30:31], v[22:23], v[26:27], v[28:29] neg_lo:[0,0,1] neg_hi:[0,0,1]
	v_pk_fma_f32 v[22:23], v[22:23], v[26:27], v[28:29] op_sel_hi:[1,0,1]
	s_nop 0
	v_mov_b32_e32 v31, v23
	scratch_store_dwordx2 off, v[30:31], off offset:32
.LBB8_31:
	s_or_b64 exec, exec, s[0:1]
	; wave barrier
	scratch_load_dwordx2 v[22:23], off, off offset:40
	v_cmp_gt_u32_e32 vcc, 5, v0
	;; [unrolled: 46-line block ×4, first 2 shown]
	s_waitcnt vmcnt(0)
	ds_write_b64 v1, v[22:23]
	s_waitcnt lgkmcnt(0)
	; wave barrier
	s_and_saveexec_b64 s[0:1], vcc
	s_cbranch_execz .LBB8_43
; %bb.40:
	v_mov_b32_e32 v22, 0
	v_add_u32_e32 v21, -1, v0
	v_add_u32_e32 v25, 0x50, v20
	v_mov_b32_e32 v26, v20
	s_mov_b64 s[4:5], 0
	v_mov_b32_e32 v23, v22
.LBB8_41:                               ; =>This Inner Loop Header: Depth=1
	scratch_load_dwordx2 v[28:29], v26, off
	ds_read_b64 v[30:31], v25
	v_add_u32_e32 v21, 1, v21
	v_cmp_lt_u32_e32 vcc, 5, v21
	v_add_u32_e32 v25, 8, v25
	v_add_u32_e32 v26, 8, v26
	s_or_b64 s[4:5], vcc, s[4:5]
	s_waitcnt vmcnt(0) lgkmcnt(0)
	v_pk_mul_f32 v[32:33], v[30:31], v[28:29] op_sel:[1,1] op_sel_hi:[0,1]
	v_pk_fma_f32 v[34:35], v[30:31], v[28:29], v[32:33] neg_lo:[0,0,1] neg_hi:[0,0,1]
	v_pk_fma_f32 v[28:29], v[30:31], v[28:29], v[32:33] op_sel_hi:[1,0,1]
	s_nop 0
	v_mov_b32_e32 v35, v29
	v_pk_add_f32 v[22:23], v[22:23], v[34:35]
	s_andn2_b64 exec, exec, s[4:5]
	s_cbranch_execnz .LBB8_41
; %bb.42:
	s_or_b64 exec, exec, s[4:5]
	v_mov_b32_e32 v21, 0
	ds_read_b64 v[26:27], v21 offset:56
	s_waitcnt lgkmcnt(0)
	v_pk_mul_f32 v[28:29], v[22:23], v[26:27] op_sel:[1,1] op_sel_hi:[0,1]
	v_pk_fma_f32 v[30:31], v[22:23], v[26:27], v[28:29] neg_lo:[0,0,1] neg_hi:[0,0,1]
	v_pk_fma_f32 v[22:23], v[22:23], v[26:27], v[28:29] op_sel_hi:[1,0,1]
	s_nop 0
	v_mov_b32_e32 v31, v23
	scratch_store_dwordx2 off, v[30:31], off offset:56
.LBB8_43:
	s_or_b64 exec, exec, s[0:1]
	; wave barrier
	scratch_load_dwordx2 v[22:23], off, off offset:64
	v_cmp_ne_u32_e32 vcc, 8, v0
	s_waitcnt vmcnt(0)
	ds_write_b64 v1, v[22:23]
	s_waitcnt lgkmcnt(0)
	; wave barrier
	s_and_saveexec_b64 s[0:1], vcc
	s_cbranch_execz .LBB8_47
; %bb.44:
	v_add_u32_e32 v1, 0x50, v20
	v_mov_b32_e32 v22, v20
	v_mov_b32_e32 v20, 0
	s_mov_b64 s[4:5], 0
	v_mov_b32_e32 v21, v20
.LBB8_45:                               ; =>This Inner Loop Header: Depth=1
	scratch_load_dwordx2 v[26:27], v22, off
	ds_read_b64 v[28:29], v1
	v_add_u32_e32 v24, 1, v24
	v_cmp_lt_u32_e32 vcc, 6, v24
	v_add_u32_e32 v1, 8, v1
	v_add_u32_e32 v22, 8, v22
	s_or_b64 s[4:5], vcc, s[4:5]
	s_waitcnt vmcnt(0) lgkmcnt(0)
	v_pk_mul_f32 v[30:31], v[28:29], v[26:27] op_sel:[1,1] op_sel_hi:[0,1]
	v_pk_fma_f32 v[32:33], v[28:29], v[26:27], v[30:31] neg_lo:[0,0,1] neg_hi:[0,0,1]
	v_pk_fma_f32 v[26:27], v[28:29], v[26:27], v[30:31] op_sel_hi:[1,0,1]
	s_nop 0
	v_mov_b32_e32 v33, v27
	v_pk_add_f32 v[20:21], v[20:21], v[32:33]
	s_andn2_b64 exec, exec, s[4:5]
	s_cbranch_execnz .LBB8_45
; %bb.46:
	s_or_b64 exec, exec, s[4:5]
	v_mov_b32_e32 v1, 0
	ds_read_b64 v[22:23], v1 offset:64
	s_waitcnt lgkmcnt(0)
	v_pk_mul_f32 v[24:25], v[20:21], v[22:23] op_sel:[1,1] op_sel_hi:[0,1]
	v_pk_fma_f32 v[26:27], v[20:21], v[22:23], v[24:25] neg_lo:[0,0,1] neg_hi:[0,0,1]
	v_pk_fma_f32 v[20:21], v[20:21], v[22:23], v[24:25] op_sel_hi:[1,0,1]
	s_nop 0
	v_mov_b32_e32 v27, v21
	scratch_store_dwordx2 off, v[26:27], off offset:64
.LBB8_47:
	s_or_b64 exec, exec, s[0:1]
	s_mov_b64 s[4:5], -1
	; wave barrier
.LBB8_48:
	s_and_b64 vcc, exec, s[4:5]
	s_cbranch_vccz .LBB8_50
; %bb.49:
	s_lshl_b64 s[0:1], s[2:3], 2
	s_add_u32 s0, s6, s0
	s_addc_u32 s1, s7, s1
	v_mov_b32_e32 v1, 0
	global_load_dword v1, v1, s[0:1]
	s_waitcnt vmcnt(0)
	v_cmp_ne_u32_e32 vcc, 0, v1
	s_cbranch_vccz .LBB8_51
.LBB8_50:
	s_endpgm
.LBB8_51:
	v_mov_b32_e32 v1, 0x50
	v_lshl_add_u32 v1, v0, 3, v1
	v_cmp_eq_u32_e32 vcc, 8, v0
	s_and_saveexec_b64 s[0:1], vcc
	s_cbranch_execz .LBB8_53
; %bb.52:
	scratch_load_dwordx2 v[20:21], off, off offset:56
	v_mov_b32_e32 v22, 0
	v_mov_b32_e32 v23, v22
	scratch_store_dwordx2 off, v[22:23], off offset:56
	s_waitcnt vmcnt(1)
	ds_write_b64 v1, v[20:21]
.LBB8_53:
	s_or_b64 exec, exec, s[0:1]
	s_waitcnt lgkmcnt(0)
	; wave barrier
	scratch_load_dwordx2 v[22:23], off, off offset:64
	scratch_load_dwordx2 v[24:25], off, off offset:56
	v_mov_b32_e32 v20, 0
	ds_read_b64 v[26:27], v20 offset:144
	v_cmp_lt_u32_e32 vcc, 6, v0
	s_waitcnt vmcnt(1) lgkmcnt(0)
	v_pk_mul_f32 v[28:29], v[26:27], v[22:23] op_sel:[1,1] op_sel_hi:[0,1]
	v_pk_fma_f32 v[30:31], v[26:27], v[22:23], v[28:29] neg_lo:[0,0,1] neg_hi:[0,0,1]
	v_pk_fma_f32 v[22:23], v[26:27], v[22:23], v[28:29] op_sel_hi:[1,0,1]
	s_nop 0
	v_mov_b32_e32 v31, v23
	v_pk_add_f32 v[22:23], v[30:31], 0 op_sel_hi:[1,0]
	s_waitcnt vmcnt(0)
	v_pk_add_f32 v[22:23], v[24:25], v[22:23] neg_lo:[0,1] neg_hi:[0,1]
	scratch_store_dwordx2 off, v[22:23], off offset:56
	s_and_saveexec_b64 s[0:1], vcc
	s_cbranch_execz .LBB8_55
; %bb.54:
	scratch_load_dwordx2 v[22:23], off, off offset:48
	v_mov_b32_e32 v21, v20
	scratch_store_dwordx2 off, v[20:21], off offset:48
	s_waitcnt vmcnt(1)
	ds_write_b64 v1, v[22:23]
.LBB8_55:
	s_or_b64 exec, exec, s[0:1]
	s_waitcnt lgkmcnt(0)
	; wave barrier
	scratch_load_dwordx4 v[22:25], off, off offset:56
	scratch_load_dwordx2 v[30:31], off, off offset:48
	ds_read2_b64 v[26:29], v20 offset0:17 offset1:18
	v_cmp_lt_u32_e32 vcc, 5, v0
	s_waitcnt vmcnt(1) lgkmcnt(0)
	v_pk_mul_f32 v[20:21], v[26:27], v[22:23] op_sel:[1,1] op_sel_hi:[0,1]
	v_mov_b32_e32 v32, v25
	v_pk_fma_f32 v[34:35], v[26:27], v[22:23], v[20:21] neg_lo:[0,0,1] neg_hi:[0,0,1]
	v_pk_fma_f32 v[20:21], v[26:27], v[22:23], v[20:21] op_sel_hi:[1,0,1]
	v_pk_mul_f32 v[22:23], v[28:29], v[32:33] op_sel:[1,0] op_sel_hi:[0,0]
	v_mov_b32_e32 v35, v21
	v_pk_fma_f32 v[20:21], v[28:29], v[24:25], v[22:23] neg_lo:[0,0,1] neg_hi:[0,0,1]
	v_pk_fma_f32 v[22:23], v[28:29], v[24:25], v[22:23] op_sel_hi:[1,0,1]
	v_pk_add_f32 v[24:25], v[34:35], 0 op_sel_hi:[1,0]
	v_mov_b32_e32 v21, v23
	v_pk_add_f32 v[20:21], v[24:25], v[20:21]
	s_waitcnt vmcnt(0)
	v_pk_add_f32 v[20:21], v[30:31], v[20:21] neg_lo:[0,1] neg_hi:[0,1]
	scratch_store_dwordx2 off, v[20:21], off offset:48
	s_and_saveexec_b64 s[0:1], vcc
	s_cbranch_execz .LBB8_57
; %bb.56:
	scratch_load_dwordx2 v[20:21], off, off offset:40
	v_mov_b32_e32 v22, 0
	v_mov_b32_e32 v23, v22
	scratch_store_dwordx2 off, v[22:23], off offset:40
	s_waitcnt vmcnt(1)
	ds_write_b64 v1, v[20:21]
.LBB8_57:
	s_or_b64 exec, exec, s[0:1]
	s_waitcnt lgkmcnt(0)
	; wave barrier
	scratch_load_dwordx4 v[22:25], off, off offset:48
	scratch_load_dwordx2 v[30:31], off, off offset:64
	scratch_load_dwordx2 v[32:33], off, off offset:40
	v_mov_b32_e32 v20, 0
	ds_read_b128 v[26:29], v20 offset:128
	ds_read_b64 v[34:35], v20 offset:144
	v_cmp_lt_u32_e32 vcc, 4, v0
	s_waitcnt vmcnt(2) lgkmcnt(1)
	v_pk_mul_f32 v[36:37], v[26:27], v[22:23] op_sel:[1,1] op_sel_hi:[0,1]
	v_mov_b32_e32 v38, v25
	v_pk_fma_f32 v[42:43], v[26:27], v[22:23], v[36:37] neg_lo:[0,0,1] neg_hi:[0,0,1]
	v_pk_fma_f32 v[22:23], v[26:27], v[22:23], v[36:37] op_sel_hi:[1,0,1]
	v_pk_mul_f32 v[26:27], v[28:29], v[38:39] op_sel:[1,0] op_sel_hi:[0,0]
	s_waitcnt vmcnt(1) lgkmcnt(0)
	v_pk_mul_f32 v[40:41], v[34:35], v[30:31] op_sel:[1,1] op_sel_hi:[0,1]
	v_mov_b32_e32 v43, v23
	v_pk_fma_f32 v[22:23], v[28:29], v[24:25], v[26:27] neg_lo:[0,0,1] neg_hi:[0,0,1]
	v_pk_fma_f32 v[24:25], v[28:29], v[24:25], v[26:27] op_sel_hi:[1,0,1]
	v_pk_fma_f32 v[36:37], v[34:35], v[30:31], v[40:41] neg_lo:[0,0,1] neg_hi:[0,0,1]
	v_pk_fma_f32 v[30:31], v[34:35], v[30:31], v[40:41] op_sel_hi:[1,0,1]
	v_pk_add_f32 v[26:27], v[42:43], 0 op_sel_hi:[1,0]
	v_mov_b32_e32 v23, v25
	v_mov_b32_e32 v37, v31
	v_pk_add_f32 v[22:23], v[26:27], v[22:23]
	s_nop 0
	v_pk_add_f32 v[22:23], v[22:23], v[36:37]
	s_waitcnt vmcnt(0)
	v_pk_add_f32 v[22:23], v[32:33], v[22:23] neg_lo:[0,1] neg_hi:[0,1]
	scratch_store_dwordx2 off, v[22:23], off offset:40
	s_and_saveexec_b64 s[0:1], vcc
	s_cbranch_execz .LBB8_59
; %bb.58:
	scratch_load_dwordx2 v[22:23], off, off offset:32
	v_mov_b32_e32 v21, v20
	scratch_store_dwordx2 off, v[20:21], off offset:32
	s_waitcnt vmcnt(1)
	ds_write_b64 v1, v[22:23]
.LBB8_59:
	s_or_b64 exec, exec, s[0:1]
	s_waitcnt lgkmcnt(0)
	; wave barrier
	scratch_load_dwordx4 v[22:25], off, off offset:40
	scratch_load_dwordx4 v[26:29], off, off offset:56
	scratch_load_dwordx2 v[38:39], off, off offset:32
	ds_read2_b64 v[30:33], v20 offset0:15 offset1:16
	ds_read2_b64 v[34:37], v20 offset0:17 offset1:18
	v_cmp_lt_u32_e32 vcc, 3, v0
	s_waitcnt vmcnt(2) lgkmcnt(1)
	v_pk_mul_f32 v[20:21], v[30:31], v[22:23] op_sel:[1,1] op_sel_hi:[0,1]
	v_mov_b32_e32 v40, v25
	s_waitcnt vmcnt(1) lgkmcnt(0)
	v_pk_mul_f32 v[42:43], v[34:35], v[26:27] op_sel:[1,1] op_sel_hi:[0,1]
	v_mov_b32_e32 v44, v29
	v_pk_fma_f32 v[46:47], v[30:31], v[22:23], v[20:21] neg_lo:[0,0,1] neg_hi:[0,0,1]
	v_pk_fma_f32 v[20:21], v[30:31], v[22:23], v[20:21] op_sel_hi:[1,0,1]
	v_pk_mul_f32 v[22:23], v[32:33], v[40:41] op_sel:[1,0] op_sel_hi:[0,0]
	v_pk_fma_f32 v[30:31], v[34:35], v[26:27], v[42:43] neg_lo:[0,0,1] neg_hi:[0,0,1]
	v_pk_fma_f32 v[26:27], v[34:35], v[26:27], v[42:43] op_sel_hi:[1,0,1]
	v_pk_mul_f32 v[34:35], v[36:37], v[44:45] op_sel:[1,0] op_sel_hi:[0,0]
	v_mov_b32_e32 v47, v21
	v_pk_fma_f32 v[20:21], v[32:33], v[24:25], v[22:23] neg_lo:[0,0,1] neg_hi:[0,0,1]
	v_pk_fma_f32 v[22:23], v[32:33], v[24:25], v[22:23] op_sel_hi:[1,0,1]
	v_mov_b32_e32 v31, v27
	v_pk_fma_f32 v[24:25], v[36:37], v[28:29], v[34:35] neg_lo:[0,0,1] neg_hi:[0,0,1]
	v_pk_fma_f32 v[26:27], v[36:37], v[28:29], v[34:35] op_sel_hi:[1,0,1]
	v_pk_add_f32 v[28:29], v[46:47], 0 op_sel_hi:[1,0]
	v_mov_b32_e32 v21, v23
	v_pk_add_f32 v[20:21], v[28:29], v[20:21]
	v_mov_b32_e32 v25, v27
	v_pk_add_f32 v[20:21], v[20:21], v[30:31]
	s_nop 0
	v_pk_add_f32 v[20:21], v[20:21], v[24:25]
	s_waitcnt vmcnt(0)
	v_pk_add_f32 v[20:21], v[38:39], v[20:21] neg_lo:[0,1] neg_hi:[0,1]
	scratch_store_dwordx2 off, v[20:21], off offset:32
	s_and_saveexec_b64 s[0:1], vcc
	s_cbranch_execz .LBB8_61
; %bb.60:
	scratch_load_dwordx2 v[20:21], off, off offset:24
	v_mov_b32_e32 v22, 0
	v_mov_b32_e32 v23, v22
	scratch_store_dwordx2 off, v[22:23], off offset:24
	s_waitcnt vmcnt(1)
	ds_write_b64 v1, v[20:21]
.LBB8_61:
	s_or_b64 exec, exec, s[0:1]
	s_waitcnt lgkmcnt(0)
	; wave barrier
	scratch_load_dwordx4 v[22:25], off, off offset:32
	scratch_load_dwordx4 v[26:29], off, off offset:48
	scratch_load_dwordx2 v[38:39], off, off offset:64
	scratch_load_dwordx2 v[40:41], off, off offset:24
	v_mov_b32_e32 v20, 0
	ds_read_b128 v[30:33], v20 offset:112
	ds_read_b128 v[34:37], v20 offset:128
	ds_read_b64 v[42:43], v20 offset:144
	v_cmp_lt_u32_e32 vcc, 2, v0
	s_waitcnt vmcnt(3) lgkmcnt(2)
	v_pk_mul_f32 v[44:45], v[30:31], v[22:23] op_sel:[1,1] op_sel_hi:[0,1]
	v_mov_b32_e32 v46, v25
	v_pk_fma_f32 v[54:55], v[30:31], v[22:23], v[44:45] neg_lo:[0,0,1] neg_hi:[0,0,1]
	v_pk_fma_f32 v[22:23], v[30:31], v[22:23], v[44:45] op_sel_hi:[1,0,1]
	v_pk_mul_f32 v[30:31], v[32:33], v[46:47] op_sel:[1,0] op_sel_hi:[0,0]
	s_waitcnt vmcnt(2) lgkmcnt(1)
	v_pk_mul_f32 v[48:49], v[34:35], v[26:27] op_sel:[1,1] op_sel_hi:[0,1]
	v_mov_b32_e32 v50, v29
	v_mov_b32_e32 v55, v23
	v_pk_fma_f32 v[22:23], v[32:33], v[24:25], v[30:31] neg_lo:[0,0,1] neg_hi:[0,0,1]
	v_pk_fma_f32 v[24:25], v[32:33], v[24:25], v[30:31] op_sel_hi:[1,0,1]
	v_pk_fma_f32 v[44:45], v[34:35], v[26:27], v[48:49] neg_lo:[0,0,1] neg_hi:[0,0,1]
	v_pk_fma_f32 v[26:27], v[34:35], v[26:27], v[48:49] op_sel_hi:[1,0,1]
	v_pk_mul_f32 v[34:35], v[36:37], v[50:51] op_sel:[1,0] op_sel_hi:[0,0]
	v_pk_add_f32 v[30:31], v[54:55], 0 op_sel_hi:[1,0]
	v_mov_b32_e32 v23, v25
	s_waitcnt vmcnt(1) lgkmcnt(0)
	v_pk_mul_f32 v[52:53], v[42:43], v[38:39] op_sel:[1,1] op_sel_hi:[0,1]
	v_mov_b32_e32 v45, v27
	v_pk_fma_f32 v[26:27], v[36:37], v[28:29], v[34:35] neg_lo:[0,0,1] neg_hi:[0,0,1]
	v_pk_fma_f32 v[28:29], v[36:37], v[28:29], v[34:35] op_sel_hi:[1,0,1]
	v_pk_add_f32 v[22:23], v[30:31], v[22:23]
	v_pk_fma_f32 v[46:47], v[42:43], v[38:39], v[52:53] neg_lo:[0,0,1] neg_hi:[0,0,1]
	v_pk_fma_f32 v[38:39], v[42:43], v[38:39], v[52:53] op_sel_hi:[1,0,1]
	v_mov_b32_e32 v27, v29
	v_pk_add_f32 v[22:23], v[22:23], v[44:45]
	v_mov_b32_e32 v47, v39
	v_pk_add_f32 v[22:23], v[22:23], v[26:27]
	s_nop 0
	v_pk_add_f32 v[22:23], v[22:23], v[46:47]
	s_waitcnt vmcnt(0)
	v_pk_add_f32 v[22:23], v[40:41], v[22:23] neg_lo:[0,1] neg_hi:[0,1]
	scratch_store_dwordx2 off, v[22:23], off offset:24
	s_and_saveexec_b64 s[0:1], vcc
	s_cbranch_execz .LBB8_63
; %bb.62:
	scratch_load_dwordx2 v[22:23], off, off offset:16
	v_mov_b32_e32 v21, v20
	scratch_store_dwordx2 off, v[20:21], off offset:16
	s_waitcnt vmcnt(1)
	ds_write_b64 v1, v[22:23]
.LBB8_63:
	s_or_b64 exec, exec, s[0:1]
	s_waitcnt lgkmcnt(0)
	; wave barrier
	scratch_load_dwordx4 v[22:25], off, off offset:24
	scratch_load_dwordx4 v[26:29], off, off offset:40
	;; [unrolled: 1-line block ×3, first 2 shown]
	scratch_load_dwordx2 v[46:47], off, off offset:16
	ds_read2_b64 v[34:37], v20 offset0:13 offset1:14
	ds_read2_b64 v[38:41], v20 offset0:15 offset1:16
	;; [unrolled: 1-line block ×3, first 2 shown]
	v_cmp_lt_u32_e32 vcc, 1, v0
	s_waitcnt vmcnt(3) lgkmcnt(2)
	v_pk_mul_f32 v[20:21], v[34:35], v[22:23] op_sel:[1,1] op_sel_hi:[0,1]
	v_mov_b32_e32 v48, v25
	s_waitcnt vmcnt(2) lgkmcnt(1)
	v_pk_mul_f32 v[50:51], v[38:39], v[26:27] op_sel:[1,1] op_sel_hi:[0,1]
	v_mov_b32_e32 v52, v29
	;; [unrolled: 3-line block ×3, first 2 shown]
	v_pk_fma_f32 v[58:59], v[34:35], v[22:23], v[20:21] neg_lo:[0,0,1] neg_hi:[0,0,1]
	v_pk_fma_f32 v[20:21], v[34:35], v[22:23], v[20:21] op_sel_hi:[1,0,1]
	v_pk_mul_f32 v[22:23], v[36:37], v[48:49] op_sel:[1,0] op_sel_hi:[0,0]
	v_pk_fma_f32 v[34:35], v[38:39], v[26:27], v[50:51] neg_lo:[0,0,1] neg_hi:[0,0,1]
	v_pk_fma_f32 v[26:27], v[38:39], v[26:27], v[50:51] op_sel_hi:[1,0,1]
	v_pk_mul_f32 v[38:39], v[40:41], v[52:53] op_sel:[1,0] op_sel_hi:[0,0]
	;; [unrolled: 3-line block ×3, first 2 shown]
	v_mov_b32_e32 v59, v21
	v_pk_fma_f32 v[20:21], v[36:37], v[24:25], v[22:23] neg_lo:[0,0,1] neg_hi:[0,0,1]
	v_pk_fma_f32 v[22:23], v[36:37], v[24:25], v[22:23] op_sel_hi:[1,0,1]
	v_mov_b32_e32 v35, v27
	v_pk_fma_f32 v[24:25], v[40:41], v[28:29], v[38:39] neg_lo:[0,0,1] neg_hi:[0,0,1]
	v_pk_fma_f32 v[26:27], v[40:41], v[28:29], v[38:39] op_sel_hi:[1,0,1]
	v_mov_b32_e32 v49, v31
	v_pk_fma_f32 v[28:29], v[44:45], v[32:33], v[42:43] neg_lo:[0,0,1] neg_hi:[0,0,1]
	v_pk_fma_f32 v[30:31], v[44:45], v[32:33], v[42:43] op_sel_hi:[1,0,1]
	v_pk_add_f32 v[32:33], v[58:59], 0 op_sel_hi:[1,0]
	v_mov_b32_e32 v21, v23
	v_pk_add_f32 v[20:21], v[32:33], v[20:21]
	v_mov_b32_e32 v25, v27
	v_pk_add_f32 v[20:21], v[20:21], v[34:35]
	;; [unrolled: 2-line block ×3, first 2 shown]
	s_nop 0
	v_pk_add_f32 v[20:21], v[20:21], v[48:49]
	s_nop 0
	v_pk_add_f32 v[20:21], v[20:21], v[28:29]
	s_waitcnt vmcnt(0)
	v_pk_add_f32 v[20:21], v[46:47], v[20:21] neg_lo:[0,1] neg_hi:[0,1]
	scratch_store_dwordx2 off, v[20:21], off offset:16
	s_and_saveexec_b64 s[0:1], vcc
	s_cbranch_execz .LBB8_65
; %bb.64:
	scratch_load_dwordx2 v[20:21], off, off offset:8
	v_mov_b32_e32 v22, 0
	v_mov_b32_e32 v23, v22
	scratch_store_dwordx2 off, v[22:23], off offset:8
	s_waitcnt vmcnt(1)
	ds_write_b64 v1, v[20:21]
.LBB8_65:
	s_or_b64 exec, exec, s[0:1]
	s_waitcnt lgkmcnt(0)
	; wave barrier
	scratch_load_dwordx4 v[22:25], off, off offset:16
	scratch_load_dwordx4 v[26:29], off, off offset:32
	;; [unrolled: 1-line block ×3, first 2 shown]
	scratch_load_dwordx2 v[46:47], off, off offset:64
	v_mov_b32_e32 v20, 0
	ds_read_b128 v[34:37], v20 offset:96
	ds_read_b128 v[38:41], v20 offset:112
	;; [unrolled: 1-line block ×3, first 2 shown]
	ds_read_b64 v[48:49], v20 offset:144
	v_cmp_ne_u32_e32 vcc, 0, v0
	s_waitcnt vmcnt(3) lgkmcnt(3)
	v_pk_mul_f32 v[50:51], v[34:35], v[22:23] op_sel:[1,1] op_sel_hi:[0,1]
	v_pk_fma_f32 v[52:53], v[34:35], v[22:23], v[50:51] neg_lo:[0,0,1] neg_hi:[0,0,1]
	v_pk_fma_f32 v[22:23], v[34:35], v[22:23], v[50:51] op_sel_hi:[1,0,1]
	v_mov_b32_e32 v34, v25
	v_pk_mul_f32 v[34:35], v[36:37], v[34:35] op_sel:[1,0] op_sel_hi:[0,0]
	v_pk_fma_f32 v[50:51], v[36:37], v[24:25], v[34:35] neg_lo:[0,0,1] neg_hi:[0,0,1]
	v_pk_fma_f32 v[24:25], v[36:37], v[24:25], v[34:35] op_sel_hi:[1,0,1]
	v_mov_b32_e32 v53, v23
	v_mov_b32_e32 v51, v25
	s_waitcnt vmcnt(2) lgkmcnt(2)
	v_pk_mul_f32 v[24:25], v[38:39], v[26:27] op_sel:[1,1] op_sel_hi:[0,1]
	v_pk_fma_f32 v[34:35], v[38:39], v[26:27], v[24:25] neg_lo:[0,0,1] neg_hi:[0,0,1]
	v_pk_fma_f32 v[24:25], v[38:39], v[26:27], v[24:25] op_sel_hi:[1,0,1]
	v_pk_add_f32 v[22:23], v[52:53], 0 op_sel_hi:[1,0]
	v_mov_b32_e32 v24, v29
	v_mov_b32_e32 v35, v25
	v_pk_mul_f32 v[24:25], v[40:41], v[24:25] op_sel:[1,0] op_sel_hi:[0,0]
	v_pk_add_f32 v[22:23], v[22:23], v[50:51]
	v_pk_fma_f32 v[26:27], v[40:41], v[28:29], v[24:25] neg_lo:[0,0,1] neg_hi:[0,0,1]
	v_pk_fma_f32 v[24:25], v[40:41], v[28:29], v[24:25] op_sel_hi:[1,0,1]
	v_pk_add_f32 v[22:23], v[22:23], v[34:35]
	v_mov_b32_e32 v27, v25
	s_waitcnt vmcnt(1) lgkmcnt(1)
	v_pk_mul_f32 v[24:25], v[42:43], v[30:31] op_sel:[1,1] op_sel_hi:[0,1]
	v_pk_add_f32 v[22:23], v[22:23], v[26:27]
	v_pk_fma_f32 v[26:27], v[42:43], v[30:31], v[24:25] neg_lo:[0,0,1] neg_hi:[0,0,1]
	v_pk_fma_f32 v[24:25], v[42:43], v[30:31], v[24:25] op_sel_hi:[1,0,1]
	s_nop 0
	v_mov_b32_e32 v24, v33
	v_mov_b32_e32 v27, v25
	v_pk_mul_f32 v[24:25], v[44:45], v[24:25] op_sel:[1,0] op_sel_hi:[0,0]
	v_pk_add_f32 v[22:23], v[22:23], v[26:27]
	v_pk_fma_f32 v[26:27], v[44:45], v[32:33], v[24:25] neg_lo:[0,0,1] neg_hi:[0,0,1]
	v_pk_fma_f32 v[24:25], v[44:45], v[32:33], v[24:25] op_sel_hi:[1,0,1]
	s_nop 0
	v_mov_b32_e32 v27, v25
	s_waitcnt vmcnt(0) lgkmcnt(0)
	v_pk_mul_f32 v[24:25], v[48:49], v[46:47] op_sel:[1,1] op_sel_hi:[0,1]
	v_pk_add_f32 v[22:23], v[22:23], v[26:27]
	v_pk_fma_f32 v[26:27], v[48:49], v[46:47], v[24:25] neg_lo:[0,0,1] neg_hi:[0,0,1]
	v_pk_fma_f32 v[24:25], v[48:49], v[46:47], v[24:25] op_sel_hi:[1,0,1]
	s_nop 0
	v_mov_b32_e32 v27, v25
	scratch_load_dwordx2 v[24:25], off, off offset:8
	v_pk_add_f32 v[22:23], v[22:23], v[26:27]
	s_waitcnt vmcnt(0)
	v_pk_add_f32 v[22:23], v[24:25], v[22:23] neg_lo:[0,1] neg_hi:[0,1]
	scratch_store_dwordx2 off, v[22:23], off offset:8
	s_and_saveexec_b64 s[0:1], vcc
	s_cbranch_execz .LBB8_67
; %bb.66:
	scratch_load_dwordx2 v[22:23], off, off
	v_mov_b32_e32 v21, v20
	scratch_store_dwordx2 off, v[20:21], off
	s_waitcnt vmcnt(1)
	ds_write_b64 v1, v[22:23]
.LBB8_67:
	s_or_b64 exec, exec, s[0:1]
	s_waitcnt lgkmcnt(0)
	; wave barrier
	scratch_load_dwordx4 v[22:25], off, off offset:8
	scratch_load_dwordx4 v[26:29], off, off offset:24
	scratch_load_dwordx4 v[30:33], off, off offset:40
	scratch_load_dwordx4 v[34:37], off, off offset:56
	ds_read2_b64 v[38:41], v20 offset0:11 offset1:12
	ds_read2_b64 v[42:45], v20 offset0:13 offset1:14
	;; [unrolled: 1-line block ×4, first 2 shown]
	s_and_b64 vcc, exec, s[18:19]
	s_waitcnt vmcnt(3) lgkmcnt(3)
	v_pk_mul_f32 v[0:1], v[38:39], v[22:23] op_sel:[1,1] op_sel_hi:[0,1]
	v_pk_fma_f32 v[20:21], v[38:39], v[22:23], v[0:1] neg_lo:[0,0,1] neg_hi:[0,0,1]
	v_pk_fma_f32 v[0:1], v[38:39], v[22:23], v[0:1] op_sel_hi:[1,0,1]
	s_nop 0
	v_mov_b32_e32 v21, v1
	v_pk_add_f32 v[0:1], v[20:21], 0 op_sel_hi:[1,0]
	v_mov_b32_e32 v20, v25
	v_pk_mul_f32 v[20:21], v[40:41], v[20:21] op_sel:[1,0] op_sel_hi:[0,0]
	v_pk_fma_f32 v[22:23], v[40:41], v[24:25], v[20:21] neg_lo:[0,0,1] neg_hi:[0,0,1]
	v_pk_fma_f32 v[20:21], v[40:41], v[24:25], v[20:21] op_sel_hi:[1,0,1]
	s_nop 0
	v_mov_b32_e32 v23, v21
	s_waitcnt vmcnt(2) lgkmcnt(2)
	v_pk_mul_f32 v[20:21], v[42:43], v[26:27] op_sel:[1,1] op_sel_hi:[0,1]
	v_pk_add_f32 v[0:1], v[0:1], v[22:23]
	v_pk_fma_f32 v[22:23], v[42:43], v[26:27], v[20:21] neg_lo:[0,0,1] neg_hi:[0,0,1]
	v_pk_fma_f32 v[20:21], v[42:43], v[26:27], v[20:21] op_sel_hi:[1,0,1]
	s_nop 0
	v_mov_b32_e32 v20, v29
	v_mov_b32_e32 v23, v21
	v_pk_mul_f32 v[20:21], v[44:45], v[20:21] op_sel:[1,0] op_sel_hi:[0,0]
	v_pk_add_f32 v[0:1], v[0:1], v[22:23]
	v_pk_fma_f32 v[22:23], v[44:45], v[28:29], v[20:21] neg_lo:[0,0,1] neg_hi:[0,0,1]
	v_pk_fma_f32 v[20:21], v[44:45], v[28:29], v[20:21] op_sel_hi:[1,0,1]
	s_nop 0
	v_mov_b32_e32 v23, v21
	s_waitcnt vmcnt(1) lgkmcnt(1)
	v_pk_mul_f32 v[20:21], v[46:47], v[30:31] op_sel:[1,1] op_sel_hi:[0,1]
	v_pk_add_f32 v[0:1], v[0:1], v[22:23]
	v_pk_fma_f32 v[22:23], v[46:47], v[30:31], v[20:21] neg_lo:[0,0,1] neg_hi:[0,0,1]
	v_pk_fma_f32 v[20:21], v[46:47], v[30:31], v[20:21] op_sel_hi:[1,0,1]
	s_nop 0
	v_mov_b32_e32 v20, v33
	v_mov_b32_e32 v23, v21
	v_pk_mul_f32 v[20:21], v[48:49], v[20:21] op_sel:[1,0] op_sel_hi:[0,0]
	v_pk_add_f32 v[0:1], v[0:1], v[22:23]
	v_pk_fma_f32 v[22:23], v[48:49], v[32:33], v[20:21] neg_lo:[0,0,1] neg_hi:[0,0,1]
	v_pk_fma_f32 v[20:21], v[48:49], v[32:33], v[20:21] op_sel_hi:[1,0,1]
	s_nop 0
	v_mov_b32_e32 v23, v21
	s_waitcnt vmcnt(0) lgkmcnt(0)
	v_pk_mul_f32 v[20:21], v[50:51], v[34:35] op_sel:[1,1] op_sel_hi:[0,1]
	v_pk_add_f32 v[0:1], v[0:1], v[22:23]
	v_pk_fma_f32 v[22:23], v[50:51], v[34:35], v[20:21] neg_lo:[0,0,1] neg_hi:[0,0,1]
	v_pk_fma_f32 v[20:21], v[50:51], v[34:35], v[20:21] op_sel_hi:[1,0,1]
	s_nop 0
	v_mov_b32_e32 v20, v37
	v_mov_b32_e32 v23, v21
	v_pk_mul_f32 v[20:21], v[52:53], v[20:21] op_sel:[1,0] op_sel_hi:[0,0]
	v_pk_add_f32 v[0:1], v[0:1], v[22:23]
	v_pk_fma_f32 v[22:23], v[52:53], v[36:37], v[20:21] neg_lo:[0,0,1] neg_hi:[0,0,1]
	v_pk_fma_f32 v[20:21], v[52:53], v[36:37], v[20:21] op_sel_hi:[1,0,1]
	s_nop 0
	v_mov_b32_e32 v23, v21
	scratch_load_dwordx2 v[20:21], off, off
	v_pk_add_f32 v[0:1], v[0:1], v[22:23]
	s_waitcnt vmcnt(0)
	v_pk_add_f32 v[0:1], v[20:21], v[0:1] neg_lo:[0,1] neg_hi:[0,1]
	scratch_store_dwordx2 off, v[0:1], off
	s_cbranch_vccz .LBB8_84
; %bb.68:
	v_mov_b32_e32 v0, 0
	global_load_dword v1, v0, s[16:17] offset:28
	s_waitcnt vmcnt(0)
	v_readfirstlane_b32 s0, v1
	s_add_i32 s0, s0, -1
	s_cmp_lg_u32 s0, 7
	s_cbranch_scc0 .LBB8_70
; %bb.69:
	s_lshl_b32 s0, s0, 3
	s_nop 0
	scratch_load_dwordx2 v[20:21], off, s0
	scratch_load_dwordx2 v[22:23], off, off offset:56
	s_waitcnt vmcnt(1)
	scratch_store_dwordx2 off, v[20:21], off offset:56
	s_waitcnt vmcnt(1)
	scratch_store_dwordx2 off, v[22:23], s0
.LBB8_70:
	global_load_dword v0, v0, s[16:17] offset:24
	s_waitcnt vmcnt(0)
	v_readfirstlane_b32 s0, v0
	s_add_i32 s0, s0, -1
	s_cmp_eq_u32 s0, 6
	s_cbranch_scc1 .LBB8_72
; %bb.71:
	s_lshl_b32 s0, s0, 3
	s_nop 0
	scratch_load_dwordx2 v[0:1], off, s0
	scratch_load_dwordx2 v[20:21], off, off offset:48
	s_waitcnt vmcnt(1)
	scratch_store_dwordx2 off, v[0:1], off offset:48
	s_waitcnt vmcnt(1)
	scratch_store_dwordx2 off, v[20:21], s0
.LBB8_72:
	v_mov_b32_e32 v0, 0
	global_load_dword v1, v0, s[16:17] offset:20
	s_waitcnt vmcnt(0)
	v_readfirstlane_b32 s0, v1
	s_add_i32 s0, s0, -1
	s_cmp_eq_u32 s0, 5
	s_cbranch_scc1 .LBB8_74
; %bb.73:
	s_lshl_b32 s0, s0, 3
	s_nop 0
	scratch_load_dwordx2 v[20:21], off, s0
	scratch_load_dwordx2 v[22:23], off, off offset:40
	s_waitcnt vmcnt(1)
	scratch_store_dwordx2 off, v[20:21], off offset:40
	s_waitcnt vmcnt(1)
	scratch_store_dwordx2 off, v[22:23], s0
.LBB8_74:
	global_load_dword v0, v0, s[16:17] offset:16
	s_waitcnt vmcnt(0)
	v_readfirstlane_b32 s0, v0
	s_add_i32 s0, s0, -1
	s_cmp_eq_u32 s0, 4
	s_cbranch_scc1 .LBB8_76
; %bb.75:
	s_lshl_b32 s0, s0, 3
	s_nop 0
	scratch_load_dwordx2 v[0:1], off, s0
	scratch_load_dwordx2 v[20:21], off, off offset:32
	s_waitcnt vmcnt(1)
	scratch_store_dwordx2 off, v[0:1], off offset:32
	s_waitcnt vmcnt(1)
	scratch_store_dwordx2 off, v[20:21], s0
.LBB8_76:
	v_mov_b32_e32 v0, 0
	global_load_dword v1, v0, s[16:17] offset:12
	s_waitcnt vmcnt(0)
	v_readfirstlane_b32 s0, v1
	s_add_i32 s0, s0, -1
	s_cmp_eq_u32 s0, 3
	s_cbranch_scc1 .LBB8_78
; %bb.77:
	s_lshl_b32 s0, s0, 3
	s_nop 0
	scratch_load_dwordx2 v[20:21], off, s0
	scratch_load_dwordx2 v[22:23], off, off offset:24
	s_waitcnt vmcnt(1)
	scratch_store_dwordx2 off, v[20:21], off offset:24
	s_waitcnt vmcnt(1)
	scratch_store_dwordx2 off, v[22:23], s0
.LBB8_78:
	;; [unrolled: 33-line block ×3, first 2 shown]
	global_load_dword v20, v0, s[16:17]
	s_nop 0
	scratch_load_dwordx2 v[0:1], off, off
	s_waitcnt vmcnt(1)
	v_readfirstlane_b32 s0, v20
	s_add_i32 s0, s0, -1
	s_cmp_eq_u32 s0, 0
	s_cbranch_scc1 .LBB8_84
; %bb.83:
	s_lshl_b32 s0, s0, 3
	s_nop 0
	scratch_load_dwordx2 v[20:21], off, s0
	s_waitcnt vmcnt(0)
	scratch_store_dwordx2 off, v[20:21], off
	scratch_store_dwordx2 off, v[0:1], s0
	scratch_load_dwordx2 v[0:1], off, off
.LBB8_84:
	s_nop 0
	scratch_load_dwordx4 v[20:23], off, off offset:8
	scratch_load_dwordx4 v[24:27], off, off offset:24
	;; [unrolled: 1-line block ×4, first 2 shown]
	s_waitcnt vmcnt(4)
	global_store_dwordx2 v[2:3], v[0:1], off
	s_waitcnt vmcnt(4)
	global_store_dwordx2 v[4:5], v[20:21], off
	global_store_dwordx2 v[6:7], v[22:23], off
	s_waitcnt vmcnt(5)
	global_store_dwordx2 v[8:9], v[24:25], off
	;; [unrolled: 3-line block ×4, first 2 shown]
	global_store_dwordx2 v[18:19], v[34:35], off
	s_endpgm
	.section	.rodata,"a",@progbits
	.p2align	6, 0x0
	.amdhsa_kernel _ZN9rocsolver6v33100L18getri_kernel_smallILi9E19rocblas_complex_numIfEPS3_EEvT1_iilPiilS6_bb
		.amdhsa_group_segment_fixed_size 152
		.amdhsa_private_segment_fixed_size 80
		.amdhsa_kernarg_size 60
		.amdhsa_user_sgpr_count 2
		.amdhsa_user_sgpr_dispatch_ptr 0
		.amdhsa_user_sgpr_queue_ptr 0
		.amdhsa_user_sgpr_kernarg_segment_ptr 1
		.amdhsa_user_sgpr_dispatch_id 0
		.amdhsa_user_sgpr_kernarg_preload_length 0
		.amdhsa_user_sgpr_kernarg_preload_offset 0
		.amdhsa_user_sgpr_private_segment_size 0
		.amdhsa_uses_dynamic_stack 0
		.amdhsa_enable_private_segment 1
		.amdhsa_system_sgpr_workgroup_id_x 1
		.amdhsa_system_sgpr_workgroup_id_y 0
		.amdhsa_system_sgpr_workgroup_id_z 0
		.amdhsa_system_sgpr_workgroup_info 0
		.amdhsa_system_vgpr_workitem_id 0
		.amdhsa_next_free_vgpr 60
		.amdhsa_next_free_sgpr 20
		.amdhsa_accum_offset 60
		.amdhsa_reserve_vcc 1
		.amdhsa_float_round_mode_32 0
		.amdhsa_float_round_mode_16_64 0
		.amdhsa_float_denorm_mode_32 3
		.amdhsa_float_denorm_mode_16_64 3
		.amdhsa_dx10_clamp 1
		.amdhsa_ieee_mode 1
		.amdhsa_fp16_overflow 0
		.amdhsa_tg_split 0
		.amdhsa_exception_fp_ieee_invalid_op 0
		.amdhsa_exception_fp_denorm_src 0
		.amdhsa_exception_fp_ieee_div_zero 0
		.amdhsa_exception_fp_ieee_overflow 0
		.amdhsa_exception_fp_ieee_underflow 0
		.amdhsa_exception_fp_ieee_inexact 0
		.amdhsa_exception_int_div_zero 0
	.end_amdhsa_kernel
	.section	.text._ZN9rocsolver6v33100L18getri_kernel_smallILi9E19rocblas_complex_numIfEPS3_EEvT1_iilPiilS6_bb,"axG",@progbits,_ZN9rocsolver6v33100L18getri_kernel_smallILi9E19rocblas_complex_numIfEPS3_EEvT1_iilPiilS6_bb,comdat
.Lfunc_end8:
	.size	_ZN9rocsolver6v33100L18getri_kernel_smallILi9E19rocblas_complex_numIfEPS3_EEvT1_iilPiilS6_bb, .Lfunc_end8-_ZN9rocsolver6v33100L18getri_kernel_smallILi9E19rocblas_complex_numIfEPS3_EEvT1_iilPiilS6_bb
                                        ; -- End function
	.set _ZN9rocsolver6v33100L18getri_kernel_smallILi9E19rocblas_complex_numIfEPS3_EEvT1_iilPiilS6_bb.num_vgpr, 60
	.set _ZN9rocsolver6v33100L18getri_kernel_smallILi9E19rocblas_complex_numIfEPS3_EEvT1_iilPiilS6_bb.num_agpr, 0
	.set _ZN9rocsolver6v33100L18getri_kernel_smallILi9E19rocblas_complex_numIfEPS3_EEvT1_iilPiilS6_bb.numbered_sgpr, 20
	.set _ZN9rocsolver6v33100L18getri_kernel_smallILi9E19rocblas_complex_numIfEPS3_EEvT1_iilPiilS6_bb.num_named_barrier, 0
	.set _ZN9rocsolver6v33100L18getri_kernel_smallILi9E19rocblas_complex_numIfEPS3_EEvT1_iilPiilS6_bb.private_seg_size, 80
	.set _ZN9rocsolver6v33100L18getri_kernel_smallILi9E19rocblas_complex_numIfEPS3_EEvT1_iilPiilS6_bb.uses_vcc, 1
	.set _ZN9rocsolver6v33100L18getri_kernel_smallILi9E19rocblas_complex_numIfEPS3_EEvT1_iilPiilS6_bb.uses_flat_scratch, 0
	.set _ZN9rocsolver6v33100L18getri_kernel_smallILi9E19rocblas_complex_numIfEPS3_EEvT1_iilPiilS6_bb.has_dyn_sized_stack, 0
	.set _ZN9rocsolver6v33100L18getri_kernel_smallILi9E19rocblas_complex_numIfEPS3_EEvT1_iilPiilS6_bb.has_recursion, 0
	.set _ZN9rocsolver6v33100L18getri_kernel_smallILi9E19rocblas_complex_numIfEPS3_EEvT1_iilPiilS6_bb.has_indirect_call, 0
	.section	.AMDGPU.csdata,"",@progbits
; Kernel info:
; codeLenInByte = 6160
; TotalNumSgprs: 26
; NumVgprs: 60
; NumAgprs: 0
; TotalNumVgprs: 60
; ScratchSize: 80
; MemoryBound: 0
; FloatMode: 240
; IeeeMode: 1
; LDSByteSize: 152 bytes/workgroup (compile time only)
; SGPRBlocks: 3
; VGPRBlocks: 7
; NumSGPRsForWavesPerEU: 26
; NumVGPRsForWavesPerEU: 60
; AccumOffset: 60
; Occupancy: 8
; WaveLimiterHint : 0
; COMPUTE_PGM_RSRC2:SCRATCH_EN: 1
; COMPUTE_PGM_RSRC2:USER_SGPR: 2
; COMPUTE_PGM_RSRC2:TRAP_HANDLER: 0
; COMPUTE_PGM_RSRC2:TGID_X_EN: 1
; COMPUTE_PGM_RSRC2:TGID_Y_EN: 0
; COMPUTE_PGM_RSRC2:TGID_Z_EN: 0
; COMPUTE_PGM_RSRC2:TIDIG_COMP_CNT: 0
; COMPUTE_PGM_RSRC3_GFX90A:ACCUM_OFFSET: 14
; COMPUTE_PGM_RSRC3_GFX90A:TG_SPLIT: 0
	.section	.text._ZN9rocsolver6v33100L18getri_kernel_smallILi10E19rocblas_complex_numIfEPS3_EEvT1_iilPiilS6_bb,"axG",@progbits,_ZN9rocsolver6v33100L18getri_kernel_smallILi10E19rocblas_complex_numIfEPS3_EEvT1_iilPiilS6_bb,comdat
	.globl	_ZN9rocsolver6v33100L18getri_kernel_smallILi10E19rocblas_complex_numIfEPS3_EEvT1_iilPiilS6_bb ; -- Begin function _ZN9rocsolver6v33100L18getri_kernel_smallILi10E19rocblas_complex_numIfEPS3_EEvT1_iilPiilS6_bb
	.p2align	8
	.type	_ZN9rocsolver6v33100L18getri_kernel_smallILi10E19rocblas_complex_numIfEPS3_EEvT1_iilPiilS6_bb,@function
_ZN9rocsolver6v33100L18getri_kernel_smallILi10E19rocblas_complex_numIfEPS3_EEvT1_iilPiilS6_bb: ; @_ZN9rocsolver6v33100L18getri_kernel_smallILi10E19rocblas_complex_numIfEPS3_EEvT1_iilPiilS6_bb
; %bb.0:
	v_cmp_gt_u32_e32 vcc, 10, v0
	s_and_saveexec_b64 s[4:5], vcc
	s_cbranch_execz .LBB9_54
; %bb.1:
	s_load_dword s8, s[0:1], 0x38
	s_load_dwordx4 s[12:15], s[0:1], 0x10
	s_load_dwordx4 s[4:7], s[0:1], 0x28
                                        ; implicit-def: $sgpr16_sgpr17
	s_waitcnt lgkmcnt(0)
	s_bitcmp1_b32 s8, 8
	s_cselect_b64 s[18:19], -1, 0
	s_ashr_i32 s3, s2, 31
	s_bfe_u32 s8, s8, 0x10008
	s_cmp_eq_u32 s8, 0
	s_cbranch_scc1 .LBB9_3
; %bb.2:
	s_load_dword s8, s[0:1], 0x20
	s_mul_i32 s9, s4, s3
	s_mul_hi_u32 s10, s4, s2
	s_mul_i32 s5, s5, s2
	s_add_i32 s10, s10, s9
	s_add_i32 s5, s10, s5
	s_mul_i32 s4, s4, s2
	s_waitcnt lgkmcnt(0)
	s_ashr_i32 s9, s8, 31
	s_lshl_b64 s[4:5], s[4:5], 2
	s_add_u32 s10, s14, s4
	s_addc_u32 s11, s15, s5
	s_lshl_b64 s[4:5], s[8:9], 2
	s_add_u32 s16, s10, s4
	s_addc_u32 s17, s11, s5
.LBB9_3:
	s_load_dwordx4 s[8:11], s[0:1], 0x0
	s_load_dword s14, s[0:1], 0x38
	s_mul_i32 s4, s12, s3
	s_mul_hi_u32 s5, s12, s2
	s_add_i32 s4, s5, s4
	s_mul_i32 s5, s13, s2
	s_add_i32 s5, s4, s5
	s_mul_i32 s4, s12, s2
	s_waitcnt lgkmcnt(0)
	s_ashr_i32 s1, s10, 31
	s_lshl_b64 s[4:5], s[4:5], 3
	s_mov_b32 s0, s10
	s_add_u32 s4, s8, s4
	s_addc_u32 s5, s9, s5
	s_lshl_b64 s[0:1], s[0:1], 3
	s_add_u32 s0, s4, s0
	s_addc_u32 s1, s5, s1
	v_lshlrev_b32_e32 v22, 3, v0
	v_mov_b32_e32 v23, 0
	v_lshl_add_u64 v[2:3], s[0:1], 0, v[22:23]
	s_ashr_i32 s5, s11, 31
	s_mov_b32 s4, s11
	v_lshl_add_u64 v[4:5], s[4:5], 3, v[2:3]
	s_add_i32 s4, s11, s11
	v_add_u32_e32 v8, s4, v0
	v_add_u32_e32 v10, s11, v8
	;; [unrolled: 1-line block ×6, first 2 shown]
	v_ashrrev_i32_e32 v9, 31, v8
	v_ashrrev_i32_e32 v11, 31, v10
	;; [unrolled: 1-line block ×4, first 2 shown]
	v_add_u32_e32 v20, s11, v18
	v_lshl_add_u64 v[6:7], v[8:9], 3, s[0:1]
	v_lshl_add_u64 v[8:9], v[10:11], 3, s[0:1]
	v_lshl_add_u64 v[10:11], v[12:13], 3, s[0:1]
	v_lshl_add_u64 v[12:13], v[14:15], 3, s[0:1]
	v_ashrrev_i32_e32 v17, 31, v16
	v_ashrrev_i32_e32 v19, 31, v18
	;; [unrolled: 1-line block ×3, first 2 shown]
	global_load_dwordx2 v[24:25], v22, s[0:1]
	global_load_dwordx2 v[26:27], v[4:5], off
	global_load_dwordx2 v[28:29], v[6:7], off
	;; [unrolled: 1-line block ×4, first 2 shown]
	v_lshl_add_u64 v[14:15], v[16:17], 3, s[0:1]
	v_lshl_add_u64 v[16:17], v[18:19], 3, s[0:1]
	v_lshl_add_u64 v[18:19], v[20:21], 3, s[0:1]
	global_load_dwordx2 v[34:35], v[12:13], off
	global_load_dwordx2 v[36:37], v[14:15], off
	;; [unrolled: 1-line block ×4, first 2 shown]
	v_add_u32_e32 v20, s11, v20
	v_ashrrev_i32_e32 v21, 31, v20
	v_lshl_add_u64 v[20:21], v[20:21], 3, s[0:1]
	global_load_dwordx2 v[42:43], v[20:21], off
	s_bitcmp0_b32 s14, 0
	s_mov_b64 s[4:5], -1
	s_waitcnt vmcnt(8)
	scratch_store_dwordx4 off, v[24:27], off
	s_waitcnt vmcnt(7)
	scratch_store_dwordx4 off, v[28:31], off offset:16
	s_waitcnt vmcnt(6)
	scratch_store_dwordx4 off, v[32:35], off offset:32
	;; [unrolled: 2-line block ×4, first 2 shown]
	s_cbranch_scc1 .LBB9_52
; %bb.4:
	v_cmp_eq_u32_e64 s[0:1], 0, v0
	s_and_saveexec_b64 s[4:5], s[0:1]
; %bb.5:
	v_mov_b32_e32 v1, 0
	ds_write_b32 v1, v1 offset:160
; %bb.6:
	s_or_b64 exec, exec, s[4:5]
	s_waitcnt lgkmcnt(0)
	; wave barrier
	scratch_load_dwordx2 v[24:25], v22, off
	s_waitcnt vmcnt(0)
	v_cmp_eq_f32_e32 vcc, 0, v24
	v_cmp_eq_f32_e64 s[4:5], 0, v25
	s_and_b64 s[4:5], vcc, s[4:5]
	s_and_saveexec_b64 s[8:9], s[4:5]
	s_cbranch_execz .LBB9_10
; %bb.7:
	v_mov_b32_e32 v1, 0
	ds_read_b32 v24, v1 offset:160
	v_add_u32_e32 v23, 1, v0
	s_waitcnt lgkmcnt(0)
	v_readfirstlane_b32 s4, v24
	s_cmp_eq_u32 s4, 0
	s_cselect_b64 s[10:11], -1, 0
	v_cmp_gt_i32_e32 vcc, s4, v23
	s_or_b64 s[10:11], s[10:11], vcc
	s_and_b64 exec, exec, s[10:11]
	s_cbranch_execz .LBB9_10
; %bb.8:
	s_mov_b64 s[10:11], 0
	v_mov_b32_e32 v24, s4
.LBB9_9:                                ; =>This Inner Loop Header: Depth=1
	ds_cmpst_rtn_b32 v24, v1, v24, v23 offset:160
	s_waitcnt lgkmcnt(0)
	v_cmp_ne_u32_e32 vcc, 0, v24
	v_cmp_le_i32_e64 s[4:5], v24, v23
	s_and_b64 s[4:5], vcc, s[4:5]
	s_and_b64 s[4:5], exec, s[4:5]
	s_or_b64 s[10:11], s[4:5], s[10:11]
	s_andn2_b64 exec, exec, s[10:11]
	s_cbranch_execnz .LBB9_9
.LBB9_10:
	s_or_b64 exec, exec, s[8:9]
	v_mov_b32_e32 v23, 0
	; wave barrier
	ds_read_b32 v1, v23 offset:160
	s_and_saveexec_b64 s[4:5], s[0:1]
	s_cbranch_execz .LBB9_12
; %bb.11:
	s_lshl_b64 s[8:9], s[2:3], 2
	s_add_u32 s8, s6, s8
	s_addc_u32 s9, s7, s9
	s_waitcnt lgkmcnt(0)
	global_store_dword v23, v1, s[8:9]
.LBB9_12:
	s_or_b64 exec, exec, s[4:5]
	s_waitcnt lgkmcnt(0)
	v_cmp_ne_u32_e32 vcc, 0, v1
	s_mov_b64 s[4:5], 0
	s_cbranch_vccnz .LBB9_52
; %bb.13:
	v_mov_b32_e32 v23, v22
	scratch_load_dwordx2 v[24:25], v23, off
                                        ; implicit-def: $vgpr27
                                        ; implicit-def: $vgpr28
	s_waitcnt vmcnt(0)
	v_cmp_ngt_f32_e64 s[4:5], |v24|, |v25|
	s_and_saveexec_b64 s[8:9], s[4:5]
	s_xor_b64 s[4:5], exec, s[8:9]
	s_cbranch_execz .LBB9_15
; %bb.14:
	v_div_scale_f32 v1, s[8:9], v25, v25, v24
	v_rcp_f32_e32 v26, v1
	v_div_scale_f32 v27, vcc, v24, v25, v24
	v_fma_f32 v28, -v1, v26, 1.0
	v_fmac_f32_e32 v26, v28, v26
	v_mul_f32_e32 v28, v27, v26
	v_fma_f32 v29, -v1, v28, v27
	v_fmac_f32_e32 v28, v29, v26
	v_fma_f32 v1, -v1, v28, v27
	v_div_fmas_f32 v1, v1, v26, v28
	v_div_fixup_f32 v1, v1, v25, v24
	v_fmac_f32_e32 v25, v24, v1
	v_div_scale_f32 v24, s[8:9], v25, v25, -1.0
	v_rcp_f32_e32 v26, v24
	s_nop 0
	v_fma_f32 v27, -v24, v26, 1.0
	v_fmac_f32_e32 v26, v27, v26
	v_div_scale_f32 v27, vcc, -1.0, v25, -1.0
	v_mul_f32_e32 v28, v27, v26
	v_fma_f32 v29, -v24, v28, v27
	v_fmac_f32_e32 v28, v29, v26
	v_fma_f32 v24, -v24, v28, v27
	v_div_fmas_f32 v24, v24, v26, v28
	v_div_fixup_f32 v27, v24, v25, -1.0
	v_mul_f32_e32 v28, v1, v27
	v_xor_b32_e32 v26, 0x80000000, v28
                                        ; implicit-def: $vgpr24_vgpr25
.LBB9_15:
	s_andn2_saveexec_b64 s[4:5], s[4:5]
	s_cbranch_execz .LBB9_17
; %bb.16:
	v_div_scale_f32 v1, s[8:9], v24, v24, v25
	v_rcp_f32_e32 v26, v1
	v_div_scale_f32 v27, vcc, v25, v24, v25
	v_fma_f32 v28, -v1, v26, 1.0
	v_fmac_f32_e32 v26, v28, v26
	v_mul_f32_e32 v28, v27, v26
	v_fma_f32 v29, -v1, v28, v27
	v_fmac_f32_e32 v28, v29, v26
	v_fma_f32 v1, -v1, v28, v27
	v_div_fmas_f32 v1, v1, v26, v28
	v_div_fixup_f32 v1, v1, v24, v25
	v_fmac_f32_e32 v24, v25, v1
	v_div_scale_f32 v25, s[8:9], v24, v24, 1.0
	v_rcp_f32_e32 v26, v25
	s_nop 0
	v_fma_f32 v27, -v25, v26, 1.0
	v_fmac_f32_e32 v26, v27, v26
	v_div_scale_f32 v27, vcc, 1.0, v24, 1.0
	v_mul_f32_e32 v28, v27, v26
	v_fma_f32 v29, -v25, v28, v27
	v_fmac_f32_e32 v28, v29, v26
	v_fma_f32 v25, -v25, v28, v27
	v_div_fmas_f32 v25, v25, v26, v28
	v_div_fixup_f32 v26, v25, v24, 1.0
	v_xor_b32_e32 v28, 0x80000000, v26
	v_mul_f32_e64 v27, v1, -v26
.LBB9_17:
	s_or_b64 exec, exec, s[4:5]
	scratch_store_dwordx2 v23, v[26:27], off
	scratch_load_dwordx2 v[24:25], off, off offset:8
	v_xor_b32_e32 v29, 0x80000000, v27
	v_add_u32_e32 v1, 0x50, v22
	s_waitcnt vmcnt(0)
	ds_write2_b64 v22, v[28:29], v[24:25] offset1:10
	s_waitcnt lgkmcnt(0)
	; wave barrier
	s_and_saveexec_b64 s[4:5], s[0:1]
	s_cbranch_execz .LBB9_19
; %bb.18:
	scratch_load_dwordx2 v[24:25], v23, off
	ds_read_b64 v[26:27], v1
	v_mov_b32_e32 v28, 0
	ds_read_b64 v[28:29], v28 offset:8
	s_waitcnt vmcnt(0) lgkmcnt(1)
	v_pk_mul_f32 v[30:31], v[26:27], v[24:25] op_sel:[1,1] op_sel_hi:[0,1]
	v_pk_fma_f32 v[32:33], v[26:27], v[24:25], v[30:31] neg_lo:[0,0,1] neg_hi:[0,0,1]
	v_pk_fma_f32 v[24:25], v[26:27], v[24:25], v[30:31] op_sel_hi:[1,0,1]
	s_nop 0
	v_mov_b32_e32 v33, v25
	v_pk_add_f32 v[24:25], v[32:33], 0 op_sel_hi:[1,0]
	s_waitcnt lgkmcnt(0)
	v_pk_mul_f32 v[26:27], v[24:25], v[28:29] op_sel:[1,1] op_sel_hi:[0,1]
	v_pk_fma_f32 v[30:31], v[24:25], v[28:29], v[26:27] neg_lo:[0,0,1] neg_hi:[0,0,1]
	v_pk_fma_f32 v[24:25], v[24:25], v[28:29], v[26:27] op_sel_hi:[1,0,1]
	s_nop 0
	v_mov_b32_e32 v31, v25
	scratch_store_dwordx2 off, v[30:31], off offset:8
.LBB9_19:
	s_or_b64 exec, exec, s[4:5]
	; wave barrier
	scratch_load_dwordx2 v[24:25], off, off offset:16
	v_cmp_gt_u32_e32 vcc, 2, v0
	s_waitcnt vmcnt(0)
	ds_write_b64 v1, v[24:25]
	s_waitcnt lgkmcnt(0)
	; wave barrier
	s_and_saveexec_b64 s[4:5], vcc
	s_cbranch_execz .LBB9_23
; %bb.20:
	scratch_load_dwordx2 v[24:25], v23, off
	ds_read_b64 v[26:27], v1
	s_waitcnt vmcnt(0) lgkmcnt(0)
	v_pk_mul_f32 v[28:29], v[26:27], v[24:25] op_sel:[1,1] op_sel_hi:[0,1]
	v_pk_fma_f32 v[30:31], v[26:27], v[24:25], v[28:29] neg_lo:[0,0,1] neg_hi:[0,0,1]
	v_pk_fma_f32 v[24:25], v[26:27], v[24:25], v[28:29] op_sel_hi:[1,0,1]
	s_nop 0
	v_mov_b32_e32 v31, v25
	v_pk_add_f32 v[24:25], v[30:31], 0 op_sel_hi:[1,0]
	s_and_saveexec_b64 s[8:9], s[0:1]
	s_cbranch_execz .LBB9_22
; %bb.21:
	scratch_load_dwordx2 v[26:27], off, off offset:8
	v_mov_b32_e32 v23, 0
	ds_read_b64 v[28:29], v23 offset:88
	s_waitcnt vmcnt(0) lgkmcnt(0)
	v_pk_mul_f32 v[30:31], v[28:29], v[26:27] op_sel:[1,1] op_sel_hi:[0,1]
	v_pk_fma_f32 v[32:33], v[28:29], v[26:27], v[30:31] neg_lo:[0,0,1] neg_hi:[0,0,1]
	v_pk_fma_f32 v[26:27], v[28:29], v[26:27], v[30:31] op_sel_hi:[1,0,1]
	s_nop 0
	v_mov_b32_e32 v33, v27
	v_pk_add_f32 v[24:25], v[24:25], v[32:33]
.LBB9_22:
	s_or_b64 exec, exec, s[8:9]
	v_mov_b32_e32 v23, 0
	ds_read_b64 v[26:27], v23 offset:16
	s_waitcnt lgkmcnt(0)
	v_pk_mul_f32 v[28:29], v[24:25], v[26:27] op_sel:[1,1] op_sel_hi:[0,1]
	v_pk_fma_f32 v[30:31], v[24:25], v[26:27], v[28:29] neg_lo:[0,0,1] neg_hi:[0,0,1]
	v_pk_fma_f32 v[24:25], v[24:25], v[26:27], v[28:29] op_sel_hi:[1,0,1]
	s_nop 0
	v_mov_b32_e32 v31, v25
	scratch_store_dwordx2 off, v[30:31], off offset:16
.LBB9_23:
	s_or_b64 exec, exec, s[4:5]
	; wave barrier
	scratch_load_dwordx2 v[24:25], off, off offset:24
	v_cmp_gt_u32_e32 vcc, 3, v0
	v_add_u32_e32 v26, -1, v0
	s_waitcnt vmcnt(0)
	ds_write_b64 v1, v[24:25]
	s_waitcnt lgkmcnt(0)
	; wave barrier
	s_and_saveexec_b64 s[0:1], vcc
	s_cbranch_execz .LBB9_27
; %bb.24:
	v_mov_b32_e32 v24, 0
	v_add_u32_e32 v23, -1, v0
	v_add_u32_e32 v27, 0x50, v22
	v_mov_b32_e32 v28, v22
	s_mov_b64 s[4:5], 0
	v_mov_b32_e32 v25, v24
.LBB9_25:                               ; =>This Inner Loop Header: Depth=1
	scratch_load_dwordx2 v[30:31], v28, off
	ds_read_b64 v[32:33], v27
	v_add_u32_e32 v23, 1, v23
	v_cmp_lt_u32_e32 vcc, 1, v23
	v_add_u32_e32 v27, 8, v27
	v_add_u32_e32 v28, 8, v28
	s_or_b64 s[4:5], vcc, s[4:5]
	s_waitcnt vmcnt(0) lgkmcnt(0)
	v_pk_mul_f32 v[34:35], v[32:33], v[30:31] op_sel:[1,1] op_sel_hi:[0,1]
	v_pk_fma_f32 v[36:37], v[32:33], v[30:31], v[34:35] neg_lo:[0,0,1] neg_hi:[0,0,1]
	v_pk_fma_f32 v[30:31], v[32:33], v[30:31], v[34:35] op_sel_hi:[1,0,1]
	s_nop 0
	v_mov_b32_e32 v37, v31
	v_pk_add_f32 v[24:25], v[24:25], v[36:37]
	s_andn2_b64 exec, exec, s[4:5]
	s_cbranch_execnz .LBB9_25
; %bb.26:
	s_or_b64 exec, exec, s[4:5]
	v_mov_b32_e32 v23, 0
	ds_read_b64 v[28:29], v23 offset:24
	s_waitcnt lgkmcnt(0)
	v_pk_mul_f32 v[30:31], v[24:25], v[28:29] op_sel:[1,1] op_sel_hi:[0,1]
	v_pk_fma_f32 v[32:33], v[24:25], v[28:29], v[30:31] neg_lo:[0,0,1] neg_hi:[0,0,1]
	v_pk_fma_f32 v[24:25], v[24:25], v[28:29], v[30:31] op_sel_hi:[1,0,1]
	s_nop 0
	v_mov_b32_e32 v33, v25
	scratch_store_dwordx2 off, v[32:33], off offset:24
.LBB9_27:
	s_or_b64 exec, exec, s[0:1]
	; wave barrier
	scratch_load_dwordx2 v[24:25], off, off offset:32
	v_cmp_gt_u32_e32 vcc, 4, v0
	s_waitcnt vmcnt(0)
	ds_write_b64 v1, v[24:25]
	s_waitcnt lgkmcnt(0)
	; wave barrier
	s_and_saveexec_b64 s[0:1], vcc
	s_cbranch_execz .LBB9_31
; %bb.28:
	v_mov_b32_e32 v24, 0
	v_add_u32_e32 v23, -1, v0
	v_add_u32_e32 v27, 0x50, v22
	v_mov_b32_e32 v28, v22
	s_mov_b64 s[4:5], 0
	v_mov_b32_e32 v25, v24
.LBB9_29:                               ; =>This Inner Loop Header: Depth=1
	scratch_load_dwordx2 v[30:31], v28, off
	ds_read_b64 v[32:33], v27
	v_add_u32_e32 v23, 1, v23
	v_cmp_lt_u32_e32 vcc, 2, v23
	v_add_u32_e32 v27, 8, v27
	v_add_u32_e32 v28, 8, v28
	s_or_b64 s[4:5], vcc, s[4:5]
	s_waitcnt vmcnt(0) lgkmcnt(0)
	v_pk_mul_f32 v[34:35], v[32:33], v[30:31] op_sel:[1,1] op_sel_hi:[0,1]
	v_pk_fma_f32 v[36:37], v[32:33], v[30:31], v[34:35] neg_lo:[0,0,1] neg_hi:[0,0,1]
	v_pk_fma_f32 v[30:31], v[32:33], v[30:31], v[34:35] op_sel_hi:[1,0,1]
	s_nop 0
	v_mov_b32_e32 v37, v31
	v_pk_add_f32 v[24:25], v[24:25], v[36:37]
	s_andn2_b64 exec, exec, s[4:5]
	s_cbranch_execnz .LBB9_29
; %bb.30:
	s_or_b64 exec, exec, s[4:5]
	v_mov_b32_e32 v23, 0
	ds_read_b64 v[28:29], v23 offset:32
	s_waitcnt lgkmcnt(0)
	v_pk_mul_f32 v[30:31], v[24:25], v[28:29] op_sel:[1,1] op_sel_hi:[0,1]
	v_pk_fma_f32 v[32:33], v[24:25], v[28:29], v[30:31] neg_lo:[0,0,1] neg_hi:[0,0,1]
	v_pk_fma_f32 v[24:25], v[24:25], v[28:29], v[30:31] op_sel_hi:[1,0,1]
	s_nop 0
	v_mov_b32_e32 v33, v25
	scratch_store_dwordx2 off, v[32:33], off offset:32
.LBB9_31:
	s_or_b64 exec, exec, s[0:1]
	; wave barrier
	scratch_load_dwordx2 v[24:25], off, off offset:40
	v_cmp_gt_u32_e32 vcc, 5, v0
	;; [unrolled: 46-line block ×5, first 2 shown]
	s_waitcnt vmcnt(0)
	ds_write_b64 v1, v[24:25]
	s_waitcnt lgkmcnt(0)
	; wave barrier
	s_and_saveexec_b64 s[0:1], vcc
	s_cbranch_execz .LBB9_47
; %bb.44:
	v_mov_b32_e32 v24, 0
	v_add_u32_e32 v23, -1, v0
	v_add_u32_e32 v27, 0x50, v22
	v_mov_b32_e32 v28, v22
	s_mov_b64 s[4:5], 0
	v_mov_b32_e32 v25, v24
.LBB9_45:                               ; =>This Inner Loop Header: Depth=1
	scratch_load_dwordx2 v[30:31], v28, off
	ds_read_b64 v[32:33], v27
	v_add_u32_e32 v23, 1, v23
	v_cmp_lt_u32_e32 vcc, 6, v23
	v_add_u32_e32 v27, 8, v27
	v_add_u32_e32 v28, 8, v28
	s_or_b64 s[4:5], vcc, s[4:5]
	s_waitcnt vmcnt(0) lgkmcnt(0)
	v_pk_mul_f32 v[34:35], v[32:33], v[30:31] op_sel:[1,1] op_sel_hi:[0,1]
	v_pk_fma_f32 v[36:37], v[32:33], v[30:31], v[34:35] neg_lo:[0,0,1] neg_hi:[0,0,1]
	v_pk_fma_f32 v[30:31], v[32:33], v[30:31], v[34:35] op_sel_hi:[1,0,1]
	s_nop 0
	v_mov_b32_e32 v37, v31
	v_pk_add_f32 v[24:25], v[24:25], v[36:37]
	s_andn2_b64 exec, exec, s[4:5]
	s_cbranch_execnz .LBB9_45
; %bb.46:
	s_or_b64 exec, exec, s[4:5]
	v_mov_b32_e32 v23, 0
	ds_read_b64 v[28:29], v23 offset:64
	s_waitcnt lgkmcnt(0)
	v_pk_mul_f32 v[30:31], v[24:25], v[28:29] op_sel:[1,1] op_sel_hi:[0,1]
	v_pk_fma_f32 v[32:33], v[24:25], v[28:29], v[30:31] neg_lo:[0,0,1] neg_hi:[0,0,1]
	v_pk_fma_f32 v[24:25], v[24:25], v[28:29], v[30:31] op_sel_hi:[1,0,1]
	s_nop 0
	v_mov_b32_e32 v33, v25
	scratch_store_dwordx2 off, v[32:33], off offset:64
.LBB9_47:
	s_or_b64 exec, exec, s[0:1]
	; wave barrier
	scratch_load_dwordx2 v[24:25], off, off offset:72
	v_cmp_ne_u32_e32 vcc, 9, v0
	s_waitcnt vmcnt(0)
	ds_write_b64 v1, v[24:25]
	s_waitcnt lgkmcnt(0)
	; wave barrier
	s_and_saveexec_b64 s[0:1], vcc
	s_cbranch_execz .LBB9_51
; %bb.48:
	v_add_u32_e32 v1, 0x50, v22
	v_mov_b32_e32 v24, v22
	v_mov_b32_e32 v22, 0
	s_mov_b64 s[4:5], 0
	v_mov_b32_e32 v23, v22
.LBB9_49:                               ; =>This Inner Loop Header: Depth=1
	scratch_load_dwordx2 v[28:29], v24, off
	ds_read_b64 v[30:31], v1
	v_add_u32_e32 v26, 1, v26
	v_cmp_lt_u32_e32 vcc, 7, v26
	v_add_u32_e32 v1, 8, v1
	v_add_u32_e32 v24, 8, v24
	s_or_b64 s[4:5], vcc, s[4:5]
	s_waitcnt vmcnt(0) lgkmcnt(0)
	v_pk_mul_f32 v[32:33], v[30:31], v[28:29] op_sel:[1,1] op_sel_hi:[0,1]
	v_pk_fma_f32 v[34:35], v[30:31], v[28:29], v[32:33] neg_lo:[0,0,1] neg_hi:[0,0,1]
	v_pk_fma_f32 v[28:29], v[30:31], v[28:29], v[32:33] op_sel_hi:[1,0,1]
	s_nop 0
	v_mov_b32_e32 v35, v29
	v_pk_add_f32 v[22:23], v[22:23], v[34:35]
	s_andn2_b64 exec, exec, s[4:5]
	s_cbranch_execnz .LBB9_49
; %bb.50:
	s_or_b64 exec, exec, s[4:5]
	v_mov_b32_e32 v1, 0
	ds_read_b64 v[24:25], v1 offset:72
	s_waitcnt lgkmcnt(0)
	v_pk_mul_f32 v[26:27], v[22:23], v[24:25] op_sel:[1,1] op_sel_hi:[0,1]
	v_pk_fma_f32 v[28:29], v[22:23], v[24:25], v[26:27] neg_lo:[0,0,1] neg_hi:[0,0,1]
	v_pk_fma_f32 v[22:23], v[22:23], v[24:25], v[26:27] op_sel_hi:[1,0,1]
	s_nop 0
	v_mov_b32_e32 v29, v23
	scratch_store_dwordx2 off, v[28:29], off offset:72
.LBB9_51:
	s_or_b64 exec, exec, s[0:1]
	s_mov_b64 s[4:5], -1
	; wave barrier
.LBB9_52:
	s_and_b64 vcc, exec, s[4:5]
	s_cbranch_vccz .LBB9_54
; %bb.53:
	s_lshl_b64 s[0:1], s[2:3], 2
	s_add_u32 s0, s6, s0
	s_addc_u32 s1, s7, s1
	v_mov_b32_e32 v1, 0
	global_load_dword v1, v1, s[0:1]
	s_waitcnt vmcnt(0)
	v_cmp_ne_u32_e32 vcc, 0, v1
	s_cbranch_vccz .LBB9_55
.LBB9_54:
	s_endpgm
.LBB9_55:
	v_mov_b32_e32 v1, 0x50
	v_lshl_add_u32 v1, v0, 3, v1
	v_cmp_eq_u32_e32 vcc, 9, v0
	s_and_saveexec_b64 s[0:1], vcc
	s_cbranch_execz .LBB9_57
; %bb.56:
	scratch_load_dwordx2 v[22:23], off, off offset:64
	v_mov_b32_e32 v24, 0
	v_mov_b32_e32 v25, v24
	scratch_store_dwordx2 off, v[24:25], off offset:64
	s_waitcnt vmcnt(1)
	ds_write_b64 v1, v[22:23]
.LBB9_57:
	s_or_b64 exec, exec, s[0:1]
	s_waitcnt lgkmcnt(0)
	; wave barrier
	scratch_load_dwordx2 v[24:25], off, off offset:72
	scratch_load_dwordx2 v[26:27], off, off offset:64
	v_mov_b32_e32 v22, 0
	ds_read_b64 v[28:29], v22 offset:152
	v_cmp_lt_u32_e32 vcc, 7, v0
	s_waitcnt vmcnt(1) lgkmcnt(0)
	v_pk_mul_f32 v[30:31], v[28:29], v[24:25] op_sel:[1,1] op_sel_hi:[0,1]
	v_pk_fma_f32 v[32:33], v[28:29], v[24:25], v[30:31] neg_lo:[0,0,1] neg_hi:[0,0,1]
	v_pk_fma_f32 v[24:25], v[28:29], v[24:25], v[30:31] op_sel_hi:[1,0,1]
	s_nop 0
	v_mov_b32_e32 v33, v25
	v_pk_add_f32 v[24:25], v[32:33], 0 op_sel_hi:[1,0]
	s_waitcnt vmcnt(0)
	v_pk_add_f32 v[24:25], v[26:27], v[24:25] neg_lo:[0,1] neg_hi:[0,1]
	scratch_store_dwordx2 off, v[24:25], off offset:64
	s_and_saveexec_b64 s[0:1], vcc
	s_cbranch_execz .LBB9_59
; %bb.58:
	scratch_load_dwordx2 v[24:25], off, off offset:56
	v_mov_b32_e32 v23, v22
	scratch_store_dwordx2 off, v[22:23], off offset:56
	s_waitcnt vmcnt(1)
	ds_write_b64 v1, v[24:25]
.LBB9_59:
	s_or_b64 exec, exec, s[0:1]
	s_waitcnt lgkmcnt(0)
	; wave barrier
	scratch_load_dwordx4 v[24:27], off, off offset:64
	scratch_load_dwordx2 v[32:33], off, off offset:56
	ds_read_b128 v[28:31], v22 offset:144
	v_cmp_lt_u32_e32 vcc, 6, v0
	s_waitcnt vmcnt(1) lgkmcnt(0)
	v_pk_mul_f32 v[22:23], v[28:29], v[24:25] op_sel:[1,1] op_sel_hi:[0,1]
	v_mov_b32_e32 v34, v27
	v_pk_fma_f32 v[36:37], v[28:29], v[24:25], v[22:23] neg_lo:[0,0,1] neg_hi:[0,0,1]
	v_pk_fma_f32 v[22:23], v[28:29], v[24:25], v[22:23] op_sel_hi:[1,0,1]
	v_pk_mul_f32 v[24:25], v[30:31], v[34:35] op_sel:[1,0] op_sel_hi:[0,0]
	v_mov_b32_e32 v37, v23
	v_pk_fma_f32 v[22:23], v[30:31], v[26:27], v[24:25] neg_lo:[0,0,1] neg_hi:[0,0,1]
	v_pk_fma_f32 v[24:25], v[30:31], v[26:27], v[24:25] op_sel_hi:[1,0,1]
	v_pk_add_f32 v[26:27], v[36:37], 0 op_sel_hi:[1,0]
	v_mov_b32_e32 v23, v25
	v_pk_add_f32 v[22:23], v[26:27], v[22:23]
	s_waitcnt vmcnt(0)
	v_pk_add_f32 v[22:23], v[32:33], v[22:23] neg_lo:[0,1] neg_hi:[0,1]
	scratch_store_dwordx2 off, v[22:23], off offset:56
	s_and_saveexec_b64 s[0:1], vcc
	s_cbranch_execz .LBB9_61
; %bb.60:
	scratch_load_dwordx2 v[22:23], off, off offset:48
	v_mov_b32_e32 v24, 0
	v_mov_b32_e32 v25, v24
	scratch_store_dwordx2 off, v[24:25], off offset:48
	s_waitcnt vmcnt(1)
	ds_write_b64 v1, v[22:23]
.LBB9_61:
	s_or_b64 exec, exec, s[0:1]
	s_waitcnt lgkmcnt(0)
	; wave barrier
	scratch_load_dwordx4 v[24:27], off, off offset:56
	scratch_load_dwordx2 v[32:33], off, off offset:72
	scratch_load_dwordx2 v[34:35], off, off offset:48
	v_mov_b32_e32 v22, 0
	ds_read2_b64 v[28:31], v22 offset0:17 offset1:18
	ds_read_b64 v[36:37], v22 offset:152
	v_cmp_lt_u32_e32 vcc, 5, v0
	s_waitcnt vmcnt(2) lgkmcnt(1)
	v_pk_mul_f32 v[38:39], v[28:29], v[24:25] op_sel:[1,1] op_sel_hi:[0,1]
	v_mov_b32_e32 v40, v27
	v_pk_fma_f32 v[44:45], v[28:29], v[24:25], v[38:39] neg_lo:[0,0,1] neg_hi:[0,0,1]
	v_pk_fma_f32 v[24:25], v[28:29], v[24:25], v[38:39] op_sel_hi:[1,0,1]
	v_pk_mul_f32 v[28:29], v[30:31], v[40:41] op_sel:[1,0] op_sel_hi:[0,0]
	s_waitcnt vmcnt(1) lgkmcnt(0)
	v_pk_mul_f32 v[42:43], v[36:37], v[32:33] op_sel:[1,1] op_sel_hi:[0,1]
	v_mov_b32_e32 v45, v25
	v_pk_fma_f32 v[24:25], v[30:31], v[26:27], v[28:29] neg_lo:[0,0,1] neg_hi:[0,0,1]
	v_pk_fma_f32 v[26:27], v[30:31], v[26:27], v[28:29] op_sel_hi:[1,0,1]
	v_pk_fma_f32 v[38:39], v[36:37], v[32:33], v[42:43] neg_lo:[0,0,1] neg_hi:[0,0,1]
	v_pk_fma_f32 v[32:33], v[36:37], v[32:33], v[42:43] op_sel_hi:[1,0,1]
	v_pk_add_f32 v[28:29], v[44:45], 0 op_sel_hi:[1,0]
	v_mov_b32_e32 v25, v27
	v_mov_b32_e32 v39, v33
	v_pk_add_f32 v[24:25], v[28:29], v[24:25]
	s_nop 0
	v_pk_add_f32 v[24:25], v[24:25], v[38:39]
	s_waitcnt vmcnt(0)
	v_pk_add_f32 v[24:25], v[34:35], v[24:25] neg_lo:[0,1] neg_hi:[0,1]
	scratch_store_dwordx2 off, v[24:25], off offset:48
	s_and_saveexec_b64 s[0:1], vcc
	s_cbranch_execz .LBB9_63
; %bb.62:
	scratch_load_dwordx2 v[24:25], off, off offset:40
	v_mov_b32_e32 v23, v22
	scratch_store_dwordx2 off, v[22:23], off offset:40
	s_waitcnt vmcnt(1)
	ds_write_b64 v1, v[24:25]
.LBB9_63:
	s_or_b64 exec, exec, s[0:1]
	s_waitcnt lgkmcnt(0)
	; wave barrier
	scratch_load_dwordx4 v[24:27], off, off offset:48
	scratch_load_dwordx4 v[28:31], off, off offset:64
	scratch_load_dwordx2 v[40:41], off, off offset:40
	ds_read_b128 v[32:35], v22 offset:128
	ds_read_b128 v[36:39], v22 offset:144
	v_cmp_lt_u32_e32 vcc, 4, v0
	s_waitcnt vmcnt(2) lgkmcnt(1)
	v_pk_mul_f32 v[22:23], v[32:33], v[24:25] op_sel:[1,1] op_sel_hi:[0,1]
	v_mov_b32_e32 v42, v27
	s_waitcnt vmcnt(1) lgkmcnt(0)
	v_pk_mul_f32 v[44:45], v[36:37], v[28:29] op_sel:[1,1] op_sel_hi:[0,1]
	v_mov_b32_e32 v46, v31
	v_pk_fma_f32 v[48:49], v[32:33], v[24:25], v[22:23] neg_lo:[0,0,1] neg_hi:[0,0,1]
	v_pk_fma_f32 v[22:23], v[32:33], v[24:25], v[22:23] op_sel_hi:[1,0,1]
	v_pk_mul_f32 v[24:25], v[34:35], v[42:43] op_sel:[1,0] op_sel_hi:[0,0]
	v_pk_fma_f32 v[32:33], v[36:37], v[28:29], v[44:45] neg_lo:[0,0,1] neg_hi:[0,0,1]
	v_pk_fma_f32 v[28:29], v[36:37], v[28:29], v[44:45] op_sel_hi:[1,0,1]
	v_pk_mul_f32 v[36:37], v[38:39], v[46:47] op_sel:[1,0] op_sel_hi:[0,0]
	v_mov_b32_e32 v49, v23
	v_pk_fma_f32 v[22:23], v[34:35], v[26:27], v[24:25] neg_lo:[0,0,1] neg_hi:[0,0,1]
	v_pk_fma_f32 v[24:25], v[34:35], v[26:27], v[24:25] op_sel_hi:[1,0,1]
	v_mov_b32_e32 v33, v29
	v_pk_fma_f32 v[26:27], v[38:39], v[30:31], v[36:37] neg_lo:[0,0,1] neg_hi:[0,0,1]
	v_pk_fma_f32 v[28:29], v[38:39], v[30:31], v[36:37] op_sel_hi:[1,0,1]
	v_pk_add_f32 v[30:31], v[48:49], 0 op_sel_hi:[1,0]
	v_mov_b32_e32 v23, v25
	v_pk_add_f32 v[22:23], v[30:31], v[22:23]
	v_mov_b32_e32 v27, v29
	v_pk_add_f32 v[22:23], v[22:23], v[32:33]
	s_nop 0
	v_pk_add_f32 v[22:23], v[22:23], v[26:27]
	s_waitcnt vmcnt(0)
	v_pk_add_f32 v[22:23], v[40:41], v[22:23] neg_lo:[0,1] neg_hi:[0,1]
	scratch_store_dwordx2 off, v[22:23], off offset:40
	s_and_saveexec_b64 s[0:1], vcc
	s_cbranch_execz .LBB9_65
; %bb.64:
	scratch_load_dwordx2 v[22:23], off, off offset:32
	v_mov_b32_e32 v24, 0
	v_mov_b32_e32 v25, v24
	scratch_store_dwordx2 off, v[24:25], off offset:32
	s_waitcnt vmcnt(1)
	ds_write_b64 v1, v[22:23]
.LBB9_65:
	s_or_b64 exec, exec, s[0:1]
	s_waitcnt lgkmcnt(0)
	; wave barrier
	scratch_load_dwordx4 v[24:27], off, off offset:40
	scratch_load_dwordx4 v[28:31], off, off offset:56
	scratch_load_dwordx2 v[40:41], off, off offset:72
	scratch_load_dwordx2 v[42:43], off, off offset:32
	v_mov_b32_e32 v22, 0
	ds_read2_b64 v[32:35], v22 offset0:15 offset1:16
	ds_read2_b64 v[36:39], v22 offset0:17 offset1:18
	ds_read_b64 v[44:45], v22 offset:152
	v_cmp_lt_u32_e32 vcc, 3, v0
	s_waitcnt vmcnt(3) lgkmcnt(2)
	v_pk_mul_f32 v[46:47], v[32:33], v[24:25] op_sel:[1,1] op_sel_hi:[0,1]
	v_mov_b32_e32 v48, v27
	v_pk_fma_f32 v[56:57], v[32:33], v[24:25], v[46:47] neg_lo:[0,0,1] neg_hi:[0,0,1]
	v_pk_fma_f32 v[24:25], v[32:33], v[24:25], v[46:47] op_sel_hi:[1,0,1]
	v_pk_mul_f32 v[32:33], v[34:35], v[48:49] op_sel:[1,0] op_sel_hi:[0,0]
	s_waitcnt vmcnt(2) lgkmcnt(1)
	v_pk_mul_f32 v[50:51], v[36:37], v[28:29] op_sel:[1,1] op_sel_hi:[0,1]
	v_mov_b32_e32 v52, v31
	v_mov_b32_e32 v57, v25
	v_pk_fma_f32 v[24:25], v[34:35], v[26:27], v[32:33] neg_lo:[0,0,1] neg_hi:[0,0,1]
	v_pk_fma_f32 v[26:27], v[34:35], v[26:27], v[32:33] op_sel_hi:[1,0,1]
	v_pk_fma_f32 v[46:47], v[36:37], v[28:29], v[50:51] neg_lo:[0,0,1] neg_hi:[0,0,1]
	v_pk_fma_f32 v[28:29], v[36:37], v[28:29], v[50:51] op_sel_hi:[1,0,1]
	v_pk_mul_f32 v[36:37], v[38:39], v[52:53] op_sel:[1,0] op_sel_hi:[0,0]
	v_pk_add_f32 v[32:33], v[56:57], 0 op_sel_hi:[1,0]
	v_mov_b32_e32 v25, v27
	s_waitcnt vmcnt(1) lgkmcnt(0)
	v_pk_mul_f32 v[54:55], v[44:45], v[40:41] op_sel:[1,1] op_sel_hi:[0,1]
	v_mov_b32_e32 v47, v29
	v_pk_fma_f32 v[28:29], v[38:39], v[30:31], v[36:37] neg_lo:[0,0,1] neg_hi:[0,0,1]
	v_pk_fma_f32 v[30:31], v[38:39], v[30:31], v[36:37] op_sel_hi:[1,0,1]
	v_pk_add_f32 v[24:25], v[32:33], v[24:25]
	v_pk_fma_f32 v[48:49], v[44:45], v[40:41], v[54:55] neg_lo:[0,0,1] neg_hi:[0,0,1]
	v_pk_fma_f32 v[40:41], v[44:45], v[40:41], v[54:55] op_sel_hi:[1,0,1]
	v_mov_b32_e32 v29, v31
	v_pk_add_f32 v[24:25], v[24:25], v[46:47]
	v_mov_b32_e32 v49, v41
	v_pk_add_f32 v[24:25], v[24:25], v[28:29]
	s_nop 0
	v_pk_add_f32 v[24:25], v[24:25], v[48:49]
	s_waitcnt vmcnt(0)
	v_pk_add_f32 v[24:25], v[42:43], v[24:25] neg_lo:[0,1] neg_hi:[0,1]
	scratch_store_dwordx2 off, v[24:25], off offset:32
	s_and_saveexec_b64 s[0:1], vcc
	s_cbranch_execz .LBB9_67
; %bb.66:
	scratch_load_dwordx2 v[24:25], off, off offset:24
	v_mov_b32_e32 v23, v22
	scratch_store_dwordx2 off, v[22:23], off offset:24
	s_waitcnt vmcnt(1)
	ds_write_b64 v1, v[24:25]
.LBB9_67:
	s_or_b64 exec, exec, s[0:1]
	s_waitcnt lgkmcnt(0)
	; wave barrier
	scratch_load_dwordx4 v[24:27], off, off offset:32
	scratch_load_dwordx4 v[28:31], off, off offset:48
	;; [unrolled: 1-line block ×3, first 2 shown]
	scratch_load_dwordx2 v[48:49], off, off offset:24
	ds_read_b128 v[36:39], v22 offset:112
	ds_read_b128 v[40:43], v22 offset:128
	;; [unrolled: 1-line block ×3, first 2 shown]
	v_cmp_lt_u32_e32 vcc, 2, v0
	s_waitcnt vmcnt(3) lgkmcnt(2)
	v_pk_mul_f32 v[22:23], v[36:37], v[24:25] op_sel:[1,1] op_sel_hi:[0,1]
	v_mov_b32_e32 v50, v27
	s_waitcnt vmcnt(2) lgkmcnt(1)
	v_pk_mul_f32 v[52:53], v[40:41], v[28:29] op_sel:[1,1] op_sel_hi:[0,1]
	v_mov_b32_e32 v54, v31
	;; [unrolled: 3-line block ×3, first 2 shown]
	v_pk_fma_f32 v[60:61], v[36:37], v[24:25], v[22:23] neg_lo:[0,0,1] neg_hi:[0,0,1]
	v_pk_fma_f32 v[22:23], v[36:37], v[24:25], v[22:23] op_sel_hi:[1,0,1]
	v_pk_mul_f32 v[24:25], v[38:39], v[50:51] op_sel:[1,0] op_sel_hi:[0,0]
	v_pk_fma_f32 v[36:37], v[40:41], v[28:29], v[52:53] neg_lo:[0,0,1] neg_hi:[0,0,1]
	v_pk_fma_f32 v[28:29], v[40:41], v[28:29], v[52:53] op_sel_hi:[1,0,1]
	v_pk_mul_f32 v[40:41], v[42:43], v[54:55] op_sel:[1,0] op_sel_hi:[0,0]
	;; [unrolled: 3-line block ×3, first 2 shown]
	v_mov_b32_e32 v61, v23
	v_pk_fma_f32 v[22:23], v[38:39], v[26:27], v[24:25] neg_lo:[0,0,1] neg_hi:[0,0,1]
	v_pk_fma_f32 v[24:25], v[38:39], v[26:27], v[24:25] op_sel_hi:[1,0,1]
	v_mov_b32_e32 v37, v29
	v_pk_fma_f32 v[26:27], v[42:43], v[30:31], v[40:41] neg_lo:[0,0,1] neg_hi:[0,0,1]
	v_pk_fma_f32 v[28:29], v[42:43], v[30:31], v[40:41] op_sel_hi:[1,0,1]
	;; [unrolled: 3-line block ×3, first 2 shown]
	v_pk_add_f32 v[34:35], v[60:61], 0 op_sel_hi:[1,0]
	v_mov_b32_e32 v23, v25
	v_pk_add_f32 v[22:23], v[34:35], v[22:23]
	v_mov_b32_e32 v27, v29
	v_pk_add_f32 v[22:23], v[22:23], v[36:37]
	;; [unrolled: 2-line block ×3, first 2 shown]
	s_nop 0
	v_pk_add_f32 v[22:23], v[22:23], v[50:51]
	s_nop 0
	v_pk_add_f32 v[22:23], v[22:23], v[30:31]
	s_waitcnt vmcnt(0)
	v_pk_add_f32 v[22:23], v[48:49], v[22:23] neg_lo:[0,1] neg_hi:[0,1]
	scratch_store_dwordx2 off, v[22:23], off offset:24
	s_and_saveexec_b64 s[0:1], vcc
	s_cbranch_execz .LBB9_69
; %bb.68:
	scratch_load_dwordx2 v[22:23], off, off offset:16
	v_mov_b32_e32 v24, 0
	v_mov_b32_e32 v25, v24
	scratch_store_dwordx2 off, v[24:25], off offset:16
	s_waitcnt vmcnt(1)
	ds_write_b64 v1, v[22:23]
.LBB9_69:
	s_or_b64 exec, exec, s[0:1]
	s_waitcnt lgkmcnt(0)
	; wave barrier
	scratch_load_dwordx4 v[24:27], off, off offset:24
	scratch_load_dwordx4 v[28:31], off, off offset:40
	scratch_load_dwordx4 v[32:35], off, off offset:56
	scratch_load_dwordx2 v[48:49], off, off offset:72
	scratch_load_dwordx2 v[50:51], off, off offset:16
	v_mov_b32_e32 v22, 0
	ds_read2_b64 v[36:39], v22 offset0:13 offset1:14
	ds_read2_b64 v[40:43], v22 offset0:15 offset1:16
	;; [unrolled: 1-line block ×3, first 2 shown]
	ds_read_b64 v[52:53], v22 offset:152
	v_cmp_lt_u32_e32 vcc, 1, v0
	s_waitcnt vmcnt(4) lgkmcnt(3)
	v_pk_mul_f32 v[54:55], v[36:37], v[24:25] op_sel:[1,1] op_sel_hi:[0,1]
	v_mov_b32_e32 v56, v27
	v_pk_fma_f32 v[68:69], v[36:37], v[24:25], v[54:55] neg_lo:[0,0,1] neg_hi:[0,0,1]
	v_pk_fma_f32 v[24:25], v[36:37], v[24:25], v[54:55] op_sel_hi:[1,0,1]
	v_pk_mul_f32 v[36:37], v[38:39], v[56:57] op_sel:[1,0] op_sel_hi:[0,0]
	s_waitcnt vmcnt(3) lgkmcnt(2)
	v_pk_mul_f32 v[58:59], v[40:41], v[28:29] op_sel:[1,1] op_sel_hi:[0,1]
	v_mov_b32_e32 v60, v31
	v_mov_b32_e32 v69, v25
	v_pk_fma_f32 v[24:25], v[38:39], v[26:27], v[36:37] neg_lo:[0,0,1] neg_hi:[0,0,1]
	v_pk_fma_f32 v[26:27], v[38:39], v[26:27], v[36:37] op_sel_hi:[1,0,1]
	v_pk_fma_f32 v[54:55], v[40:41], v[28:29], v[58:59] neg_lo:[0,0,1] neg_hi:[0,0,1]
	v_pk_fma_f32 v[28:29], v[40:41], v[28:29], v[58:59] op_sel_hi:[1,0,1]
	v_pk_mul_f32 v[40:41], v[42:43], v[60:61] op_sel:[1,0] op_sel_hi:[0,0]
	v_pk_add_f32 v[36:37], v[68:69], 0 op_sel_hi:[1,0]
	v_mov_b32_e32 v25, v27
	s_waitcnt vmcnt(2) lgkmcnt(1)
	v_pk_mul_f32 v[62:63], v[44:45], v[32:33] op_sel:[1,1] op_sel_hi:[0,1]
	v_mov_b32_e32 v64, v35
	v_mov_b32_e32 v55, v29
	v_pk_fma_f32 v[28:29], v[42:43], v[30:31], v[40:41] neg_lo:[0,0,1] neg_hi:[0,0,1]
	v_pk_fma_f32 v[30:31], v[42:43], v[30:31], v[40:41] op_sel_hi:[1,0,1]
	v_pk_add_f32 v[24:25], v[36:37], v[24:25]
	v_pk_fma_f32 v[56:57], v[44:45], v[32:33], v[62:63] neg_lo:[0,0,1] neg_hi:[0,0,1]
	v_pk_fma_f32 v[32:33], v[44:45], v[32:33], v[62:63] op_sel_hi:[1,0,1]
	v_pk_mul_f32 v[44:45], v[46:47], v[64:65] op_sel:[1,0] op_sel_hi:[0,0]
	v_mov_b32_e32 v29, v31
	v_pk_add_f32 v[24:25], v[24:25], v[54:55]
	s_waitcnt vmcnt(1) lgkmcnt(0)
	v_pk_mul_f32 v[66:67], v[52:53], v[48:49] op_sel:[1,1] op_sel_hi:[0,1]
	v_mov_b32_e32 v57, v33
	v_pk_fma_f32 v[32:33], v[46:47], v[34:35], v[44:45] neg_lo:[0,0,1] neg_hi:[0,0,1]
	v_pk_fma_f32 v[34:35], v[46:47], v[34:35], v[44:45] op_sel_hi:[1,0,1]
	v_pk_add_f32 v[24:25], v[24:25], v[28:29]
	v_pk_fma_f32 v[58:59], v[52:53], v[48:49], v[66:67] neg_lo:[0,0,1] neg_hi:[0,0,1]
	v_pk_fma_f32 v[48:49], v[52:53], v[48:49], v[66:67] op_sel_hi:[1,0,1]
	v_mov_b32_e32 v33, v35
	v_pk_add_f32 v[24:25], v[24:25], v[56:57]
	v_mov_b32_e32 v59, v49
	v_pk_add_f32 v[24:25], v[24:25], v[32:33]
	s_nop 0
	v_pk_add_f32 v[24:25], v[24:25], v[58:59]
	s_waitcnt vmcnt(0)
	v_pk_add_f32 v[24:25], v[50:51], v[24:25] neg_lo:[0,1] neg_hi:[0,1]
	scratch_store_dwordx2 off, v[24:25], off offset:16
	s_and_saveexec_b64 s[0:1], vcc
	s_cbranch_execz .LBB9_71
; %bb.70:
	scratch_load_dwordx2 v[24:25], off, off offset:8
	v_mov_b32_e32 v23, v22
	scratch_store_dwordx2 off, v[22:23], off offset:8
	s_waitcnt vmcnt(1)
	ds_write_b64 v1, v[24:25]
.LBB9_71:
	s_or_b64 exec, exec, s[0:1]
	s_waitcnt lgkmcnt(0)
	; wave barrier
	scratch_load_dwordx4 v[24:27], off, off offset:16
	scratch_load_dwordx4 v[28:31], off, off offset:32
	;; [unrolled: 1-line block ×4, first 2 shown]
	scratch_load_dwordx2 v[56:57], off, off offset:8
	ds_read_b128 v[40:43], v22 offset:96
	ds_read_b128 v[44:47], v22 offset:112
	;; [unrolled: 1-line block ×4, first 2 shown]
	v_cmp_ne_u32_e32 vcc, 0, v0
	s_waitcnt vmcnt(4) lgkmcnt(3)
	v_pk_mul_f32 v[22:23], v[40:41], v[24:25] op_sel:[1,1] op_sel_hi:[0,1]
	v_mov_b32_e32 v58, v27
	s_waitcnt vmcnt(3) lgkmcnt(2)
	v_pk_mul_f32 v[60:61], v[44:45], v[28:29] op_sel:[1,1] op_sel_hi:[0,1]
	v_mov_b32_e32 v62, v31
	;; [unrolled: 3-line block ×4, first 2 shown]
	v_pk_fma_f32 v[72:73], v[40:41], v[24:25], v[22:23] neg_lo:[0,0,1] neg_hi:[0,0,1]
	v_pk_fma_f32 v[22:23], v[40:41], v[24:25], v[22:23] op_sel_hi:[1,0,1]
	v_pk_mul_f32 v[24:25], v[42:43], v[58:59] op_sel:[1,0] op_sel_hi:[0,0]
	v_pk_fma_f32 v[40:41], v[44:45], v[28:29], v[60:61] neg_lo:[0,0,1] neg_hi:[0,0,1]
	v_pk_fma_f32 v[28:29], v[44:45], v[28:29], v[60:61] op_sel_hi:[1,0,1]
	v_pk_mul_f32 v[44:45], v[46:47], v[62:63] op_sel:[1,0] op_sel_hi:[0,0]
	;; [unrolled: 3-line block ×4, first 2 shown]
	v_mov_b32_e32 v73, v23
	v_pk_fma_f32 v[22:23], v[42:43], v[26:27], v[24:25] neg_lo:[0,0,1] neg_hi:[0,0,1]
	v_pk_fma_f32 v[24:25], v[42:43], v[26:27], v[24:25] op_sel_hi:[1,0,1]
	v_mov_b32_e32 v41, v29
	v_pk_fma_f32 v[26:27], v[46:47], v[30:31], v[44:45] neg_lo:[0,0,1] neg_hi:[0,0,1]
	v_pk_fma_f32 v[28:29], v[46:47], v[30:31], v[44:45] op_sel_hi:[1,0,1]
	;; [unrolled: 3-line block ×4, first 2 shown]
	v_pk_add_f32 v[38:39], v[72:73], 0 op_sel_hi:[1,0]
	v_mov_b32_e32 v23, v25
	v_pk_add_f32 v[22:23], v[38:39], v[22:23]
	v_mov_b32_e32 v27, v29
	v_pk_add_f32 v[22:23], v[22:23], v[40:41]
	;; [unrolled: 2-line block ×4, first 2 shown]
	s_nop 0
	v_pk_add_f32 v[22:23], v[22:23], v[30:31]
	s_nop 0
	v_pk_add_f32 v[22:23], v[22:23], v[60:61]
	;; [unrolled: 2-line block ×3, first 2 shown]
	s_waitcnt vmcnt(0)
	v_pk_add_f32 v[22:23], v[56:57], v[22:23] neg_lo:[0,1] neg_hi:[0,1]
	scratch_store_dwordx2 off, v[22:23], off offset:8
	s_and_saveexec_b64 s[0:1], vcc
	s_cbranch_execz .LBB9_73
; %bb.72:
	scratch_load_dwordx2 v[22:23], off, off
	v_mov_b32_e32 v24, 0
	v_mov_b32_e32 v25, v24
	scratch_store_dwordx2 off, v[24:25], off
	s_waitcnt vmcnt(1)
	ds_write_b64 v1, v[22:23]
.LBB9_73:
	s_or_b64 exec, exec, s[0:1]
	s_waitcnt lgkmcnt(0)
	; wave barrier
	scratch_load_dwordx4 v[24:27], off, off offset:8
	scratch_load_dwordx4 v[28:31], off, off offset:24
	;; [unrolled: 1-line block ×4, first 2 shown]
	scratch_load_dwordx2 v[0:1], off, off offset:72
	scratch_load_dwordx2 v[56:57], off, off
	v_mov_b32_e32 v22, 0
	ds_read2_b64 v[40:43], v22 offset0:11 offset1:12
	ds_read2_b64 v[44:47], v22 offset0:13 offset1:14
	;; [unrolled: 1-line block ×4, first 2 shown]
	ds_read_b64 v[58:59], v22 offset:152
	s_and_b64 vcc, exec, s[18:19]
	s_waitcnt vmcnt(5) lgkmcnt(4)
	v_mul_f32_e32 v61, v40, v25
	v_mul_f32_e32 v23, v41, v25
	v_mov_b32_e32 v62, v27
	s_waitcnt vmcnt(4) lgkmcnt(3)
	v_pk_mul_f32 v[64:65], v[44:45], v[28:29] op_sel:[1,1] op_sel_hi:[0,1]
	v_mov_b32_e32 v66, v31
	s_waitcnt vmcnt(1) lgkmcnt(0)
	v_pk_mul_f32 v[76:77], v[58:59], v[0:1] op_sel:[1,1] op_sel_hi:[0,1]
	v_fmac_f32_e32 v61, v41, v24
	v_fma_f32 v60, v40, v24, -v23
	v_pk_mul_f32 v[24:25], v[42:43], v[62:63] op_sel:[1,0] op_sel_hi:[0,0]
	v_pk_fma_f32 v[40:41], v[44:45], v[28:29], v[64:65] neg_lo:[0,0,1] neg_hi:[0,0,1]
	v_pk_fma_f32 v[28:29], v[44:45], v[28:29], v[64:65] op_sel_hi:[1,0,1]
	v_pk_mul_f32 v[44:45], v[46:47], v[66:67] op_sel:[1,0] op_sel_hi:[0,0]
	v_pk_fma_f32 v[66:67], v[58:59], v[0:1], v[76:77] neg_lo:[0,0,1] neg_hi:[0,0,1]
	v_pk_fma_f32 v[0:1], v[58:59], v[0:1], v[76:77] op_sel_hi:[1,0,1]
	v_pk_add_f32 v[58:59], v[60:61], 0 op_sel_hi:[1,0]
	v_pk_fma_f32 v[60:61], v[42:43], v[26:27], v[24:25] neg_lo:[0,0,1] neg_hi:[0,0,1]
	v_pk_fma_f32 v[24:25], v[42:43], v[26:27], v[24:25] op_sel_hi:[1,0,1]
	v_pk_mul_f32 v[68:69], v[48:49], v[32:33] op_sel:[1,1] op_sel_hi:[0,1]
	v_mov_b32_e32 v61, v25
	v_mov_b32_e32 v70, v35
	;; [unrolled: 1-line block ×3, first 2 shown]
	v_pk_fma_f32 v[26:27], v[46:47], v[30:31], v[44:45] neg_lo:[0,0,1] neg_hi:[0,0,1]
	v_pk_fma_f32 v[28:29], v[46:47], v[30:31], v[44:45] op_sel_hi:[1,0,1]
	v_mov_b32_e32 v67, v1
	v_pk_add_f32 v[0:1], v[58:59], v[60:61]
	v_pk_fma_f32 v[62:63], v[48:49], v[32:33], v[68:69] neg_lo:[0,0,1] neg_hi:[0,0,1]
	v_pk_fma_f32 v[32:33], v[48:49], v[32:33], v[68:69] op_sel_hi:[1,0,1]
	v_pk_mul_f32 v[48:49], v[50:51], v[70:71] op_sel:[1,0] op_sel_hi:[0,0]
	v_mov_b32_e32 v27, v29
	v_pk_add_f32 v[0:1], v[0:1], v[40:41]
	v_pk_mul_f32 v[72:73], v[52:53], v[36:37] op_sel:[1,1] op_sel_hi:[0,1]
	v_mov_b32_e32 v74, v39
	v_mov_b32_e32 v63, v33
	v_pk_fma_f32 v[30:31], v[50:51], v[34:35], v[48:49] neg_lo:[0,0,1] neg_hi:[0,0,1]
	v_pk_fma_f32 v[32:33], v[50:51], v[34:35], v[48:49] op_sel_hi:[1,0,1]
	v_pk_add_f32 v[0:1], v[0:1], v[26:27]
	v_pk_fma_f32 v[64:65], v[52:53], v[36:37], v[72:73] neg_lo:[0,0,1] neg_hi:[0,0,1]
	v_pk_fma_f32 v[36:37], v[52:53], v[36:37], v[72:73] op_sel_hi:[1,0,1]
	v_pk_mul_f32 v[52:53], v[54:55], v[74:75] op_sel:[1,0] op_sel_hi:[0,0]
	v_mov_b32_e32 v31, v33
	v_pk_add_f32 v[0:1], v[0:1], v[62:63]
	v_mov_b32_e32 v65, v37
	v_pk_fma_f32 v[34:35], v[54:55], v[38:39], v[52:53] neg_lo:[0,0,1] neg_hi:[0,0,1]
	v_pk_fma_f32 v[36:37], v[54:55], v[38:39], v[52:53] op_sel_hi:[1,0,1]
	v_pk_add_f32 v[0:1], v[0:1], v[30:31]
	v_mov_b32_e32 v35, v37
	v_pk_add_f32 v[0:1], v[0:1], v[64:65]
	s_nop 0
	v_pk_add_f32 v[0:1], v[0:1], v[34:35]
	s_nop 0
	v_pk_add_f32 v[0:1], v[0:1], v[66:67]
	s_waitcnt vmcnt(0)
	v_pk_add_f32 v[0:1], v[56:57], v[0:1] neg_lo:[0,1] neg_hi:[0,1]
	scratch_store_dwordx2 off, v[0:1], off
	s_cbranch_vccz .LBB9_92
; %bb.74:
	global_load_dword v0, v22, s[16:17] offset:32
	s_waitcnt vmcnt(0)
	v_readfirstlane_b32 s0, v0
	s_add_i32 s0, s0, -1
	s_cmp_lg_u32 s0, 8
	s_cbranch_scc0 .LBB9_76
; %bb.75:
	s_lshl_b32 s0, s0, 3
	s_nop 0
	scratch_load_dwordx2 v[0:1], off, s0
	scratch_load_dwordx2 v[22:23], off, off offset:64
	s_waitcnt vmcnt(1)
	scratch_store_dwordx2 off, v[0:1], off offset:64
	s_waitcnt vmcnt(1)
	scratch_store_dwordx2 off, v[22:23], s0
.LBB9_76:
	v_mov_b32_e32 v0, 0
	global_load_dword v1, v0, s[16:17] offset:28
	s_waitcnt vmcnt(0)
	v_readfirstlane_b32 s0, v1
	s_add_i32 s0, s0, -1
	s_cmp_eq_u32 s0, 7
	s_cbranch_scc1 .LBB9_78
; %bb.77:
	s_lshl_b32 s0, s0, 3
	s_nop 0
	scratch_load_dwordx2 v[22:23], off, s0
	scratch_load_dwordx2 v[24:25], off, off offset:56
	s_waitcnt vmcnt(1)
	scratch_store_dwordx2 off, v[22:23], off offset:56
	s_waitcnt vmcnt(1)
	scratch_store_dwordx2 off, v[24:25], s0
.LBB9_78:
	global_load_dword v0, v0, s[16:17] offset:24
	s_waitcnt vmcnt(0)
	v_readfirstlane_b32 s0, v0
	s_add_i32 s0, s0, -1
	s_cmp_eq_u32 s0, 6
	s_cbranch_scc1 .LBB9_80
; %bb.79:
	s_lshl_b32 s0, s0, 3
	s_nop 0
	scratch_load_dwordx2 v[0:1], off, s0
	scratch_load_dwordx2 v[22:23], off, off offset:48
	s_waitcnt vmcnt(1)
	scratch_store_dwordx2 off, v[0:1], off offset:48
	s_waitcnt vmcnt(1)
	scratch_store_dwordx2 off, v[22:23], s0
.LBB9_80:
	v_mov_b32_e32 v0, 0
	global_load_dword v1, v0, s[16:17] offset:20
	s_waitcnt vmcnt(0)
	v_readfirstlane_b32 s0, v1
	s_add_i32 s0, s0, -1
	s_cmp_eq_u32 s0, 5
	s_cbranch_scc1 .LBB9_82
; %bb.81:
	s_lshl_b32 s0, s0, 3
	s_nop 0
	scratch_load_dwordx2 v[22:23], off, s0
	scratch_load_dwordx2 v[24:25], off, off offset:40
	s_waitcnt vmcnt(1)
	scratch_store_dwordx2 off, v[22:23], off offset:40
	s_waitcnt vmcnt(1)
	scratch_store_dwordx2 off, v[24:25], s0
.LBB9_82:
	global_load_dword v0, v0, s[16:17] offset:16
	s_waitcnt vmcnt(0)
	v_readfirstlane_b32 s0, v0
	s_add_i32 s0, s0, -1
	s_cmp_eq_u32 s0, 4
	s_cbranch_scc1 .LBB9_84
; %bb.83:
	s_lshl_b32 s0, s0, 3
	s_nop 0
	scratch_load_dwordx2 v[0:1], off, s0
	scratch_load_dwordx2 v[22:23], off, off offset:32
	s_waitcnt vmcnt(1)
	scratch_store_dwordx2 off, v[0:1], off offset:32
	s_waitcnt vmcnt(1)
	scratch_store_dwordx2 off, v[22:23], s0
.LBB9_84:
	;; [unrolled: 33-line block ×3, first 2 shown]
	v_mov_b32_e32 v0, 0
	global_load_dword v1, v0, s[16:17] offset:4
	s_waitcnt vmcnt(0)
	v_readfirstlane_b32 s0, v1
	s_add_i32 s0, s0, -1
	s_cmp_eq_u32 s0, 1
	s_cbranch_scc1 .LBB9_90
; %bb.89:
	s_lshl_b32 s0, s0, 3
	s_nop 0
	scratch_load_dwordx2 v[22:23], off, s0
	scratch_load_dwordx2 v[24:25], off, off offset:8
	s_waitcnt vmcnt(1)
	scratch_store_dwordx2 off, v[22:23], off offset:8
	s_waitcnt vmcnt(1)
	scratch_store_dwordx2 off, v[24:25], s0
.LBB9_90:
	global_load_dword v22, v0, s[16:17]
	s_nop 0
	scratch_load_dwordx2 v[0:1], off, off
	s_waitcnt vmcnt(1)
	v_readfirstlane_b32 s0, v22
	s_add_i32 s0, s0, -1
	s_cmp_eq_u32 s0, 0
	s_cbranch_scc1 .LBB9_92
; %bb.91:
	s_lshl_b32 s0, s0, 3
	s_nop 0
	scratch_load_dwordx2 v[22:23], off, s0
	s_waitcnt vmcnt(0)
	scratch_store_dwordx2 off, v[22:23], off
	scratch_store_dwordx2 off, v[0:1], s0
	scratch_load_dwordx2 v[0:1], off, off
.LBB9_92:
	s_nop 0
	scratch_load_dwordx4 v[24:27], off, off offset:8
	scratch_load_dwordx4 v[28:31], off, off offset:24
	;; [unrolled: 1-line block ×4, first 2 shown]
	scratch_load_dwordx2 v[22:23], off, off offset:72
	s_waitcnt vmcnt(5)
	global_store_dwordx2 v[2:3], v[0:1], off
	s_waitcnt vmcnt(5)
	global_store_dwordx2 v[4:5], v[24:25], off
	global_store_dwordx2 v[6:7], v[26:27], off
	s_waitcnt vmcnt(6)
	global_store_dwordx2 v[8:9], v[28:29], off
	;; [unrolled: 3-line block ×5, first 2 shown]
	s_endpgm
	.section	.rodata,"a",@progbits
	.p2align	6, 0x0
	.amdhsa_kernel _ZN9rocsolver6v33100L18getri_kernel_smallILi10E19rocblas_complex_numIfEPS3_EEvT1_iilPiilS6_bb
		.amdhsa_group_segment_fixed_size 164
		.amdhsa_private_segment_fixed_size 96
		.amdhsa_kernarg_size 60
		.amdhsa_user_sgpr_count 2
		.amdhsa_user_sgpr_dispatch_ptr 0
		.amdhsa_user_sgpr_queue_ptr 0
		.amdhsa_user_sgpr_kernarg_segment_ptr 1
		.amdhsa_user_sgpr_dispatch_id 0
		.amdhsa_user_sgpr_kernarg_preload_length 0
		.amdhsa_user_sgpr_kernarg_preload_offset 0
		.amdhsa_user_sgpr_private_segment_size 0
		.amdhsa_uses_dynamic_stack 0
		.amdhsa_enable_private_segment 1
		.amdhsa_system_sgpr_workgroup_id_x 1
		.amdhsa_system_sgpr_workgroup_id_y 0
		.amdhsa_system_sgpr_workgroup_id_z 0
		.amdhsa_system_sgpr_workgroup_info 0
		.amdhsa_system_vgpr_workitem_id 0
		.amdhsa_next_free_vgpr 78
		.amdhsa_next_free_sgpr 20
		.amdhsa_accum_offset 80
		.amdhsa_reserve_vcc 1
		.amdhsa_float_round_mode_32 0
		.amdhsa_float_round_mode_16_64 0
		.amdhsa_float_denorm_mode_32 3
		.amdhsa_float_denorm_mode_16_64 3
		.amdhsa_dx10_clamp 1
		.amdhsa_ieee_mode 1
		.amdhsa_fp16_overflow 0
		.amdhsa_tg_split 0
		.amdhsa_exception_fp_ieee_invalid_op 0
		.amdhsa_exception_fp_denorm_src 0
		.amdhsa_exception_fp_ieee_div_zero 0
		.amdhsa_exception_fp_ieee_overflow 0
		.amdhsa_exception_fp_ieee_underflow 0
		.amdhsa_exception_fp_ieee_inexact 0
		.amdhsa_exception_int_div_zero 0
	.end_amdhsa_kernel
	.section	.text._ZN9rocsolver6v33100L18getri_kernel_smallILi10E19rocblas_complex_numIfEPS3_EEvT1_iilPiilS6_bb,"axG",@progbits,_ZN9rocsolver6v33100L18getri_kernel_smallILi10E19rocblas_complex_numIfEPS3_EEvT1_iilPiilS6_bb,comdat
.Lfunc_end9:
	.size	_ZN9rocsolver6v33100L18getri_kernel_smallILi10E19rocblas_complex_numIfEPS3_EEvT1_iilPiilS6_bb, .Lfunc_end9-_ZN9rocsolver6v33100L18getri_kernel_smallILi10E19rocblas_complex_numIfEPS3_EEvT1_iilPiilS6_bb
                                        ; -- End function
	.set _ZN9rocsolver6v33100L18getri_kernel_smallILi10E19rocblas_complex_numIfEPS3_EEvT1_iilPiilS6_bb.num_vgpr, 78
	.set _ZN9rocsolver6v33100L18getri_kernel_smallILi10E19rocblas_complex_numIfEPS3_EEvT1_iilPiilS6_bb.num_agpr, 0
	.set _ZN9rocsolver6v33100L18getri_kernel_smallILi10E19rocblas_complex_numIfEPS3_EEvT1_iilPiilS6_bb.numbered_sgpr, 20
	.set _ZN9rocsolver6v33100L18getri_kernel_smallILi10E19rocblas_complex_numIfEPS3_EEvT1_iilPiilS6_bb.num_named_barrier, 0
	.set _ZN9rocsolver6v33100L18getri_kernel_smallILi10E19rocblas_complex_numIfEPS3_EEvT1_iilPiilS6_bb.private_seg_size, 96
	.set _ZN9rocsolver6v33100L18getri_kernel_smallILi10E19rocblas_complex_numIfEPS3_EEvT1_iilPiilS6_bb.uses_vcc, 1
	.set _ZN9rocsolver6v33100L18getri_kernel_smallILi10E19rocblas_complex_numIfEPS3_EEvT1_iilPiilS6_bb.uses_flat_scratch, 0
	.set _ZN9rocsolver6v33100L18getri_kernel_smallILi10E19rocblas_complex_numIfEPS3_EEvT1_iilPiilS6_bb.has_dyn_sized_stack, 0
	.set _ZN9rocsolver6v33100L18getri_kernel_smallILi10E19rocblas_complex_numIfEPS3_EEvT1_iilPiilS6_bb.has_recursion, 0
	.set _ZN9rocsolver6v33100L18getri_kernel_smallILi10E19rocblas_complex_numIfEPS3_EEvT1_iilPiilS6_bb.has_indirect_call, 0
	.section	.AMDGPU.csdata,"",@progbits
; Kernel info:
; codeLenInByte = 6988
; TotalNumSgprs: 26
; NumVgprs: 78
; NumAgprs: 0
; TotalNumVgprs: 78
; ScratchSize: 96
; MemoryBound: 0
; FloatMode: 240
; IeeeMode: 1
; LDSByteSize: 164 bytes/workgroup (compile time only)
; SGPRBlocks: 3
; VGPRBlocks: 9
; NumSGPRsForWavesPerEU: 26
; NumVGPRsForWavesPerEU: 78
; AccumOffset: 80
; Occupancy: 6
; WaveLimiterHint : 1
; COMPUTE_PGM_RSRC2:SCRATCH_EN: 1
; COMPUTE_PGM_RSRC2:USER_SGPR: 2
; COMPUTE_PGM_RSRC2:TRAP_HANDLER: 0
; COMPUTE_PGM_RSRC2:TGID_X_EN: 1
; COMPUTE_PGM_RSRC2:TGID_Y_EN: 0
; COMPUTE_PGM_RSRC2:TGID_Z_EN: 0
; COMPUTE_PGM_RSRC2:TIDIG_COMP_CNT: 0
; COMPUTE_PGM_RSRC3_GFX90A:ACCUM_OFFSET: 19
; COMPUTE_PGM_RSRC3_GFX90A:TG_SPLIT: 0
	.section	.text._ZN9rocsolver6v33100L18getri_kernel_smallILi11E19rocblas_complex_numIfEPS3_EEvT1_iilPiilS6_bb,"axG",@progbits,_ZN9rocsolver6v33100L18getri_kernel_smallILi11E19rocblas_complex_numIfEPS3_EEvT1_iilPiilS6_bb,comdat
	.globl	_ZN9rocsolver6v33100L18getri_kernel_smallILi11E19rocblas_complex_numIfEPS3_EEvT1_iilPiilS6_bb ; -- Begin function _ZN9rocsolver6v33100L18getri_kernel_smallILi11E19rocblas_complex_numIfEPS3_EEvT1_iilPiilS6_bb
	.p2align	8
	.type	_ZN9rocsolver6v33100L18getri_kernel_smallILi11E19rocblas_complex_numIfEPS3_EEvT1_iilPiilS6_bb,@function
_ZN9rocsolver6v33100L18getri_kernel_smallILi11E19rocblas_complex_numIfEPS3_EEvT1_iilPiilS6_bb: ; @_ZN9rocsolver6v33100L18getri_kernel_smallILi11E19rocblas_complex_numIfEPS3_EEvT1_iilPiilS6_bb
; %bb.0:
	v_cmp_gt_u32_e32 vcc, 11, v0
	s_and_saveexec_b64 s[4:5], vcc
	s_cbranch_execz .LBB10_58
; %bb.1:
	s_load_dword s8, s[0:1], 0x38
	s_load_dwordx4 s[12:15], s[0:1], 0x10
	s_load_dwordx4 s[4:7], s[0:1], 0x28
                                        ; implicit-def: $sgpr16_sgpr17
	s_waitcnt lgkmcnt(0)
	s_bitcmp1_b32 s8, 8
	s_cselect_b64 s[18:19], -1, 0
	s_ashr_i32 s3, s2, 31
	s_bfe_u32 s8, s8, 0x10008
	s_cmp_eq_u32 s8, 0
	s_cbranch_scc1 .LBB10_3
; %bb.2:
	s_load_dword s8, s[0:1], 0x20
	s_mul_i32 s9, s4, s3
	s_mul_hi_u32 s10, s4, s2
	s_mul_i32 s5, s5, s2
	s_add_i32 s10, s10, s9
	s_add_i32 s5, s10, s5
	s_mul_i32 s4, s4, s2
	s_waitcnt lgkmcnt(0)
	s_ashr_i32 s9, s8, 31
	s_lshl_b64 s[4:5], s[4:5], 2
	s_add_u32 s10, s14, s4
	s_addc_u32 s11, s15, s5
	s_lshl_b64 s[4:5], s[8:9], 2
	s_add_u32 s16, s10, s4
	s_addc_u32 s17, s11, s5
.LBB10_3:
	s_load_dwordx4 s[8:11], s[0:1], 0x0
	s_load_dword s14, s[0:1], 0x38
	s_mul_i32 s4, s12, s3
	s_mul_hi_u32 s5, s12, s2
	s_add_i32 s4, s5, s4
	s_mul_i32 s5, s13, s2
	s_add_i32 s5, s4, s5
	s_mul_i32 s4, s12, s2
	s_waitcnt lgkmcnt(0)
	s_ashr_i32 s1, s10, 31
	s_lshl_b64 s[4:5], s[4:5], 3
	s_mov_b32 s0, s10
	s_add_u32 s4, s8, s4
	s_addc_u32 s5, s9, s5
	s_lshl_b64 s[0:1], s[0:1], 3
	s_add_u32 s0, s4, s0
	s_addc_u32 s1, s5, s1
	v_lshlrev_b32_e32 v24, 3, v0
	v_mov_b32_e32 v25, 0
	v_lshl_add_u64 v[2:3], s[0:1], 0, v[24:25]
	s_ashr_i32 s5, s11, 31
	s_mov_b32 s4, s11
	v_lshl_add_u64 v[4:5], s[4:5], 3, v[2:3]
	s_add_i32 s4, s11, s11
	v_add_u32_e32 v8, s4, v0
	v_add_u32_e32 v10, s11, v8
	;; [unrolled: 1-line block ×8, first 2 shown]
	v_ashrrev_i32_e32 v9, 31, v8
	v_ashrrev_i32_e32 v11, 31, v10
	;; [unrolled: 1-line block ×8, first 2 shown]
	v_lshl_add_u64 v[6:7], v[8:9], 3, s[0:1]
	v_lshl_add_u64 v[8:9], v[10:11], 3, s[0:1]
	;; [unrolled: 1-line block ×8, first 2 shown]
	v_add_u32_e32 v22, s11, v22
	v_ashrrev_i32_e32 v23, 31, v22
	global_load_dwordx2 v[28:29], v24, s[0:1]
	global_load_dwordx2 v[30:31], v[4:5], off
	global_load_dwordx2 v[32:33], v[6:7], off
	;; [unrolled: 1-line block ×8, first 2 shown]
	v_lshl_add_u64 v[22:23], v[22:23], 3, s[0:1]
	global_load_dwordx2 v[46:47], v[20:21], off
	global_load_dwordx2 v[26:27], v[22:23], off
	s_bitcmp0_b32 s14, 0
	s_mov_b64 s[4:5], -1
	s_waitcnt vmcnt(9)
	scratch_store_dwordx4 off, v[28:31], off
	s_waitcnt vmcnt(8)
	scratch_store_dwordx4 off, v[32:35], off offset:16
	s_waitcnt vmcnt(7)
	scratch_store_dwordx4 off, v[36:39], off offset:32
	;; [unrolled: 2-line block ×4, first 2 shown]
	s_waitcnt vmcnt(5)
	scratch_store_dwordx2 off, v[26:27], off offset:80
	s_cbranch_scc1 .LBB10_56
; %bb.4:
	v_cmp_eq_u32_e64 s[0:1], 0, v0
	s_and_saveexec_b64 s[4:5], s[0:1]
; %bb.5:
	v_mov_b32_e32 v1, 0
	ds_write_b32 v1, v1 offset:88
; %bb.6:
	s_or_b64 exec, exec, s[4:5]
	s_waitcnt lgkmcnt(0)
	; wave barrier
	scratch_load_dwordx2 v[26:27], v24, off
	s_waitcnt vmcnt(0)
	v_cmp_eq_f32_e32 vcc, 0, v26
	v_cmp_eq_f32_e64 s[4:5], 0, v27
	s_and_b64 s[4:5], vcc, s[4:5]
	s_and_saveexec_b64 s[8:9], s[4:5]
	s_cbranch_execz .LBB10_10
; %bb.7:
	v_mov_b32_e32 v1, 0
	ds_read_b32 v26, v1 offset:88
	v_add_u32_e32 v25, 1, v0
	s_waitcnt lgkmcnt(0)
	v_readfirstlane_b32 s4, v26
	s_cmp_eq_u32 s4, 0
	s_cselect_b64 s[10:11], -1, 0
	v_cmp_gt_i32_e32 vcc, s4, v25
	s_or_b64 s[10:11], s[10:11], vcc
	s_and_b64 exec, exec, s[10:11]
	s_cbranch_execz .LBB10_10
; %bb.8:
	s_mov_b64 s[10:11], 0
	v_mov_b32_e32 v26, s4
.LBB10_9:                               ; =>This Inner Loop Header: Depth=1
	ds_cmpst_rtn_b32 v26, v1, v26, v25 offset:88
	s_waitcnt lgkmcnt(0)
	v_cmp_ne_u32_e32 vcc, 0, v26
	v_cmp_le_i32_e64 s[4:5], v26, v25
	s_and_b64 s[4:5], vcc, s[4:5]
	s_and_b64 s[4:5], exec, s[4:5]
	s_or_b64 s[10:11], s[4:5], s[10:11]
	s_andn2_b64 exec, exec, s[10:11]
	s_cbranch_execnz .LBB10_9
.LBB10_10:
	s_or_b64 exec, exec, s[8:9]
	v_mov_b32_e32 v25, 0
	; wave barrier
	ds_read_b32 v1, v25 offset:88
	s_and_saveexec_b64 s[4:5], s[0:1]
	s_cbranch_execz .LBB10_12
; %bb.11:
	s_lshl_b64 s[8:9], s[2:3], 2
	s_add_u32 s8, s6, s8
	s_addc_u32 s9, s7, s9
	s_waitcnt lgkmcnt(0)
	global_store_dword v25, v1, s[8:9]
.LBB10_12:
	s_or_b64 exec, exec, s[4:5]
	s_waitcnt lgkmcnt(0)
	v_cmp_ne_u32_e32 vcc, 0, v1
	s_mov_b64 s[4:5], 0
	s_cbranch_vccnz .LBB10_56
; %bb.13:
	v_mov_b32_e32 v25, v24
	scratch_load_dwordx2 v[26:27], v25, off
                                        ; implicit-def: $vgpr29
                                        ; implicit-def: $vgpr30
	s_waitcnt vmcnt(0)
	v_cmp_ngt_f32_e64 s[4:5], |v26|, |v27|
	s_and_saveexec_b64 s[8:9], s[4:5]
	s_xor_b64 s[4:5], exec, s[8:9]
	s_cbranch_execz .LBB10_15
; %bb.14:
	v_div_scale_f32 v1, s[8:9], v27, v27, v26
	v_rcp_f32_e32 v28, v1
	v_div_scale_f32 v29, vcc, v26, v27, v26
	v_fma_f32 v30, -v1, v28, 1.0
	v_fmac_f32_e32 v28, v30, v28
	v_mul_f32_e32 v30, v29, v28
	v_fma_f32 v31, -v1, v30, v29
	v_fmac_f32_e32 v30, v31, v28
	v_fma_f32 v1, -v1, v30, v29
	v_div_fmas_f32 v1, v1, v28, v30
	v_div_fixup_f32 v1, v1, v27, v26
	v_fmac_f32_e32 v27, v26, v1
	v_div_scale_f32 v26, s[8:9], v27, v27, -1.0
	v_rcp_f32_e32 v28, v26
	s_nop 0
	v_fma_f32 v29, -v26, v28, 1.0
	v_fmac_f32_e32 v28, v29, v28
	v_div_scale_f32 v29, vcc, -1.0, v27, -1.0
	v_mul_f32_e32 v30, v29, v28
	v_fma_f32 v31, -v26, v30, v29
	v_fmac_f32_e32 v30, v31, v28
	v_fma_f32 v26, -v26, v30, v29
	v_div_fmas_f32 v26, v26, v28, v30
	v_div_fixup_f32 v29, v26, v27, -1.0
	v_mul_f32_e32 v30, v1, v29
	v_xor_b32_e32 v28, 0x80000000, v30
                                        ; implicit-def: $vgpr26_vgpr27
.LBB10_15:
	s_andn2_saveexec_b64 s[4:5], s[4:5]
	s_cbranch_execz .LBB10_17
; %bb.16:
	v_div_scale_f32 v1, s[8:9], v26, v26, v27
	v_rcp_f32_e32 v28, v1
	v_div_scale_f32 v29, vcc, v27, v26, v27
	v_fma_f32 v30, -v1, v28, 1.0
	v_fmac_f32_e32 v28, v30, v28
	v_mul_f32_e32 v30, v29, v28
	v_fma_f32 v31, -v1, v30, v29
	v_fmac_f32_e32 v30, v31, v28
	v_fma_f32 v1, -v1, v30, v29
	v_div_fmas_f32 v1, v1, v28, v30
	v_div_fixup_f32 v1, v1, v26, v27
	v_fmac_f32_e32 v26, v27, v1
	v_div_scale_f32 v27, s[8:9], v26, v26, 1.0
	v_rcp_f32_e32 v28, v27
	s_nop 0
	v_fma_f32 v29, -v27, v28, 1.0
	v_fmac_f32_e32 v28, v29, v28
	v_div_scale_f32 v29, vcc, 1.0, v26, 1.0
	v_mul_f32_e32 v30, v29, v28
	v_fma_f32 v31, -v27, v30, v29
	v_fmac_f32_e32 v30, v31, v28
	v_fma_f32 v27, -v27, v30, v29
	v_div_fmas_f32 v27, v27, v28, v30
	v_div_fixup_f32 v28, v27, v26, 1.0
	v_xor_b32_e32 v30, 0x80000000, v28
	v_mul_f32_e64 v29, v1, -v28
.LBB10_17:
	s_or_b64 exec, exec, s[4:5]
	scratch_store_dwordx2 v25, v[28:29], off
	scratch_load_dwordx2 v[26:27], off, off offset:8
	v_xor_b32_e32 v31, 0x80000000, v29
	v_add_u32_e32 v1, 0x60, v24
	s_waitcnt vmcnt(0)
	ds_write2_b64 v24, v[30:31], v[26:27] offset1:12
	s_waitcnt lgkmcnt(0)
	; wave barrier
	s_and_saveexec_b64 s[4:5], s[0:1]
	s_cbranch_execz .LBB10_19
; %bb.18:
	scratch_load_dwordx2 v[26:27], v25, off
	ds_read_b64 v[28:29], v1
	v_mov_b32_e32 v30, 0
	ds_read_b64 v[30:31], v30 offset:8
	s_waitcnt vmcnt(0) lgkmcnt(1)
	v_pk_mul_f32 v[32:33], v[28:29], v[26:27] op_sel:[1,1] op_sel_hi:[0,1]
	v_pk_fma_f32 v[34:35], v[28:29], v[26:27], v[32:33] neg_lo:[0,0,1] neg_hi:[0,0,1]
	v_pk_fma_f32 v[26:27], v[28:29], v[26:27], v[32:33] op_sel_hi:[1,0,1]
	s_nop 0
	v_mov_b32_e32 v35, v27
	v_pk_add_f32 v[26:27], v[34:35], 0 op_sel_hi:[1,0]
	s_waitcnt lgkmcnt(0)
	v_pk_mul_f32 v[28:29], v[26:27], v[30:31] op_sel:[1,1] op_sel_hi:[0,1]
	v_pk_fma_f32 v[32:33], v[26:27], v[30:31], v[28:29] neg_lo:[0,0,1] neg_hi:[0,0,1]
	v_pk_fma_f32 v[26:27], v[26:27], v[30:31], v[28:29] op_sel_hi:[1,0,1]
	s_nop 0
	v_mov_b32_e32 v33, v27
	scratch_store_dwordx2 off, v[32:33], off offset:8
.LBB10_19:
	s_or_b64 exec, exec, s[4:5]
	; wave barrier
	scratch_load_dwordx2 v[26:27], off, off offset:16
	v_cmp_gt_u32_e32 vcc, 2, v0
	s_waitcnt vmcnt(0)
	ds_write_b64 v1, v[26:27]
	s_waitcnt lgkmcnt(0)
	; wave barrier
	s_and_saveexec_b64 s[4:5], vcc
	s_cbranch_execz .LBB10_23
; %bb.20:
	scratch_load_dwordx2 v[26:27], v25, off
	ds_read_b64 v[28:29], v1
	s_waitcnt vmcnt(0) lgkmcnt(0)
	v_pk_mul_f32 v[30:31], v[28:29], v[26:27] op_sel:[1,1] op_sel_hi:[0,1]
	v_pk_fma_f32 v[32:33], v[28:29], v[26:27], v[30:31] neg_lo:[0,0,1] neg_hi:[0,0,1]
	v_pk_fma_f32 v[26:27], v[28:29], v[26:27], v[30:31] op_sel_hi:[1,0,1]
	s_nop 0
	v_mov_b32_e32 v33, v27
	v_pk_add_f32 v[26:27], v[32:33], 0 op_sel_hi:[1,0]
	s_and_saveexec_b64 s[8:9], s[0:1]
	s_cbranch_execz .LBB10_22
; %bb.21:
	scratch_load_dwordx2 v[28:29], off, off offset:8
	v_mov_b32_e32 v25, 0
	ds_read_b64 v[30:31], v25 offset:104
	s_waitcnt vmcnt(0) lgkmcnt(0)
	v_pk_mul_f32 v[32:33], v[30:31], v[28:29] op_sel:[1,1] op_sel_hi:[0,1]
	v_pk_fma_f32 v[34:35], v[30:31], v[28:29], v[32:33] neg_lo:[0,0,1] neg_hi:[0,0,1]
	v_pk_fma_f32 v[28:29], v[30:31], v[28:29], v[32:33] op_sel_hi:[1,0,1]
	s_nop 0
	v_mov_b32_e32 v35, v29
	v_pk_add_f32 v[26:27], v[26:27], v[34:35]
.LBB10_22:
	s_or_b64 exec, exec, s[8:9]
	v_mov_b32_e32 v25, 0
	ds_read_b64 v[28:29], v25 offset:16
	s_waitcnt lgkmcnt(0)
	v_pk_mul_f32 v[30:31], v[26:27], v[28:29] op_sel:[1,1] op_sel_hi:[0,1]
	v_pk_fma_f32 v[32:33], v[26:27], v[28:29], v[30:31] neg_lo:[0,0,1] neg_hi:[0,0,1]
	v_pk_fma_f32 v[26:27], v[26:27], v[28:29], v[30:31] op_sel_hi:[1,0,1]
	s_nop 0
	v_mov_b32_e32 v33, v27
	scratch_store_dwordx2 off, v[32:33], off offset:16
.LBB10_23:
	s_or_b64 exec, exec, s[4:5]
	; wave barrier
	scratch_load_dwordx2 v[26:27], off, off offset:24
	v_cmp_gt_u32_e32 vcc, 3, v0
	v_add_u32_e32 v28, -1, v0
	s_waitcnt vmcnt(0)
	ds_write_b64 v1, v[26:27]
	s_waitcnt lgkmcnt(0)
	; wave barrier
	s_and_saveexec_b64 s[0:1], vcc
	s_cbranch_execz .LBB10_27
; %bb.24:
	v_mov_b32_e32 v26, 0
	v_add_u32_e32 v25, -1, v0
	v_add_u32_e32 v29, 0x60, v24
	v_mov_b32_e32 v30, v24
	s_mov_b64 s[4:5], 0
	v_mov_b32_e32 v27, v26
.LBB10_25:                              ; =>This Inner Loop Header: Depth=1
	scratch_load_dwordx2 v[32:33], v30, off
	ds_read_b64 v[34:35], v29
	v_add_u32_e32 v25, 1, v25
	v_cmp_lt_u32_e32 vcc, 1, v25
	v_add_u32_e32 v29, 8, v29
	v_add_u32_e32 v30, 8, v30
	s_or_b64 s[4:5], vcc, s[4:5]
	s_waitcnt vmcnt(0) lgkmcnt(0)
	v_pk_mul_f32 v[36:37], v[34:35], v[32:33] op_sel:[1,1] op_sel_hi:[0,1]
	v_pk_fma_f32 v[38:39], v[34:35], v[32:33], v[36:37] neg_lo:[0,0,1] neg_hi:[0,0,1]
	v_pk_fma_f32 v[32:33], v[34:35], v[32:33], v[36:37] op_sel_hi:[1,0,1]
	s_nop 0
	v_mov_b32_e32 v39, v33
	v_pk_add_f32 v[26:27], v[26:27], v[38:39]
	s_andn2_b64 exec, exec, s[4:5]
	s_cbranch_execnz .LBB10_25
; %bb.26:
	s_or_b64 exec, exec, s[4:5]
	v_mov_b32_e32 v25, 0
	ds_read_b64 v[30:31], v25 offset:24
	s_waitcnt lgkmcnt(0)
	v_pk_mul_f32 v[32:33], v[26:27], v[30:31] op_sel:[1,1] op_sel_hi:[0,1]
	v_pk_fma_f32 v[34:35], v[26:27], v[30:31], v[32:33] neg_lo:[0,0,1] neg_hi:[0,0,1]
	v_pk_fma_f32 v[26:27], v[26:27], v[30:31], v[32:33] op_sel_hi:[1,0,1]
	s_nop 0
	v_mov_b32_e32 v35, v27
	scratch_store_dwordx2 off, v[34:35], off offset:24
.LBB10_27:
	s_or_b64 exec, exec, s[0:1]
	; wave barrier
	scratch_load_dwordx2 v[26:27], off, off offset:32
	v_cmp_gt_u32_e32 vcc, 4, v0
	s_waitcnt vmcnt(0)
	ds_write_b64 v1, v[26:27]
	s_waitcnt lgkmcnt(0)
	; wave barrier
	s_and_saveexec_b64 s[0:1], vcc
	s_cbranch_execz .LBB10_31
; %bb.28:
	v_mov_b32_e32 v26, 0
	v_add_u32_e32 v25, -1, v0
	v_add_u32_e32 v29, 0x60, v24
	v_mov_b32_e32 v30, v24
	s_mov_b64 s[4:5], 0
	v_mov_b32_e32 v27, v26
.LBB10_29:                              ; =>This Inner Loop Header: Depth=1
	scratch_load_dwordx2 v[32:33], v30, off
	ds_read_b64 v[34:35], v29
	v_add_u32_e32 v25, 1, v25
	v_cmp_lt_u32_e32 vcc, 2, v25
	v_add_u32_e32 v29, 8, v29
	v_add_u32_e32 v30, 8, v30
	s_or_b64 s[4:5], vcc, s[4:5]
	s_waitcnt vmcnt(0) lgkmcnt(0)
	v_pk_mul_f32 v[36:37], v[34:35], v[32:33] op_sel:[1,1] op_sel_hi:[0,1]
	v_pk_fma_f32 v[38:39], v[34:35], v[32:33], v[36:37] neg_lo:[0,0,1] neg_hi:[0,0,1]
	v_pk_fma_f32 v[32:33], v[34:35], v[32:33], v[36:37] op_sel_hi:[1,0,1]
	s_nop 0
	v_mov_b32_e32 v39, v33
	v_pk_add_f32 v[26:27], v[26:27], v[38:39]
	s_andn2_b64 exec, exec, s[4:5]
	s_cbranch_execnz .LBB10_29
; %bb.30:
	s_or_b64 exec, exec, s[4:5]
	v_mov_b32_e32 v25, 0
	ds_read_b64 v[30:31], v25 offset:32
	s_waitcnt lgkmcnt(0)
	v_pk_mul_f32 v[32:33], v[26:27], v[30:31] op_sel:[1,1] op_sel_hi:[0,1]
	v_pk_fma_f32 v[34:35], v[26:27], v[30:31], v[32:33] neg_lo:[0,0,1] neg_hi:[0,0,1]
	v_pk_fma_f32 v[26:27], v[26:27], v[30:31], v[32:33] op_sel_hi:[1,0,1]
	s_nop 0
	v_mov_b32_e32 v35, v27
	scratch_store_dwordx2 off, v[34:35], off offset:32
.LBB10_31:
	s_or_b64 exec, exec, s[0:1]
	; wave barrier
	scratch_load_dwordx2 v[26:27], off, off offset:40
	v_cmp_gt_u32_e32 vcc, 5, v0
	;; [unrolled: 46-line block ×6, first 2 shown]
	s_waitcnt vmcnt(0)
	ds_write_b64 v1, v[26:27]
	s_waitcnt lgkmcnt(0)
	; wave barrier
	s_and_saveexec_b64 s[0:1], vcc
	s_cbranch_execz .LBB10_51
; %bb.48:
	v_mov_b32_e32 v26, 0
	v_add_u32_e32 v25, -1, v0
	v_add_u32_e32 v29, 0x60, v24
	v_mov_b32_e32 v30, v24
	s_mov_b64 s[4:5], 0
	v_mov_b32_e32 v27, v26
.LBB10_49:                              ; =>This Inner Loop Header: Depth=1
	scratch_load_dwordx2 v[32:33], v30, off
	ds_read_b64 v[34:35], v29
	v_add_u32_e32 v25, 1, v25
	v_cmp_lt_u32_e32 vcc, 7, v25
	v_add_u32_e32 v29, 8, v29
	v_add_u32_e32 v30, 8, v30
	s_or_b64 s[4:5], vcc, s[4:5]
	s_waitcnt vmcnt(0) lgkmcnt(0)
	v_pk_mul_f32 v[36:37], v[34:35], v[32:33] op_sel:[1,1] op_sel_hi:[0,1]
	v_pk_fma_f32 v[38:39], v[34:35], v[32:33], v[36:37] neg_lo:[0,0,1] neg_hi:[0,0,1]
	v_pk_fma_f32 v[32:33], v[34:35], v[32:33], v[36:37] op_sel_hi:[1,0,1]
	s_nop 0
	v_mov_b32_e32 v39, v33
	v_pk_add_f32 v[26:27], v[26:27], v[38:39]
	s_andn2_b64 exec, exec, s[4:5]
	s_cbranch_execnz .LBB10_49
; %bb.50:
	s_or_b64 exec, exec, s[4:5]
	v_mov_b32_e32 v25, 0
	ds_read_b64 v[30:31], v25 offset:72
	s_waitcnt lgkmcnt(0)
	v_pk_mul_f32 v[32:33], v[26:27], v[30:31] op_sel:[1,1] op_sel_hi:[0,1]
	v_pk_fma_f32 v[34:35], v[26:27], v[30:31], v[32:33] neg_lo:[0,0,1] neg_hi:[0,0,1]
	v_pk_fma_f32 v[26:27], v[26:27], v[30:31], v[32:33] op_sel_hi:[1,0,1]
	s_nop 0
	v_mov_b32_e32 v35, v27
	scratch_store_dwordx2 off, v[34:35], off offset:72
.LBB10_51:
	s_or_b64 exec, exec, s[0:1]
	; wave barrier
	scratch_load_dwordx2 v[26:27], off, off offset:80
	v_cmp_ne_u32_e32 vcc, 10, v0
	s_waitcnt vmcnt(0)
	ds_write_b64 v1, v[26:27]
	s_waitcnt lgkmcnt(0)
	; wave barrier
	s_and_saveexec_b64 s[0:1], vcc
	s_cbranch_execz .LBB10_55
; %bb.52:
	v_add_u32_e32 v1, 0x60, v24
	v_mov_b32_e32 v26, v24
	v_mov_b32_e32 v24, 0
	s_mov_b64 s[4:5], 0
	v_mov_b32_e32 v25, v24
.LBB10_53:                              ; =>This Inner Loop Header: Depth=1
	scratch_load_dwordx2 v[30:31], v26, off
	ds_read_b64 v[32:33], v1
	v_add_u32_e32 v28, 1, v28
	v_cmp_lt_u32_e32 vcc, 8, v28
	v_add_u32_e32 v1, 8, v1
	v_add_u32_e32 v26, 8, v26
	s_or_b64 s[4:5], vcc, s[4:5]
	s_waitcnt vmcnt(0) lgkmcnt(0)
	v_pk_mul_f32 v[34:35], v[32:33], v[30:31] op_sel:[1,1] op_sel_hi:[0,1]
	v_pk_fma_f32 v[36:37], v[32:33], v[30:31], v[34:35] neg_lo:[0,0,1] neg_hi:[0,0,1]
	v_pk_fma_f32 v[30:31], v[32:33], v[30:31], v[34:35] op_sel_hi:[1,0,1]
	s_nop 0
	v_mov_b32_e32 v37, v31
	v_pk_add_f32 v[24:25], v[24:25], v[36:37]
	s_andn2_b64 exec, exec, s[4:5]
	s_cbranch_execnz .LBB10_53
; %bb.54:
	s_or_b64 exec, exec, s[4:5]
	v_mov_b32_e32 v1, 0
	ds_read_b64 v[26:27], v1 offset:80
	s_waitcnt lgkmcnt(0)
	v_pk_mul_f32 v[28:29], v[24:25], v[26:27] op_sel:[1,1] op_sel_hi:[0,1]
	v_pk_fma_f32 v[30:31], v[24:25], v[26:27], v[28:29] neg_lo:[0,0,1] neg_hi:[0,0,1]
	v_pk_fma_f32 v[24:25], v[24:25], v[26:27], v[28:29] op_sel_hi:[1,0,1]
	s_nop 0
	v_mov_b32_e32 v31, v25
	scratch_store_dwordx2 off, v[30:31], off offset:80
.LBB10_55:
	s_or_b64 exec, exec, s[0:1]
	s_mov_b64 s[4:5], -1
	; wave barrier
.LBB10_56:
	s_and_b64 vcc, exec, s[4:5]
	s_cbranch_vccz .LBB10_58
; %bb.57:
	s_lshl_b64 s[0:1], s[2:3], 2
	s_add_u32 s0, s6, s0
	s_addc_u32 s1, s7, s1
	v_mov_b32_e32 v1, 0
	global_load_dword v1, v1, s[0:1]
	s_waitcnt vmcnt(0)
	v_cmp_ne_u32_e32 vcc, 0, v1
	s_cbranch_vccz .LBB10_59
.LBB10_58:
	s_endpgm
.LBB10_59:
	v_mov_b32_e32 v1, 0x60
	v_lshl_add_u32 v1, v0, 3, v1
	v_cmp_eq_u32_e32 vcc, 10, v0
	s_and_saveexec_b64 s[0:1], vcc
	s_cbranch_execz .LBB10_61
; %bb.60:
	scratch_load_dwordx2 v[24:25], off, off offset:72
	v_mov_b32_e32 v26, 0
	v_mov_b32_e32 v27, v26
	scratch_store_dwordx2 off, v[26:27], off offset:72
	s_waitcnt vmcnt(1)
	ds_write_b64 v1, v[24:25]
.LBB10_61:
	s_or_b64 exec, exec, s[0:1]
	s_waitcnt lgkmcnt(0)
	; wave barrier
	scratch_load_dwordx2 v[26:27], off, off offset:80
	scratch_load_dwordx2 v[28:29], off, off offset:72
	v_mov_b32_e32 v24, 0
	ds_read_b64 v[30:31], v24 offset:176
	v_cmp_lt_u32_e32 vcc, 8, v0
	s_waitcnt vmcnt(1) lgkmcnt(0)
	v_pk_mul_f32 v[32:33], v[30:31], v[26:27] op_sel:[1,1] op_sel_hi:[0,1]
	v_pk_fma_f32 v[34:35], v[30:31], v[26:27], v[32:33] neg_lo:[0,0,1] neg_hi:[0,0,1]
	v_pk_fma_f32 v[26:27], v[30:31], v[26:27], v[32:33] op_sel_hi:[1,0,1]
	s_nop 0
	v_mov_b32_e32 v35, v27
	v_pk_add_f32 v[26:27], v[34:35], 0 op_sel_hi:[1,0]
	s_waitcnt vmcnt(0)
	v_pk_add_f32 v[26:27], v[28:29], v[26:27] neg_lo:[0,1] neg_hi:[0,1]
	scratch_store_dwordx2 off, v[26:27], off offset:72
	s_and_saveexec_b64 s[0:1], vcc
	s_cbranch_execz .LBB10_63
; %bb.62:
	scratch_load_dwordx2 v[26:27], off, off offset:64
	v_mov_b32_e32 v25, v24
	scratch_store_dwordx2 off, v[24:25], off offset:64
	s_waitcnt vmcnt(1)
	ds_write_b64 v1, v[26:27]
.LBB10_63:
	s_or_b64 exec, exec, s[0:1]
	s_waitcnt lgkmcnt(0)
	; wave barrier
	scratch_load_dwordx4 v[26:29], off, off offset:72
	scratch_load_dwordx2 v[34:35], off, off offset:64
	ds_read2_b64 v[30:33], v24 offset0:21 offset1:22
	v_cmp_lt_u32_e32 vcc, 7, v0
	s_waitcnt vmcnt(1) lgkmcnt(0)
	v_pk_mul_f32 v[24:25], v[30:31], v[26:27] op_sel:[1,1] op_sel_hi:[0,1]
	v_mov_b32_e32 v36, v29
	v_pk_fma_f32 v[38:39], v[30:31], v[26:27], v[24:25] neg_lo:[0,0,1] neg_hi:[0,0,1]
	v_pk_fma_f32 v[24:25], v[30:31], v[26:27], v[24:25] op_sel_hi:[1,0,1]
	v_pk_mul_f32 v[26:27], v[32:33], v[36:37] op_sel:[1,0] op_sel_hi:[0,0]
	v_mov_b32_e32 v39, v25
	v_pk_fma_f32 v[24:25], v[32:33], v[28:29], v[26:27] neg_lo:[0,0,1] neg_hi:[0,0,1]
	v_pk_fma_f32 v[26:27], v[32:33], v[28:29], v[26:27] op_sel_hi:[1,0,1]
	v_pk_add_f32 v[28:29], v[38:39], 0 op_sel_hi:[1,0]
	v_mov_b32_e32 v25, v27
	v_pk_add_f32 v[24:25], v[28:29], v[24:25]
	s_waitcnt vmcnt(0)
	v_pk_add_f32 v[24:25], v[34:35], v[24:25] neg_lo:[0,1] neg_hi:[0,1]
	scratch_store_dwordx2 off, v[24:25], off offset:64
	s_and_saveexec_b64 s[0:1], vcc
	s_cbranch_execz .LBB10_65
; %bb.64:
	scratch_load_dwordx2 v[24:25], off, off offset:56
	v_mov_b32_e32 v26, 0
	v_mov_b32_e32 v27, v26
	scratch_store_dwordx2 off, v[26:27], off offset:56
	s_waitcnt vmcnt(1)
	ds_write_b64 v1, v[24:25]
.LBB10_65:
	s_or_b64 exec, exec, s[0:1]
	s_waitcnt lgkmcnt(0)
	; wave barrier
	scratch_load_dwordx4 v[26:29], off, off offset:64
	scratch_load_dwordx2 v[34:35], off, off offset:80
	scratch_load_dwordx2 v[36:37], off, off offset:56
	v_mov_b32_e32 v24, 0
	ds_read_b128 v[30:33], v24 offset:160
	ds_read_b64 v[38:39], v24 offset:176
	v_cmp_lt_u32_e32 vcc, 6, v0
	s_waitcnt vmcnt(2) lgkmcnt(1)
	v_pk_mul_f32 v[40:41], v[30:31], v[26:27] op_sel:[1,1] op_sel_hi:[0,1]
	v_mov_b32_e32 v42, v29
	v_pk_fma_f32 v[46:47], v[30:31], v[26:27], v[40:41] neg_lo:[0,0,1] neg_hi:[0,0,1]
	v_pk_fma_f32 v[26:27], v[30:31], v[26:27], v[40:41] op_sel_hi:[1,0,1]
	v_pk_mul_f32 v[30:31], v[32:33], v[42:43] op_sel:[1,0] op_sel_hi:[0,0]
	s_waitcnt vmcnt(1) lgkmcnt(0)
	v_pk_mul_f32 v[44:45], v[38:39], v[34:35] op_sel:[1,1] op_sel_hi:[0,1]
	v_mov_b32_e32 v47, v27
	v_pk_fma_f32 v[26:27], v[32:33], v[28:29], v[30:31] neg_lo:[0,0,1] neg_hi:[0,0,1]
	v_pk_fma_f32 v[28:29], v[32:33], v[28:29], v[30:31] op_sel_hi:[1,0,1]
	v_pk_fma_f32 v[40:41], v[38:39], v[34:35], v[44:45] neg_lo:[0,0,1] neg_hi:[0,0,1]
	v_pk_fma_f32 v[34:35], v[38:39], v[34:35], v[44:45] op_sel_hi:[1,0,1]
	v_pk_add_f32 v[30:31], v[46:47], 0 op_sel_hi:[1,0]
	v_mov_b32_e32 v27, v29
	v_mov_b32_e32 v41, v35
	v_pk_add_f32 v[26:27], v[30:31], v[26:27]
	s_nop 0
	v_pk_add_f32 v[26:27], v[26:27], v[40:41]
	s_waitcnt vmcnt(0)
	v_pk_add_f32 v[26:27], v[36:37], v[26:27] neg_lo:[0,1] neg_hi:[0,1]
	scratch_store_dwordx2 off, v[26:27], off offset:56
	s_and_saveexec_b64 s[0:1], vcc
	s_cbranch_execz .LBB10_67
; %bb.66:
	scratch_load_dwordx2 v[26:27], off, off offset:48
	v_mov_b32_e32 v25, v24
	scratch_store_dwordx2 off, v[24:25], off offset:48
	s_waitcnt vmcnt(1)
	ds_write_b64 v1, v[26:27]
.LBB10_67:
	s_or_b64 exec, exec, s[0:1]
	s_waitcnt lgkmcnt(0)
	; wave barrier
	scratch_load_dwordx4 v[26:29], off, off offset:56
	scratch_load_dwordx4 v[30:33], off, off offset:72
	scratch_load_dwordx2 v[42:43], off, off offset:48
	ds_read2_b64 v[34:37], v24 offset0:19 offset1:20
	ds_read2_b64 v[38:41], v24 offset0:21 offset1:22
	v_cmp_lt_u32_e32 vcc, 5, v0
	s_waitcnt vmcnt(2) lgkmcnt(1)
	v_pk_mul_f32 v[24:25], v[34:35], v[26:27] op_sel:[1,1] op_sel_hi:[0,1]
	v_mov_b32_e32 v44, v29
	s_waitcnt vmcnt(1) lgkmcnt(0)
	v_pk_mul_f32 v[46:47], v[38:39], v[30:31] op_sel:[1,1] op_sel_hi:[0,1]
	v_mov_b32_e32 v48, v33
	v_pk_fma_f32 v[50:51], v[34:35], v[26:27], v[24:25] neg_lo:[0,0,1] neg_hi:[0,0,1]
	v_pk_fma_f32 v[24:25], v[34:35], v[26:27], v[24:25] op_sel_hi:[1,0,1]
	v_pk_mul_f32 v[26:27], v[36:37], v[44:45] op_sel:[1,0] op_sel_hi:[0,0]
	v_pk_fma_f32 v[34:35], v[38:39], v[30:31], v[46:47] neg_lo:[0,0,1] neg_hi:[0,0,1]
	v_pk_fma_f32 v[30:31], v[38:39], v[30:31], v[46:47] op_sel_hi:[1,0,1]
	v_pk_mul_f32 v[38:39], v[40:41], v[48:49] op_sel:[1,0] op_sel_hi:[0,0]
	v_mov_b32_e32 v51, v25
	v_pk_fma_f32 v[24:25], v[36:37], v[28:29], v[26:27] neg_lo:[0,0,1] neg_hi:[0,0,1]
	v_pk_fma_f32 v[26:27], v[36:37], v[28:29], v[26:27] op_sel_hi:[1,0,1]
	v_mov_b32_e32 v35, v31
	v_pk_fma_f32 v[28:29], v[40:41], v[32:33], v[38:39] neg_lo:[0,0,1] neg_hi:[0,0,1]
	v_pk_fma_f32 v[30:31], v[40:41], v[32:33], v[38:39] op_sel_hi:[1,0,1]
	v_pk_add_f32 v[32:33], v[50:51], 0 op_sel_hi:[1,0]
	v_mov_b32_e32 v25, v27
	v_pk_add_f32 v[24:25], v[32:33], v[24:25]
	v_mov_b32_e32 v29, v31
	v_pk_add_f32 v[24:25], v[24:25], v[34:35]
	s_nop 0
	v_pk_add_f32 v[24:25], v[24:25], v[28:29]
	s_waitcnt vmcnt(0)
	v_pk_add_f32 v[24:25], v[42:43], v[24:25] neg_lo:[0,1] neg_hi:[0,1]
	scratch_store_dwordx2 off, v[24:25], off offset:48
	s_and_saveexec_b64 s[0:1], vcc
	s_cbranch_execz .LBB10_69
; %bb.68:
	scratch_load_dwordx2 v[24:25], off, off offset:40
	v_mov_b32_e32 v26, 0
	v_mov_b32_e32 v27, v26
	scratch_store_dwordx2 off, v[26:27], off offset:40
	s_waitcnt vmcnt(1)
	ds_write_b64 v1, v[24:25]
.LBB10_69:
	s_or_b64 exec, exec, s[0:1]
	s_waitcnt lgkmcnt(0)
	; wave barrier
	scratch_load_dwordx4 v[26:29], off, off offset:48
	scratch_load_dwordx4 v[30:33], off, off offset:64
	scratch_load_dwordx2 v[42:43], off, off offset:80
	scratch_load_dwordx2 v[44:45], off, off offset:40
	v_mov_b32_e32 v24, 0
	ds_read_b128 v[34:37], v24 offset:144
	ds_read_b128 v[38:41], v24 offset:160
	ds_read_b64 v[46:47], v24 offset:176
	v_cmp_lt_u32_e32 vcc, 4, v0
	s_waitcnt vmcnt(3) lgkmcnt(2)
	v_pk_mul_f32 v[48:49], v[34:35], v[26:27] op_sel:[1,1] op_sel_hi:[0,1]
	v_mov_b32_e32 v50, v29
	v_pk_fma_f32 v[58:59], v[34:35], v[26:27], v[48:49] neg_lo:[0,0,1] neg_hi:[0,0,1]
	v_pk_fma_f32 v[26:27], v[34:35], v[26:27], v[48:49] op_sel_hi:[1,0,1]
	v_pk_mul_f32 v[34:35], v[36:37], v[50:51] op_sel:[1,0] op_sel_hi:[0,0]
	s_waitcnt vmcnt(2) lgkmcnt(1)
	v_pk_mul_f32 v[52:53], v[38:39], v[30:31] op_sel:[1,1] op_sel_hi:[0,1]
	v_mov_b32_e32 v54, v33
	v_mov_b32_e32 v59, v27
	v_pk_fma_f32 v[26:27], v[36:37], v[28:29], v[34:35] neg_lo:[0,0,1] neg_hi:[0,0,1]
	v_pk_fma_f32 v[28:29], v[36:37], v[28:29], v[34:35] op_sel_hi:[1,0,1]
	v_pk_fma_f32 v[48:49], v[38:39], v[30:31], v[52:53] neg_lo:[0,0,1] neg_hi:[0,0,1]
	v_pk_fma_f32 v[30:31], v[38:39], v[30:31], v[52:53] op_sel_hi:[1,0,1]
	v_pk_mul_f32 v[38:39], v[40:41], v[54:55] op_sel:[1,0] op_sel_hi:[0,0]
	v_pk_add_f32 v[34:35], v[58:59], 0 op_sel_hi:[1,0]
	v_mov_b32_e32 v27, v29
	s_waitcnt vmcnt(1) lgkmcnt(0)
	v_pk_mul_f32 v[56:57], v[46:47], v[42:43] op_sel:[1,1] op_sel_hi:[0,1]
	v_mov_b32_e32 v49, v31
	v_pk_fma_f32 v[30:31], v[40:41], v[32:33], v[38:39] neg_lo:[0,0,1] neg_hi:[0,0,1]
	v_pk_fma_f32 v[32:33], v[40:41], v[32:33], v[38:39] op_sel_hi:[1,0,1]
	v_pk_add_f32 v[26:27], v[34:35], v[26:27]
	v_pk_fma_f32 v[50:51], v[46:47], v[42:43], v[56:57] neg_lo:[0,0,1] neg_hi:[0,0,1]
	v_pk_fma_f32 v[42:43], v[46:47], v[42:43], v[56:57] op_sel_hi:[1,0,1]
	v_mov_b32_e32 v31, v33
	v_pk_add_f32 v[26:27], v[26:27], v[48:49]
	v_mov_b32_e32 v51, v43
	v_pk_add_f32 v[26:27], v[26:27], v[30:31]
	s_nop 0
	v_pk_add_f32 v[26:27], v[26:27], v[50:51]
	s_waitcnt vmcnt(0)
	v_pk_add_f32 v[26:27], v[44:45], v[26:27] neg_lo:[0,1] neg_hi:[0,1]
	scratch_store_dwordx2 off, v[26:27], off offset:40
	s_and_saveexec_b64 s[0:1], vcc
	s_cbranch_execz .LBB10_71
; %bb.70:
	scratch_load_dwordx2 v[26:27], off, off offset:32
	v_mov_b32_e32 v25, v24
	scratch_store_dwordx2 off, v[24:25], off offset:32
	s_waitcnt vmcnt(1)
	ds_write_b64 v1, v[26:27]
.LBB10_71:
	s_or_b64 exec, exec, s[0:1]
	s_waitcnt lgkmcnt(0)
	; wave barrier
	scratch_load_dwordx4 v[26:29], off, off offset:40
	scratch_load_dwordx4 v[30:33], off, off offset:56
	;; [unrolled: 1-line block ×3, first 2 shown]
	scratch_load_dwordx2 v[50:51], off, off offset:32
	ds_read2_b64 v[38:41], v24 offset0:17 offset1:18
	ds_read2_b64 v[42:45], v24 offset0:19 offset1:20
	;; [unrolled: 1-line block ×3, first 2 shown]
	v_cmp_lt_u32_e32 vcc, 3, v0
	s_waitcnt vmcnt(3) lgkmcnt(2)
	v_pk_mul_f32 v[24:25], v[38:39], v[26:27] op_sel:[1,1] op_sel_hi:[0,1]
	v_mov_b32_e32 v52, v29
	s_waitcnt vmcnt(2) lgkmcnt(1)
	v_pk_mul_f32 v[54:55], v[42:43], v[30:31] op_sel:[1,1] op_sel_hi:[0,1]
	v_mov_b32_e32 v56, v33
	;; [unrolled: 3-line block ×3, first 2 shown]
	v_pk_fma_f32 v[62:63], v[38:39], v[26:27], v[24:25] neg_lo:[0,0,1] neg_hi:[0,0,1]
	v_pk_fma_f32 v[24:25], v[38:39], v[26:27], v[24:25] op_sel_hi:[1,0,1]
	v_pk_mul_f32 v[26:27], v[40:41], v[52:53] op_sel:[1,0] op_sel_hi:[0,0]
	v_pk_fma_f32 v[38:39], v[42:43], v[30:31], v[54:55] neg_lo:[0,0,1] neg_hi:[0,0,1]
	v_pk_fma_f32 v[30:31], v[42:43], v[30:31], v[54:55] op_sel_hi:[1,0,1]
	v_pk_mul_f32 v[42:43], v[44:45], v[56:57] op_sel:[1,0] op_sel_hi:[0,0]
	;; [unrolled: 3-line block ×3, first 2 shown]
	v_mov_b32_e32 v63, v25
	v_pk_fma_f32 v[24:25], v[40:41], v[28:29], v[26:27] neg_lo:[0,0,1] neg_hi:[0,0,1]
	v_pk_fma_f32 v[26:27], v[40:41], v[28:29], v[26:27] op_sel_hi:[1,0,1]
	v_mov_b32_e32 v39, v31
	v_pk_fma_f32 v[28:29], v[44:45], v[32:33], v[42:43] neg_lo:[0,0,1] neg_hi:[0,0,1]
	v_pk_fma_f32 v[30:31], v[44:45], v[32:33], v[42:43] op_sel_hi:[1,0,1]
	;; [unrolled: 3-line block ×3, first 2 shown]
	v_pk_add_f32 v[36:37], v[62:63], 0 op_sel_hi:[1,0]
	v_mov_b32_e32 v25, v27
	v_pk_add_f32 v[24:25], v[36:37], v[24:25]
	v_mov_b32_e32 v29, v31
	v_pk_add_f32 v[24:25], v[24:25], v[38:39]
	;; [unrolled: 2-line block ×3, first 2 shown]
	s_nop 0
	v_pk_add_f32 v[24:25], v[24:25], v[52:53]
	s_nop 0
	v_pk_add_f32 v[24:25], v[24:25], v[32:33]
	s_waitcnt vmcnt(0)
	v_pk_add_f32 v[24:25], v[50:51], v[24:25] neg_lo:[0,1] neg_hi:[0,1]
	scratch_store_dwordx2 off, v[24:25], off offset:32
	s_and_saveexec_b64 s[0:1], vcc
	s_cbranch_execz .LBB10_73
; %bb.72:
	scratch_load_dwordx2 v[24:25], off, off offset:24
	v_mov_b32_e32 v26, 0
	v_mov_b32_e32 v27, v26
	scratch_store_dwordx2 off, v[26:27], off offset:24
	s_waitcnt vmcnt(1)
	ds_write_b64 v1, v[24:25]
.LBB10_73:
	s_or_b64 exec, exec, s[0:1]
	s_waitcnt lgkmcnt(0)
	; wave barrier
	scratch_load_dwordx4 v[26:29], off, off offset:32
	scratch_load_dwordx4 v[30:33], off, off offset:48
	;; [unrolled: 1-line block ×3, first 2 shown]
	scratch_load_dwordx2 v[50:51], off, off offset:80
	scratch_load_dwordx2 v[52:53], off, off offset:24
	v_mov_b32_e32 v24, 0
	ds_read_b128 v[38:41], v24 offset:128
	ds_read_b128 v[42:45], v24 offset:144
	;; [unrolled: 1-line block ×3, first 2 shown]
	ds_read_b64 v[54:55], v24 offset:176
	v_cmp_lt_u32_e32 vcc, 2, v0
	s_waitcnt vmcnt(4) lgkmcnt(3)
	v_pk_mul_f32 v[56:57], v[38:39], v[26:27] op_sel:[1,1] op_sel_hi:[0,1]
	v_mov_b32_e32 v58, v29
	v_pk_fma_f32 v[70:71], v[38:39], v[26:27], v[56:57] neg_lo:[0,0,1] neg_hi:[0,0,1]
	v_pk_fma_f32 v[26:27], v[38:39], v[26:27], v[56:57] op_sel_hi:[1,0,1]
	v_pk_mul_f32 v[38:39], v[40:41], v[58:59] op_sel:[1,0] op_sel_hi:[0,0]
	s_waitcnt vmcnt(3) lgkmcnt(2)
	v_pk_mul_f32 v[60:61], v[42:43], v[30:31] op_sel:[1,1] op_sel_hi:[0,1]
	v_mov_b32_e32 v62, v33
	v_mov_b32_e32 v71, v27
	v_pk_fma_f32 v[26:27], v[40:41], v[28:29], v[38:39] neg_lo:[0,0,1] neg_hi:[0,0,1]
	v_pk_fma_f32 v[28:29], v[40:41], v[28:29], v[38:39] op_sel_hi:[1,0,1]
	v_pk_fma_f32 v[56:57], v[42:43], v[30:31], v[60:61] neg_lo:[0,0,1] neg_hi:[0,0,1]
	v_pk_fma_f32 v[30:31], v[42:43], v[30:31], v[60:61] op_sel_hi:[1,0,1]
	v_pk_mul_f32 v[42:43], v[44:45], v[62:63] op_sel:[1,0] op_sel_hi:[0,0]
	v_pk_add_f32 v[38:39], v[70:71], 0 op_sel_hi:[1,0]
	v_mov_b32_e32 v27, v29
	s_waitcnt vmcnt(2) lgkmcnt(1)
	v_pk_mul_f32 v[64:65], v[46:47], v[34:35] op_sel:[1,1] op_sel_hi:[0,1]
	v_mov_b32_e32 v66, v37
	v_mov_b32_e32 v57, v31
	v_pk_fma_f32 v[30:31], v[44:45], v[32:33], v[42:43] neg_lo:[0,0,1] neg_hi:[0,0,1]
	v_pk_fma_f32 v[32:33], v[44:45], v[32:33], v[42:43] op_sel_hi:[1,0,1]
	v_pk_add_f32 v[26:27], v[38:39], v[26:27]
	v_pk_fma_f32 v[58:59], v[46:47], v[34:35], v[64:65] neg_lo:[0,0,1] neg_hi:[0,0,1]
	v_pk_fma_f32 v[34:35], v[46:47], v[34:35], v[64:65] op_sel_hi:[1,0,1]
	v_pk_mul_f32 v[46:47], v[48:49], v[66:67] op_sel:[1,0] op_sel_hi:[0,0]
	v_mov_b32_e32 v31, v33
	v_pk_add_f32 v[26:27], v[26:27], v[56:57]
	s_waitcnt vmcnt(1) lgkmcnt(0)
	v_pk_mul_f32 v[68:69], v[54:55], v[50:51] op_sel:[1,1] op_sel_hi:[0,1]
	v_mov_b32_e32 v59, v35
	v_pk_fma_f32 v[34:35], v[48:49], v[36:37], v[46:47] neg_lo:[0,0,1] neg_hi:[0,0,1]
	v_pk_fma_f32 v[36:37], v[48:49], v[36:37], v[46:47] op_sel_hi:[1,0,1]
	v_pk_add_f32 v[26:27], v[26:27], v[30:31]
	v_pk_fma_f32 v[60:61], v[54:55], v[50:51], v[68:69] neg_lo:[0,0,1] neg_hi:[0,0,1]
	v_pk_fma_f32 v[50:51], v[54:55], v[50:51], v[68:69] op_sel_hi:[1,0,1]
	v_mov_b32_e32 v35, v37
	v_pk_add_f32 v[26:27], v[26:27], v[58:59]
	v_mov_b32_e32 v61, v51
	v_pk_add_f32 v[26:27], v[26:27], v[34:35]
	s_nop 0
	v_pk_add_f32 v[26:27], v[26:27], v[60:61]
	s_waitcnt vmcnt(0)
	v_pk_add_f32 v[26:27], v[52:53], v[26:27] neg_lo:[0,1] neg_hi:[0,1]
	scratch_store_dwordx2 off, v[26:27], off offset:24
	s_and_saveexec_b64 s[0:1], vcc
	s_cbranch_execz .LBB10_75
; %bb.74:
	scratch_load_dwordx2 v[26:27], off, off offset:16
	v_mov_b32_e32 v25, v24
	scratch_store_dwordx2 off, v[24:25], off offset:16
	s_waitcnt vmcnt(1)
	ds_write_b64 v1, v[26:27]
.LBB10_75:
	s_or_b64 exec, exec, s[0:1]
	s_waitcnt lgkmcnt(0)
	; wave barrier
	scratch_load_dwordx4 v[26:29], off, off offset:24
	scratch_load_dwordx4 v[30:33], off, off offset:40
	;; [unrolled: 1-line block ×4, first 2 shown]
	scratch_load_dwordx2 v[58:59], off, off offset:16
	ds_read2_b64 v[42:45], v24 offset0:15 offset1:16
	ds_read2_b64 v[46:49], v24 offset0:17 offset1:18
	;; [unrolled: 1-line block ×4, first 2 shown]
	v_cmp_lt_u32_e32 vcc, 1, v0
	s_waitcnt vmcnt(4) lgkmcnt(3)
	v_pk_mul_f32 v[24:25], v[42:43], v[26:27] op_sel:[1,1] op_sel_hi:[0,1]
	v_mov_b32_e32 v60, v29
	s_waitcnt vmcnt(3) lgkmcnt(2)
	v_pk_mul_f32 v[62:63], v[46:47], v[30:31] op_sel:[1,1] op_sel_hi:[0,1]
	v_mov_b32_e32 v64, v33
	;; [unrolled: 3-line block ×4, first 2 shown]
	v_pk_fma_f32 v[74:75], v[42:43], v[26:27], v[24:25] neg_lo:[0,0,1] neg_hi:[0,0,1]
	v_pk_fma_f32 v[24:25], v[42:43], v[26:27], v[24:25] op_sel_hi:[1,0,1]
	v_pk_mul_f32 v[26:27], v[44:45], v[60:61] op_sel:[1,0] op_sel_hi:[0,0]
	v_pk_fma_f32 v[42:43], v[46:47], v[30:31], v[62:63] neg_lo:[0,0,1] neg_hi:[0,0,1]
	v_pk_fma_f32 v[30:31], v[46:47], v[30:31], v[62:63] op_sel_hi:[1,0,1]
	v_pk_mul_f32 v[46:47], v[48:49], v[64:65] op_sel:[1,0] op_sel_hi:[0,0]
	v_pk_fma_f32 v[60:61], v[50:51], v[34:35], v[66:67] neg_lo:[0,0,1] neg_hi:[0,0,1]
	v_pk_fma_f32 v[34:35], v[50:51], v[34:35], v[66:67] op_sel_hi:[1,0,1]
	v_pk_mul_f32 v[50:51], v[52:53], v[68:69] op_sel:[1,0] op_sel_hi:[0,0]
	v_pk_fma_f32 v[62:63], v[54:55], v[38:39], v[70:71] neg_lo:[0,0,1] neg_hi:[0,0,1]
	v_pk_fma_f32 v[38:39], v[54:55], v[38:39], v[70:71] op_sel_hi:[1,0,1]
	v_pk_mul_f32 v[54:55], v[56:57], v[72:73] op_sel:[1,0] op_sel_hi:[0,0]
	v_mov_b32_e32 v75, v25
	v_pk_fma_f32 v[24:25], v[44:45], v[28:29], v[26:27] neg_lo:[0,0,1] neg_hi:[0,0,1]
	v_pk_fma_f32 v[26:27], v[44:45], v[28:29], v[26:27] op_sel_hi:[1,0,1]
	v_mov_b32_e32 v43, v31
	v_pk_fma_f32 v[28:29], v[48:49], v[32:33], v[46:47] neg_lo:[0,0,1] neg_hi:[0,0,1]
	v_pk_fma_f32 v[30:31], v[48:49], v[32:33], v[46:47] op_sel_hi:[1,0,1]
	;; [unrolled: 3-line block ×4, first 2 shown]
	v_pk_add_f32 v[40:41], v[74:75], 0 op_sel_hi:[1,0]
	v_mov_b32_e32 v25, v27
	v_pk_add_f32 v[24:25], v[40:41], v[24:25]
	v_mov_b32_e32 v29, v31
	v_pk_add_f32 v[24:25], v[24:25], v[42:43]
	;; [unrolled: 2-line block ×4, first 2 shown]
	s_nop 0
	v_pk_add_f32 v[24:25], v[24:25], v[32:33]
	s_nop 0
	v_pk_add_f32 v[24:25], v[24:25], v[62:63]
	;; [unrolled: 2-line block ×3, first 2 shown]
	s_waitcnt vmcnt(0)
	v_pk_add_f32 v[24:25], v[58:59], v[24:25] neg_lo:[0,1] neg_hi:[0,1]
	scratch_store_dwordx2 off, v[24:25], off offset:16
	s_and_saveexec_b64 s[0:1], vcc
	s_cbranch_execz .LBB10_77
; %bb.76:
	scratch_load_dwordx2 v[24:25], off, off offset:8
	v_mov_b32_e32 v26, 0
	v_mov_b32_e32 v27, v26
	scratch_store_dwordx2 off, v[26:27], off offset:8
	s_waitcnt vmcnt(1)
	ds_write_b64 v1, v[24:25]
.LBB10_77:
	s_or_b64 exec, exec, s[0:1]
	s_waitcnt lgkmcnt(0)
	; wave barrier
	scratch_load_dwordx4 v[26:29], off, off offset:16
	scratch_load_dwordx4 v[30:33], off, off offset:32
	;; [unrolled: 1-line block ×4, first 2 shown]
	scratch_load_dwordx2 v[58:59], off, off offset:80
	scratch_load_dwordx2 v[60:61], off, off offset:8
	v_mov_b32_e32 v24, 0
	ds_read_b128 v[42:45], v24 offset:112
	ds_read_b128 v[46:49], v24 offset:128
	;; [unrolled: 1-line block ×4, first 2 shown]
	ds_read_b64 v[62:63], v24 offset:176
	v_cmp_ne_u32_e32 vcc, 0, v0
	s_waitcnt vmcnt(5) lgkmcnt(4)
	v_mul_f32_e32 v65, v42, v27
	v_mul_f32_e32 v25, v43, v27
	v_mov_b32_e32 v66, v29
	s_waitcnt vmcnt(4) lgkmcnt(3)
	v_pk_mul_f32 v[68:69], v[46:47], v[30:31] op_sel:[1,1] op_sel_hi:[0,1]
	v_mov_b32_e32 v70, v33
	s_waitcnt vmcnt(1) lgkmcnt(0)
	v_pk_mul_f32 v[80:81], v[62:63], v[58:59] op_sel:[1,1] op_sel_hi:[0,1]
	v_fmac_f32_e32 v65, v43, v26
	v_fma_f32 v64, v42, v26, -v25
	v_pk_mul_f32 v[26:27], v[44:45], v[66:67] op_sel:[1,0] op_sel_hi:[0,0]
	v_pk_fma_f32 v[42:43], v[46:47], v[30:31], v[68:69] neg_lo:[0,0,1] neg_hi:[0,0,1]
	v_pk_fma_f32 v[30:31], v[46:47], v[30:31], v[68:69] op_sel_hi:[1,0,1]
	v_pk_mul_f32 v[46:47], v[48:49], v[70:71] op_sel:[1,0] op_sel_hi:[0,0]
	v_pk_fma_f32 v[70:71], v[62:63], v[58:59], v[80:81] neg_lo:[0,0,1] neg_hi:[0,0,1]
	v_pk_fma_f32 v[58:59], v[62:63], v[58:59], v[80:81] op_sel_hi:[1,0,1]
	v_pk_add_f32 v[62:63], v[64:65], 0 op_sel_hi:[1,0]
	v_pk_fma_f32 v[64:65], v[44:45], v[28:29], v[26:27] neg_lo:[0,0,1] neg_hi:[0,0,1]
	v_pk_fma_f32 v[26:27], v[44:45], v[28:29], v[26:27] op_sel_hi:[1,0,1]
	v_pk_mul_f32 v[72:73], v[50:51], v[34:35] op_sel:[1,1] op_sel_hi:[0,1]
	v_mov_b32_e32 v65, v27
	v_mov_b32_e32 v74, v37
	;; [unrolled: 1-line block ×3, first 2 shown]
	v_pk_fma_f32 v[28:29], v[48:49], v[32:33], v[46:47] neg_lo:[0,0,1] neg_hi:[0,0,1]
	v_pk_fma_f32 v[30:31], v[48:49], v[32:33], v[46:47] op_sel_hi:[1,0,1]
	v_pk_add_f32 v[26:27], v[62:63], v[64:65]
	v_pk_fma_f32 v[66:67], v[50:51], v[34:35], v[72:73] neg_lo:[0,0,1] neg_hi:[0,0,1]
	v_pk_fma_f32 v[34:35], v[50:51], v[34:35], v[72:73] op_sel_hi:[1,0,1]
	v_pk_mul_f32 v[50:51], v[52:53], v[74:75] op_sel:[1,0] op_sel_hi:[0,0]
	v_mov_b32_e32 v29, v31
	v_pk_add_f32 v[26:27], v[26:27], v[42:43]
	v_pk_mul_f32 v[76:77], v[54:55], v[38:39] op_sel:[1,1] op_sel_hi:[0,1]
	v_mov_b32_e32 v78, v41
	v_mov_b32_e32 v67, v35
	v_pk_fma_f32 v[32:33], v[52:53], v[36:37], v[50:51] neg_lo:[0,0,1] neg_hi:[0,0,1]
	v_pk_fma_f32 v[34:35], v[52:53], v[36:37], v[50:51] op_sel_hi:[1,0,1]
	v_pk_add_f32 v[26:27], v[26:27], v[28:29]
	v_pk_fma_f32 v[68:69], v[54:55], v[38:39], v[76:77] neg_lo:[0,0,1] neg_hi:[0,0,1]
	v_pk_fma_f32 v[38:39], v[54:55], v[38:39], v[76:77] op_sel_hi:[1,0,1]
	v_pk_mul_f32 v[54:55], v[56:57], v[78:79] op_sel:[1,0] op_sel_hi:[0,0]
	v_mov_b32_e32 v33, v35
	v_pk_add_f32 v[26:27], v[26:27], v[66:67]
	v_mov_b32_e32 v69, v39
	v_pk_fma_f32 v[36:37], v[56:57], v[40:41], v[54:55] neg_lo:[0,0,1] neg_hi:[0,0,1]
	v_pk_fma_f32 v[38:39], v[56:57], v[40:41], v[54:55] op_sel_hi:[1,0,1]
	v_pk_add_f32 v[26:27], v[26:27], v[32:33]
	v_mov_b32_e32 v37, v39
	v_pk_add_f32 v[26:27], v[26:27], v[68:69]
	v_mov_b32_e32 v71, v59
	v_pk_add_f32 v[26:27], v[26:27], v[36:37]
	s_nop 0
	v_pk_add_f32 v[26:27], v[26:27], v[70:71]
	s_waitcnt vmcnt(0)
	v_pk_add_f32 v[26:27], v[60:61], v[26:27] neg_lo:[0,1] neg_hi:[0,1]
	scratch_store_dwordx2 off, v[26:27], off offset:8
	s_and_saveexec_b64 s[0:1], vcc
	s_cbranch_execz .LBB10_79
; %bb.78:
	scratch_load_dwordx2 v[26:27], off, off
	v_mov_b32_e32 v25, v24
	scratch_store_dwordx2 off, v[24:25], off
	s_waitcnt vmcnt(1)
	ds_write_b64 v1, v[26:27]
.LBB10_79:
	s_or_b64 exec, exec, s[0:1]
	s_waitcnt lgkmcnt(0)
	; wave barrier
	scratch_load_dwordx4 v[26:29], off, off offset:8
	scratch_load_dwordx4 v[30:33], off, off offset:24
	;; [unrolled: 1-line block ×5, first 2 shown]
	scratch_load_dwordx2 v[0:1], off, off
	ds_read2_b64 v[46:49], v24 offset0:13 offset1:14
	ds_read2_b64 v[50:53], v24 offset0:15 offset1:16
	;; [unrolled: 1-line block ×5, first 2 shown]
	s_and_b64 vcc, exec, s[18:19]
	s_waitcnt vmcnt(5) lgkmcnt(4)
	v_mul_f32_e32 v25, v46, v27
	v_mul_f32_e32 v24, v47, v27
	;; [unrolled: 1-line block ×4, first 2 shown]
	s_waitcnt vmcnt(4) lgkmcnt(3)
	v_pk_mul_f32 v[68:69], v[50:51], v[30:31] op_sel:[1,1] op_sel_hi:[0,1]
	v_mov_b32_e32 v70, v33
	v_fmac_f32_e32 v25, v47, v26
	v_fma_f32 v24, v46, v26, -v24
	v_fmac_f32_e32 v67, v49, v28
	v_fma_f32 v66, v48, v28, -v27
	v_pk_fma_f32 v[26:27], v[50:51], v[30:31], v[68:69] neg_lo:[0,0,1] neg_hi:[0,0,1]
	v_pk_fma_f32 v[28:29], v[50:51], v[30:31], v[68:69] op_sel_hi:[1,0,1]
	v_pk_mul_f32 v[30:31], v[52:53], v[70:71] op_sel:[1,0] op_sel_hi:[0,0]
	v_pk_add_f32 v[24:25], v[24:25], 0 op_sel_hi:[1,0]
	s_waitcnt vmcnt(3) lgkmcnt(2)
	v_pk_mul_f32 v[72:73], v[54:55], v[34:35] op_sel:[1,1] op_sel_hi:[0,1]
	v_mov_b32_e32 v74, v37
	v_mov_b32_e32 v27, v29
	v_pk_fma_f32 v[28:29], v[52:53], v[32:33], v[30:31] neg_lo:[0,0,1] neg_hi:[0,0,1]
	v_pk_fma_f32 v[30:31], v[52:53], v[32:33], v[30:31] op_sel_hi:[1,0,1]
	v_pk_add_f32 v[24:25], v[24:25], v[66:67]
	v_pk_fma_f32 v[46:47], v[54:55], v[34:35], v[72:73] neg_lo:[0,0,1] neg_hi:[0,0,1]
	v_pk_fma_f32 v[34:35], v[54:55], v[34:35], v[72:73] op_sel_hi:[1,0,1]
	v_pk_mul_f32 v[48:49], v[56:57], v[74:75] op_sel:[1,0] op_sel_hi:[0,0]
	v_mov_b32_e32 v29, v31
	v_pk_add_f32 v[24:25], v[24:25], v[26:27]
	s_waitcnt vmcnt(2) lgkmcnt(1)
	v_pk_mul_f32 v[76:77], v[58:59], v[38:39] op_sel:[1,1] op_sel_hi:[0,1]
	v_mov_b32_e32 v78, v41
	v_mov_b32_e32 v47, v35
	v_pk_fma_f32 v[32:33], v[56:57], v[36:37], v[48:49] neg_lo:[0,0,1] neg_hi:[0,0,1]
	v_pk_fma_f32 v[34:35], v[56:57], v[36:37], v[48:49] op_sel_hi:[1,0,1]
	v_pk_add_f32 v[24:25], v[24:25], v[28:29]
	v_pk_fma_f32 v[50:51], v[58:59], v[38:39], v[76:77] neg_lo:[0,0,1] neg_hi:[0,0,1]
	v_pk_fma_f32 v[38:39], v[58:59], v[38:39], v[76:77] op_sel_hi:[1,0,1]
	v_pk_mul_f32 v[54:55], v[60:61], v[78:79] op_sel:[1,0] op_sel_hi:[0,0]
	v_mov_b32_e32 v33, v35
	v_pk_add_f32 v[24:25], v[24:25], v[46:47]
	;; [unrolled: 12-line block ×3, first 2 shown]
	v_mov_b32_e32 v59, v43
	v_pk_fma_f32 v[40:41], v[64:65], v[44:45], v[62:63] neg_lo:[0,0,1] neg_hi:[0,0,1]
	v_pk_fma_f32 v[42:43], v[64:65], v[44:45], v[62:63] op_sel_hi:[1,0,1]
	v_pk_add_f32 v[24:25], v[24:25], v[36:37]
	v_mov_b32_e32 v41, v43
	v_pk_add_f32 v[24:25], v[24:25], v[58:59]
	s_nop 0
	v_pk_add_f32 v[24:25], v[24:25], v[40:41]
	s_waitcnt vmcnt(0)
	v_pk_add_f32 v[0:1], v[0:1], v[24:25] neg_lo:[0,1] neg_hi:[0,1]
	scratch_store_dwordx2 off, v[0:1], off
	s_cbranch_vccz .LBB10_100
; %bb.80:
	v_mov_b32_e32 v0, 0
	global_load_dword v1, v0, s[16:17] offset:36
	s_waitcnt vmcnt(0)
	v_readfirstlane_b32 s0, v1
	s_add_i32 s0, s0, -1
	s_cmp_lg_u32 s0, 9
	s_cbranch_scc0 .LBB10_82
; %bb.81:
	s_lshl_b32 s0, s0, 3
	s_nop 0
	scratch_load_dwordx2 v[24:25], off, s0
	scratch_load_dwordx2 v[26:27], off, off offset:72
	s_waitcnt vmcnt(1)
	scratch_store_dwordx2 off, v[24:25], off offset:72
	s_waitcnt vmcnt(1)
	scratch_store_dwordx2 off, v[26:27], s0
.LBB10_82:
	global_load_dword v0, v0, s[16:17] offset:32
	s_waitcnt vmcnt(0)
	v_readfirstlane_b32 s0, v0
	s_add_i32 s0, s0, -1
	s_cmp_eq_u32 s0, 8
	s_cbranch_scc1 .LBB10_84
; %bb.83:
	s_lshl_b32 s0, s0, 3
	s_nop 0
	scratch_load_dwordx2 v[0:1], off, s0
	scratch_load_dwordx2 v[24:25], off, off offset:64
	s_waitcnt vmcnt(1)
	scratch_store_dwordx2 off, v[0:1], off offset:64
	s_waitcnt vmcnt(1)
	scratch_store_dwordx2 off, v[24:25], s0
.LBB10_84:
	v_mov_b32_e32 v0, 0
	global_load_dword v1, v0, s[16:17] offset:28
	s_waitcnt vmcnt(0)
	v_readfirstlane_b32 s0, v1
	s_add_i32 s0, s0, -1
	s_cmp_eq_u32 s0, 7
	s_cbranch_scc1 .LBB10_86
; %bb.85:
	s_lshl_b32 s0, s0, 3
	s_nop 0
	scratch_load_dwordx2 v[24:25], off, s0
	scratch_load_dwordx2 v[26:27], off, off offset:56
	s_waitcnt vmcnt(1)
	scratch_store_dwordx2 off, v[24:25], off offset:56
	s_waitcnt vmcnt(1)
	scratch_store_dwordx2 off, v[26:27], s0
.LBB10_86:
	global_load_dword v0, v0, s[16:17] offset:24
	s_waitcnt vmcnt(0)
	v_readfirstlane_b32 s0, v0
	s_add_i32 s0, s0, -1
	s_cmp_eq_u32 s0, 6
	s_cbranch_scc1 .LBB10_88
; %bb.87:
	s_lshl_b32 s0, s0, 3
	s_nop 0
	scratch_load_dwordx2 v[0:1], off, s0
	scratch_load_dwordx2 v[24:25], off, off offset:48
	s_waitcnt vmcnt(1)
	scratch_store_dwordx2 off, v[0:1], off offset:48
	s_waitcnt vmcnt(1)
	scratch_store_dwordx2 off, v[24:25], s0
.LBB10_88:
	v_mov_b32_e32 v0, 0
	global_load_dword v1, v0, s[16:17] offset:20
	s_waitcnt vmcnt(0)
	v_readfirstlane_b32 s0, v1
	s_add_i32 s0, s0, -1
	s_cmp_eq_u32 s0, 5
	s_cbranch_scc1 .LBB10_90
; %bb.89:
	s_lshl_b32 s0, s0, 3
	s_nop 0
	scratch_load_dwordx2 v[24:25], off, s0
	scratch_load_dwordx2 v[26:27], off, off offset:40
	s_waitcnt vmcnt(1)
	scratch_store_dwordx2 off, v[24:25], off offset:40
	s_waitcnt vmcnt(1)
	scratch_store_dwordx2 off, v[26:27], s0
.LBB10_90:
	;; [unrolled: 33-line block ×4, first 2 shown]
	global_load_dword v24, v0, s[16:17]
	s_nop 0
	scratch_load_dwordx2 v[0:1], off, off
	s_waitcnt vmcnt(1)
	v_readfirstlane_b32 s0, v24
	s_add_i32 s0, s0, -1
	s_cmp_eq_u32 s0, 0
	s_cbranch_scc1 .LBB10_100
; %bb.99:
	s_lshl_b32 s0, s0, 3
	s_nop 0
	scratch_load_dwordx2 v[24:25], off, s0
	s_waitcnt vmcnt(0)
	scratch_store_dwordx2 off, v[24:25], off
	scratch_store_dwordx2 off, v[0:1], s0
	scratch_load_dwordx2 v[0:1], off, off
.LBB10_100:
	s_nop 0
	scratch_load_dwordx4 v[24:27], off, off offset:8
	scratch_load_dwordx4 v[28:31], off, off offset:24
	;; [unrolled: 1-line block ×5, first 2 shown]
	s_waitcnt vmcnt(5)
	global_store_dwordx2 v[2:3], v[0:1], off
	s_waitcnt vmcnt(5)
	global_store_dwordx2 v[4:5], v[24:25], off
	global_store_dwordx2 v[6:7], v[26:27], off
	s_waitcnt vmcnt(6)
	global_store_dwordx2 v[8:9], v[28:29], off
	;; [unrolled: 3-line block ×5, first 2 shown]
	global_store_dwordx2 v[22:23], v[42:43], off
	s_endpgm
	.section	.rodata,"a",@progbits
	.p2align	6, 0x0
	.amdhsa_kernel _ZN9rocsolver6v33100L18getri_kernel_smallILi11E19rocblas_complex_numIfEPS3_EEvT1_iilPiilS6_bb
		.amdhsa_group_segment_fixed_size 184
		.amdhsa_private_segment_fixed_size 96
		.amdhsa_kernarg_size 60
		.amdhsa_user_sgpr_count 2
		.amdhsa_user_sgpr_dispatch_ptr 0
		.amdhsa_user_sgpr_queue_ptr 0
		.amdhsa_user_sgpr_kernarg_segment_ptr 1
		.amdhsa_user_sgpr_dispatch_id 0
		.amdhsa_user_sgpr_kernarg_preload_length 0
		.amdhsa_user_sgpr_kernarg_preload_offset 0
		.amdhsa_user_sgpr_private_segment_size 0
		.amdhsa_uses_dynamic_stack 0
		.amdhsa_enable_private_segment 1
		.amdhsa_system_sgpr_workgroup_id_x 1
		.amdhsa_system_sgpr_workgroup_id_y 0
		.amdhsa_system_sgpr_workgroup_id_z 0
		.amdhsa_system_sgpr_workgroup_info 0
		.amdhsa_system_vgpr_workitem_id 0
		.amdhsa_next_free_vgpr 84
		.amdhsa_next_free_sgpr 20
		.amdhsa_accum_offset 84
		.amdhsa_reserve_vcc 1
		.amdhsa_float_round_mode_32 0
		.amdhsa_float_round_mode_16_64 0
		.amdhsa_float_denorm_mode_32 3
		.amdhsa_float_denorm_mode_16_64 3
		.amdhsa_dx10_clamp 1
		.amdhsa_ieee_mode 1
		.amdhsa_fp16_overflow 0
		.amdhsa_tg_split 0
		.amdhsa_exception_fp_ieee_invalid_op 0
		.amdhsa_exception_fp_denorm_src 0
		.amdhsa_exception_fp_ieee_div_zero 0
		.amdhsa_exception_fp_ieee_overflow 0
		.amdhsa_exception_fp_ieee_underflow 0
		.amdhsa_exception_fp_ieee_inexact 0
		.amdhsa_exception_int_div_zero 0
	.end_amdhsa_kernel
	.section	.text._ZN9rocsolver6v33100L18getri_kernel_smallILi11E19rocblas_complex_numIfEPS3_EEvT1_iilPiilS6_bb,"axG",@progbits,_ZN9rocsolver6v33100L18getri_kernel_smallILi11E19rocblas_complex_numIfEPS3_EEvT1_iilPiilS6_bb,comdat
.Lfunc_end10:
	.size	_ZN9rocsolver6v33100L18getri_kernel_smallILi11E19rocblas_complex_numIfEPS3_EEvT1_iilPiilS6_bb, .Lfunc_end10-_ZN9rocsolver6v33100L18getri_kernel_smallILi11E19rocblas_complex_numIfEPS3_EEvT1_iilPiilS6_bb
                                        ; -- End function
	.set _ZN9rocsolver6v33100L18getri_kernel_smallILi11E19rocblas_complex_numIfEPS3_EEvT1_iilPiilS6_bb.num_vgpr, 84
	.set _ZN9rocsolver6v33100L18getri_kernel_smallILi11E19rocblas_complex_numIfEPS3_EEvT1_iilPiilS6_bb.num_agpr, 0
	.set _ZN9rocsolver6v33100L18getri_kernel_smallILi11E19rocblas_complex_numIfEPS3_EEvT1_iilPiilS6_bb.numbered_sgpr, 20
	.set _ZN9rocsolver6v33100L18getri_kernel_smallILi11E19rocblas_complex_numIfEPS3_EEvT1_iilPiilS6_bb.num_named_barrier, 0
	.set _ZN9rocsolver6v33100L18getri_kernel_smallILi11E19rocblas_complex_numIfEPS3_EEvT1_iilPiilS6_bb.private_seg_size, 96
	.set _ZN9rocsolver6v33100L18getri_kernel_smallILi11E19rocblas_complex_numIfEPS3_EEvT1_iilPiilS6_bb.uses_vcc, 1
	.set _ZN9rocsolver6v33100L18getri_kernel_smallILi11E19rocblas_complex_numIfEPS3_EEvT1_iilPiilS6_bb.uses_flat_scratch, 0
	.set _ZN9rocsolver6v33100L18getri_kernel_smallILi11E19rocblas_complex_numIfEPS3_EEvT1_iilPiilS6_bb.has_dyn_sized_stack, 0
	.set _ZN9rocsolver6v33100L18getri_kernel_smallILi11E19rocblas_complex_numIfEPS3_EEvT1_iilPiilS6_bb.has_recursion, 0
	.set _ZN9rocsolver6v33100L18getri_kernel_smallILi11E19rocblas_complex_numIfEPS3_EEvT1_iilPiilS6_bb.has_indirect_call, 0
	.section	.AMDGPU.csdata,"",@progbits
; Kernel info:
; codeLenInByte = 7868
; TotalNumSgprs: 26
; NumVgprs: 84
; NumAgprs: 0
; TotalNumVgprs: 84
; ScratchSize: 96
; MemoryBound: 0
; FloatMode: 240
; IeeeMode: 1
; LDSByteSize: 184 bytes/workgroup (compile time only)
; SGPRBlocks: 3
; VGPRBlocks: 10
; NumSGPRsForWavesPerEU: 26
; NumVGPRsForWavesPerEU: 84
; AccumOffset: 84
; Occupancy: 5
; WaveLimiterHint : 1
; COMPUTE_PGM_RSRC2:SCRATCH_EN: 1
; COMPUTE_PGM_RSRC2:USER_SGPR: 2
; COMPUTE_PGM_RSRC2:TRAP_HANDLER: 0
; COMPUTE_PGM_RSRC2:TGID_X_EN: 1
; COMPUTE_PGM_RSRC2:TGID_Y_EN: 0
; COMPUTE_PGM_RSRC2:TGID_Z_EN: 0
; COMPUTE_PGM_RSRC2:TIDIG_COMP_CNT: 0
; COMPUTE_PGM_RSRC3_GFX90A:ACCUM_OFFSET: 20
; COMPUTE_PGM_RSRC3_GFX90A:TG_SPLIT: 0
	.section	.text._ZN9rocsolver6v33100L18getri_kernel_smallILi12E19rocblas_complex_numIfEPS3_EEvT1_iilPiilS6_bb,"axG",@progbits,_ZN9rocsolver6v33100L18getri_kernel_smallILi12E19rocblas_complex_numIfEPS3_EEvT1_iilPiilS6_bb,comdat
	.globl	_ZN9rocsolver6v33100L18getri_kernel_smallILi12E19rocblas_complex_numIfEPS3_EEvT1_iilPiilS6_bb ; -- Begin function _ZN9rocsolver6v33100L18getri_kernel_smallILi12E19rocblas_complex_numIfEPS3_EEvT1_iilPiilS6_bb
	.p2align	8
	.type	_ZN9rocsolver6v33100L18getri_kernel_smallILi12E19rocblas_complex_numIfEPS3_EEvT1_iilPiilS6_bb,@function
_ZN9rocsolver6v33100L18getri_kernel_smallILi12E19rocblas_complex_numIfEPS3_EEvT1_iilPiilS6_bb: ; @_ZN9rocsolver6v33100L18getri_kernel_smallILi12E19rocblas_complex_numIfEPS3_EEvT1_iilPiilS6_bb
; %bb.0:
	v_cmp_gt_u32_e32 vcc, 12, v0
	s_and_saveexec_b64 s[4:5], vcc
	s_cbranch_execz .LBB11_62
; %bb.1:
	s_load_dword s8, s[0:1], 0x38
	s_load_dwordx4 s[12:15], s[0:1], 0x10
	s_load_dwordx4 s[4:7], s[0:1], 0x28
                                        ; implicit-def: $sgpr16_sgpr17
	s_waitcnt lgkmcnt(0)
	s_bitcmp1_b32 s8, 8
	s_cselect_b64 s[18:19], -1, 0
	s_ashr_i32 s3, s2, 31
	s_bfe_u32 s8, s8, 0x10008
	s_cmp_eq_u32 s8, 0
	s_cbranch_scc1 .LBB11_3
; %bb.2:
	s_load_dword s8, s[0:1], 0x20
	s_mul_i32 s9, s4, s3
	s_mul_hi_u32 s10, s4, s2
	s_mul_i32 s5, s5, s2
	s_add_i32 s10, s10, s9
	s_add_i32 s5, s10, s5
	s_mul_i32 s4, s4, s2
	s_waitcnt lgkmcnt(0)
	s_ashr_i32 s9, s8, 31
	s_lshl_b64 s[4:5], s[4:5], 2
	s_add_u32 s10, s14, s4
	s_addc_u32 s11, s15, s5
	s_lshl_b64 s[4:5], s[8:9], 2
	s_add_u32 s16, s10, s4
	s_addc_u32 s17, s11, s5
.LBB11_3:
	s_load_dwordx4 s[8:11], s[0:1], 0x0
	s_load_dword s14, s[0:1], 0x38
	s_mul_i32 s4, s12, s3
	s_mul_hi_u32 s5, s12, s2
	s_add_i32 s4, s5, s4
	s_mul_i32 s5, s13, s2
	s_add_i32 s5, s4, s5
	s_mul_i32 s4, s12, s2
	s_waitcnt lgkmcnt(0)
	s_ashr_i32 s1, s10, 31
	s_lshl_b64 s[4:5], s[4:5], 3
	s_mov_b32 s0, s10
	s_add_u32 s4, s8, s4
	s_addc_u32 s5, s9, s5
	s_lshl_b64 s[0:1], s[0:1], 3
	s_add_u32 s0, s4, s0
	s_addc_u32 s1, s5, s1
	v_lshlrev_b32_e32 v26, 3, v0
	v_mov_b32_e32 v27, 0
	v_lshl_add_u64 v[2:3], s[0:1], 0, v[26:27]
	s_ashr_i32 s5, s11, 31
	s_mov_b32 s4, s11
	v_lshl_add_u64 v[4:5], s[4:5], 3, v[2:3]
	s_add_i32 s4, s11, s11
	v_add_u32_e32 v8, s4, v0
	v_add_u32_e32 v10, s11, v8
	;; [unrolled: 1-line block ×9, first 2 shown]
	v_ashrrev_i32_e32 v9, 31, v8
	v_ashrrev_i32_e32 v11, 31, v10
	;; [unrolled: 1-line block ×9, first 2 shown]
	v_lshl_add_u64 v[6:7], v[8:9], 3, s[0:1]
	v_lshl_add_u64 v[8:9], v[10:11], 3, s[0:1]
	;; [unrolled: 1-line block ×9, first 2 shown]
	v_add_u32_e32 v24, s11, v24
	v_ashrrev_i32_e32 v25, 31, v24
	global_load_dwordx2 v[28:29], v26, s[0:1]
	global_load_dwordx2 v[30:31], v[4:5], off
	global_load_dwordx2 v[32:33], v[6:7], off
	;; [unrolled: 1-line block ×8, first 2 shown]
	v_lshl_add_u64 v[24:25], v[24:25], 3, s[0:1]
	global_load_dwordx2 v[46:47], v[20:21], off
	global_load_dwordx2 v[48:49], v[22:23], off
	;; [unrolled: 1-line block ×3, first 2 shown]
	s_bitcmp0_b32 s14, 0
	s_mov_b64 s[4:5], -1
	s_waitcnt vmcnt(10)
	scratch_store_dwordx4 off, v[28:31], off
	s_waitcnt vmcnt(9)
	scratch_store_dwordx4 off, v[32:35], off offset:16
	s_waitcnt vmcnt(8)
	scratch_store_dwordx4 off, v[36:39], off offset:32
	;; [unrolled: 2-line block ×5, first 2 shown]
	s_cbranch_scc1 .LBB11_60
; %bb.4:
	v_cmp_eq_u32_e64 s[0:1], 0, v0
	s_and_saveexec_b64 s[4:5], s[0:1]
; %bb.5:
	v_mov_b32_e32 v1, 0
	ds_write_b32 v1, v1 offset:192
; %bb.6:
	s_or_b64 exec, exec, s[4:5]
	s_waitcnt lgkmcnt(0)
	; wave barrier
	scratch_load_dwordx2 v[28:29], v26, off
	s_waitcnt vmcnt(0)
	v_cmp_eq_f32_e32 vcc, 0, v28
	v_cmp_eq_f32_e64 s[4:5], 0, v29
	s_and_b64 s[4:5], vcc, s[4:5]
	s_and_saveexec_b64 s[8:9], s[4:5]
	s_cbranch_execz .LBB11_10
; %bb.7:
	v_mov_b32_e32 v1, 0
	ds_read_b32 v28, v1 offset:192
	v_add_u32_e32 v27, 1, v0
	s_waitcnt lgkmcnt(0)
	v_readfirstlane_b32 s4, v28
	s_cmp_eq_u32 s4, 0
	s_cselect_b64 s[10:11], -1, 0
	v_cmp_gt_i32_e32 vcc, s4, v27
	s_or_b64 s[10:11], s[10:11], vcc
	s_and_b64 exec, exec, s[10:11]
	s_cbranch_execz .LBB11_10
; %bb.8:
	s_mov_b64 s[10:11], 0
	v_mov_b32_e32 v28, s4
.LBB11_9:                               ; =>This Inner Loop Header: Depth=1
	ds_cmpst_rtn_b32 v28, v1, v28, v27 offset:192
	s_waitcnt lgkmcnt(0)
	v_cmp_ne_u32_e32 vcc, 0, v28
	v_cmp_le_i32_e64 s[4:5], v28, v27
	s_and_b64 s[4:5], vcc, s[4:5]
	s_and_b64 s[4:5], exec, s[4:5]
	s_or_b64 s[10:11], s[4:5], s[10:11]
	s_andn2_b64 exec, exec, s[10:11]
	s_cbranch_execnz .LBB11_9
.LBB11_10:
	s_or_b64 exec, exec, s[8:9]
	v_mov_b32_e32 v27, 0
	; wave barrier
	ds_read_b32 v1, v27 offset:192
	s_and_saveexec_b64 s[4:5], s[0:1]
	s_cbranch_execz .LBB11_12
; %bb.11:
	s_lshl_b64 s[8:9], s[2:3], 2
	s_add_u32 s8, s6, s8
	s_addc_u32 s9, s7, s9
	s_waitcnt lgkmcnt(0)
	global_store_dword v27, v1, s[8:9]
.LBB11_12:
	s_or_b64 exec, exec, s[4:5]
	s_waitcnt lgkmcnt(0)
	v_cmp_ne_u32_e32 vcc, 0, v1
	s_mov_b64 s[4:5], 0
	s_cbranch_vccnz .LBB11_60
; %bb.13:
	v_mov_b32_e32 v27, v26
	scratch_load_dwordx2 v[28:29], v27, off
                                        ; implicit-def: $vgpr31
                                        ; implicit-def: $vgpr32
	s_waitcnt vmcnt(0)
	v_cmp_ngt_f32_e64 s[4:5], |v28|, |v29|
	s_and_saveexec_b64 s[8:9], s[4:5]
	s_xor_b64 s[4:5], exec, s[8:9]
	s_cbranch_execz .LBB11_15
; %bb.14:
	v_div_scale_f32 v1, s[8:9], v29, v29, v28
	v_rcp_f32_e32 v30, v1
	v_div_scale_f32 v31, vcc, v28, v29, v28
	v_fma_f32 v32, -v1, v30, 1.0
	v_fmac_f32_e32 v30, v32, v30
	v_mul_f32_e32 v32, v31, v30
	v_fma_f32 v33, -v1, v32, v31
	v_fmac_f32_e32 v32, v33, v30
	v_fma_f32 v1, -v1, v32, v31
	v_div_fmas_f32 v1, v1, v30, v32
	v_div_fixup_f32 v1, v1, v29, v28
	v_fmac_f32_e32 v29, v28, v1
	v_div_scale_f32 v28, s[8:9], v29, v29, -1.0
	v_rcp_f32_e32 v30, v28
	s_nop 0
	v_fma_f32 v31, -v28, v30, 1.0
	v_fmac_f32_e32 v30, v31, v30
	v_div_scale_f32 v31, vcc, -1.0, v29, -1.0
	v_mul_f32_e32 v32, v31, v30
	v_fma_f32 v33, -v28, v32, v31
	v_fmac_f32_e32 v32, v33, v30
	v_fma_f32 v28, -v28, v32, v31
	v_div_fmas_f32 v28, v28, v30, v32
	v_div_fixup_f32 v31, v28, v29, -1.0
	v_mul_f32_e32 v32, v1, v31
	v_xor_b32_e32 v30, 0x80000000, v32
                                        ; implicit-def: $vgpr28_vgpr29
.LBB11_15:
	s_andn2_saveexec_b64 s[4:5], s[4:5]
	s_cbranch_execz .LBB11_17
; %bb.16:
	v_div_scale_f32 v1, s[8:9], v28, v28, v29
	v_rcp_f32_e32 v30, v1
	v_div_scale_f32 v31, vcc, v29, v28, v29
	v_fma_f32 v32, -v1, v30, 1.0
	v_fmac_f32_e32 v30, v32, v30
	v_mul_f32_e32 v32, v31, v30
	v_fma_f32 v33, -v1, v32, v31
	v_fmac_f32_e32 v32, v33, v30
	v_fma_f32 v1, -v1, v32, v31
	v_div_fmas_f32 v1, v1, v30, v32
	v_div_fixup_f32 v1, v1, v28, v29
	v_fmac_f32_e32 v28, v29, v1
	v_div_scale_f32 v29, s[8:9], v28, v28, 1.0
	v_rcp_f32_e32 v30, v29
	s_nop 0
	v_fma_f32 v31, -v29, v30, 1.0
	v_fmac_f32_e32 v30, v31, v30
	v_div_scale_f32 v31, vcc, 1.0, v28, 1.0
	v_mul_f32_e32 v32, v31, v30
	v_fma_f32 v33, -v29, v32, v31
	v_fmac_f32_e32 v32, v33, v30
	v_fma_f32 v29, -v29, v32, v31
	v_div_fmas_f32 v29, v29, v30, v32
	v_div_fixup_f32 v30, v29, v28, 1.0
	v_xor_b32_e32 v32, 0x80000000, v30
	v_mul_f32_e64 v31, v1, -v30
.LBB11_17:
	s_or_b64 exec, exec, s[4:5]
	scratch_store_dwordx2 v27, v[30:31], off
	scratch_load_dwordx2 v[28:29], off, off offset:8
	v_xor_b32_e32 v33, 0x80000000, v31
	v_add_u32_e32 v1, 0x60, v26
	s_waitcnt vmcnt(0)
	ds_write2_b64 v26, v[32:33], v[28:29] offset1:12
	s_waitcnt lgkmcnt(0)
	; wave barrier
	s_and_saveexec_b64 s[4:5], s[0:1]
	s_cbranch_execz .LBB11_19
; %bb.18:
	scratch_load_dwordx2 v[28:29], v27, off
	ds_read_b64 v[30:31], v1
	v_mov_b32_e32 v32, 0
	ds_read_b64 v[32:33], v32 offset:8
	s_waitcnt vmcnt(0) lgkmcnt(1)
	v_pk_mul_f32 v[34:35], v[30:31], v[28:29] op_sel:[1,1] op_sel_hi:[0,1]
	v_pk_fma_f32 v[36:37], v[30:31], v[28:29], v[34:35] neg_lo:[0,0,1] neg_hi:[0,0,1]
	v_pk_fma_f32 v[28:29], v[30:31], v[28:29], v[34:35] op_sel_hi:[1,0,1]
	s_nop 0
	v_mov_b32_e32 v37, v29
	v_pk_add_f32 v[28:29], v[36:37], 0 op_sel_hi:[1,0]
	s_waitcnt lgkmcnt(0)
	v_pk_mul_f32 v[30:31], v[28:29], v[32:33] op_sel:[1,1] op_sel_hi:[0,1]
	v_pk_fma_f32 v[34:35], v[28:29], v[32:33], v[30:31] neg_lo:[0,0,1] neg_hi:[0,0,1]
	v_pk_fma_f32 v[28:29], v[28:29], v[32:33], v[30:31] op_sel_hi:[1,0,1]
	s_nop 0
	v_mov_b32_e32 v35, v29
	scratch_store_dwordx2 off, v[34:35], off offset:8
.LBB11_19:
	s_or_b64 exec, exec, s[4:5]
	; wave barrier
	scratch_load_dwordx2 v[28:29], off, off offset:16
	v_cmp_gt_u32_e32 vcc, 2, v0
	s_waitcnt vmcnt(0)
	ds_write_b64 v1, v[28:29]
	s_waitcnt lgkmcnt(0)
	; wave barrier
	s_and_saveexec_b64 s[4:5], vcc
	s_cbranch_execz .LBB11_23
; %bb.20:
	scratch_load_dwordx2 v[28:29], v27, off
	ds_read_b64 v[30:31], v1
	s_waitcnt vmcnt(0) lgkmcnt(0)
	v_pk_mul_f32 v[32:33], v[30:31], v[28:29] op_sel:[1,1] op_sel_hi:[0,1]
	v_pk_fma_f32 v[34:35], v[30:31], v[28:29], v[32:33] neg_lo:[0,0,1] neg_hi:[0,0,1]
	v_pk_fma_f32 v[28:29], v[30:31], v[28:29], v[32:33] op_sel_hi:[1,0,1]
	s_nop 0
	v_mov_b32_e32 v35, v29
	v_pk_add_f32 v[28:29], v[34:35], 0 op_sel_hi:[1,0]
	s_and_saveexec_b64 s[8:9], s[0:1]
	s_cbranch_execz .LBB11_22
; %bb.21:
	scratch_load_dwordx2 v[30:31], off, off offset:8
	v_mov_b32_e32 v27, 0
	ds_read_b64 v[32:33], v27 offset:104
	s_waitcnt vmcnt(0) lgkmcnt(0)
	v_pk_mul_f32 v[34:35], v[32:33], v[30:31] op_sel:[1,1] op_sel_hi:[0,1]
	v_pk_fma_f32 v[36:37], v[32:33], v[30:31], v[34:35] neg_lo:[0,0,1] neg_hi:[0,0,1]
	v_pk_fma_f32 v[30:31], v[32:33], v[30:31], v[34:35] op_sel_hi:[1,0,1]
	s_nop 0
	v_mov_b32_e32 v37, v31
	v_pk_add_f32 v[28:29], v[28:29], v[36:37]
.LBB11_22:
	s_or_b64 exec, exec, s[8:9]
	v_mov_b32_e32 v27, 0
	ds_read_b64 v[30:31], v27 offset:16
	s_waitcnt lgkmcnt(0)
	v_pk_mul_f32 v[32:33], v[28:29], v[30:31] op_sel:[1,1] op_sel_hi:[0,1]
	v_pk_fma_f32 v[34:35], v[28:29], v[30:31], v[32:33] neg_lo:[0,0,1] neg_hi:[0,0,1]
	v_pk_fma_f32 v[28:29], v[28:29], v[30:31], v[32:33] op_sel_hi:[1,0,1]
	s_nop 0
	v_mov_b32_e32 v35, v29
	scratch_store_dwordx2 off, v[34:35], off offset:16
.LBB11_23:
	s_or_b64 exec, exec, s[4:5]
	; wave barrier
	scratch_load_dwordx2 v[28:29], off, off offset:24
	v_cmp_gt_u32_e32 vcc, 3, v0
	v_add_u32_e32 v30, -1, v0
	s_waitcnt vmcnt(0)
	ds_write_b64 v1, v[28:29]
	s_waitcnt lgkmcnt(0)
	; wave barrier
	s_and_saveexec_b64 s[0:1], vcc
	s_cbranch_execz .LBB11_27
; %bb.24:
	v_mov_b32_e32 v28, 0
	v_add_u32_e32 v27, -1, v0
	v_add_u32_e32 v31, 0x60, v26
	v_mov_b32_e32 v32, v26
	s_mov_b64 s[4:5], 0
	v_mov_b32_e32 v29, v28
.LBB11_25:                              ; =>This Inner Loop Header: Depth=1
	scratch_load_dwordx2 v[34:35], v32, off
	ds_read_b64 v[36:37], v31
	v_add_u32_e32 v27, 1, v27
	v_cmp_lt_u32_e32 vcc, 1, v27
	v_add_u32_e32 v31, 8, v31
	v_add_u32_e32 v32, 8, v32
	s_or_b64 s[4:5], vcc, s[4:5]
	s_waitcnt vmcnt(0) lgkmcnt(0)
	v_pk_mul_f32 v[38:39], v[36:37], v[34:35] op_sel:[1,1] op_sel_hi:[0,1]
	v_pk_fma_f32 v[40:41], v[36:37], v[34:35], v[38:39] neg_lo:[0,0,1] neg_hi:[0,0,1]
	v_pk_fma_f32 v[34:35], v[36:37], v[34:35], v[38:39] op_sel_hi:[1,0,1]
	s_nop 0
	v_mov_b32_e32 v41, v35
	v_pk_add_f32 v[28:29], v[28:29], v[40:41]
	s_andn2_b64 exec, exec, s[4:5]
	s_cbranch_execnz .LBB11_25
; %bb.26:
	s_or_b64 exec, exec, s[4:5]
	v_mov_b32_e32 v27, 0
	ds_read_b64 v[32:33], v27 offset:24
	s_waitcnt lgkmcnt(0)
	v_pk_mul_f32 v[34:35], v[28:29], v[32:33] op_sel:[1,1] op_sel_hi:[0,1]
	v_pk_fma_f32 v[36:37], v[28:29], v[32:33], v[34:35] neg_lo:[0,0,1] neg_hi:[0,0,1]
	v_pk_fma_f32 v[28:29], v[28:29], v[32:33], v[34:35] op_sel_hi:[1,0,1]
	s_nop 0
	v_mov_b32_e32 v37, v29
	scratch_store_dwordx2 off, v[36:37], off offset:24
.LBB11_27:
	s_or_b64 exec, exec, s[0:1]
	; wave barrier
	scratch_load_dwordx2 v[28:29], off, off offset:32
	v_cmp_gt_u32_e32 vcc, 4, v0
	s_waitcnt vmcnt(0)
	ds_write_b64 v1, v[28:29]
	s_waitcnt lgkmcnt(0)
	; wave barrier
	s_and_saveexec_b64 s[0:1], vcc
	s_cbranch_execz .LBB11_31
; %bb.28:
	v_mov_b32_e32 v28, 0
	v_add_u32_e32 v27, -1, v0
	v_add_u32_e32 v31, 0x60, v26
	v_mov_b32_e32 v32, v26
	s_mov_b64 s[4:5], 0
	v_mov_b32_e32 v29, v28
.LBB11_29:                              ; =>This Inner Loop Header: Depth=1
	scratch_load_dwordx2 v[34:35], v32, off
	ds_read_b64 v[36:37], v31
	v_add_u32_e32 v27, 1, v27
	v_cmp_lt_u32_e32 vcc, 2, v27
	v_add_u32_e32 v31, 8, v31
	v_add_u32_e32 v32, 8, v32
	s_or_b64 s[4:5], vcc, s[4:5]
	s_waitcnt vmcnt(0) lgkmcnt(0)
	v_pk_mul_f32 v[38:39], v[36:37], v[34:35] op_sel:[1,1] op_sel_hi:[0,1]
	v_pk_fma_f32 v[40:41], v[36:37], v[34:35], v[38:39] neg_lo:[0,0,1] neg_hi:[0,0,1]
	v_pk_fma_f32 v[34:35], v[36:37], v[34:35], v[38:39] op_sel_hi:[1,0,1]
	s_nop 0
	v_mov_b32_e32 v41, v35
	v_pk_add_f32 v[28:29], v[28:29], v[40:41]
	s_andn2_b64 exec, exec, s[4:5]
	s_cbranch_execnz .LBB11_29
; %bb.30:
	s_or_b64 exec, exec, s[4:5]
	v_mov_b32_e32 v27, 0
	ds_read_b64 v[32:33], v27 offset:32
	s_waitcnt lgkmcnt(0)
	v_pk_mul_f32 v[34:35], v[28:29], v[32:33] op_sel:[1,1] op_sel_hi:[0,1]
	v_pk_fma_f32 v[36:37], v[28:29], v[32:33], v[34:35] neg_lo:[0,0,1] neg_hi:[0,0,1]
	v_pk_fma_f32 v[28:29], v[28:29], v[32:33], v[34:35] op_sel_hi:[1,0,1]
	s_nop 0
	v_mov_b32_e32 v37, v29
	scratch_store_dwordx2 off, v[36:37], off offset:32
.LBB11_31:
	s_or_b64 exec, exec, s[0:1]
	; wave barrier
	scratch_load_dwordx2 v[28:29], off, off offset:40
	v_cmp_gt_u32_e32 vcc, 5, v0
	;; [unrolled: 46-line block ×7, first 2 shown]
	s_waitcnt vmcnt(0)
	ds_write_b64 v1, v[28:29]
	s_waitcnt lgkmcnt(0)
	; wave barrier
	s_and_saveexec_b64 s[0:1], vcc
	s_cbranch_execz .LBB11_55
; %bb.52:
	v_mov_b32_e32 v28, 0
	v_add_u32_e32 v27, -1, v0
	v_add_u32_e32 v31, 0x60, v26
	v_mov_b32_e32 v32, v26
	s_mov_b64 s[4:5], 0
	v_mov_b32_e32 v29, v28
.LBB11_53:                              ; =>This Inner Loop Header: Depth=1
	scratch_load_dwordx2 v[34:35], v32, off
	ds_read_b64 v[36:37], v31
	v_add_u32_e32 v27, 1, v27
	v_cmp_lt_u32_e32 vcc, 8, v27
	v_add_u32_e32 v31, 8, v31
	v_add_u32_e32 v32, 8, v32
	s_or_b64 s[4:5], vcc, s[4:5]
	s_waitcnt vmcnt(0) lgkmcnt(0)
	v_pk_mul_f32 v[38:39], v[36:37], v[34:35] op_sel:[1,1] op_sel_hi:[0,1]
	v_pk_fma_f32 v[40:41], v[36:37], v[34:35], v[38:39] neg_lo:[0,0,1] neg_hi:[0,0,1]
	v_pk_fma_f32 v[34:35], v[36:37], v[34:35], v[38:39] op_sel_hi:[1,0,1]
	s_nop 0
	v_mov_b32_e32 v41, v35
	v_pk_add_f32 v[28:29], v[28:29], v[40:41]
	s_andn2_b64 exec, exec, s[4:5]
	s_cbranch_execnz .LBB11_53
; %bb.54:
	s_or_b64 exec, exec, s[4:5]
	v_mov_b32_e32 v27, 0
	ds_read_b64 v[32:33], v27 offset:80
	s_waitcnt lgkmcnt(0)
	v_pk_mul_f32 v[34:35], v[28:29], v[32:33] op_sel:[1,1] op_sel_hi:[0,1]
	v_pk_fma_f32 v[36:37], v[28:29], v[32:33], v[34:35] neg_lo:[0,0,1] neg_hi:[0,0,1]
	v_pk_fma_f32 v[28:29], v[28:29], v[32:33], v[34:35] op_sel_hi:[1,0,1]
	s_nop 0
	v_mov_b32_e32 v37, v29
	scratch_store_dwordx2 off, v[36:37], off offset:80
.LBB11_55:
	s_or_b64 exec, exec, s[0:1]
	; wave barrier
	scratch_load_dwordx2 v[28:29], off, off offset:88
	v_cmp_ne_u32_e32 vcc, 11, v0
	s_waitcnt vmcnt(0)
	ds_write_b64 v1, v[28:29]
	s_waitcnt lgkmcnt(0)
	; wave barrier
	s_and_saveexec_b64 s[0:1], vcc
	s_cbranch_execz .LBB11_59
; %bb.56:
	v_add_u32_e32 v1, 0x60, v26
	v_mov_b32_e32 v28, v26
	v_mov_b32_e32 v26, 0
	s_mov_b64 s[4:5], 0
	v_mov_b32_e32 v27, v26
.LBB11_57:                              ; =>This Inner Loop Header: Depth=1
	scratch_load_dwordx2 v[32:33], v28, off
	ds_read_b64 v[34:35], v1
	v_add_u32_e32 v30, 1, v30
	v_cmp_lt_u32_e32 vcc, 9, v30
	v_add_u32_e32 v1, 8, v1
	v_add_u32_e32 v28, 8, v28
	s_or_b64 s[4:5], vcc, s[4:5]
	s_waitcnt vmcnt(0) lgkmcnt(0)
	v_pk_mul_f32 v[36:37], v[34:35], v[32:33] op_sel:[1,1] op_sel_hi:[0,1]
	v_pk_fma_f32 v[38:39], v[34:35], v[32:33], v[36:37] neg_lo:[0,0,1] neg_hi:[0,0,1]
	v_pk_fma_f32 v[32:33], v[34:35], v[32:33], v[36:37] op_sel_hi:[1,0,1]
	s_nop 0
	v_mov_b32_e32 v39, v33
	v_pk_add_f32 v[26:27], v[26:27], v[38:39]
	s_andn2_b64 exec, exec, s[4:5]
	s_cbranch_execnz .LBB11_57
; %bb.58:
	s_or_b64 exec, exec, s[4:5]
	v_mov_b32_e32 v1, 0
	ds_read_b64 v[28:29], v1 offset:88
	s_waitcnt lgkmcnt(0)
	v_pk_mul_f32 v[30:31], v[26:27], v[28:29] op_sel:[1,1] op_sel_hi:[0,1]
	v_pk_fma_f32 v[32:33], v[26:27], v[28:29], v[30:31] neg_lo:[0,0,1] neg_hi:[0,0,1]
	v_pk_fma_f32 v[26:27], v[26:27], v[28:29], v[30:31] op_sel_hi:[1,0,1]
	s_nop 0
	v_mov_b32_e32 v33, v27
	scratch_store_dwordx2 off, v[32:33], off offset:88
.LBB11_59:
	s_or_b64 exec, exec, s[0:1]
	s_mov_b64 s[4:5], -1
	; wave barrier
.LBB11_60:
	s_and_b64 vcc, exec, s[4:5]
	s_cbranch_vccz .LBB11_62
; %bb.61:
	s_lshl_b64 s[0:1], s[2:3], 2
	s_add_u32 s0, s6, s0
	s_addc_u32 s1, s7, s1
	v_mov_b32_e32 v1, 0
	global_load_dword v1, v1, s[0:1]
	s_waitcnt vmcnt(0)
	v_cmp_ne_u32_e32 vcc, 0, v1
	s_cbranch_vccz .LBB11_63
.LBB11_62:
	s_endpgm
.LBB11_63:
	v_mov_b32_e32 v1, 0x60
	v_lshl_add_u32 v1, v0, 3, v1
	v_cmp_eq_u32_e32 vcc, 11, v0
	s_and_saveexec_b64 s[0:1], vcc
	s_cbranch_execz .LBB11_65
; %bb.64:
	scratch_load_dwordx2 v[26:27], off, off offset:80
	v_mov_b32_e32 v28, 0
	v_mov_b32_e32 v29, v28
	scratch_store_dwordx2 off, v[28:29], off offset:80
	s_waitcnt vmcnt(1)
	ds_write_b64 v1, v[26:27]
.LBB11_65:
	s_or_b64 exec, exec, s[0:1]
	s_waitcnt lgkmcnt(0)
	; wave barrier
	scratch_load_dwordx2 v[28:29], off, off offset:88
	scratch_load_dwordx2 v[30:31], off, off offset:80
	v_mov_b32_e32 v26, 0
	ds_read_b64 v[32:33], v26 offset:184
	v_cmp_lt_u32_e32 vcc, 9, v0
	s_waitcnt vmcnt(1) lgkmcnt(0)
	v_pk_mul_f32 v[34:35], v[32:33], v[28:29] op_sel:[1,1] op_sel_hi:[0,1]
	v_pk_fma_f32 v[36:37], v[32:33], v[28:29], v[34:35] neg_lo:[0,0,1] neg_hi:[0,0,1]
	v_pk_fma_f32 v[28:29], v[32:33], v[28:29], v[34:35] op_sel_hi:[1,0,1]
	s_nop 0
	v_mov_b32_e32 v37, v29
	v_pk_add_f32 v[28:29], v[36:37], 0 op_sel_hi:[1,0]
	s_waitcnt vmcnt(0)
	v_pk_add_f32 v[28:29], v[30:31], v[28:29] neg_lo:[0,1] neg_hi:[0,1]
	scratch_store_dwordx2 off, v[28:29], off offset:80
	s_and_saveexec_b64 s[0:1], vcc
	s_cbranch_execz .LBB11_67
; %bb.66:
	scratch_load_dwordx2 v[28:29], off, off offset:72
	v_mov_b32_e32 v27, v26
	scratch_store_dwordx2 off, v[26:27], off offset:72
	s_waitcnt vmcnt(1)
	ds_write_b64 v1, v[28:29]
.LBB11_67:
	s_or_b64 exec, exec, s[0:1]
	s_waitcnt lgkmcnt(0)
	; wave barrier
	scratch_load_dwordx4 v[28:31], off, off offset:80
	scratch_load_dwordx2 v[36:37], off, off offset:72
	ds_read_b128 v[32:35], v26 offset:176
	v_cmp_lt_u32_e32 vcc, 8, v0
	s_waitcnt vmcnt(1) lgkmcnt(0)
	v_pk_mul_f32 v[26:27], v[32:33], v[28:29] op_sel:[1,1] op_sel_hi:[0,1]
	v_mov_b32_e32 v38, v31
	v_pk_fma_f32 v[40:41], v[32:33], v[28:29], v[26:27] neg_lo:[0,0,1] neg_hi:[0,0,1]
	v_pk_fma_f32 v[26:27], v[32:33], v[28:29], v[26:27] op_sel_hi:[1,0,1]
	v_pk_mul_f32 v[28:29], v[34:35], v[38:39] op_sel:[1,0] op_sel_hi:[0,0]
	v_mov_b32_e32 v41, v27
	v_pk_fma_f32 v[26:27], v[34:35], v[30:31], v[28:29] neg_lo:[0,0,1] neg_hi:[0,0,1]
	v_pk_fma_f32 v[28:29], v[34:35], v[30:31], v[28:29] op_sel_hi:[1,0,1]
	v_pk_add_f32 v[30:31], v[40:41], 0 op_sel_hi:[1,0]
	v_mov_b32_e32 v27, v29
	v_pk_add_f32 v[26:27], v[30:31], v[26:27]
	s_waitcnt vmcnt(0)
	v_pk_add_f32 v[26:27], v[36:37], v[26:27] neg_lo:[0,1] neg_hi:[0,1]
	scratch_store_dwordx2 off, v[26:27], off offset:72
	s_and_saveexec_b64 s[0:1], vcc
	s_cbranch_execz .LBB11_69
; %bb.68:
	scratch_load_dwordx2 v[26:27], off, off offset:64
	v_mov_b32_e32 v28, 0
	v_mov_b32_e32 v29, v28
	scratch_store_dwordx2 off, v[28:29], off offset:64
	s_waitcnt vmcnt(1)
	ds_write_b64 v1, v[26:27]
.LBB11_69:
	s_or_b64 exec, exec, s[0:1]
	s_waitcnt lgkmcnt(0)
	; wave barrier
	scratch_load_dwordx4 v[28:31], off, off offset:72
	scratch_load_dwordx2 v[36:37], off, off offset:88
	scratch_load_dwordx2 v[38:39], off, off offset:64
	v_mov_b32_e32 v26, 0
	ds_read2_b64 v[32:35], v26 offset0:21 offset1:22
	ds_read_b64 v[40:41], v26 offset:184
	v_cmp_lt_u32_e32 vcc, 7, v0
	s_waitcnt vmcnt(2) lgkmcnt(1)
	v_pk_mul_f32 v[42:43], v[32:33], v[28:29] op_sel:[1,1] op_sel_hi:[0,1]
	v_mov_b32_e32 v44, v31
	v_pk_fma_f32 v[48:49], v[32:33], v[28:29], v[42:43] neg_lo:[0,0,1] neg_hi:[0,0,1]
	v_pk_fma_f32 v[28:29], v[32:33], v[28:29], v[42:43] op_sel_hi:[1,0,1]
	v_pk_mul_f32 v[32:33], v[34:35], v[44:45] op_sel:[1,0] op_sel_hi:[0,0]
	s_waitcnt vmcnt(1) lgkmcnt(0)
	v_pk_mul_f32 v[46:47], v[40:41], v[36:37] op_sel:[1,1] op_sel_hi:[0,1]
	v_mov_b32_e32 v49, v29
	v_pk_fma_f32 v[28:29], v[34:35], v[30:31], v[32:33] neg_lo:[0,0,1] neg_hi:[0,0,1]
	v_pk_fma_f32 v[30:31], v[34:35], v[30:31], v[32:33] op_sel_hi:[1,0,1]
	v_pk_fma_f32 v[42:43], v[40:41], v[36:37], v[46:47] neg_lo:[0,0,1] neg_hi:[0,0,1]
	v_pk_fma_f32 v[36:37], v[40:41], v[36:37], v[46:47] op_sel_hi:[1,0,1]
	v_pk_add_f32 v[32:33], v[48:49], 0 op_sel_hi:[1,0]
	v_mov_b32_e32 v29, v31
	v_mov_b32_e32 v43, v37
	v_pk_add_f32 v[28:29], v[32:33], v[28:29]
	s_nop 0
	v_pk_add_f32 v[28:29], v[28:29], v[42:43]
	s_waitcnt vmcnt(0)
	v_pk_add_f32 v[28:29], v[38:39], v[28:29] neg_lo:[0,1] neg_hi:[0,1]
	scratch_store_dwordx2 off, v[28:29], off offset:64
	s_and_saveexec_b64 s[0:1], vcc
	s_cbranch_execz .LBB11_71
; %bb.70:
	scratch_load_dwordx2 v[28:29], off, off offset:56
	v_mov_b32_e32 v27, v26
	scratch_store_dwordx2 off, v[26:27], off offset:56
	s_waitcnt vmcnt(1)
	ds_write_b64 v1, v[28:29]
.LBB11_71:
	s_or_b64 exec, exec, s[0:1]
	s_waitcnt lgkmcnt(0)
	; wave barrier
	scratch_load_dwordx4 v[28:31], off, off offset:64
	scratch_load_dwordx4 v[32:35], off, off offset:80
	scratch_load_dwordx2 v[44:45], off, off offset:56
	ds_read_b128 v[36:39], v26 offset:160
	ds_read_b128 v[40:43], v26 offset:176
	v_cmp_lt_u32_e32 vcc, 6, v0
	s_waitcnt vmcnt(2) lgkmcnt(1)
	v_pk_mul_f32 v[26:27], v[36:37], v[28:29] op_sel:[1,1] op_sel_hi:[0,1]
	v_mov_b32_e32 v46, v31
	s_waitcnt vmcnt(1) lgkmcnt(0)
	v_pk_mul_f32 v[48:49], v[40:41], v[32:33] op_sel:[1,1] op_sel_hi:[0,1]
	v_mov_b32_e32 v50, v35
	v_pk_fma_f32 v[52:53], v[36:37], v[28:29], v[26:27] neg_lo:[0,0,1] neg_hi:[0,0,1]
	v_pk_fma_f32 v[26:27], v[36:37], v[28:29], v[26:27] op_sel_hi:[1,0,1]
	v_pk_mul_f32 v[28:29], v[38:39], v[46:47] op_sel:[1,0] op_sel_hi:[0,0]
	v_pk_fma_f32 v[36:37], v[40:41], v[32:33], v[48:49] neg_lo:[0,0,1] neg_hi:[0,0,1]
	v_pk_fma_f32 v[32:33], v[40:41], v[32:33], v[48:49] op_sel_hi:[1,0,1]
	v_pk_mul_f32 v[40:41], v[42:43], v[50:51] op_sel:[1,0] op_sel_hi:[0,0]
	v_mov_b32_e32 v53, v27
	v_pk_fma_f32 v[26:27], v[38:39], v[30:31], v[28:29] neg_lo:[0,0,1] neg_hi:[0,0,1]
	v_pk_fma_f32 v[28:29], v[38:39], v[30:31], v[28:29] op_sel_hi:[1,0,1]
	v_mov_b32_e32 v37, v33
	v_pk_fma_f32 v[30:31], v[42:43], v[34:35], v[40:41] neg_lo:[0,0,1] neg_hi:[0,0,1]
	v_pk_fma_f32 v[32:33], v[42:43], v[34:35], v[40:41] op_sel_hi:[1,0,1]
	v_pk_add_f32 v[34:35], v[52:53], 0 op_sel_hi:[1,0]
	v_mov_b32_e32 v27, v29
	v_pk_add_f32 v[26:27], v[34:35], v[26:27]
	v_mov_b32_e32 v31, v33
	v_pk_add_f32 v[26:27], v[26:27], v[36:37]
	s_nop 0
	v_pk_add_f32 v[26:27], v[26:27], v[30:31]
	s_waitcnt vmcnt(0)
	v_pk_add_f32 v[26:27], v[44:45], v[26:27] neg_lo:[0,1] neg_hi:[0,1]
	scratch_store_dwordx2 off, v[26:27], off offset:56
	s_and_saveexec_b64 s[0:1], vcc
	s_cbranch_execz .LBB11_73
; %bb.72:
	scratch_load_dwordx2 v[26:27], off, off offset:48
	v_mov_b32_e32 v28, 0
	v_mov_b32_e32 v29, v28
	scratch_store_dwordx2 off, v[28:29], off offset:48
	s_waitcnt vmcnt(1)
	ds_write_b64 v1, v[26:27]
.LBB11_73:
	s_or_b64 exec, exec, s[0:1]
	s_waitcnt lgkmcnt(0)
	; wave barrier
	scratch_load_dwordx4 v[28:31], off, off offset:56
	scratch_load_dwordx4 v[32:35], off, off offset:72
	scratch_load_dwordx2 v[44:45], off, off offset:88
	scratch_load_dwordx2 v[46:47], off, off offset:48
	v_mov_b32_e32 v26, 0
	ds_read2_b64 v[36:39], v26 offset0:19 offset1:20
	ds_read2_b64 v[40:43], v26 offset0:21 offset1:22
	ds_read_b64 v[48:49], v26 offset:184
	v_cmp_lt_u32_e32 vcc, 5, v0
	s_waitcnt vmcnt(3) lgkmcnt(2)
	v_pk_mul_f32 v[50:51], v[36:37], v[28:29] op_sel:[1,1] op_sel_hi:[0,1]
	v_mov_b32_e32 v52, v31
	v_pk_fma_f32 v[60:61], v[36:37], v[28:29], v[50:51] neg_lo:[0,0,1] neg_hi:[0,0,1]
	v_pk_fma_f32 v[28:29], v[36:37], v[28:29], v[50:51] op_sel_hi:[1,0,1]
	v_pk_mul_f32 v[36:37], v[38:39], v[52:53] op_sel:[1,0] op_sel_hi:[0,0]
	s_waitcnt vmcnt(2) lgkmcnt(1)
	v_pk_mul_f32 v[54:55], v[40:41], v[32:33] op_sel:[1,1] op_sel_hi:[0,1]
	v_mov_b32_e32 v56, v35
	v_mov_b32_e32 v61, v29
	v_pk_fma_f32 v[28:29], v[38:39], v[30:31], v[36:37] neg_lo:[0,0,1] neg_hi:[0,0,1]
	v_pk_fma_f32 v[30:31], v[38:39], v[30:31], v[36:37] op_sel_hi:[1,0,1]
	v_pk_fma_f32 v[50:51], v[40:41], v[32:33], v[54:55] neg_lo:[0,0,1] neg_hi:[0,0,1]
	v_pk_fma_f32 v[32:33], v[40:41], v[32:33], v[54:55] op_sel_hi:[1,0,1]
	v_pk_mul_f32 v[40:41], v[42:43], v[56:57] op_sel:[1,0] op_sel_hi:[0,0]
	v_pk_add_f32 v[36:37], v[60:61], 0 op_sel_hi:[1,0]
	v_mov_b32_e32 v29, v31
	s_waitcnt vmcnt(1) lgkmcnt(0)
	v_pk_mul_f32 v[58:59], v[48:49], v[44:45] op_sel:[1,1] op_sel_hi:[0,1]
	v_mov_b32_e32 v51, v33
	v_pk_fma_f32 v[32:33], v[42:43], v[34:35], v[40:41] neg_lo:[0,0,1] neg_hi:[0,0,1]
	v_pk_fma_f32 v[34:35], v[42:43], v[34:35], v[40:41] op_sel_hi:[1,0,1]
	v_pk_add_f32 v[28:29], v[36:37], v[28:29]
	v_pk_fma_f32 v[52:53], v[48:49], v[44:45], v[58:59] neg_lo:[0,0,1] neg_hi:[0,0,1]
	v_pk_fma_f32 v[44:45], v[48:49], v[44:45], v[58:59] op_sel_hi:[1,0,1]
	v_mov_b32_e32 v33, v35
	v_pk_add_f32 v[28:29], v[28:29], v[50:51]
	v_mov_b32_e32 v53, v45
	v_pk_add_f32 v[28:29], v[28:29], v[32:33]
	s_nop 0
	v_pk_add_f32 v[28:29], v[28:29], v[52:53]
	s_waitcnt vmcnt(0)
	v_pk_add_f32 v[28:29], v[46:47], v[28:29] neg_lo:[0,1] neg_hi:[0,1]
	scratch_store_dwordx2 off, v[28:29], off offset:48
	s_and_saveexec_b64 s[0:1], vcc
	s_cbranch_execz .LBB11_75
; %bb.74:
	scratch_load_dwordx2 v[28:29], off, off offset:40
	v_mov_b32_e32 v27, v26
	scratch_store_dwordx2 off, v[26:27], off offset:40
	s_waitcnt vmcnt(1)
	ds_write_b64 v1, v[28:29]
.LBB11_75:
	s_or_b64 exec, exec, s[0:1]
	s_waitcnt lgkmcnt(0)
	; wave barrier
	scratch_load_dwordx4 v[28:31], off, off offset:48
	scratch_load_dwordx4 v[32:35], off, off offset:64
	;; [unrolled: 1-line block ×3, first 2 shown]
	scratch_load_dwordx2 v[52:53], off, off offset:40
	ds_read_b128 v[40:43], v26 offset:144
	ds_read_b128 v[44:47], v26 offset:160
	;; [unrolled: 1-line block ×3, first 2 shown]
	v_cmp_lt_u32_e32 vcc, 4, v0
	s_waitcnt vmcnt(3) lgkmcnt(2)
	v_pk_mul_f32 v[26:27], v[40:41], v[28:29] op_sel:[1,1] op_sel_hi:[0,1]
	v_mov_b32_e32 v54, v31
	s_waitcnt vmcnt(2) lgkmcnt(1)
	v_pk_mul_f32 v[56:57], v[44:45], v[32:33] op_sel:[1,1] op_sel_hi:[0,1]
	v_mov_b32_e32 v58, v35
	;; [unrolled: 3-line block ×3, first 2 shown]
	v_pk_fma_f32 v[64:65], v[40:41], v[28:29], v[26:27] neg_lo:[0,0,1] neg_hi:[0,0,1]
	v_pk_fma_f32 v[26:27], v[40:41], v[28:29], v[26:27] op_sel_hi:[1,0,1]
	v_pk_mul_f32 v[28:29], v[42:43], v[54:55] op_sel:[1,0] op_sel_hi:[0,0]
	v_pk_fma_f32 v[40:41], v[44:45], v[32:33], v[56:57] neg_lo:[0,0,1] neg_hi:[0,0,1]
	v_pk_fma_f32 v[32:33], v[44:45], v[32:33], v[56:57] op_sel_hi:[1,0,1]
	v_pk_mul_f32 v[44:45], v[46:47], v[58:59] op_sel:[1,0] op_sel_hi:[0,0]
	;; [unrolled: 3-line block ×3, first 2 shown]
	v_mov_b32_e32 v65, v27
	v_pk_fma_f32 v[26:27], v[42:43], v[30:31], v[28:29] neg_lo:[0,0,1] neg_hi:[0,0,1]
	v_pk_fma_f32 v[28:29], v[42:43], v[30:31], v[28:29] op_sel_hi:[1,0,1]
	v_mov_b32_e32 v41, v33
	v_pk_fma_f32 v[30:31], v[46:47], v[34:35], v[44:45] neg_lo:[0,0,1] neg_hi:[0,0,1]
	v_pk_fma_f32 v[32:33], v[46:47], v[34:35], v[44:45] op_sel_hi:[1,0,1]
	;; [unrolled: 3-line block ×3, first 2 shown]
	v_pk_add_f32 v[38:39], v[64:65], 0 op_sel_hi:[1,0]
	v_mov_b32_e32 v27, v29
	v_pk_add_f32 v[26:27], v[38:39], v[26:27]
	v_mov_b32_e32 v31, v33
	v_pk_add_f32 v[26:27], v[26:27], v[40:41]
	;; [unrolled: 2-line block ×3, first 2 shown]
	s_nop 0
	v_pk_add_f32 v[26:27], v[26:27], v[54:55]
	s_nop 0
	v_pk_add_f32 v[26:27], v[26:27], v[34:35]
	s_waitcnt vmcnt(0)
	v_pk_add_f32 v[26:27], v[52:53], v[26:27] neg_lo:[0,1] neg_hi:[0,1]
	scratch_store_dwordx2 off, v[26:27], off offset:40
	s_and_saveexec_b64 s[0:1], vcc
	s_cbranch_execz .LBB11_77
; %bb.76:
	scratch_load_dwordx2 v[26:27], off, off offset:32
	v_mov_b32_e32 v28, 0
	v_mov_b32_e32 v29, v28
	scratch_store_dwordx2 off, v[28:29], off offset:32
	s_waitcnt vmcnt(1)
	ds_write_b64 v1, v[26:27]
.LBB11_77:
	s_or_b64 exec, exec, s[0:1]
	s_waitcnt lgkmcnt(0)
	; wave barrier
	scratch_load_dwordx4 v[28:31], off, off offset:40
	scratch_load_dwordx4 v[32:35], off, off offset:56
	;; [unrolled: 1-line block ×3, first 2 shown]
	scratch_load_dwordx2 v[52:53], off, off offset:88
	scratch_load_dwordx2 v[54:55], off, off offset:32
	v_mov_b32_e32 v26, 0
	ds_read2_b64 v[40:43], v26 offset0:17 offset1:18
	ds_read2_b64 v[44:47], v26 offset0:19 offset1:20
	;; [unrolled: 1-line block ×3, first 2 shown]
	ds_read_b64 v[56:57], v26 offset:184
	v_cmp_lt_u32_e32 vcc, 3, v0
	s_waitcnt vmcnt(4) lgkmcnt(3)
	v_pk_mul_f32 v[58:59], v[40:41], v[28:29] op_sel:[1,1] op_sel_hi:[0,1]
	v_mov_b32_e32 v60, v31
	v_pk_fma_f32 v[72:73], v[40:41], v[28:29], v[58:59] neg_lo:[0,0,1] neg_hi:[0,0,1]
	v_pk_fma_f32 v[28:29], v[40:41], v[28:29], v[58:59] op_sel_hi:[1,0,1]
	v_pk_mul_f32 v[40:41], v[42:43], v[60:61] op_sel:[1,0] op_sel_hi:[0,0]
	s_waitcnt vmcnt(3) lgkmcnt(2)
	v_pk_mul_f32 v[62:63], v[44:45], v[32:33] op_sel:[1,1] op_sel_hi:[0,1]
	v_mov_b32_e32 v64, v35
	v_mov_b32_e32 v73, v29
	v_pk_fma_f32 v[28:29], v[42:43], v[30:31], v[40:41] neg_lo:[0,0,1] neg_hi:[0,0,1]
	v_pk_fma_f32 v[30:31], v[42:43], v[30:31], v[40:41] op_sel_hi:[1,0,1]
	v_pk_fma_f32 v[58:59], v[44:45], v[32:33], v[62:63] neg_lo:[0,0,1] neg_hi:[0,0,1]
	v_pk_fma_f32 v[32:33], v[44:45], v[32:33], v[62:63] op_sel_hi:[1,0,1]
	v_pk_mul_f32 v[44:45], v[46:47], v[64:65] op_sel:[1,0] op_sel_hi:[0,0]
	v_pk_add_f32 v[40:41], v[72:73], 0 op_sel_hi:[1,0]
	v_mov_b32_e32 v29, v31
	s_waitcnt vmcnt(2) lgkmcnt(1)
	v_pk_mul_f32 v[66:67], v[48:49], v[36:37] op_sel:[1,1] op_sel_hi:[0,1]
	v_mov_b32_e32 v68, v39
	v_mov_b32_e32 v59, v33
	v_pk_fma_f32 v[32:33], v[46:47], v[34:35], v[44:45] neg_lo:[0,0,1] neg_hi:[0,0,1]
	v_pk_fma_f32 v[34:35], v[46:47], v[34:35], v[44:45] op_sel_hi:[1,0,1]
	v_pk_add_f32 v[28:29], v[40:41], v[28:29]
	v_pk_fma_f32 v[60:61], v[48:49], v[36:37], v[66:67] neg_lo:[0,0,1] neg_hi:[0,0,1]
	v_pk_fma_f32 v[36:37], v[48:49], v[36:37], v[66:67] op_sel_hi:[1,0,1]
	v_pk_mul_f32 v[48:49], v[50:51], v[68:69] op_sel:[1,0] op_sel_hi:[0,0]
	v_mov_b32_e32 v33, v35
	v_pk_add_f32 v[28:29], v[28:29], v[58:59]
	s_waitcnt vmcnt(1) lgkmcnt(0)
	v_pk_mul_f32 v[70:71], v[56:57], v[52:53] op_sel:[1,1] op_sel_hi:[0,1]
	v_mov_b32_e32 v61, v37
	v_pk_fma_f32 v[36:37], v[50:51], v[38:39], v[48:49] neg_lo:[0,0,1] neg_hi:[0,0,1]
	v_pk_fma_f32 v[38:39], v[50:51], v[38:39], v[48:49] op_sel_hi:[1,0,1]
	v_pk_add_f32 v[28:29], v[28:29], v[32:33]
	v_pk_fma_f32 v[62:63], v[56:57], v[52:53], v[70:71] neg_lo:[0,0,1] neg_hi:[0,0,1]
	v_pk_fma_f32 v[52:53], v[56:57], v[52:53], v[70:71] op_sel_hi:[1,0,1]
	v_mov_b32_e32 v37, v39
	v_pk_add_f32 v[28:29], v[28:29], v[60:61]
	v_mov_b32_e32 v63, v53
	v_pk_add_f32 v[28:29], v[28:29], v[36:37]
	s_nop 0
	v_pk_add_f32 v[28:29], v[28:29], v[62:63]
	s_waitcnt vmcnt(0)
	v_pk_add_f32 v[28:29], v[54:55], v[28:29] neg_lo:[0,1] neg_hi:[0,1]
	scratch_store_dwordx2 off, v[28:29], off offset:32
	s_and_saveexec_b64 s[0:1], vcc
	s_cbranch_execz .LBB11_79
; %bb.78:
	scratch_load_dwordx2 v[28:29], off, off offset:24
	v_mov_b32_e32 v27, v26
	scratch_store_dwordx2 off, v[26:27], off offset:24
	s_waitcnt vmcnt(1)
	ds_write_b64 v1, v[28:29]
.LBB11_79:
	s_or_b64 exec, exec, s[0:1]
	s_waitcnt lgkmcnt(0)
	; wave barrier
	scratch_load_dwordx4 v[28:31], off, off offset:32
	scratch_load_dwordx4 v[32:35], off, off offset:48
	;; [unrolled: 1-line block ×4, first 2 shown]
	scratch_load_dwordx2 v[60:61], off, off offset:24
	ds_read_b128 v[44:47], v26 offset:128
	ds_read_b128 v[48:51], v26 offset:144
	;; [unrolled: 1-line block ×4, first 2 shown]
	v_cmp_lt_u32_e32 vcc, 2, v0
	s_waitcnt vmcnt(4) lgkmcnt(3)
	v_pk_mul_f32 v[26:27], v[44:45], v[28:29] op_sel:[1,1] op_sel_hi:[0,1]
	v_mov_b32_e32 v62, v31
	s_waitcnt vmcnt(3) lgkmcnt(2)
	v_pk_mul_f32 v[64:65], v[48:49], v[32:33] op_sel:[1,1] op_sel_hi:[0,1]
	v_mov_b32_e32 v66, v35
	;; [unrolled: 3-line block ×4, first 2 shown]
	v_pk_fma_f32 v[76:77], v[44:45], v[28:29], v[26:27] neg_lo:[0,0,1] neg_hi:[0,0,1]
	v_pk_fma_f32 v[26:27], v[44:45], v[28:29], v[26:27] op_sel_hi:[1,0,1]
	v_pk_mul_f32 v[28:29], v[46:47], v[62:63] op_sel:[1,0] op_sel_hi:[0,0]
	v_pk_fma_f32 v[44:45], v[48:49], v[32:33], v[64:65] neg_lo:[0,0,1] neg_hi:[0,0,1]
	v_pk_fma_f32 v[32:33], v[48:49], v[32:33], v[64:65] op_sel_hi:[1,0,1]
	v_pk_mul_f32 v[48:49], v[50:51], v[66:67] op_sel:[1,0] op_sel_hi:[0,0]
	;; [unrolled: 3-line block ×4, first 2 shown]
	v_mov_b32_e32 v77, v27
	v_pk_fma_f32 v[26:27], v[46:47], v[30:31], v[28:29] neg_lo:[0,0,1] neg_hi:[0,0,1]
	v_pk_fma_f32 v[28:29], v[46:47], v[30:31], v[28:29] op_sel_hi:[1,0,1]
	v_mov_b32_e32 v45, v33
	v_pk_fma_f32 v[30:31], v[50:51], v[34:35], v[48:49] neg_lo:[0,0,1] neg_hi:[0,0,1]
	v_pk_fma_f32 v[32:33], v[50:51], v[34:35], v[48:49] op_sel_hi:[1,0,1]
	;; [unrolled: 3-line block ×4, first 2 shown]
	v_pk_add_f32 v[42:43], v[76:77], 0 op_sel_hi:[1,0]
	v_mov_b32_e32 v27, v29
	v_pk_add_f32 v[26:27], v[42:43], v[26:27]
	v_mov_b32_e32 v31, v33
	v_pk_add_f32 v[26:27], v[26:27], v[44:45]
	;; [unrolled: 2-line block ×4, first 2 shown]
	s_nop 0
	v_pk_add_f32 v[26:27], v[26:27], v[34:35]
	s_nop 0
	v_pk_add_f32 v[26:27], v[26:27], v[64:65]
	;; [unrolled: 2-line block ×3, first 2 shown]
	s_waitcnt vmcnt(0)
	v_pk_add_f32 v[26:27], v[60:61], v[26:27] neg_lo:[0,1] neg_hi:[0,1]
	scratch_store_dwordx2 off, v[26:27], off offset:24
	s_and_saveexec_b64 s[0:1], vcc
	s_cbranch_execz .LBB11_81
; %bb.80:
	scratch_load_dwordx2 v[26:27], off, off offset:16
	v_mov_b32_e32 v28, 0
	v_mov_b32_e32 v29, v28
	scratch_store_dwordx2 off, v[28:29], off offset:16
	s_waitcnt vmcnt(1)
	ds_write_b64 v1, v[26:27]
.LBB11_81:
	s_or_b64 exec, exec, s[0:1]
	s_waitcnt lgkmcnt(0)
	; wave barrier
	scratch_load_dwordx4 v[28:31], off, off offset:24
	scratch_load_dwordx4 v[32:35], off, off offset:40
	;; [unrolled: 1-line block ×4, first 2 shown]
	scratch_load_dwordx2 v[60:61], off, off offset:88
	scratch_load_dwordx2 v[62:63], off, off offset:16
	v_mov_b32_e32 v26, 0
	ds_read2_b64 v[44:47], v26 offset0:15 offset1:16
	ds_read2_b64 v[48:51], v26 offset0:17 offset1:18
	;; [unrolled: 1-line block ×4, first 2 shown]
	ds_read_b64 v[64:65], v26 offset:184
	v_cmp_lt_u32_e32 vcc, 1, v0
	s_waitcnt vmcnt(5) lgkmcnt(4)
	v_mul_f32_e32 v67, v44, v29
	v_mul_f32_e32 v27, v45, v29
	v_mov_b32_e32 v68, v31
	s_waitcnt vmcnt(4) lgkmcnt(3)
	v_pk_mul_f32 v[70:71], v[48:49], v[32:33] op_sel:[1,1] op_sel_hi:[0,1]
	v_mov_b32_e32 v72, v35
	s_waitcnt vmcnt(1) lgkmcnt(0)
	v_pk_mul_f32 v[82:83], v[64:65], v[60:61] op_sel:[1,1] op_sel_hi:[0,1]
	v_fmac_f32_e32 v67, v45, v28
	v_fma_f32 v66, v44, v28, -v27
	v_pk_mul_f32 v[28:29], v[46:47], v[68:69] op_sel:[1,0] op_sel_hi:[0,0]
	v_pk_fma_f32 v[44:45], v[48:49], v[32:33], v[70:71] neg_lo:[0,0,1] neg_hi:[0,0,1]
	v_pk_fma_f32 v[32:33], v[48:49], v[32:33], v[70:71] op_sel_hi:[1,0,1]
	v_pk_mul_f32 v[48:49], v[50:51], v[72:73] op_sel:[1,0] op_sel_hi:[0,0]
	v_pk_fma_f32 v[72:73], v[64:65], v[60:61], v[82:83] neg_lo:[0,0,1] neg_hi:[0,0,1]
	v_pk_fma_f32 v[60:61], v[64:65], v[60:61], v[82:83] op_sel_hi:[1,0,1]
	v_pk_add_f32 v[64:65], v[66:67], 0 op_sel_hi:[1,0]
	v_pk_fma_f32 v[66:67], v[46:47], v[30:31], v[28:29] neg_lo:[0,0,1] neg_hi:[0,0,1]
	v_pk_fma_f32 v[28:29], v[46:47], v[30:31], v[28:29] op_sel_hi:[1,0,1]
	v_pk_mul_f32 v[74:75], v[52:53], v[36:37] op_sel:[1,1] op_sel_hi:[0,1]
	v_mov_b32_e32 v67, v29
	v_mov_b32_e32 v76, v39
	;; [unrolled: 1-line block ×3, first 2 shown]
	v_pk_fma_f32 v[30:31], v[50:51], v[34:35], v[48:49] neg_lo:[0,0,1] neg_hi:[0,0,1]
	v_pk_fma_f32 v[32:33], v[50:51], v[34:35], v[48:49] op_sel_hi:[1,0,1]
	v_pk_add_f32 v[28:29], v[64:65], v[66:67]
	v_pk_fma_f32 v[68:69], v[52:53], v[36:37], v[74:75] neg_lo:[0,0,1] neg_hi:[0,0,1]
	v_pk_fma_f32 v[36:37], v[52:53], v[36:37], v[74:75] op_sel_hi:[1,0,1]
	v_pk_mul_f32 v[52:53], v[54:55], v[76:77] op_sel:[1,0] op_sel_hi:[0,0]
	v_mov_b32_e32 v31, v33
	v_pk_add_f32 v[28:29], v[28:29], v[44:45]
	v_pk_mul_f32 v[78:79], v[56:57], v[40:41] op_sel:[1,1] op_sel_hi:[0,1]
	v_mov_b32_e32 v80, v43
	v_mov_b32_e32 v69, v37
	v_pk_fma_f32 v[34:35], v[54:55], v[38:39], v[52:53] neg_lo:[0,0,1] neg_hi:[0,0,1]
	v_pk_fma_f32 v[36:37], v[54:55], v[38:39], v[52:53] op_sel_hi:[1,0,1]
	v_pk_add_f32 v[28:29], v[28:29], v[30:31]
	v_pk_fma_f32 v[70:71], v[56:57], v[40:41], v[78:79] neg_lo:[0,0,1] neg_hi:[0,0,1]
	v_pk_fma_f32 v[40:41], v[56:57], v[40:41], v[78:79] op_sel_hi:[1,0,1]
	v_pk_mul_f32 v[56:57], v[58:59], v[80:81] op_sel:[1,0] op_sel_hi:[0,0]
	v_mov_b32_e32 v35, v37
	v_pk_add_f32 v[28:29], v[28:29], v[68:69]
	v_mov_b32_e32 v71, v41
	v_pk_fma_f32 v[38:39], v[58:59], v[42:43], v[56:57] neg_lo:[0,0,1] neg_hi:[0,0,1]
	v_pk_fma_f32 v[40:41], v[58:59], v[42:43], v[56:57] op_sel_hi:[1,0,1]
	v_pk_add_f32 v[28:29], v[28:29], v[34:35]
	v_mov_b32_e32 v39, v41
	v_pk_add_f32 v[28:29], v[28:29], v[70:71]
	v_mov_b32_e32 v73, v61
	v_pk_add_f32 v[28:29], v[28:29], v[38:39]
	s_nop 0
	v_pk_add_f32 v[28:29], v[28:29], v[72:73]
	s_waitcnt vmcnt(0)
	v_pk_add_f32 v[28:29], v[62:63], v[28:29] neg_lo:[0,1] neg_hi:[0,1]
	scratch_store_dwordx2 off, v[28:29], off offset:16
	s_and_saveexec_b64 s[0:1], vcc
	s_cbranch_execz .LBB11_83
; %bb.82:
	scratch_load_dwordx2 v[28:29], off, off offset:8
	v_mov_b32_e32 v27, v26
	scratch_store_dwordx2 off, v[26:27], off offset:8
	s_waitcnt vmcnt(1)
	ds_write_b64 v1, v[28:29]
.LBB11_83:
	s_or_b64 exec, exec, s[0:1]
	s_waitcnt lgkmcnt(0)
	; wave barrier
	scratch_load_dwordx4 v[28:31], off, off offset:16
	scratch_load_dwordx4 v[32:35], off, off offset:32
	;; [unrolled: 1-line block ×5, first 2 shown]
	scratch_load_dwordx2 v[68:69], off, off offset:8
	ds_read_b128 v[48:51], v26 offset:112
	ds_read_b128 v[52:55], v26 offset:128
	;; [unrolled: 1-line block ×5, first 2 shown]
	v_cmp_ne_u32_e32 vcc, 0, v0
	s_waitcnt vmcnt(5) lgkmcnt(4)
	v_mul_f32_e32 v27, v48, v29
	v_mul_f32_e32 v26, v49, v29
	;; [unrolled: 1-line block ×4, first 2 shown]
	s_waitcnt vmcnt(4) lgkmcnt(3)
	v_pk_mul_f32 v[72:73], v[52:53], v[32:33] op_sel:[1,1] op_sel_hi:[0,1]
	v_mov_b32_e32 v74, v35
	v_fmac_f32_e32 v27, v49, v28
	v_fma_f32 v26, v48, v28, -v26
	v_fmac_f32_e32 v71, v51, v30
	v_fma_f32 v70, v50, v30, -v29
	v_pk_fma_f32 v[28:29], v[52:53], v[32:33], v[72:73] neg_lo:[0,0,1] neg_hi:[0,0,1]
	v_pk_fma_f32 v[30:31], v[52:53], v[32:33], v[72:73] op_sel_hi:[1,0,1]
	v_pk_mul_f32 v[32:33], v[54:55], v[74:75] op_sel:[1,0] op_sel_hi:[0,0]
	v_pk_add_f32 v[26:27], v[26:27], 0 op_sel_hi:[1,0]
	s_waitcnt vmcnt(3) lgkmcnt(2)
	v_pk_mul_f32 v[76:77], v[56:57], v[36:37] op_sel:[1,1] op_sel_hi:[0,1]
	v_mov_b32_e32 v78, v39
	v_mov_b32_e32 v29, v31
	v_pk_fma_f32 v[30:31], v[54:55], v[34:35], v[32:33] neg_lo:[0,0,1] neg_hi:[0,0,1]
	v_pk_fma_f32 v[32:33], v[54:55], v[34:35], v[32:33] op_sel_hi:[1,0,1]
	v_pk_add_f32 v[26:27], v[26:27], v[70:71]
	v_pk_fma_f32 v[48:49], v[56:57], v[36:37], v[76:77] neg_lo:[0,0,1] neg_hi:[0,0,1]
	v_pk_fma_f32 v[36:37], v[56:57], v[36:37], v[76:77] op_sel_hi:[1,0,1]
	v_pk_mul_f32 v[50:51], v[58:59], v[78:79] op_sel:[1,0] op_sel_hi:[0,0]
	v_mov_b32_e32 v31, v33
	v_pk_add_f32 v[26:27], v[26:27], v[28:29]
	s_waitcnt vmcnt(2) lgkmcnt(1)
	v_pk_mul_f32 v[80:81], v[60:61], v[40:41] op_sel:[1,1] op_sel_hi:[0,1]
	v_mov_b32_e32 v82, v43
	v_mov_b32_e32 v49, v37
	v_pk_fma_f32 v[34:35], v[58:59], v[38:39], v[50:51] neg_lo:[0,0,1] neg_hi:[0,0,1]
	v_pk_fma_f32 v[36:37], v[58:59], v[38:39], v[50:51] op_sel_hi:[1,0,1]
	v_pk_add_f32 v[26:27], v[26:27], v[30:31]
	v_pk_fma_f32 v[52:53], v[60:61], v[40:41], v[80:81] neg_lo:[0,0,1] neg_hi:[0,0,1]
	v_pk_fma_f32 v[40:41], v[60:61], v[40:41], v[80:81] op_sel_hi:[1,0,1]
	v_pk_mul_f32 v[56:57], v[62:63], v[82:83] op_sel:[1,0] op_sel_hi:[0,0]
	v_mov_b32_e32 v35, v37
	v_pk_add_f32 v[26:27], v[26:27], v[48:49]
	;; [unrolled: 12-line block ×3, first 2 shown]
	v_mov_b32_e32 v61, v45
	v_pk_fma_f32 v[42:43], v[66:67], v[46:47], v[64:65] neg_lo:[0,0,1] neg_hi:[0,0,1]
	v_pk_fma_f32 v[44:45], v[66:67], v[46:47], v[64:65] op_sel_hi:[1,0,1]
	v_pk_add_f32 v[26:27], v[26:27], v[38:39]
	v_mov_b32_e32 v43, v45
	v_pk_add_f32 v[26:27], v[26:27], v[60:61]
	s_nop 0
	v_pk_add_f32 v[26:27], v[26:27], v[42:43]
	s_waitcnt vmcnt(0)
	v_pk_add_f32 v[26:27], v[68:69], v[26:27] neg_lo:[0,1] neg_hi:[0,1]
	scratch_store_dwordx2 off, v[26:27], off offset:8
	s_and_saveexec_b64 s[0:1], vcc
	s_cbranch_execz .LBB11_85
; %bb.84:
	scratch_load_dwordx2 v[26:27], off, off
	v_mov_b32_e32 v28, 0
	v_mov_b32_e32 v29, v28
	scratch_store_dwordx2 off, v[28:29], off
	s_waitcnt vmcnt(1)
	ds_write_b64 v1, v[26:27]
.LBB11_85:
	s_or_b64 exec, exec, s[0:1]
	s_waitcnt lgkmcnt(0)
	; wave barrier
	scratch_load_dwordx4 v[28:31], off, off offset:8
	scratch_load_dwordx4 v[32:35], off, off offset:24
	;; [unrolled: 1-line block ×5, first 2 shown]
	scratch_load_dwordx2 v[0:1], off, off offset:88
	scratch_load_dwordx2 v[68:69], off, off
	v_mov_b32_e32 v26, 0
	ds_read2_b64 v[48:51], v26 offset0:13 offset1:14
	ds_read2_b64 v[52:55], v26 offset0:15 offset1:16
	;; [unrolled: 1-line block ×5, first 2 shown]
	ds_read_b64 v[70:71], v26 offset:184
	s_and_b64 vcc, exec, s[18:19]
	s_waitcnt vmcnt(6) lgkmcnt(5)
	v_mul_f32_e32 v27, v48, v29
	v_mul_f32_e32 v29, v49, v29
	;; [unrolled: 1-line block ×3, first 2 shown]
	s_waitcnt vmcnt(5) lgkmcnt(4)
	v_mul_f32_e32 v75, v52, v33
	v_mul_f32_e32 v31, v51, v31
	;; [unrolled: 1-line block ×3, first 2 shown]
	v_mov_b32_e32 v76, v35
	s_waitcnt vmcnt(3) lgkmcnt(2)
	v_pk_mul_f32 v[82:83], v[60:61], v[40:41] op_sel:[1,1] op_sel_hi:[0,1]
	s_waitcnt vmcnt(2) lgkmcnt(1)
	v_pk_mul_f32 v[86:87], v[64:65], v[44:45] op_sel:[1,1] op_sel_hi:[0,1]
	;; [unrolled: 2-line block ×3, first 2 shown]
	v_fmac_f32_e32 v27, v49, v28
	v_fma_f32 v77, v48, v28, -v29
	v_fmac_f32_e32 v73, v51, v30
	v_fmac_f32_e32 v75, v53, v32
	v_fma_f32 v72, v50, v30, -v31
	v_fma_f32 v74, v52, v32, -v33
	v_pk_mul_f32 v[28:29], v[54:55], v[76:77] op_sel:[1,0] op_sel_hi:[0,0]
	v_pk_fma_f32 v[48:49], v[60:61], v[40:41], v[82:83] neg_lo:[0,0,1] neg_hi:[0,0,1]
	v_pk_fma_f32 v[40:41], v[60:61], v[40:41], v[82:83] op_sel_hi:[1,0,1]
	v_pk_fma_f32 v[52:53], v[64:65], v[44:45], v[86:87] neg_lo:[0,0,1] neg_hi:[0,0,1]
	v_pk_fma_f32 v[44:45], v[64:65], v[44:45], v[86:87] op_sel_hi:[1,0,1]
	;; [unrolled: 2-line block ×3, first 2 shown]
	v_add_f32_e32 v65, 0, v27
	v_add_f32_e32 v64, 0, v77
	v_pk_mul_f32 v[78:79], v[56:57], v[36:37] op_sel:[1,1] op_sel_hi:[0,1]
	v_mov_b32_e32 v80, v39
	v_pk_fma_f32 v[70:71], v[54:55], v[34:35], v[28:29] neg_lo:[0,0,1] neg_hi:[0,0,1]
	v_pk_fma_f32 v[28:29], v[54:55], v[34:35], v[28:29] op_sel_hi:[1,0,1]
	v_mov_b32_e32 v61, v1
	v_pk_add_f32 v[0:1], v[64:65], v[72:73]
	v_pk_fma_f32 v[30:31], v[56:57], v[36:37], v[78:79] neg_lo:[0,0,1] neg_hi:[0,0,1]
	v_pk_fma_f32 v[32:33], v[56:57], v[36:37], v[78:79] op_sel_hi:[1,0,1]
	v_pk_mul_f32 v[36:37], v[58:59], v[80:81] op_sel:[1,0] op_sel_hi:[0,0]
	v_mov_b32_e32 v71, v29
	v_pk_add_f32 v[0:1], v[0:1], v[74:75]
	v_mov_b32_e32 v84, v43
	v_mov_b32_e32 v31, v33
	v_pk_fma_f32 v[32:33], v[58:59], v[38:39], v[36:37] neg_lo:[0,0,1] neg_hi:[0,0,1]
	v_pk_fma_f32 v[34:35], v[58:59], v[38:39], v[36:37] op_sel_hi:[1,0,1]
	v_pk_add_f32 v[0:1], v[0:1], v[70:71]
	v_pk_mul_f32 v[50:51], v[62:63], v[84:85] op_sel:[1,0] op_sel_hi:[0,0]
	v_mov_b32_e32 v33, v35
	v_pk_add_f32 v[0:1], v[0:1], v[30:31]
	v_mov_b32_e32 v88, v47
	v_mov_b32_e32 v49, v41
	v_pk_fma_f32 v[36:37], v[62:63], v[42:43], v[50:51] neg_lo:[0,0,1] neg_hi:[0,0,1]
	v_pk_fma_f32 v[38:39], v[62:63], v[42:43], v[50:51] op_sel_hi:[1,0,1]
	v_pk_add_f32 v[0:1], v[0:1], v[32:33]
	v_pk_mul_f32 v[56:57], v[66:67], v[88:89] op_sel:[1,0] op_sel_hi:[0,0]
	v_mov_b32_e32 v37, v39
	v_pk_add_f32 v[0:1], v[0:1], v[48:49]
	v_mov_b32_e32 v53, v45
	v_pk_fma_f32 v[40:41], v[66:67], v[46:47], v[56:57] neg_lo:[0,0,1] neg_hi:[0,0,1]
	v_pk_fma_f32 v[42:43], v[66:67], v[46:47], v[56:57] op_sel_hi:[1,0,1]
	v_pk_add_f32 v[0:1], v[0:1], v[36:37]
	v_mov_b32_e32 v41, v43
	v_pk_add_f32 v[0:1], v[0:1], v[52:53]
	s_nop 0
	v_pk_add_f32 v[0:1], v[0:1], v[40:41]
	s_nop 0
	v_pk_add_f32 v[0:1], v[0:1], v[60:61]
	s_waitcnt vmcnt(0)
	v_pk_add_f32 v[0:1], v[68:69], v[0:1] neg_lo:[0,1] neg_hi:[0,1]
	scratch_store_dwordx2 off, v[0:1], off
	s_cbranch_vccz .LBB11_108
; %bb.86:
	global_load_dword v0, v26, s[16:17] offset:40
	s_waitcnt vmcnt(0)
	v_readfirstlane_b32 s0, v0
	s_add_i32 s0, s0, -1
	s_cmp_lg_u32 s0, 10
	s_cbranch_scc0 .LBB11_88
; %bb.87:
	s_lshl_b32 s0, s0, 3
	s_nop 0
	scratch_load_dwordx2 v[0:1], off, s0
	scratch_load_dwordx2 v[26:27], off, off offset:80
	s_waitcnt vmcnt(1)
	scratch_store_dwordx2 off, v[0:1], off offset:80
	s_waitcnt vmcnt(1)
	scratch_store_dwordx2 off, v[26:27], s0
.LBB11_88:
	v_mov_b32_e32 v0, 0
	global_load_dword v1, v0, s[16:17] offset:36
	s_waitcnt vmcnt(0)
	v_readfirstlane_b32 s0, v1
	s_add_i32 s0, s0, -1
	s_cmp_eq_u32 s0, 9
	s_cbranch_scc1 .LBB11_90
; %bb.89:
	s_lshl_b32 s0, s0, 3
	s_nop 0
	scratch_load_dwordx2 v[26:27], off, s0
	scratch_load_dwordx2 v[28:29], off, off offset:72
	s_waitcnt vmcnt(1)
	scratch_store_dwordx2 off, v[26:27], off offset:72
	s_waitcnt vmcnt(1)
	scratch_store_dwordx2 off, v[28:29], s0
.LBB11_90:
	global_load_dword v0, v0, s[16:17] offset:32
	s_waitcnt vmcnt(0)
	v_readfirstlane_b32 s0, v0
	s_add_i32 s0, s0, -1
	s_cmp_eq_u32 s0, 8
	s_cbranch_scc1 .LBB11_92
; %bb.91:
	s_lshl_b32 s0, s0, 3
	s_nop 0
	scratch_load_dwordx2 v[0:1], off, s0
	scratch_load_dwordx2 v[26:27], off, off offset:64
	s_waitcnt vmcnt(1)
	scratch_store_dwordx2 off, v[0:1], off offset:64
	s_waitcnt vmcnt(1)
	scratch_store_dwordx2 off, v[26:27], s0
.LBB11_92:
	v_mov_b32_e32 v0, 0
	global_load_dword v1, v0, s[16:17] offset:28
	s_waitcnt vmcnt(0)
	v_readfirstlane_b32 s0, v1
	s_add_i32 s0, s0, -1
	s_cmp_eq_u32 s0, 7
	s_cbranch_scc1 .LBB11_94
; %bb.93:
	s_lshl_b32 s0, s0, 3
	s_nop 0
	scratch_load_dwordx2 v[26:27], off, s0
	scratch_load_dwordx2 v[28:29], off, off offset:56
	s_waitcnt vmcnt(1)
	scratch_store_dwordx2 off, v[26:27], off offset:56
	s_waitcnt vmcnt(1)
	scratch_store_dwordx2 off, v[28:29], s0
.LBB11_94:
	global_load_dword v0, v0, s[16:17] offset:24
	s_waitcnt vmcnt(0)
	v_readfirstlane_b32 s0, v0
	s_add_i32 s0, s0, -1
	s_cmp_eq_u32 s0, 6
	s_cbranch_scc1 .LBB11_96
; %bb.95:
	s_lshl_b32 s0, s0, 3
	s_nop 0
	scratch_load_dwordx2 v[0:1], off, s0
	scratch_load_dwordx2 v[26:27], off, off offset:48
	s_waitcnt vmcnt(1)
	scratch_store_dwordx2 off, v[0:1], off offset:48
	s_waitcnt vmcnt(1)
	scratch_store_dwordx2 off, v[26:27], s0
.LBB11_96:
	v_mov_b32_e32 v0, 0
	global_load_dword v1, v0, s[16:17] offset:20
	s_waitcnt vmcnt(0)
	v_readfirstlane_b32 s0, v1
	s_add_i32 s0, s0, -1
	s_cmp_eq_u32 s0, 5
	s_cbranch_scc1 .LBB11_98
; %bb.97:
	s_lshl_b32 s0, s0, 3
	s_nop 0
	scratch_load_dwordx2 v[26:27], off, s0
	scratch_load_dwordx2 v[28:29], off, off offset:40
	s_waitcnt vmcnt(1)
	scratch_store_dwordx2 off, v[26:27], off offset:40
	s_waitcnt vmcnt(1)
	scratch_store_dwordx2 off, v[28:29], s0
.LBB11_98:
	global_load_dword v0, v0, s[16:17] offset:16
	s_waitcnt vmcnt(0)
	v_readfirstlane_b32 s0, v0
	s_add_i32 s0, s0, -1
	s_cmp_eq_u32 s0, 4
	s_cbranch_scc1 .LBB11_100
; %bb.99:
	s_lshl_b32 s0, s0, 3
	s_nop 0
	scratch_load_dwordx2 v[0:1], off, s0
	scratch_load_dwordx2 v[26:27], off, off offset:32
	s_waitcnt vmcnt(1)
	scratch_store_dwordx2 off, v[0:1], off offset:32
	s_waitcnt vmcnt(1)
	scratch_store_dwordx2 off, v[26:27], s0
.LBB11_100:
	v_mov_b32_e32 v0, 0
	global_load_dword v1, v0, s[16:17] offset:12
	s_waitcnt vmcnt(0)
	v_readfirstlane_b32 s0, v1
	s_add_i32 s0, s0, -1
	s_cmp_eq_u32 s0, 3
	s_cbranch_scc1 .LBB11_102
; %bb.101:
	s_lshl_b32 s0, s0, 3
	s_nop 0
	scratch_load_dwordx2 v[26:27], off, s0
	scratch_load_dwordx2 v[28:29], off, off offset:24
	s_waitcnt vmcnt(1)
	scratch_store_dwordx2 off, v[26:27], off offset:24
	s_waitcnt vmcnt(1)
	scratch_store_dwordx2 off, v[28:29], s0
.LBB11_102:
	global_load_dword v0, v0, s[16:17] offset:8
	s_waitcnt vmcnt(0)
	v_readfirstlane_b32 s0, v0
	s_add_i32 s0, s0, -1
	s_cmp_eq_u32 s0, 2
	s_cbranch_scc1 .LBB11_104
; %bb.103:
	s_lshl_b32 s0, s0, 3
	s_nop 0
	scratch_load_dwordx2 v[0:1], off, s0
	scratch_load_dwordx2 v[26:27], off, off offset:16
	s_waitcnt vmcnt(1)
	scratch_store_dwordx2 off, v[0:1], off offset:16
	s_waitcnt vmcnt(1)
	scratch_store_dwordx2 off, v[26:27], s0
.LBB11_104:
	v_mov_b32_e32 v0, 0
	global_load_dword v1, v0, s[16:17] offset:4
	s_waitcnt vmcnt(0)
	v_readfirstlane_b32 s0, v1
	s_add_i32 s0, s0, -1
	s_cmp_eq_u32 s0, 1
	s_cbranch_scc1 .LBB11_106
; %bb.105:
	s_lshl_b32 s0, s0, 3
	s_nop 0
	scratch_load_dwordx2 v[26:27], off, s0
	scratch_load_dwordx2 v[28:29], off, off offset:8
	s_waitcnt vmcnt(1)
	scratch_store_dwordx2 off, v[26:27], off offset:8
	s_waitcnt vmcnt(1)
	scratch_store_dwordx2 off, v[28:29], s0
.LBB11_106:
	global_load_dword v26, v0, s[16:17]
	s_nop 0
	scratch_load_dwordx2 v[0:1], off, off
	s_waitcnt vmcnt(1)
	v_readfirstlane_b32 s0, v26
	s_add_i32 s0, s0, -1
	s_cmp_eq_u32 s0, 0
	s_cbranch_scc1 .LBB11_108
; %bb.107:
	s_lshl_b32 s0, s0, 3
	s_nop 0
	scratch_load_dwordx2 v[26:27], off, s0
	s_waitcnt vmcnt(0)
	scratch_store_dwordx2 off, v[26:27], off
	scratch_store_dwordx2 off, v[0:1], s0
	scratch_load_dwordx2 v[0:1], off, off
.LBB11_108:
	s_nop 0
	scratch_load_dwordx4 v[28:31], off, off offset:8
	scratch_load_dwordx4 v[32:35], off, off offset:24
	;; [unrolled: 1-line block ×5, first 2 shown]
	scratch_load_dwordx2 v[26:27], off, off offset:88
	s_waitcnt vmcnt(6)
	global_store_dwordx2 v[2:3], v[0:1], off
	s_waitcnt vmcnt(6)
	global_store_dwordx2 v[4:5], v[28:29], off
	global_store_dwordx2 v[6:7], v[30:31], off
	s_waitcnt vmcnt(7)
	global_store_dwordx2 v[8:9], v[32:33], off
	;; [unrolled: 3-line block ×6, first 2 shown]
	s_endpgm
	.section	.rodata,"a",@progbits
	.p2align	6, 0x0
	.amdhsa_kernel _ZN9rocsolver6v33100L18getri_kernel_smallILi12E19rocblas_complex_numIfEPS3_EEvT1_iilPiilS6_bb
		.amdhsa_group_segment_fixed_size 196
		.amdhsa_private_segment_fixed_size 112
		.amdhsa_kernarg_size 60
		.amdhsa_user_sgpr_count 2
		.amdhsa_user_sgpr_dispatch_ptr 0
		.amdhsa_user_sgpr_queue_ptr 0
		.amdhsa_user_sgpr_kernarg_segment_ptr 1
		.amdhsa_user_sgpr_dispatch_id 0
		.amdhsa_user_sgpr_kernarg_preload_length 0
		.amdhsa_user_sgpr_kernarg_preload_offset 0
		.amdhsa_user_sgpr_private_segment_size 0
		.amdhsa_uses_dynamic_stack 0
		.amdhsa_enable_private_segment 1
		.amdhsa_system_sgpr_workgroup_id_x 1
		.amdhsa_system_sgpr_workgroup_id_y 0
		.amdhsa_system_sgpr_workgroup_id_z 0
		.amdhsa_system_sgpr_workgroup_info 0
		.amdhsa_system_vgpr_workitem_id 0
		.amdhsa_next_free_vgpr 92
		.amdhsa_next_free_sgpr 20
		.amdhsa_accum_offset 92
		.amdhsa_reserve_vcc 1
		.amdhsa_float_round_mode_32 0
		.amdhsa_float_round_mode_16_64 0
		.amdhsa_float_denorm_mode_32 3
		.amdhsa_float_denorm_mode_16_64 3
		.amdhsa_dx10_clamp 1
		.amdhsa_ieee_mode 1
		.amdhsa_fp16_overflow 0
		.amdhsa_tg_split 0
		.amdhsa_exception_fp_ieee_invalid_op 0
		.amdhsa_exception_fp_denorm_src 0
		.amdhsa_exception_fp_ieee_div_zero 0
		.amdhsa_exception_fp_ieee_overflow 0
		.amdhsa_exception_fp_ieee_underflow 0
		.amdhsa_exception_fp_ieee_inexact 0
		.amdhsa_exception_int_div_zero 0
	.end_amdhsa_kernel
	.section	.text._ZN9rocsolver6v33100L18getri_kernel_smallILi12E19rocblas_complex_numIfEPS3_EEvT1_iilPiilS6_bb,"axG",@progbits,_ZN9rocsolver6v33100L18getri_kernel_smallILi12E19rocblas_complex_numIfEPS3_EEvT1_iilPiilS6_bb,comdat
.Lfunc_end11:
	.size	_ZN9rocsolver6v33100L18getri_kernel_smallILi12E19rocblas_complex_numIfEPS3_EEvT1_iilPiilS6_bb, .Lfunc_end11-_ZN9rocsolver6v33100L18getri_kernel_smallILi12E19rocblas_complex_numIfEPS3_EEvT1_iilPiilS6_bb
                                        ; -- End function
	.set _ZN9rocsolver6v33100L18getri_kernel_smallILi12E19rocblas_complex_numIfEPS3_EEvT1_iilPiilS6_bb.num_vgpr, 92
	.set _ZN9rocsolver6v33100L18getri_kernel_smallILi12E19rocblas_complex_numIfEPS3_EEvT1_iilPiilS6_bb.num_agpr, 0
	.set _ZN9rocsolver6v33100L18getri_kernel_smallILi12E19rocblas_complex_numIfEPS3_EEvT1_iilPiilS6_bb.numbered_sgpr, 20
	.set _ZN9rocsolver6v33100L18getri_kernel_smallILi12E19rocblas_complex_numIfEPS3_EEvT1_iilPiilS6_bb.num_named_barrier, 0
	.set _ZN9rocsolver6v33100L18getri_kernel_smallILi12E19rocblas_complex_numIfEPS3_EEvT1_iilPiilS6_bb.private_seg_size, 112
	.set _ZN9rocsolver6v33100L18getri_kernel_smallILi12E19rocblas_complex_numIfEPS3_EEvT1_iilPiilS6_bb.uses_vcc, 1
	.set _ZN9rocsolver6v33100L18getri_kernel_smallILi12E19rocblas_complex_numIfEPS3_EEvT1_iilPiilS6_bb.uses_flat_scratch, 0
	.set _ZN9rocsolver6v33100L18getri_kernel_smallILi12E19rocblas_complex_numIfEPS3_EEvT1_iilPiilS6_bb.has_dyn_sized_stack, 0
	.set _ZN9rocsolver6v33100L18getri_kernel_smallILi12E19rocblas_complex_numIfEPS3_EEvT1_iilPiilS6_bb.has_recursion, 0
	.set _ZN9rocsolver6v33100L18getri_kernel_smallILi12E19rocblas_complex_numIfEPS3_EEvT1_iilPiilS6_bb.has_indirect_call, 0
	.section	.AMDGPU.csdata,"",@progbits
; Kernel info:
; codeLenInByte = 8804
; TotalNumSgprs: 26
; NumVgprs: 92
; NumAgprs: 0
; TotalNumVgprs: 92
; ScratchSize: 112
; MemoryBound: 0
; FloatMode: 240
; IeeeMode: 1
; LDSByteSize: 196 bytes/workgroup (compile time only)
; SGPRBlocks: 3
; VGPRBlocks: 11
; NumSGPRsForWavesPerEU: 26
; NumVGPRsForWavesPerEU: 92
; AccumOffset: 92
; Occupancy: 5
; WaveLimiterHint : 1
; COMPUTE_PGM_RSRC2:SCRATCH_EN: 1
; COMPUTE_PGM_RSRC2:USER_SGPR: 2
; COMPUTE_PGM_RSRC2:TRAP_HANDLER: 0
; COMPUTE_PGM_RSRC2:TGID_X_EN: 1
; COMPUTE_PGM_RSRC2:TGID_Y_EN: 0
; COMPUTE_PGM_RSRC2:TGID_Z_EN: 0
; COMPUTE_PGM_RSRC2:TIDIG_COMP_CNT: 0
; COMPUTE_PGM_RSRC3_GFX90A:ACCUM_OFFSET: 22
; COMPUTE_PGM_RSRC3_GFX90A:TG_SPLIT: 0
	.section	.text._ZN9rocsolver6v33100L18getri_kernel_smallILi13E19rocblas_complex_numIfEPS3_EEvT1_iilPiilS6_bb,"axG",@progbits,_ZN9rocsolver6v33100L18getri_kernel_smallILi13E19rocblas_complex_numIfEPS3_EEvT1_iilPiilS6_bb,comdat
	.globl	_ZN9rocsolver6v33100L18getri_kernel_smallILi13E19rocblas_complex_numIfEPS3_EEvT1_iilPiilS6_bb ; -- Begin function _ZN9rocsolver6v33100L18getri_kernel_smallILi13E19rocblas_complex_numIfEPS3_EEvT1_iilPiilS6_bb
	.p2align	8
	.type	_ZN9rocsolver6v33100L18getri_kernel_smallILi13E19rocblas_complex_numIfEPS3_EEvT1_iilPiilS6_bb,@function
_ZN9rocsolver6v33100L18getri_kernel_smallILi13E19rocblas_complex_numIfEPS3_EEvT1_iilPiilS6_bb: ; @_ZN9rocsolver6v33100L18getri_kernel_smallILi13E19rocblas_complex_numIfEPS3_EEvT1_iilPiilS6_bb
; %bb.0:
	v_cmp_gt_u32_e32 vcc, 13, v0
	s_and_saveexec_b64 s[4:5], vcc
	s_cbranch_execz .LBB12_66
; %bb.1:
	s_load_dword s8, s[0:1], 0x38
	s_load_dwordx4 s[12:15], s[0:1], 0x10
	s_load_dwordx4 s[4:7], s[0:1], 0x28
                                        ; implicit-def: $sgpr16_sgpr17
	s_waitcnt lgkmcnt(0)
	s_bitcmp1_b32 s8, 8
	s_cselect_b64 s[18:19], -1, 0
	s_ashr_i32 s3, s2, 31
	s_bfe_u32 s8, s8, 0x10008
	s_cmp_eq_u32 s8, 0
	s_cbranch_scc1 .LBB12_3
; %bb.2:
	s_load_dword s8, s[0:1], 0x20
	s_mul_i32 s9, s4, s3
	s_mul_hi_u32 s10, s4, s2
	s_mul_i32 s5, s5, s2
	s_add_i32 s10, s10, s9
	s_add_i32 s5, s10, s5
	s_mul_i32 s4, s4, s2
	s_waitcnt lgkmcnt(0)
	s_ashr_i32 s9, s8, 31
	s_lshl_b64 s[4:5], s[4:5], 2
	s_add_u32 s10, s14, s4
	s_addc_u32 s11, s15, s5
	s_lshl_b64 s[4:5], s[8:9], 2
	s_add_u32 s16, s10, s4
	s_addc_u32 s17, s11, s5
.LBB12_3:
	s_load_dwordx4 s[8:11], s[0:1], 0x0
	s_load_dword s14, s[0:1], 0x38
	s_mul_i32 s4, s12, s3
	s_mul_hi_u32 s5, s12, s2
	s_add_i32 s4, s5, s4
	s_mul_i32 s5, s13, s2
	s_add_i32 s5, s4, s5
	s_mul_i32 s4, s12, s2
	s_waitcnt lgkmcnt(0)
	s_ashr_i32 s1, s10, 31
	s_lshl_b64 s[4:5], s[4:5], 3
	s_mov_b32 s0, s10
	s_add_u32 s4, s8, s4
	s_addc_u32 s5, s9, s5
	s_lshl_b64 s[0:1], s[0:1], 3
	s_add_u32 s0, s4, s0
	s_addc_u32 s1, s5, s1
	v_lshlrev_b32_e32 v28, 3, v0
	v_mov_b32_e32 v29, 0
	v_lshl_add_u64 v[2:3], s[0:1], 0, v[28:29]
	s_ashr_i32 s5, s11, 31
	s_mov_b32 s4, s11
	v_lshl_add_u64 v[4:5], s[4:5], 3, v[2:3]
	s_add_i32 s4, s11, s11
	v_add_u32_e32 v8, s4, v0
	v_add_u32_e32 v10, s11, v8
	;; [unrolled: 1-line block ×10, first 2 shown]
	v_ashrrev_i32_e32 v9, 31, v8
	v_ashrrev_i32_e32 v11, 31, v10
	;; [unrolled: 1-line block ×10, first 2 shown]
	v_lshl_add_u64 v[6:7], v[8:9], 3, s[0:1]
	v_lshl_add_u64 v[8:9], v[10:11], 3, s[0:1]
	;; [unrolled: 1-line block ×10, first 2 shown]
	v_add_u32_e32 v26, s11, v26
	v_ashrrev_i32_e32 v27, 31, v26
	global_load_dwordx2 v[32:33], v28, s[0:1]
	global_load_dwordx2 v[34:35], v[4:5], off
	global_load_dwordx2 v[36:37], v[6:7], off
	;; [unrolled: 1-line block ×8, first 2 shown]
	v_lshl_add_u64 v[26:27], v[26:27], 3, s[0:1]
	global_load_dwordx2 v[50:51], v[20:21], off
	global_load_dwordx2 v[52:53], v[22:23], off
	;; [unrolled: 1-line block ×4, first 2 shown]
	s_bitcmp0_b32 s14, 0
	s_mov_b64 s[4:5], -1
	s_waitcnt vmcnt(11)
	scratch_store_dwordx4 off, v[32:35], off
	s_waitcnt vmcnt(10)
	scratch_store_dwordx4 off, v[36:39], off offset:16
	s_waitcnt vmcnt(9)
	scratch_store_dwordx4 off, v[40:43], off offset:32
	;; [unrolled: 2-line block ×5, first 2 shown]
	s_waitcnt vmcnt(6)
	scratch_store_dwordx2 off, v[30:31], off offset:96
	s_cbranch_scc1 .LBB12_64
; %bb.4:
	v_cmp_eq_u32_e64 s[0:1], 0, v0
	s_and_saveexec_b64 s[4:5], s[0:1]
; %bb.5:
	v_mov_b32_e32 v1, 0
	ds_write_b32 v1, v1 offset:104
; %bb.6:
	s_or_b64 exec, exec, s[4:5]
	s_waitcnt lgkmcnt(0)
	; wave barrier
	scratch_load_dwordx2 v[30:31], v28, off
	s_waitcnt vmcnt(0)
	v_cmp_eq_f32_e32 vcc, 0, v30
	v_cmp_eq_f32_e64 s[4:5], 0, v31
	s_and_b64 s[4:5], vcc, s[4:5]
	s_and_saveexec_b64 s[8:9], s[4:5]
	s_cbranch_execz .LBB12_10
; %bb.7:
	v_mov_b32_e32 v1, 0
	ds_read_b32 v30, v1 offset:104
	v_add_u32_e32 v29, 1, v0
	s_waitcnt lgkmcnt(0)
	v_readfirstlane_b32 s4, v30
	s_cmp_eq_u32 s4, 0
	s_cselect_b64 s[10:11], -1, 0
	v_cmp_gt_i32_e32 vcc, s4, v29
	s_or_b64 s[10:11], s[10:11], vcc
	s_and_b64 exec, exec, s[10:11]
	s_cbranch_execz .LBB12_10
; %bb.8:
	s_mov_b64 s[10:11], 0
	v_mov_b32_e32 v30, s4
.LBB12_9:                               ; =>This Inner Loop Header: Depth=1
	ds_cmpst_rtn_b32 v30, v1, v30, v29 offset:104
	s_waitcnt lgkmcnt(0)
	v_cmp_ne_u32_e32 vcc, 0, v30
	v_cmp_le_i32_e64 s[4:5], v30, v29
	s_and_b64 s[4:5], vcc, s[4:5]
	s_and_b64 s[4:5], exec, s[4:5]
	s_or_b64 s[10:11], s[4:5], s[10:11]
	s_andn2_b64 exec, exec, s[10:11]
	s_cbranch_execnz .LBB12_9
.LBB12_10:
	s_or_b64 exec, exec, s[8:9]
	v_mov_b32_e32 v29, 0
	; wave barrier
	ds_read_b32 v1, v29 offset:104
	s_and_saveexec_b64 s[4:5], s[0:1]
	s_cbranch_execz .LBB12_12
; %bb.11:
	s_lshl_b64 s[8:9], s[2:3], 2
	s_add_u32 s8, s6, s8
	s_addc_u32 s9, s7, s9
	s_waitcnt lgkmcnt(0)
	global_store_dword v29, v1, s[8:9]
.LBB12_12:
	s_or_b64 exec, exec, s[4:5]
	s_waitcnt lgkmcnt(0)
	v_cmp_ne_u32_e32 vcc, 0, v1
	s_mov_b64 s[4:5], 0
	s_cbranch_vccnz .LBB12_64
; %bb.13:
	v_mov_b32_e32 v29, v28
	scratch_load_dwordx2 v[30:31], v29, off
                                        ; implicit-def: $vgpr33
                                        ; implicit-def: $vgpr34
	s_waitcnt vmcnt(0)
	v_cmp_ngt_f32_e64 s[4:5], |v30|, |v31|
	s_and_saveexec_b64 s[8:9], s[4:5]
	s_xor_b64 s[4:5], exec, s[8:9]
	s_cbranch_execz .LBB12_15
; %bb.14:
	v_div_scale_f32 v1, s[8:9], v31, v31, v30
	v_rcp_f32_e32 v32, v1
	v_div_scale_f32 v33, vcc, v30, v31, v30
	v_fma_f32 v34, -v1, v32, 1.0
	v_fmac_f32_e32 v32, v34, v32
	v_mul_f32_e32 v34, v33, v32
	v_fma_f32 v35, -v1, v34, v33
	v_fmac_f32_e32 v34, v35, v32
	v_fma_f32 v1, -v1, v34, v33
	v_div_fmas_f32 v1, v1, v32, v34
	v_div_fixup_f32 v1, v1, v31, v30
	v_fmac_f32_e32 v31, v30, v1
	v_div_scale_f32 v30, s[8:9], v31, v31, -1.0
	v_rcp_f32_e32 v32, v30
	s_nop 0
	v_fma_f32 v33, -v30, v32, 1.0
	v_fmac_f32_e32 v32, v33, v32
	v_div_scale_f32 v33, vcc, -1.0, v31, -1.0
	v_mul_f32_e32 v34, v33, v32
	v_fma_f32 v35, -v30, v34, v33
	v_fmac_f32_e32 v34, v35, v32
	v_fma_f32 v30, -v30, v34, v33
	v_div_fmas_f32 v30, v30, v32, v34
	v_div_fixup_f32 v33, v30, v31, -1.0
	v_mul_f32_e32 v34, v1, v33
	v_xor_b32_e32 v32, 0x80000000, v34
                                        ; implicit-def: $vgpr30_vgpr31
.LBB12_15:
	s_andn2_saveexec_b64 s[4:5], s[4:5]
	s_cbranch_execz .LBB12_17
; %bb.16:
	v_div_scale_f32 v1, s[8:9], v30, v30, v31
	v_rcp_f32_e32 v32, v1
	v_div_scale_f32 v33, vcc, v31, v30, v31
	v_fma_f32 v34, -v1, v32, 1.0
	v_fmac_f32_e32 v32, v34, v32
	v_mul_f32_e32 v34, v33, v32
	v_fma_f32 v35, -v1, v34, v33
	v_fmac_f32_e32 v34, v35, v32
	v_fma_f32 v1, -v1, v34, v33
	v_div_fmas_f32 v1, v1, v32, v34
	v_div_fixup_f32 v1, v1, v30, v31
	v_fmac_f32_e32 v30, v31, v1
	v_div_scale_f32 v31, s[8:9], v30, v30, 1.0
	v_rcp_f32_e32 v32, v31
	s_nop 0
	v_fma_f32 v33, -v31, v32, 1.0
	v_fmac_f32_e32 v32, v33, v32
	v_div_scale_f32 v33, vcc, 1.0, v30, 1.0
	v_mul_f32_e32 v34, v33, v32
	v_fma_f32 v35, -v31, v34, v33
	v_fmac_f32_e32 v34, v35, v32
	v_fma_f32 v31, -v31, v34, v33
	v_div_fmas_f32 v31, v31, v32, v34
	v_div_fixup_f32 v32, v31, v30, 1.0
	v_xor_b32_e32 v34, 0x80000000, v32
	v_mul_f32_e64 v33, v1, -v32
.LBB12_17:
	s_or_b64 exec, exec, s[4:5]
	scratch_store_dwordx2 v29, v[32:33], off
	scratch_load_dwordx2 v[30:31], off, off offset:8
	v_xor_b32_e32 v35, 0x80000000, v33
	v_add_u32_e32 v1, 0x70, v28
	s_waitcnt vmcnt(0)
	ds_write2_b64 v28, v[34:35], v[30:31] offset1:14
	s_waitcnt lgkmcnt(0)
	; wave barrier
	s_and_saveexec_b64 s[4:5], s[0:1]
	s_cbranch_execz .LBB12_19
; %bb.18:
	scratch_load_dwordx2 v[30:31], v29, off
	ds_read_b64 v[32:33], v1
	v_mov_b32_e32 v34, 0
	ds_read_b64 v[34:35], v34 offset:8
	s_waitcnt vmcnt(0) lgkmcnt(1)
	v_pk_mul_f32 v[36:37], v[32:33], v[30:31] op_sel:[1,1] op_sel_hi:[0,1]
	v_pk_fma_f32 v[38:39], v[32:33], v[30:31], v[36:37] neg_lo:[0,0,1] neg_hi:[0,0,1]
	v_pk_fma_f32 v[30:31], v[32:33], v[30:31], v[36:37] op_sel_hi:[1,0,1]
	s_nop 0
	v_mov_b32_e32 v39, v31
	v_pk_add_f32 v[30:31], v[38:39], 0 op_sel_hi:[1,0]
	s_waitcnt lgkmcnt(0)
	v_pk_mul_f32 v[32:33], v[30:31], v[34:35] op_sel:[1,1] op_sel_hi:[0,1]
	v_pk_fma_f32 v[36:37], v[30:31], v[34:35], v[32:33] neg_lo:[0,0,1] neg_hi:[0,0,1]
	v_pk_fma_f32 v[30:31], v[30:31], v[34:35], v[32:33] op_sel_hi:[1,0,1]
	s_nop 0
	v_mov_b32_e32 v37, v31
	scratch_store_dwordx2 off, v[36:37], off offset:8
.LBB12_19:
	s_or_b64 exec, exec, s[4:5]
	; wave barrier
	scratch_load_dwordx2 v[30:31], off, off offset:16
	v_cmp_gt_u32_e32 vcc, 2, v0
	s_waitcnt vmcnt(0)
	ds_write_b64 v1, v[30:31]
	s_waitcnt lgkmcnt(0)
	; wave barrier
	s_and_saveexec_b64 s[4:5], vcc
	s_cbranch_execz .LBB12_23
; %bb.20:
	scratch_load_dwordx2 v[30:31], v29, off
	ds_read_b64 v[32:33], v1
	s_waitcnt vmcnt(0) lgkmcnt(0)
	v_pk_mul_f32 v[34:35], v[32:33], v[30:31] op_sel:[1,1] op_sel_hi:[0,1]
	v_pk_fma_f32 v[36:37], v[32:33], v[30:31], v[34:35] neg_lo:[0,0,1] neg_hi:[0,0,1]
	v_pk_fma_f32 v[30:31], v[32:33], v[30:31], v[34:35] op_sel_hi:[1,0,1]
	s_nop 0
	v_mov_b32_e32 v37, v31
	v_pk_add_f32 v[30:31], v[36:37], 0 op_sel_hi:[1,0]
	s_and_saveexec_b64 s[8:9], s[0:1]
	s_cbranch_execz .LBB12_22
; %bb.21:
	scratch_load_dwordx2 v[32:33], off, off offset:8
	v_mov_b32_e32 v29, 0
	ds_read_b64 v[34:35], v29 offset:120
	s_waitcnt vmcnt(0) lgkmcnt(0)
	v_pk_mul_f32 v[36:37], v[34:35], v[32:33] op_sel:[1,1] op_sel_hi:[0,1]
	v_pk_fma_f32 v[38:39], v[34:35], v[32:33], v[36:37] neg_lo:[0,0,1] neg_hi:[0,0,1]
	v_pk_fma_f32 v[32:33], v[34:35], v[32:33], v[36:37] op_sel_hi:[1,0,1]
	s_nop 0
	v_mov_b32_e32 v39, v33
	v_pk_add_f32 v[30:31], v[30:31], v[38:39]
.LBB12_22:
	s_or_b64 exec, exec, s[8:9]
	v_mov_b32_e32 v29, 0
	ds_read_b64 v[32:33], v29 offset:16
	s_waitcnt lgkmcnt(0)
	v_pk_mul_f32 v[34:35], v[30:31], v[32:33] op_sel:[1,1] op_sel_hi:[0,1]
	v_pk_fma_f32 v[36:37], v[30:31], v[32:33], v[34:35] neg_lo:[0,0,1] neg_hi:[0,0,1]
	v_pk_fma_f32 v[30:31], v[30:31], v[32:33], v[34:35] op_sel_hi:[1,0,1]
	s_nop 0
	v_mov_b32_e32 v37, v31
	scratch_store_dwordx2 off, v[36:37], off offset:16
.LBB12_23:
	s_or_b64 exec, exec, s[4:5]
	; wave barrier
	scratch_load_dwordx2 v[30:31], off, off offset:24
	v_cmp_gt_u32_e32 vcc, 3, v0
	v_add_u32_e32 v32, -1, v0
	s_waitcnt vmcnt(0)
	ds_write_b64 v1, v[30:31]
	s_waitcnt lgkmcnt(0)
	; wave barrier
	s_and_saveexec_b64 s[0:1], vcc
	s_cbranch_execz .LBB12_27
; %bb.24:
	v_mov_b32_e32 v30, 0
	v_add_u32_e32 v29, -1, v0
	v_add_u32_e32 v33, 0x70, v28
	v_mov_b32_e32 v34, v28
	s_mov_b64 s[4:5], 0
	v_mov_b32_e32 v31, v30
.LBB12_25:                              ; =>This Inner Loop Header: Depth=1
	scratch_load_dwordx2 v[36:37], v34, off
	ds_read_b64 v[38:39], v33
	v_add_u32_e32 v29, 1, v29
	v_cmp_lt_u32_e32 vcc, 1, v29
	v_add_u32_e32 v33, 8, v33
	v_add_u32_e32 v34, 8, v34
	s_or_b64 s[4:5], vcc, s[4:5]
	s_waitcnt vmcnt(0) lgkmcnt(0)
	v_pk_mul_f32 v[40:41], v[38:39], v[36:37] op_sel:[1,1] op_sel_hi:[0,1]
	v_pk_fma_f32 v[42:43], v[38:39], v[36:37], v[40:41] neg_lo:[0,0,1] neg_hi:[0,0,1]
	v_pk_fma_f32 v[36:37], v[38:39], v[36:37], v[40:41] op_sel_hi:[1,0,1]
	s_nop 0
	v_mov_b32_e32 v43, v37
	v_pk_add_f32 v[30:31], v[30:31], v[42:43]
	s_andn2_b64 exec, exec, s[4:5]
	s_cbranch_execnz .LBB12_25
; %bb.26:
	s_or_b64 exec, exec, s[4:5]
	v_mov_b32_e32 v29, 0
	ds_read_b64 v[34:35], v29 offset:24
	s_waitcnt lgkmcnt(0)
	v_pk_mul_f32 v[36:37], v[30:31], v[34:35] op_sel:[1,1] op_sel_hi:[0,1]
	v_pk_fma_f32 v[38:39], v[30:31], v[34:35], v[36:37] neg_lo:[0,0,1] neg_hi:[0,0,1]
	v_pk_fma_f32 v[30:31], v[30:31], v[34:35], v[36:37] op_sel_hi:[1,0,1]
	s_nop 0
	v_mov_b32_e32 v39, v31
	scratch_store_dwordx2 off, v[38:39], off offset:24
.LBB12_27:
	s_or_b64 exec, exec, s[0:1]
	; wave barrier
	scratch_load_dwordx2 v[30:31], off, off offset:32
	v_cmp_gt_u32_e32 vcc, 4, v0
	s_waitcnt vmcnt(0)
	ds_write_b64 v1, v[30:31]
	s_waitcnt lgkmcnt(0)
	; wave barrier
	s_and_saveexec_b64 s[0:1], vcc
	s_cbranch_execz .LBB12_31
; %bb.28:
	v_mov_b32_e32 v30, 0
	v_add_u32_e32 v29, -1, v0
	v_add_u32_e32 v33, 0x70, v28
	v_mov_b32_e32 v34, v28
	s_mov_b64 s[4:5], 0
	v_mov_b32_e32 v31, v30
.LBB12_29:                              ; =>This Inner Loop Header: Depth=1
	scratch_load_dwordx2 v[36:37], v34, off
	ds_read_b64 v[38:39], v33
	v_add_u32_e32 v29, 1, v29
	v_cmp_lt_u32_e32 vcc, 2, v29
	v_add_u32_e32 v33, 8, v33
	v_add_u32_e32 v34, 8, v34
	s_or_b64 s[4:5], vcc, s[4:5]
	s_waitcnt vmcnt(0) lgkmcnt(0)
	v_pk_mul_f32 v[40:41], v[38:39], v[36:37] op_sel:[1,1] op_sel_hi:[0,1]
	v_pk_fma_f32 v[42:43], v[38:39], v[36:37], v[40:41] neg_lo:[0,0,1] neg_hi:[0,0,1]
	v_pk_fma_f32 v[36:37], v[38:39], v[36:37], v[40:41] op_sel_hi:[1,0,1]
	s_nop 0
	v_mov_b32_e32 v43, v37
	v_pk_add_f32 v[30:31], v[30:31], v[42:43]
	s_andn2_b64 exec, exec, s[4:5]
	s_cbranch_execnz .LBB12_29
; %bb.30:
	s_or_b64 exec, exec, s[4:5]
	v_mov_b32_e32 v29, 0
	ds_read_b64 v[34:35], v29 offset:32
	s_waitcnt lgkmcnt(0)
	v_pk_mul_f32 v[36:37], v[30:31], v[34:35] op_sel:[1,1] op_sel_hi:[0,1]
	v_pk_fma_f32 v[38:39], v[30:31], v[34:35], v[36:37] neg_lo:[0,0,1] neg_hi:[0,0,1]
	v_pk_fma_f32 v[30:31], v[30:31], v[34:35], v[36:37] op_sel_hi:[1,0,1]
	s_nop 0
	v_mov_b32_e32 v39, v31
	scratch_store_dwordx2 off, v[38:39], off offset:32
.LBB12_31:
	s_or_b64 exec, exec, s[0:1]
	; wave barrier
	scratch_load_dwordx2 v[30:31], off, off offset:40
	v_cmp_gt_u32_e32 vcc, 5, v0
	s_waitcnt vmcnt(0)
	ds_write_b64 v1, v[30:31]
	s_waitcnt lgkmcnt(0)
	; wave barrier
	s_and_saveexec_b64 s[0:1], vcc
	s_cbranch_execz .LBB12_35
; %bb.32:
	v_mov_b32_e32 v30, 0
	v_add_u32_e32 v29, -1, v0
	v_add_u32_e32 v33, 0x70, v28
	v_mov_b32_e32 v34, v28
	s_mov_b64 s[4:5], 0
	v_mov_b32_e32 v31, v30
.LBB12_33:                              ; =>This Inner Loop Header: Depth=1
	scratch_load_dwordx2 v[36:37], v34, off
	ds_read_b64 v[38:39], v33
	v_add_u32_e32 v29, 1, v29
	v_cmp_lt_u32_e32 vcc, 3, v29
	v_add_u32_e32 v33, 8, v33
	v_add_u32_e32 v34, 8, v34
	s_or_b64 s[4:5], vcc, s[4:5]
	s_waitcnt vmcnt(0) lgkmcnt(0)
	v_pk_mul_f32 v[40:41], v[38:39], v[36:37] op_sel:[1,1] op_sel_hi:[0,1]
	v_pk_fma_f32 v[42:43], v[38:39], v[36:37], v[40:41] neg_lo:[0,0,1] neg_hi:[0,0,1]
	v_pk_fma_f32 v[36:37], v[38:39], v[36:37], v[40:41] op_sel_hi:[1,0,1]
	s_nop 0
	v_mov_b32_e32 v43, v37
	v_pk_add_f32 v[30:31], v[30:31], v[42:43]
	s_andn2_b64 exec, exec, s[4:5]
	s_cbranch_execnz .LBB12_33
; %bb.34:
	s_or_b64 exec, exec, s[4:5]
	v_mov_b32_e32 v29, 0
	ds_read_b64 v[34:35], v29 offset:40
	s_waitcnt lgkmcnt(0)
	v_pk_mul_f32 v[36:37], v[30:31], v[34:35] op_sel:[1,1] op_sel_hi:[0,1]
	v_pk_fma_f32 v[38:39], v[30:31], v[34:35], v[36:37] neg_lo:[0,0,1] neg_hi:[0,0,1]
	v_pk_fma_f32 v[30:31], v[30:31], v[34:35], v[36:37] op_sel_hi:[1,0,1]
	s_nop 0
	v_mov_b32_e32 v39, v31
	scratch_store_dwordx2 off, v[38:39], off offset:40
.LBB12_35:
	s_or_b64 exec, exec, s[0:1]
	; wave barrier
	scratch_load_dwordx2 v[30:31], off, off offset:48
	v_cmp_gt_u32_e32 vcc, 6, v0
	s_waitcnt vmcnt(0)
	ds_write_b64 v1, v[30:31]
	s_waitcnt lgkmcnt(0)
	; wave barrier
	s_and_saveexec_b64 s[0:1], vcc
	s_cbranch_execz .LBB12_39
; %bb.36:
	v_mov_b32_e32 v30, 0
	v_add_u32_e32 v29, -1, v0
	v_add_u32_e32 v33, 0x70, v28
	v_mov_b32_e32 v34, v28
	s_mov_b64 s[4:5], 0
	v_mov_b32_e32 v31, v30
.LBB12_37:                              ; =>This Inner Loop Header: Depth=1
	scratch_load_dwordx2 v[36:37], v34, off
	ds_read_b64 v[38:39], v33
	v_add_u32_e32 v29, 1, v29
	v_cmp_lt_u32_e32 vcc, 4, v29
	v_add_u32_e32 v33, 8, v33
	v_add_u32_e32 v34, 8, v34
	s_or_b64 s[4:5], vcc, s[4:5]
	s_waitcnt vmcnt(0) lgkmcnt(0)
	v_pk_mul_f32 v[40:41], v[38:39], v[36:37] op_sel:[1,1] op_sel_hi:[0,1]
	v_pk_fma_f32 v[42:43], v[38:39], v[36:37], v[40:41] neg_lo:[0,0,1] neg_hi:[0,0,1]
	v_pk_fma_f32 v[36:37], v[38:39], v[36:37], v[40:41] op_sel_hi:[1,0,1]
	s_nop 0
	v_mov_b32_e32 v43, v37
	v_pk_add_f32 v[30:31], v[30:31], v[42:43]
	s_andn2_b64 exec, exec, s[4:5]
	s_cbranch_execnz .LBB12_37
; %bb.38:
	s_or_b64 exec, exec, s[4:5]
	v_mov_b32_e32 v29, 0
	ds_read_b64 v[34:35], v29 offset:48
	s_waitcnt lgkmcnt(0)
	v_pk_mul_f32 v[36:37], v[30:31], v[34:35] op_sel:[1,1] op_sel_hi:[0,1]
	v_pk_fma_f32 v[38:39], v[30:31], v[34:35], v[36:37] neg_lo:[0,0,1] neg_hi:[0,0,1]
	v_pk_fma_f32 v[30:31], v[30:31], v[34:35], v[36:37] op_sel_hi:[1,0,1]
	s_nop 0
	v_mov_b32_e32 v39, v31
	scratch_store_dwordx2 off, v[38:39], off offset:48
.LBB12_39:
	s_or_b64 exec, exec, s[0:1]
	; wave barrier
	scratch_load_dwordx2 v[30:31], off, off offset:56
	v_cmp_gt_u32_e32 vcc, 7, v0
	s_waitcnt vmcnt(0)
	ds_write_b64 v1, v[30:31]
	s_waitcnt lgkmcnt(0)
	; wave barrier
	s_and_saveexec_b64 s[0:1], vcc
	s_cbranch_execz .LBB12_43
; %bb.40:
	v_mov_b32_e32 v30, 0
	v_add_u32_e32 v29, -1, v0
	v_add_u32_e32 v33, 0x70, v28
	v_mov_b32_e32 v34, v28
	s_mov_b64 s[4:5], 0
	v_mov_b32_e32 v31, v30
.LBB12_41:                              ; =>This Inner Loop Header: Depth=1
	scratch_load_dwordx2 v[36:37], v34, off
	ds_read_b64 v[38:39], v33
	v_add_u32_e32 v29, 1, v29
	v_cmp_lt_u32_e32 vcc, 5, v29
	v_add_u32_e32 v33, 8, v33
	v_add_u32_e32 v34, 8, v34
	s_or_b64 s[4:5], vcc, s[4:5]
	s_waitcnt vmcnt(0) lgkmcnt(0)
	v_pk_mul_f32 v[40:41], v[38:39], v[36:37] op_sel:[1,1] op_sel_hi:[0,1]
	v_pk_fma_f32 v[42:43], v[38:39], v[36:37], v[40:41] neg_lo:[0,0,1] neg_hi:[0,0,1]
	v_pk_fma_f32 v[36:37], v[38:39], v[36:37], v[40:41] op_sel_hi:[1,0,1]
	s_nop 0
	v_mov_b32_e32 v43, v37
	v_pk_add_f32 v[30:31], v[30:31], v[42:43]
	s_andn2_b64 exec, exec, s[4:5]
	s_cbranch_execnz .LBB12_41
; %bb.42:
	s_or_b64 exec, exec, s[4:5]
	v_mov_b32_e32 v29, 0
	ds_read_b64 v[34:35], v29 offset:56
	s_waitcnt lgkmcnt(0)
	v_pk_mul_f32 v[36:37], v[30:31], v[34:35] op_sel:[1,1] op_sel_hi:[0,1]
	v_pk_fma_f32 v[38:39], v[30:31], v[34:35], v[36:37] neg_lo:[0,0,1] neg_hi:[0,0,1]
	v_pk_fma_f32 v[30:31], v[30:31], v[34:35], v[36:37] op_sel_hi:[1,0,1]
	s_nop 0
	v_mov_b32_e32 v39, v31
	scratch_store_dwordx2 off, v[38:39], off offset:56
.LBB12_43:
	s_or_b64 exec, exec, s[0:1]
	; wave barrier
	scratch_load_dwordx2 v[30:31], off, off offset:64
	v_cmp_gt_u32_e32 vcc, 8, v0
	s_waitcnt vmcnt(0)
	ds_write_b64 v1, v[30:31]
	s_waitcnt lgkmcnt(0)
	; wave barrier
	s_and_saveexec_b64 s[0:1], vcc
	s_cbranch_execz .LBB12_47
; %bb.44:
	v_mov_b32_e32 v30, 0
	v_add_u32_e32 v29, -1, v0
	v_add_u32_e32 v33, 0x70, v28
	v_mov_b32_e32 v34, v28
	s_mov_b64 s[4:5], 0
	v_mov_b32_e32 v31, v30
.LBB12_45:                              ; =>This Inner Loop Header: Depth=1
	scratch_load_dwordx2 v[36:37], v34, off
	ds_read_b64 v[38:39], v33
	v_add_u32_e32 v29, 1, v29
	v_cmp_lt_u32_e32 vcc, 6, v29
	v_add_u32_e32 v33, 8, v33
	v_add_u32_e32 v34, 8, v34
	s_or_b64 s[4:5], vcc, s[4:5]
	s_waitcnt vmcnt(0) lgkmcnt(0)
	v_pk_mul_f32 v[40:41], v[38:39], v[36:37] op_sel:[1,1] op_sel_hi:[0,1]
	v_pk_fma_f32 v[42:43], v[38:39], v[36:37], v[40:41] neg_lo:[0,0,1] neg_hi:[0,0,1]
	v_pk_fma_f32 v[36:37], v[38:39], v[36:37], v[40:41] op_sel_hi:[1,0,1]
	s_nop 0
	v_mov_b32_e32 v43, v37
	v_pk_add_f32 v[30:31], v[30:31], v[42:43]
	s_andn2_b64 exec, exec, s[4:5]
	s_cbranch_execnz .LBB12_45
; %bb.46:
	s_or_b64 exec, exec, s[4:5]
	v_mov_b32_e32 v29, 0
	ds_read_b64 v[34:35], v29 offset:64
	s_waitcnt lgkmcnt(0)
	v_pk_mul_f32 v[36:37], v[30:31], v[34:35] op_sel:[1,1] op_sel_hi:[0,1]
	v_pk_fma_f32 v[38:39], v[30:31], v[34:35], v[36:37] neg_lo:[0,0,1] neg_hi:[0,0,1]
	v_pk_fma_f32 v[30:31], v[30:31], v[34:35], v[36:37] op_sel_hi:[1,0,1]
	s_nop 0
	v_mov_b32_e32 v39, v31
	scratch_store_dwordx2 off, v[38:39], off offset:64
.LBB12_47:
	s_or_b64 exec, exec, s[0:1]
	; wave barrier
	scratch_load_dwordx2 v[30:31], off, off offset:72
	v_cmp_gt_u32_e32 vcc, 9, v0
	s_waitcnt vmcnt(0)
	ds_write_b64 v1, v[30:31]
	s_waitcnt lgkmcnt(0)
	; wave barrier
	s_and_saveexec_b64 s[0:1], vcc
	s_cbranch_execz .LBB12_51
; %bb.48:
	v_mov_b32_e32 v30, 0
	v_add_u32_e32 v29, -1, v0
	v_add_u32_e32 v33, 0x70, v28
	v_mov_b32_e32 v34, v28
	s_mov_b64 s[4:5], 0
	v_mov_b32_e32 v31, v30
.LBB12_49:                              ; =>This Inner Loop Header: Depth=1
	scratch_load_dwordx2 v[36:37], v34, off
	ds_read_b64 v[38:39], v33
	v_add_u32_e32 v29, 1, v29
	v_cmp_lt_u32_e32 vcc, 7, v29
	v_add_u32_e32 v33, 8, v33
	v_add_u32_e32 v34, 8, v34
	s_or_b64 s[4:5], vcc, s[4:5]
	s_waitcnt vmcnt(0) lgkmcnt(0)
	v_pk_mul_f32 v[40:41], v[38:39], v[36:37] op_sel:[1,1] op_sel_hi:[0,1]
	v_pk_fma_f32 v[42:43], v[38:39], v[36:37], v[40:41] neg_lo:[0,0,1] neg_hi:[0,0,1]
	v_pk_fma_f32 v[36:37], v[38:39], v[36:37], v[40:41] op_sel_hi:[1,0,1]
	s_nop 0
	v_mov_b32_e32 v43, v37
	v_pk_add_f32 v[30:31], v[30:31], v[42:43]
	s_andn2_b64 exec, exec, s[4:5]
	s_cbranch_execnz .LBB12_49
; %bb.50:
	s_or_b64 exec, exec, s[4:5]
	v_mov_b32_e32 v29, 0
	ds_read_b64 v[34:35], v29 offset:72
	s_waitcnt lgkmcnt(0)
	v_pk_mul_f32 v[36:37], v[30:31], v[34:35] op_sel:[1,1] op_sel_hi:[0,1]
	v_pk_fma_f32 v[38:39], v[30:31], v[34:35], v[36:37] neg_lo:[0,0,1] neg_hi:[0,0,1]
	v_pk_fma_f32 v[30:31], v[30:31], v[34:35], v[36:37] op_sel_hi:[1,0,1]
	s_nop 0
	v_mov_b32_e32 v39, v31
	scratch_store_dwordx2 off, v[38:39], off offset:72
.LBB12_51:
	s_or_b64 exec, exec, s[0:1]
	; wave barrier
	scratch_load_dwordx2 v[30:31], off, off offset:80
	v_cmp_gt_u32_e32 vcc, 10, v0
	s_waitcnt vmcnt(0)
	ds_write_b64 v1, v[30:31]
	s_waitcnt lgkmcnt(0)
	; wave barrier
	s_and_saveexec_b64 s[0:1], vcc
	s_cbranch_execz .LBB12_55
; %bb.52:
	v_mov_b32_e32 v30, 0
	v_add_u32_e32 v29, -1, v0
	v_add_u32_e32 v33, 0x70, v28
	v_mov_b32_e32 v34, v28
	s_mov_b64 s[4:5], 0
	v_mov_b32_e32 v31, v30
.LBB12_53:                              ; =>This Inner Loop Header: Depth=1
	scratch_load_dwordx2 v[36:37], v34, off
	ds_read_b64 v[38:39], v33
	v_add_u32_e32 v29, 1, v29
	v_cmp_lt_u32_e32 vcc, 8, v29
	v_add_u32_e32 v33, 8, v33
	v_add_u32_e32 v34, 8, v34
	s_or_b64 s[4:5], vcc, s[4:5]
	s_waitcnt vmcnt(0) lgkmcnt(0)
	v_pk_mul_f32 v[40:41], v[38:39], v[36:37] op_sel:[1,1] op_sel_hi:[0,1]
	v_pk_fma_f32 v[42:43], v[38:39], v[36:37], v[40:41] neg_lo:[0,0,1] neg_hi:[0,0,1]
	v_pk_fma_f32 v[36:37], v[38:39], v[36:37], v[40:41] op_sel_hi:[1,0,1]
	s_nop 0
	v_mov_b32_e32 v43, v37
	v_pk_add_f32 v[30:31], v[30:31], v[42:43]
	s_andn2_b64 exec, exec, s[4:5]
	s_cbranch_execnz .LBB12_53
; %bb.54:
	s_or_b64 exec, exec, s[4:5]
	v_mov_b32_e32 v29, 0
	ds_read_b64 v[34:35], v29 offset:80
	s_waitcnt lgkmcnt(0)
	v_pk_mul_f32 v[36:37], v[30:31], v[34:35] op_sel:[1,1] op_sel_hi:[0,1]
	v_pk_fma_f32 v[38:39], v[30:31], v[34:35], v[36:37] neg_lo:[0,0,1] neg_hi:[0,0,1]
	v_pk_fma_f32 v[30:31], v[30:31], v[34:35], v[36:37] op_sel_hi:[1,0,1]
	s_nop 0
	v_mov_b32_e32 v39, v31
	scratch_store_dwordx2 off, v[38:39], off offset:80
.LBB12_55:
	s_or_b64 exec, exec, s[0:1]
	; wave barrier
	scratch_load_dwordx2 v[30:31], off, off offset:88
	v_cmp_gt_u32_e32 vcc, 11, v0
	s_waitcnt vmcnt(0)
	ds_write_b64 v1, v[30:31]
	s_waitcnt lgkmcnt(0)
	; wave barrier
	s_and_saveexec_b64 s[0:1], vcc
	s_cbranch_execz .LBB12_59
; %bb.56:
	v_mov_b32_e32 v30, 0
	v_add_u32_e32 v29, -1, v0
	v_add_u32_e32 v33, 0x70, v28
	v_mov_b32_e32 v34, v28
	s_mov_b64 s[4:5], 0
	v_mov_b32_e32 v31, v30
.LBB12_57:                              ; =>This Inner Loop Header: Depth=1
	scratch_load_dwordx2 v[36:37], v34, off
	ds_read_b64 v[38:39], v33
	v_add_u32_e32 v29, 1, v29
	v_cmp_lt_u32_e32 vcc, 9, v29
	v_add_u32_e32 v33, 8, v33
	v_add_u32_e32 v34, 8, v34
	s_or_b64 s[4:5], vcc, s[4:5]
	s_waitcnt vmcnt(0) lgkmcnt(0)
	v_pk_mul_f32 v[40:41], v[38:39], v[36:37] op_sel:[1,1] op_sel_hi:[0,1]
	v_pk_fma_f32 v[42:43], v[38:39], v[36:37], v[40:41] neg_lo:[0,0,1] neg_hi:[0,0,1]
	v_pk_fma_f32 v[36:37], v[38:39], v[36:37], v[40:41] op_sel_hi:[1,0,1]
	s_nop 0
	v_mov_b32_e32 v43, v37
	v_pk_add_f32 v[30:31], v[30:31], v[42:43]
	s_andn2_b64 exec, exec, s[4:5]
	s_cbranch_execnz .LBB12_57
; %bb.58:
	s_or_b64 exec, exec, s[4:5]
	v_mov_b32_e32 v29, 0
	ds_read_b64 v[34:35], v29 offset:88
	s_waitcnt lgkmcnt(0)
	v_pk_mul_f32 v[36:37], v[30:31], v[34:35] op_sel:[1,1] op_sel_hi:[0,1]
	v_pk_fma_f32 v[38:39], v[30:31], v[34:35], v[36:37] neg_lo:[0,0,1] neg_hi:[0,0,1]
	v_pk_fma_f32 v[30:31], v[30:31], v[34:35], v[36:37] op_sel_hi:[1,0,1]
	s_nop 0
	v_mov_b32_e32 v39, v31
	scratch_store_dwordx2 off, v[38:39], off offset:88
.LBB12_59:
	s_or_b64 exec, exec, s[0:1]
	; wave barrier
	scratch_load_dwordx2 v[30:31], off, off offset:96
	v_cmp_ne_u32_e32 vcc, 12, v0
	s_waitcnt vmcnt(0)
	ds_write_b64 v1, v[30:31]
	s_waitcnt lgkmcnt(0)
	; wave barrier
	s_and_saveexec_b64 s[0:1], vcc
	s_cbranch_execz .LBB12_63
; %bb.60:
	v_add_u32_e32 v1, 0x70, v28
	v_mov_b32_e32 v30, v28
	v_mov_b32_e32 v28, 0
	s_mov_b64 s[4:5], 0
	v_mov_b32_e32 v29, v28
.LBB12_61:                              ; =>This Inner Loop Header: Depth=1
	scratch_load_dwordx2 v[34:35], v30, off
	ds_read_b64 v[36:37], v1
	v_add_u32_e32 v32, 1, v32
	v_cmp_lt_u32_e32 vcc, 10, v32
	v_add_u32_e32 v1, 8, v1
	v_add_u32_e32 v30, 8, v30
	s_or_b64 s[4:5], vcc, s[4:5]
	s_waitcnt vmcnt(0) lgkmcnt(0)
	v_pk_mul_f32 v[38:39], v[36:37], v[34:35] op_sel:[1,1] op_sel_hi:[0,1]
	v_pk_fma_f32 v[40:41], v[36:37], v[34:35], v[38:39] neg_lo:[0,0,1] neg_hi:[0,0,1]
	v_pk_fma_f32 v[34:35], v[36:37], v[34:35], v[38:39] op_sel_hi:[1,0,1]
	s_nop 0
	v_mov_b32_e32 v41, v35
	v_pk_add_f32 v[28:29], v[28:29], v[40:41]
	s_andn2_b64 exec, exec, s[4:5]
	s_cbranch_execnz .LBB12_61
; %bb.62:
	s_or_b64 exec, exec, s[4:5]
	v_mov_b32_e32 v1, 0
	ds_read_b64 v[30:31], v1 offset:96
	s_waitcnt lgkmcnt(0)
	v_pk_mul_f32 v[32:33], v[28:29], v[30:31] op_sel:[1,1] op_sel_hi:[0,1]
	v_pk_fma_f32 v[34:35], v[28:29], v[30:31], v[32:33] neg_lo:[0,0,1] neg_hi:[0,0,1]
	v_pk_fma_f32 v[28:29], v[28:29], v[30:31], v[32:33] op_sel_hi:[1,0,1]
	s_nop 0
	v_mov_b32_e32 v35, v29
	scratch_store_dwordx2 off, v[34:35], off offset:96
.LBB12_63:
	s_or_b64 exec, exec, s[0:1]
	s_mov_b64 s[4:5], -1
	; wave barrier
.LBB12_64:
	s_and_b64 vcc, exec, s[4:5]
	s_cbranch_vccz .LBB12_66
; %bb.65:
	s_lshl_b64 s[0:1], s[2:3], 2
	s_add_u32 s0, s6, s0
	s_addc_u32 s1, s7, s1
	v_mov_b32_e32 v1, 0
	global_load_dword v1, v1, s[0:1]
	s_waitcnt vmcnt(0)
	v_cmp_ne_u32_e32 vcc, 0, v1
	s_cbranch_vccz .LBB12_67
.LBB12_66:
	s_endpgm
.LBB12_67:
	v_mov_b32_e32 v1, 0x70
	v_lshl_add_u32 v1, v0, 3, v1
	v_cmp_eq_u32_e32 vcc, 12, v0
	s_and_saveexec_b64 s[0:1], vcc
	s_cbranch_execz .LBB12_69
; %bb.68:
	scratch_load_dwordx2 v[28:29], off, off offset:88
	v_mov_b32_e32 v30, 0
	v_mov_b32_e32 v31, v30
	scratch_store_dwordx2 off, v[30:31], off offset:88
	s_waitcnt vmcnt(1)
	ds_write_b64 v1, v[28:29]
.LBB12_69:
	s_or_b64 exec, exec, s[0:1]
	s_waitcnt lgkmcnt(0)
	; wave barrier
	scratch_load_dwordx2 v[30:31], off, off offset:96
	scratch_load_dwordx2 v[32:33], off, off offset:88
	v_mov_b32_e32 v28, 0
	ds_read_b64 v[34:35], v28 offset:208
	v_cmp_lt_u32_e32 vcc, 10, v0
	s_waitcnt vmcnt(1) lgkmcnt(0)
	v_pk_mul_f32 v[36:37], v[34:35], v[30:31] op_sel:[1,1] op_sel_hi:[0,1]
	v_pk_fma_f32 v[38:39], v[34:35], v[30:31], v[36:37] neg_lo:[0,0,1] neg_hi:[0,0,1]
	v_pk_fma_f32 v[30:31], v[34:35], v[30:31], v[36:37] op_sel_hi:[1,0,1]
	s_nop 0
	v_mov_b32_e32 v39, v31
	v_pk_add_f32 v[30:31], v[38:39], 0 op_sel_hi:[1,0]
	s_waitcnt vmcnt(0)
	v_pk_add_f32 v[30:31], v[32:33], v[30:31] neg_lo:[0,1] neg_hi:[0,1]
	scratch_store_dwordx2 off, v[30:31], off offset:88
	s_and_saveexec_b64 s[0:1], vcc
	s_cbranch_execz .LBB12_71
; %bb.70:
	scratch_load_dwordx2 v[30:31], off, off offset:80
	v_mov_b32_e32 v29, v28
	scratch_store_dwordx2 off, v[28:29], off offset:80
	s_waitcnt vmcnt(1)
	ds_write_b64 v1, v[30:31]
.LBB12_71:
	s_or_b64 exec, exec, s[0:1]
	s_waitcnt lgkmcnt(0)
	; wave barrier
	scratch_load_dwordx4 v[30:33], off, off offset:88
	scratch_load_dwordx2 v[38:39], off, off offset:80
	ds_read2_b64 v[34:37], v28 offset0:25 offset1:26
	v_cmp_lt_u32_e32 vcc, 9, v0
	s_waitcnt vmcnt(1) lgkmcnt(0)
	v_pk_mul_f32 v[28:29], v[34:35], v[30:31] op_sel:[1,1] op_sel_hi:[0,1]
	v_mov_b32_e32 v40, v33
	v_pk_fma_f32 v[42:43], v[34:35], v[30:31], v[28:29] neg_lo:[0,0,1] neg_hi:[0,0,1]
	v_pk_fma_f32 v[28:29], v[34:35], v[30:31], v[28:29] op_sel_hi:[1,0,1]
	v_pk_mul_f32 v[30:31], v[36:37], v[40:41] op_sel:[1,0] op_sel_hi:[0,0]
	v_mov_b32_e32 v43, v29
	v_pk_fma_f32 v[28:29], v[36:37], v[32:33], v[30:31] neg_lo:[0,0,1] neg_hi:[0,0,1]
	v_pk_fma_f32 v[30:31], v[36:37], v[32:33], v[30:31] op_sel_hi:[1,0,1]
	v_pk_add_f32 v[32:33], v[42:43], 0 op_sel_hi:[1,0]
	v_mov_b32_e32 v29, v31
	v_pk_add_f32 v[28:29], v[32:33], v[28:29]
	s_waitcnt vmcnt(0)
	v_pk_add_f32 v[28:29], v[38:39], v[28:29] neg_lo:[0,1] neg_hi:[0,1]
	scratch_store_dwordx2 off, v[28:29], off offset:80
	s_and_saveexec_b64 s[0:1], vcc
	s_cbranch_execz .LBB12_73
; %bb.72:
	scratch_load_dwordx2 v[28:29], off, off offset:72
	v_mov_b32_e32 v30, 0
	v_mov_b32_e32 v31, v30
	scratch_store_dwordx2 off, v[30:31], off offset:72
	s_waitcnt vmcnt(1)
	ds_write_b64 v1, v[28:29]
.LBB12_73:
	s_or_b64 exec, exec, s[0:1]
	s_waitcnt lgkmcnt(0)
	; wave barrier
	scratch_load_dwordx4 v[30:33], off, off offset:80
	scratch_load_dwordx2 v[38:39], off, off offset:96
	scratch_load_dwordx2 v[40:41], off, off offset:72
	v_mov_b32_e32 v28, 0
	ds_read_b128 v[34:37], v28 offset:192
	ds_read_b64 v[42:43], v28 offset:208
	v_cmp_lt_u32_e32 vcc, 8, v0
	s_waitcnt vmcnt(2) lgkmcnt(1)
	v_pk_mul_f32 v[44:45], v[34:35], v[30:31] op_sel:[1,1] op_sel_hi:[0,1]
	v_mov_b32_e32 v46, v33
	v_pk_fma_f32 v[50:51], v[34:35], v[30:31], v[44:45] neg_lo:[0,0,1] neg_hi:[0,0,1]
	v_pk_fma_f32 v[30:31], v[34:35], v[30:31], v[44:45] op_sel_hi:[1,0,1]
	v_pk_mul_f32 v[34:35], v[36:37], v[46:47] op_sel:[1,0] op_sel_hi:[0,0]
	s_waitcnt vmcnt(1) lgkmcnt(0)
	v_pk_mul_f32 v[48:49], v[42:43], v[38:39] op_sel:[1,1] op_sel_hi:[0,1]
	v_mov_b32_e32 v51, v31
	v_pk_fma_f32 v[30:31], v[36:37], v[32:33], v[34:35] neg_lo:[0,0,1] neg_hi:[0,0,1]
	v_pk_fma_f32 v[32:33], v[36:37], v[32:33], v[34:35] op_sel_hi:[1,0,1]
	v_pk_fma_f32 v[44:45], v[42:43], v[38:39], v[48:49] neg_lo:[0,0,1] neg_hi:[0,0,1]
	v_pk_fma_f32 v[38:39], v[42:43], v[38:39], v[48:49] op_sel_hi:[1,0,1]
	v_pk_add_f32 v[34:35], v[50:51], 0 op_sel_hi:[1,0]
	v_mov_b32_e32 v31, v33
	v_mov_b32_e32 v45, v39
	v_pk_add_f32 v[30:31], v[34:35], v[30:31]
	s_nop 0
	v_pk_add_f32 v[30:31], v[30:31], v[44:45]
	s_waitcnt vmcnt(0)
	v_pk_add_f32 v[30:31], v[40:41], v[30:31] neg_lo:[0,1] neg_hi:[0,1]
	scratch_store_dwordx2 off, v[30:31], off offset:72
	s_and_saveexec_b64 s[0:1], vcc
	s_cbranch_execz .LBB12_75
; %bb.74:
	scratch_load_dwordx2 v[30:31], off, off offset:64
	v_mov_b32_e32 v29, v28
	scratch_store_dwordx2 off, v[28:29], off offset:64
	s_waitcnt vmcnt(1)
	ds_write_b64 v1, v[30:31]
.LBB12_75:
	s_or_b64 exec, exec, s[0:1]
	s_waitcnt lgkmcnt(0)
	; wave barrier
	scratch_load_dwordx4 v[30:33], off, off offset:72
	scratch_load_dwordx4 v[34:37], off, off offset:88
	scratch_load_dwordx2 v[46:47], off, off offset:64
	ds_read2_b64 v[38:41], v28 offset0:23 offset1:24
	ds_read2_b64 v[42:45], v28 offset0:25 offset1:26
	v_cmp_lt_u32_e32 vcc, 7, v0
	s_waitcnt vmcnt(2) lgkmcnt(1)
	v_pk_mul_f32 v[28:29], v[38:39], v[30:31] op_sel:[1,1] op_sel_hi:[0,1]
	v_mov_b32_e32 v48, v33
	s_waitcnt vmcnt(1) lgkmcnt(0)
	v_pk_mul_f32 v[50:51], v[42:43], v[34:35] op_sel:[1,1] op_sel_hi:[0,1]
	v_mov_b32_e32 v52, v37
	v_pk_fma_f32 v[54:55], v[38:39], v[30:31], v[28:29] neg_lo:[0,0,1] neg_hi:[0,0,1]
	v_pk_fma_f32 v[28:29], v[38:39], v[30:31], v[28:29] op_sel_hi:[1,0,1]
	v_pk_mul_f32 v[30:31], v[40:41], v[48:49] op_sel:[1,0] op_sel_hi:[0,0]
	v_pk_fma_f32 v[38:39], v[42:43], v[34:35], v[50:51] neg_lo:[0,0,1] neg_hi:[0,0,1]
	v_pk_fma_f32 v[34:35], v[42:43], v[34:35], v[50:51] op_sel_hi:[1,0,1]
	v_pk_mul_f32 v[42:43], v[44:45], v[52:53] op_sel:[1,0] op_sel_hi:[0,0]
	v_mov_b32_e32 v55, v29
	v_pk_fma_f32 v[28:29], v[40:41], v[32:33], v[30:31] neg_lo:[0,0,1] neg_hi:[0,0,1]
	v_pk_fma_f32 v[30:31], v[40:41], v[32:33], v[30:31] op_sel_hi:[1,0,1]
	v_mov_b32_e32 v39, v35
	v_pk_fma_f32 v[32:33], v[44:45], v[36:37], v[42:43] neg_lo:[0,0,1] neg_hi:[0,0,1]
	v_pk_fma_f32 v[34:35], v[44:45], v[36:37], v[42:43] op_sel_hi:[1,0,1]
	v_pk_add_f32 v[36:37], v[54:55], 0 op_sel_hi:[1,0]
	v_mov_b32_e32 v29, v31
	v_pk_add_f32 v[28:29], v[36:37], v[28:29]
	v_mov_b32_e32 v33, v35
	v_pk_add_f32 v[28:29], v[28:29], v[38:39]
	s_nop 0
	v_pk_add_f32 v[28:29], v[28:29], v[32:33]
	s_waitcnt vmcnt(0)
	v_pk_add_f32 v[28:29], v[46:47], v[28:29] neg_lo:[0,1] neg_hi:[0,1]
	scratch_store_dwordx2 off, v[28:29], off offset:64
	s_and_saveexec_b64 s[0:1], vcc
	s_cbranch_execz .LBB12_77
; %bb.76:
	scratch_load_dwordx2 v[28:29], off, off offset:56
	v_mov_b32_e32 v30, 0
	v_mov_b32_e32 v31, v30
	scratch_store_dwordx2 off, v[30:31], off offset:56
	s_waitcnt vmcnt(1)
	ds_write_b64 v1, v[28:29]
.LBB12_77:
	s_or_b64 exec, exec, s[0:1]
	s_waitcnt lgkmcnt(0)
	; wave barrier
	scratch_load_dwordx4 v[30:33], off, off offset:64
	scratch_load_dwordx4 v[34:37], off, off offset:80
	scratch_load_dwordx2 v[46:47], off, off offset:96
	scratch_load_dwordx2 v[48:49], off, off offset:56
	v_mov_b32_e32 v28, 0
	ds_read_b128 v[38:41], v28 offset:176
	ds_read_b128 v[42:45], v28 offset:192
	ds_read_b64 v[50:51], v28 offset:208
	v_cmp_lt_u32_e32 vcc, 6, v0
	s_waitcnt vmcnt(3) lgkmcnt(2)
	v_pk_mul_f32 v[52:53], v[38:39], v[30:31] op_sel:[1,1] op_sel_hi:[0,1]
	v_mov_b32_e32 v54, v33
	v_pk_fma_f32 v[62:63], v[38:39], v[30:31], v[52:53] neg_lo:[0,0,1] neg_hi:[0,0,1]
	v_pk_fma_f32 v[30:31], v[38:39], v[30:31], v[52:53] op_sel_hi:[1,0,1]
	v_pk_mul_f32 v[38:39], v[40:41], v[54:55] op_sel:[1,0] op_sel_hi:[0,0]
	s_waitcnt vmcnt(2) lgkmcnt(1)
	v_pk_mul_f32 v[56:57], v[42:43], v[34:35] op_sel:[1,1] op_sel_hi:[0,1]
	v_mov_b32_e32 v58, v37
	v_mov_b32_e32 v63, v31
	v_pk_fma_f32 v[30:31], v[40:41], v[32:33], v[38:39] neg_lo:[0,0,1] neg_hi:[0,0,1]
	v_pk_fma_f32 v[32:33], v[40:41], v[32:33], v[38:39] op_sel_hi:[1,0,1]
	v_pk_fma_f32 v[52:53], v[42:43], v[34:35], v[56:57] neg_lo:[0,0,1] neg_hi:[0,0,1]
	v_pk_fma_f32 v[34:35], v[42:43], v[34:35], v[56:57] op_sel_hi:[1,0,1]
	v_pk_mul_f32 v[42:43], v[44:45], v[58:59] op_sel:[1,0] op_sel_hi:[0,0]
	v_pk_add_f32 v[38:39], v[62:63], 0 op_sel_hi:[1,0]
	v_mov_b32_e32 v31, v33
	s_waitcnt vmcnt(1) lgkmcnt(0)
	v_pk_mul_f32 v[60:61], v[50:51], v[46:47] op_sel:[1,1] op_sel_hi:[0,1]
	v_mov_b32_e32 v53, v35
	v_pk_fma_f32 v[34:35], v[44:45], v[36:37], v[42:43] neg_lo:[0,0,1] neg_hi:[0,0,1]
	v_pk_fma_f32 v[36:37], v[44:45], v[36:37], v[42:43] op_sel_hi:[1,0,1]
	v_pk_add_f32 v[30:31], v[38:39], v[30:31]
	v_pk_fma_f32 v[54:55], v[50:51], v[46:47], v[60:61] neg_lo:[0,0,1] neg_hi:[0,0,1]
	v_pk_fma_f32 v[46:47], v[50:51], v[46:47], v[60:61] op_sel_hi:[1,0,1]
	v_mov_b32_e32 v35, v37
	v_pk_add_f32 v[30:31], v[30:31], v[52:53]
	v_mov_b32_e32 v55, v47
	v_pk_add_f32 v[30:31], v[30:31], v[34:35]
	s_nop 0
	v_pk_add_f32 v[30:31], v[30:31], v[54:55]
	s_waitcnt vmcnt(0)
	v_pk_add_f32 v[30:31], v[48:49], v[30:31] neg_lo:[0,1] neg_hi:[0,1]
	scratch_store_dwordx2 off, v[30:31], off offset:56
	s_and_saveexec_b64 s[0:1], vcc
	s_cbranch_execz .LBB12_79
; %bb.78:
	scratch_load_dwordx2 v[30:31], off, off offset:48
	v_mov_b32_e32 v29, v28
	scratch_store_dwordx2 off, v[28:29], off offset:48
	s_waitcnt vmcnt(1)
	ds_write_b64 v1, v[30:31]
.LBB12_79:
	s_or_b64 exec, exec, s[0:1]
	s_waitcnt lgkmcnt(0)
	; wave barrier
	scratch_load_dwordx4 v[30:33], off, off offset:56
	scratch_load_dwordx4 v[34:37], off, off offset:72
	;; [unrolled: 1-line block ×3, first 2 shown]
	scratch_load_dwordx2 v[54:55], off, off offset:48
	ds_read2_b64 v[42:45], v28 offset0:21 offset1:22
	ds_read2_b64 v[46:49], v28 offset0:23 offset1:24
	;; [unrolled: 1-line block ×3, first 2 shown]
	v_cmp_lt_u32_e32 vcc, 5, v0
	s_waitcnt vmcnt(3) lgkmcnt(2)
	v_pk_mul_f32 v[28:29], v[42:43], v[30:31] op_sel:[1,1] op_sel_hi:[0,1]
	v_mov_b32_e32 v56, v33
	s_waitcnt vmcnt(2) lgkmcnt(1)
	v_pk_mul_f32 v[58:59], v[46:47], v[34:35] op_sel:[1,1] op_sel_hi:[0,1]
	v_mov_b32_e32 v60, v37
	;; [unrolled: 3-line block ×3, first 2 shown]
	v_pk_fma_f32 v[66:67], v[42:43], v[30:31], v[28:29] neg_lo:[0,0,1] neg_hi:[0,0,1]
	v_pk_fma_f32 v[28:29], v[42:43], v[30:31], v[28:29] op_sel_hi:[1,0,1]
	v_pk_mul_f32 v[30:31], v[44:45], v[56:57] op_sel:[1,0] op_sel_hi:[0,0]
	v_pk_fma_f32 v[42:43], v[46:47], v[34:35], v[58:59] neg_lo:[0,0,1] neg_hi:[0,0,1]
	v_pk_fma_f32 v[34:35], v[46:47], v[34:35], v[58:59] op_sel_hi:[1,0,1]
	v_pk_mul_f32 v[46:47], v[48:49], v[60:61] op_sel:[1,0] op_sel_hi:[0,0]
	;; [unrolled: 3-line block ×3, first 2 shown]
	v_mov_b32_e32 v67, v29
	v_pk_fma_f32 v[28:29], v[44:45], v[32:33], v[30:31] neg_lo:[0,0,1] neg_hi:[0,0,1]
	v_pk_fma_f32 v[30:31], v[44:45], v[32:33], v[30:31] op_sel_hi:[1,0,1]
	v_mov_b32_e32 v43, v35
	v_pk_fma_f32 v[32:33], v[48:49], v[36:37], v[46:47] neg_lo:[0,0,1] neg_hi:[0,0,1]
	v_pk_fma_f32 v[34:35], v[48:49], v[36:37], v[46:47] op_sel_hi:[1,0,1]
	;; [unrolled: 3-line block ×3, first 2 shown]
	v_pk_add_f32 v[40:41], v[66:67], 0 op_sel_hi:[1,0]
	v_mov_b32_e32 v29, v31
	v_pk_add_f32 v[28:29], v[40:41], v[28:29]
	v_mov_b32_e32 v33, v35
	v_pk_add_f32 v[28:29], v[28:29], v[42:43]
	;; [unrolled: 2-line block ×3, first 2 shown]
	s_nop 0
	v_pk_add_f32 v[28:29], v[28:29], v[56:57]
	s_nop 0
	v_pk_add_f32 v[28:29], v[28:29], v[36:37]
	s_waitcnt vmcnt(0)
	v_pk_add_f32 v[28:29], v[54:55], v[28:29] neg_lo:[0,1] neg_hi:[0,1]
	scratch_store_dwordx2 off, v[28:29], off offset:48
	s_and_saveexec_b64 s[0:1], vcc
	s_cbranch_execz .LBB12_81
; %bb.80:
	scratch_load_dwordx2 v[28:29], off, off offset:40
	v_mov_b32_e32 v30, 0
	v_mov_b32_e32 v31, v30
	scratch_store_dwordx2 off, v[30:31], off offset:40
	s_waitcnt vmcnt(1)
	ds_write_b64 v1, v[28:29]
.LBB12_81:
	s_or_b64 exec, exec, s[0:1]
	s_waitcnt lgkmcnt(0)
	; wave barrier
	scratch_load_dwordx4 v[30:33], off, off offset:48
	scratch_load_dwordx4 v[34:37], off, off offset:64
	;; [unrolled: 1-line block ×3, first 2 shown]
	scratch_load_dwordx2 v[54:55], off, off offset:96
	scratch_load_dwordx2 v[56:57], off, off offset:40
	v_mov_b32_e32 v28, 0
	ds_read_b128 v[42:45], v28 offset:160
	ds_read_b128 v[46:49], v28 offset:176
	;; [unrolled: 1-line block ×3, first 2 shown]
	ds_read_b64 v[58:59], v28 offset:208
	v_cmp_lt_u32_e32 vcc, 4, v0
	s_waitcnt vmcnt(4) lgkmcnt(3)
	v_pk_mul_f32 v[60:61], v[42:43], v[30:31] op_sel:[1,1] op_sel_hi:[0,1]
	v_mov_b32_e32 v62, v33
	v_pk_fma_f32 v[74:75], v[42:43], v[30:31], v[60:61] neg_lo:[0,0,1] neg_hi:[0,0,1]
	v_pk_fma_f32 v[30:31], v[42:43], v[30:31], v[60:61] op_sel_hi:[1,0,1]
	v_pk_mul_f32 v[42:43], v[44:45], v[62:63] op_sel:[1,0] op_sel_hi:[0,0]
	s_waitcnt vmcnt(3) lgkmcnt(2)
	v_pk_mul_f32 v[64:65], v[46:47], v[34:35] op_sel:[1,1] op_sel_hi:[0,1]
	v_mov_b32_e32 v66, v37
	v_mov_b32_e32 v75, v31
	v_pk_fma_f32 v[30:31], v[44:45], v[32:33], v[42:43] neg_lo:[0,0,1] neg_hi:[0,0,1]
	v_pk_fma_f32 v[32:33], v[44:45], v[32:33], v[42:43] op_sel_hi:[1,0,1]
	v_pk_fma_f32 v[60:61], v[46:47], v[34:35], v[64:65] neg_lo:[0,0,1] neg_hi:[0,0,1]
	v_pk_fma_f32 v[34:35], v[46:47], v[34:35], v[64:65] op_sel_hi:[1,0,1]
	v_pk_mul_f32 v[46:47], v[48:49], v[66:67] op_sel:[1,0] op_sel_hi:[0,0]
	v_pk_add_f32 v[42:43], v[74:75], 0 op_sel_hi:[1,0]
	v_mov_b32_e32 v31, v33
	s_waitcnt vmcnt(2) lgkmcnt(1)
	v_pk_mul_f32 v[68:69], v[50:51], v[38:39] op_sel:[1,1] op_sel_hi:[0,1]
	v_mov_b32_e32 v70, v41
	v_mov_b32_e32 v61, v35
	v_pk_fma_f32 v[34:35], v[48:49], v[36:37], v[46:47] neg_lo:[0,0,1] neg_hi:[0,0,1]
	v_pk_fma_f32 v[36:37], v[48:49], v[36:37], v[46:47] op_sel_hi:[1,0,1]
	v_pk_add_f32 v[30:31], v[42:43], v[30:31]
	v_pk_fma_f32 v[62:63], v[50:51], v[38:39], v[68:69] neg_lo:[0,0,1] neg_hi:[0,0,1]
	v_pk_fma_f32 v[38:39], v[50:51], v[38:39], v[68:69] op_sel_hi:[1,0,1]
	v_pk_mul_f32 v[50:51], v[52:53], v[70:71] op_sel:[1,0] op_sel_hi:[0,0]
	v_mov_b32_e32 v35, v37
	v_pk_add_f32 v[30:31], v[30:31], v[60:61]
	s_waitcnt vmcnt(1) lgkmcnt(0)
	v_pk_mul_f32 v[72:73], v[58:59], v[54:55] op_sel:[1,1] op_sel_hi:[0,1]
	v_mov_b32_e32 v63, v39
	v_pk_fma_f32 v[38:39], v[52:53], v[40:41], v[50:51] neg_lo:[0,0,1] neg_hi:[0,0,1]
	v_pk_fma_f32 v[40:41], v[52:53], v[40:41], v[50:51] op_sel_hi:[1,0,1]
	v_pk_add_f32 v[30:31], v[30:31], v[34:35]
	v_pk_fma_f32 v[64:65], v[58:59], v[54:55], v[72:73] neg_lo:[0,0,1] neg_hi:[0,0,1]
	v_pk_fma_f32 v[54:55], v[58:59], v[54:55], v[72:73] op_sel_hi:[1,0,1]
	v_mov_b32_e32 v39, v41
	v_pk_add_f32 v[30:31], v[30:31], v[62:63]
	v_mov_b32_e32 v65, v55
	v_pk_add_f32 v[30:31], v[30:31], v[38:39]
	s_nop 0
	v_pk_add_f32 v[30:31], v[30:31], v[64:65]
	s_waitcnt vmcnt(0)
	v_pk_add_f32 v[30:31], v[56:57], v[30:31] neg_lo:[0,1] neg_hi:[0,1]
	scratch_store_dwordx2 off, v[30:31], off offset:40
	s_and_saveexec_b64 s[0:1], vcc
	s_cbranch_execz .LBB12_83
; %bb.82:
	scratch_load_dwordx2 v[30:31], off, off offset:32
	v_mov_b32_e32 v29, v28
	scratch_store_dwordx2 off, v[28:29], off offset:32
	s_waitcnt vmcnt(1)
	ds_write_b64 v1, v[30:31]
.LBB12_83:
	s_or_b64 exec, exec, s[0:1]
	s_waitcnt lgkmcnt(0)
	; wave barrier
	scratch_load_dwordx4 v[30:33], off, off offset:40
	scratch_load_dwordx4 v[34:37], off, off offset:56
	;; [unrolled: 1-line block ×4, first 2 shown]
	scratch_load_dwordx2 v[62:63], off, off offset:32
	ds_read2_b64 v[46:49], v28 offset0:19 offset1:20
	ds_read2_b64 v[50:53], v28 offset0:21 offset1:22
	;; [unrolled: 1-line block ×4, first 2 shown]
	v_cmp_lt_u32_e32 vcc, 3, v0
	s_waitcnt vmcnt(4) lgkmcnt(3)
	v_pk_mul_f32 v[28:29], v[46:47], v[30:31] op_sel:[1,1] op_sel_hi:[0,1]
	v_mov_b32_e32 v64, v33
	s_waitcnt vmcnt(3) lgkmcnt(2)
	v_pk_mul_f32 v[66:67], v[50:51], v[34:35] op_sel:[1,1] op_sel_hi:[0,1]
	v_mov_b32_e32 v68, v37
	;; [unrolled: 3-line block ×4, first 2 shown]
	v_pk_fma_f32 v[78:79], v[46:47], v[30:31], v[28:29] neg_lo:[0,0,1] neg_hi:[0,0,1]
	v_pk_fma_f32 v[28:29], v[46:47], v[30:31], v[28:29] op_sel_hi:[1,0,1]
	v_pk_mul_f32 v[30:31], v[48:49], v[64:65] op_sel:[1,0] op_sel_hi:[0,0]
	v_pk_fma_f32 v[46:47], v[50:51], v[34:35], v[66:67] neg_lo:[0,0,1] neg_hi:[0,0,1]
	v_pk_fma_f32 v[34:35], v[50:51], v[34:35], v[66:67] op_sel_hi:[1,0,1]
	v_pk_mul_f32 v[50:51], v[52:53], v[68:69] op_sel:[1,0] op_sel_hi:[0,0]
	;; [unrolled: 3-line block ×4, first 2 shown]
	v_mov_b32_e32 v79, v29
	v_pk_fma_f32 v[28:29], v[48:49], v[32:33], v[30:31] neg_lo:[0,0,1] neg_hi:[0,0,1]
	v_pk_fma_f32 v[30:31], v[48:49], v[32:33], v[30:31] op_sel_hi:[1,0,1]
	v_mov_b32_e32 v47, v35
	v_pk_fma_f32 v[32:33], v[52:53], v[36:37], v[50:51] neg_lo:[0,0,1] neg_hi:[0,0,1]
	v_pk_fma_f32 v[34:35], v[52:53], v[36:37], v[50:51] op_sel_hi:[1,0,1]
	;; [unrolled: 3-line block ×4, first 2 shown]
	v_pk_add_f32 v[44:45], v[78:79], 0 op_sel_hi:[1,0]
	v_mov_b32_e32 v29, v31
	v_pk_add_f32 v[28:29], v[44:45], v[28:29]
	v_mov_b32_e32 v33, v35
	v_pk_add_f32 v[28:29], v[28:29], v[46:47]
	;; [unrolled: 2-line block ×4, first 2 shown]
	s_nop 0
	v_pk_add_f32 v[28:29], v[28:29], v[36:37]
	s_nop 0
	v_pk_add_f32 v[28:29], v[28:29], v[66:67]
	;; [unrolled: 2-line block ×3, first 2 shown]
	s_waitcnt vmcnt(0)
	v_pk_add_f32 v[28:29], v[62:63], v[28:29] neg_lo:[0,1] neg_hi:[0,1]
	scratch_store_dwordx2 off, v[28:29], off offset:32
	s_and_saveexec_b64 s[0:1], vcc
	s_cbranch_execz .LBB12_85
; %bb.84:
	scratch_load_dwordx2 v[28:29], off, off offset:24
	v_mov_b32_e32 v30, 0
	v_mov_b32_e32 v31, v30
	scratch_store_dwordx2 off, v[30:31], off offset:24
	s_waitcnt vmcnt(1)
	ds_write_b64 v1, v[28:29]
.LBB12_85:
	s_or_b64 exec, exec, s[0:1]
	s_waitcnt lgkmcnt(0)
	; wave barrier
	scratch_load_dwordx4 v[30:33], off, off offset:32
	scratch_load_dwordx4 v[34:37], off, off offset:48
	;; [unrolled: 1-line block ×4, first 2 shown]
	scratch_load_dwordx2 v[62:63], off, off offset:96
	scratch_load_dwordx2 v[64:65], off, off offset:24
	v_mov_b32_e32 v28, 0
	ds_read_b128 v[46:49], v28 offset:144
	ds_read_b128 v[50:53], v28 offset:160
	;; [unrolled: 1-line block ×4, first 2 shown]
	ds_read_b64 v[66:67], v28 offset:208
	v_cmp_lt_u32_e32 vcc, 2, v0
	s_waitcnt vmcnt(5) lgkmcnt(4)
	v_mul_f32_e32 v69, v46, v31
	v_mul_f32_e32 v29, v47, v31
	v_mov_b32_e32 v70, v33
	s_waitcnt vmcnt(4) lgkmcnt(3)
	v_pk_mul_f32 v[72:73], v[50:51], v[34:35] op_sel:[1,1] op_sel_hi:[0,1]
	v_mov_b32_e32 v74, v37
	s_waitcnt vmcnt(1) lgkmcnt(0)
	v_pk_mul_f32 v[84:85], v[66:67], v[62:63] op_sel:[1,1] op_sel_hi:[0,1]
	v_fmac_f32_e32 v69, v47, v30
	v_fma_f32 v68, v46, v30, -v29
	v_pk_mul_f32 v[30:31], v[48:49], v[70:71] op_sel:[1,0] op_sel_hi:[0,0]
	v_pk_fma_f32 v[46:47], v[50:51], v[34:35], v[72:73] neg_lo:[0,0,1] neg_hi:[0,0,1]
	v_pk_fma_f32 v[34:35], v[50:51], v[34:35], v[72:73] op_sel_hi:[1,0,1]
	v_pk_mul_f32 v[50:51], v[52:53], v[74:75] op_sel:[1,0] op_sel_hi:[0,0]
	v_pk_fma_f32 v[74:75], v[66:67], v[62:63], v[84:85] neg_lo:[0,0,1] neg_hi:[0,0,1]
	v_pk_fma_f32 v[62:63], v[66:67], v[62:63], v[84:85] op_sel_hi:[1,0,1]
	v_pk_add_f32 v[66:67], v[68:69], 0 op_sel_hi:[1,0]
	v_pk_fma_f32 v[68:69], v[48:49], v[32:33], v[30:31] neg_lo:[0,0,1] neg_hi:[0,0,1]
	v_pk_fma_f32 v[30:31], v[48:49], v[32:33], v[30:31] op_sel_hi:[1,0,1]
	v_pk_mul_f32 v[76:77], v[54:55], v[38:39] op_sel:[1,1] op_sel_hi:[0,1]
	v_mov_b32_e32 v69, v31
	v_mov_b32_e32 v78, v41
	;; [unrolled: 1-line block ×3, first 2 shown]
	v_pk_fma_f32 v[32:33], v[52:53], v[36:37], v[50:51] neg_lo:[0,0,1] neg_hi:[0,0,1]
	v_pk_fma_f32 v[34:35], v[52:53], v[36:37], v[50:51] op_sel_hi:[1,0,1]
	v_pk_add_f32 v[30:31], v[66:67], v[68:69]
	v_pk_fma_f32 v[70:71], v[54:55], v[38:39], v[76:77] neg_lo:[0,0,1] neg_hi:[0,0,1]
	v_pk_fma_f32 v[38:39], v[54:55], v[38:39], v[76:77] op_sel_hi:[1,0,1]
	v_pk_mul_f32 v[54:55], v[56:57], v[78:79] op_sel:[1,0] op_sel_hi:[0,0]
	v_mov_b32_e32 v33, v35
	v_pk_add_f32 v[30:31], v[30:31], v[46:47]
	v_pk_mul_f32 v[80:81], v[58:59], v[42:43] op_sel:[1,1] op_sel_hi:[0,1]
	v_mov_b32_e32 v82, v45
	v_mov_b32_e32 v71, v39
	v_pk_fma_f32 v[36:37], v[56:57], v[40:41], v[54:55] neg_lo:[0,0,1] neg_hi:[0,0,1]
	v_pk_fma_f32 v[38:39], v[56:57], v[40:41], v[54:55] op_sel_hi:[1,0,1]
	v_pk_add_f32 v[30:31], v[30:31], v[32:33]
	v_pk_fma_f32 v[72:73], v[58:59], v[42:43], v[80:81] neg_lo:[0,0,1] neg_hi:[0,0,1]
	v_pk_fma_f32 v[42:43], v[58:59], v[42:43], v[80:81] op_sel_hi:[1,0,1]
	v_pk_mul_f32 v[58:59], v[60:61], v[82:83] op_sel:[1,0] op_sel_hi:[0,0]
	v_mov_b32_e32 v37, v39
	v_pk_add_f32 v[30:31], v[30:31], v[70:71]
	v_mov_b32_e32 v73, v43
	v_pk_fma_f32 v[40:41], v[60:61], v[44:45], v[58:59] neg_lo:[0,0,1] neg_hi:[0,0,1]
	v_pk_fma_f32 v[42:43], v[60:61], v[44:45], v[58:59] op_sel_hi:[1,0,1]
	v_pk_add_f32 v[30:31], v[30:31], v[36:37]
	v_mov_b32_e32 v41, v43
	v_pk_add_f32 v[30:31], v[30:31], v[72:73]
	v_mov_b32_e32 v75, v63
	v_pk_add_f32 v[30:31], v[30:31], v[40:41]
	s_nop 0
	v_pk_add_f32 v[30:31], v[30:31], v[74:75]
	s_waitcnt vmcnt(0)
	v_pk_add_f32 v[30:31], v[64:65], v[30:31] neg_lo:[0,1] neg_hi:[0,1]
	scratch_store_dwordx2 off, v[30:31], off offset:24
	s_and_saveexec_b64 s[0:1], vcc
	s_cbranch_execz .LBB12_87
; %bb.86:
	scratch_load_dwordx2 v[30:31], off, off offset:16
	v_mov_b32_e32 v29, v28
	scratch_store_dwordx2 off, v[28:29], off offset:16
	s_waitcnt vmcnt(1)
	ds_write_b64 v1, v[30:31]
.LBB12_87:
	s_or_b64 exec, exec, s[0:1]
	s_waitcnt lgkmcnt(0)
	; wave barrier
	scratch_load_dwordx4 v[30:33], off, off offset:24
	scratch_load_dwordx4 v[34:37], off, off offset:40
	;; [unrolled: 1-line block ×5, first 2 shown]
	scratch_load_dwordx2 v[70:71], off, off offset:16
	ds_read2_b64 v[50:53], v28 offset0:17 offset1:18
	ds_read2_b64 v[54:57], v28 offset0:19 offset1:20
	;; [unrolled: 1-line block ×5, first 2 shown]
	v_cmp_lt_u32_e32 vcc, 1, v0
	s_waitcnt vmcnt(5) lgkmcnt(4)
	v_mul_f32_e32 v29, v50, v31
	v_mul_f32_e32 v28, v51, v31
	;; [unrolled: 1-line block ×4, first 2 shown]
	s_waitcnt vmcnt(4) lgkmcnt(3)
	v_pk_mul_f32 v[74:75], v[54:55], v[34:35] op_sel:[1,1] op_sel_hi:[0,1]
	v_mov_b32_e32 v76, v37
	v_fmac_f32_e32 v29, v51, v30
	v_fma_f32 v28, v50, v30, -v28
	v_fmac_f32_e32 v73, v53, v32
	v_fma_f32 v72, v52, v32, -v31
	v_pk_fma_f32 v[30:31], v[54:55], v[34:35], v[74:75] neg_lo:[0,0,1] neg_hi:[0,0,1]
	v_pk_fma_f32 v[32:33], v[54:55], v[34:35], v[74:75] op_sel_hi:[1,0,1]
	v_pk_mul_f32 v[34:35], v[56:57], v[76:77] op_sel:[1,0] op_sel_hi:[0,0]
	v_pk_add_f32 v[28:29], v[28:29], 0 op_sel_hi:[1,0]
	s_waitcnt vmcnt(3) lgkmcnt(2)
	v_pk_mul_f32 v[78:79], v[58:59], v[38:39] op_sel:[1,1] op_sel_hi:[0,1]
	v_mov_b32_e32 v80, v41
	v_mov_b32_e32 v31, v33
	v_pk_fma_f32 v[32:33], v[56:57], v[36:37], v[34:35] neg_lo:[0,0,1] neg_hi:[0,0,1]
	v_pk_fma_f32 v[34:35], v[56:57], v[36:37], v[34:35] op_sel_hi:[1,0,1]
	v_pk_add_f32 v[28:29], v[28:29], v[72:73]
	v_pk_fma_f32 v[50:51], v[58:59], v[38:39], v[78:79] neg_lo:[0,0,1] neg_hi:[0,0,1]
	v_pk_fma_f32 v[38:39], v[58:59], v[38:39], v[78:79] op_sel_hi:[1,0,1]
	v_pk_mul_f32 v[52:53], v[60:61], v[80:81] op_sel:[1,0] op_sel_hi:[0,0]
	v_mov_b32_e32 v33, v35
	v_pk_add_f32 v[28:29], v[28:29], v[30:31]
	s_waitcnt vmcnt(2) lgkmcnt(1)
	v_pk_mul_f32 v[82:83], v[62:63], v[42:43] op_sel:[1,1] op_sel_hi:[0,1]
	v_mov_b32_e32 v84, v45
	v_mov_b32_e32 v51, v39
	v_pk_fma_f32 v[36:37], v[60:61], v[40:41], v[52:53] neg_lo:[0,0,1] neg_hi:[0,0,1]
	v_pk_fma_f32 v[38:39], v[60:61], v[40:41], v[52:53] op_sel_hi:[1,0,1]
	v_pk_add_f32 v[28:29], v[28:29], v[32:33]
	v_pk_fma_f32 v[54:55], v[62:63], v[42:43], v[82:83] neg_lo:[0,0,1] neg_hi:[0,0,1]
	v_pk_fma_f32 v[42:43], v[62:63], v[42:43], v[82:83] op_sel_hi:[1,0,1]
	v_pk_mul_f32 v[58:59], v[64:65], v[84:85] op_sel:[1,0] op_sel_hi:[0,0]
	v_mov_b32_e32 v37, v39
	v_pk_add_f32 v[28:29], v[28:29], v[50:51]
	;; [unrolled: 12-line block ×3, first 2 shown]
	v_mov_b32_e32 v63, v47
	v_pk_fma_f32 v[44:45], v[68:69], v[48:49], v[66:67] neg_lo:[0,0,1] neg_hi:[0,0,1]
	v_pk_fma_f32 v[46:47], v[68:69], v[48:49], v[66:67] op_sel_hi:[1,0,1]
	v_pk_add_f32 v[28:29], v[28:29], v[40:41]
	v_mov_b32_e32 v45, v47
	v_pk_add_f32 v[28:29], v[28:29], v[62:63]
	s_nop 0
	v_pk_add_f32 v[28:29], v[28:29], v[44:45]
	s_waitcnt vmcnt(0)
	v_pk_add_f32 v[28:29], v[70:71], v[28:29] neg_lo:[0,1] neg_hi:[0,1]
	scratch_store_dwordx2 off, v[28:29], off offset:16
	s_and_saveexec_b64 s[0:1], vcc
	s_cbranch_execz .LBB12_89
; %bb.88:
	scratch_load_dwordx2 v[28:29], off, off offset:8
	v_mov_b32_e32 v30, 0
	v_mov_b32_e32 v31, v30
	scratch_store_dwordx2 off, v[30:31], off offset:8
	s_waitcnt vmcnt(1)
	ds_write_b64 v1, v[28:29]
.LBB12_89:
	s_or_b64 exec, exec, s[0:1]
	s_waitcnt lgkmcnt(0)
	; wave barrier
	scratch_load_dwordx4 v[30:33], off, off offset:16
	scratch_load_dwordx4 v[34:37], off, off offset:32
	;; [unrolled: 1-line block ×5, first 2 shown]
	scratch_load_dwordx2 v[70:71], off, off offset:96
	scratch_load_dwordx2 v[72:73], off, off offset:8
	v_mov_b32_e32 v28, 0
	ds_read_b128 v[50:53], v28 offset:128
	ds_read_b128 v[54:57], v28 offset:144
	;; [unrolled: 1-line block ×5, first 2 shown]
	ds_read_b64 v[74:75], v28 offset:208
	v_cmp_ne_u32_e32 vcc, 0, v0
	s_waitcnt vmcnt(6) lgkmcnt(5)
	v_mul_f32_e32 v29, v50, v31
	v_mul_f32_e32 v31, v51, v31
	;; [unrolled: 1-line block ×3, first 2 shown]
	s_waitcnt vmcnt(5) lgkmcnt(4)
	v_mul_f32_e32 v79, v54, v35
	v_mul_f32_e32 v33, v53, v33
	;; [unrolled: 1-line block ×3, first 2 shown]
	v_mov_b32_e32 v80, v37
	s_waitcnt vmcnt(3) lgkmcnt(2)
	v_pk_mul_f32 v[86:87], v[62:63], v[42:43] op_sel:[1,1] op_sel_hi:[0,1]
	s_waitcnt vmcnt(2) lgkmcnt(1)
	v_pk_mul_f32 v[90:91], v[66:67], v[46:47] op_sel:[1,1] op_sel_hi:[0,1]
	;; [unrolled: 2-line block ×3, first 2 shown]
	v_fmac_f32_e32 v29, v51, v30
	v_fma_f32 v81, v50, v30, -v31
	v_fmac_f32_e32 v77, v53, v32
	v_fmac_f32_e32 v79, v55, v34
	v_fma_f32 v76, v52, v32, -v33
	v_fma_f32 v78, v54, v34, -v35
	v_pk_mul_f32 v[30:31], v[56:57], v[80:81] op_sel:[1,0] op_sel_hi:[0,0]
	v_pk_fma_f32 v[50:51], v[62:63], v[42:43], v[86:87] neg_lo:[0,0,1] neg_hi:[0,0,1]
	v_pk_fma_f32 v[42:43], v[62:63], v[42:43], v[86:87] op_sel_hi:[1,0,1]
	v_pk_fma_f32 v[54:55], v[66:67], v[46:47], v[90:91] neg_lo:[0,0,1] neg_hi:[0,0,1]
	v_pk_fma_f32 v[46:47], v[66:67], v[46:47], v[90:91] op_sel_hi:[1,0,1]
	;; [unrolled: 2-line block ×3, first 2 shown]
	v_add_f32_e32 v71, 0, v29
	v_add_f32_e32 v70, 0, v81
	v_pk_mul_f32 v[82:83], v[58:59], v[38:39] op_sel:[1,1] op_sel_hi:[0,1]
	v_mov_b32_e32 v84, v41
	v_pk_fma_f32 v[74:75], v[56:57], v[36:37], v[30:31] neg_lo:[0,0,1] neg_hi:[0,0,1]
	v_pk_fma_f32 v[30:31], v[56:57], v[36:37], v[30:31] op_sel_hi:[1,0,1]
	v_mov_b32_e32 v55, v47
	v_pk_add_f32 v[46:47], v[70:71], v[76:77]
	v_pk_fma_f32 v[32:33], v[58:59], v[38:39], v[82:83] neg_lo:[0,0,1] neg_hi:[0,0,1]
	v_pk_fma_f32 v[34:35], v[58:59], v[38:39], v[82:83] op_sel_hi:[1,0,1]
	v_pk_mul_f32 v[38:39], v[60:61], v[84:85] op_sel:[1,0] op_sel_hi:[0,0]
	v_mov_b32_e32 v75, v31
	v_pk_add_f32 v[30:31], v[46:47], v[78:79]
	v_mov_b32_e32 v88, v45
	v_mov_b32_e32 v33, v35
	v_pk_fma_f32 v[34:35], v[60:61], v[40:41], v[38:39] neg_lo:[0,0,1] neg_hi:[0,0,1]
	v_pk_fma_f32 v[36:37], v[60:61], v[40:41], v[38:39] op_sel_hi:[1,0,1]
	v_pk_add_f32 v[30:31], v[30:31], v[74:75]
	v_pk_mul_f32 v[52:53], v[64:65], v[88:89] op_sel:[1,0] op_sel_hi:[0,0]
	v_mov_b32_e32 v35, v37
	v_pk_add_f32 v[30:31], v[30:31], v[32:33]
	v_mov_b32_e32 v92, v49
	v_mov_b32_e32 v51, v43
	v_pk_fma_f32 v[38:39], v[64:65], v[44:45], v[52:53] neg_lo:[0,0,1] neg_hi:[0,0,1]
	v_pk_fma_f32 v[40:41], v[64:65], v[44:45], v[52:53] op_sel_hi:[1,0,1]
	v_pk_add_f32 v[30:31], v[30:31], v[34:35]
	v_pk_mul_f32 v[58:59], v[68:69], v[92:93] op_sel:[1,0] op_sel_hi:[0,0]
	v_mov_b32_e32 v39, v41
	v_pk_add_f32 v[30:31], v[30:31], v[50:51]
	v_pk_fma_f32 v[42:43], v[68:69], v[48:49], v[58:59] neg_lo:[0,0,1] neg_hi:[0,0,1]
	v_pk_fma_f32 v[44:45], v[68:69], v[48:49], v[58:59] op_sel_hi:[1,0,1]
	v_pk_add_f32 v[30:31], v[30:31], v[38:39]
	v_mov_b32_e32 v43, v45
	v_pk_add_f32 v[30:31], v[30:31], v[54:55]
	v_mov_b32_e32 v63, v67
	v_pk_add_f32 v[30:31], v[30:31], v[42:43]
	s_nop 0
	v_pk_add_f32 v[30:31], v[30:31], v[62:63]
	s_waitcnt vmcnt(0)
	v_pk_add_f32 v[30:31], v[72:73], v[30:31] neg_lo:[0,1] neg_hi:[0,1]
	scratch_store_dwordx2 off, v[30:31], off offset:8
	s_and_saveexec_b64 s[0:1], vcc
	s_cbranch_execz .LBB12_91
; %bb.90:
	scratch_load_dwordx2 v[30:31], off, off
	v_mov_b32_e32 v29, v28
	scratch_store_dwordx2 off, v[28:29], off
	s_waitcnt vmcnt(1)
	ds_write_b64 v1, v[30:31]
.LBB12_91:
	s_or_b64 exec, exec, s[0:1]
	s_waitcnt lgkmcnt(0)
	; wave barrier
	scratch_load_dwordx4 v[30:33], off, off offset:8
	scratch_load_dwordx4 v[34:37], off, off offset:24
	;; [unrolled: 1-line block ×6, first 2 shown]
	scratch_load_dwordx2 v[0:1], off, off
	ds_read2_b64 v[54:57], v28 offset0:15 offset1:16
	ds_read2_b64 v[58:61], v28 offset0:17 offset1:18
	;; [unrolled: 1-line block ×6, first 2 shown]
	s_and_b64 vcc, exec, s[18:19]
	s_waitcnt vmcnt(6) lgkmcnt(5)
	v_mul_f32_e32 v83, v54, v31
	v_mul_f32_e32 v87, v56, v33
	s_waitcnt vmcnt(5) lgkmcnt(4)
	v_mul_f32_e32 v29, v58, v35
	v_mul_f32_e32 v28, v55, v31
	v_mul_f32_e32 v31, v57, v33
	v_mul_f32_e32 v33, v59, v35
	s_waitcnt vmcnt(1) lgkmcnt(0)
	v_pk_mul_f32 v[92:93], v[74:75], v[50:51] op_sel:[1,1] op_sel_hi:[0,1]
	v_pk_mul_f32 v[80:81], v[62:63], v[38:39] op_sel:[1,1] op_sel_hi:[0,1]
	v_fmac_f32_e32 v83, v55, v30
	v_fmac_f32_e32 v29, v59, v34
	v_fma_f32 v91, v54, v30, -v28
	v_fma_f32 v28, v58, v34, -v33
	v_pk_fma_f32 v[58:59], v[74:75], v[50:51], v[92:93] neg_lo:[0,0,1] neg_hi:[0,0,1]
	v_pk_fma_f32 v[50:51], v[74:75], v[50:51], v[92:93] op_sel_hi:[1,0,1]
	v_fmac_f32_e32 v87, v57, v32
	v_fma_f32 v95, v56, v32, -v31
	v_pk_fma_f32 v[30:31], v[62:63], v[38:39], v[80:81] neg_lo:[0,0,1] neg_hi:[0,0,1]
	v_pk_fma_f32 v[32:33], v[62:63], v[38:39], v[80:81] op_sel_hi:[1,0,1]
	v_add_f32_e32 v50, 0, v83
	v_add_f32_e32 v62, 0, v91
	v_mul_f32_e32 v79, v60, v37
	v_mul_f32_e32 v35, v61, v37
	v_mov_b32_e32 v82, v41
	v_mov_b32_e32 v59, v51
	v_add_f32_e32 v51, v50, v87
	v_add_f32_e32 v50, v62, v95
	v_fmac_f32_e32 v79, v61, v36
	v_fma_f32 v78, v60, v36, -v35
	v_pk_mul_f32 v[34:35], v[64:65], v[82:83] op_sel:[1,0] op_sel_hi:[0,0]
	v_pk_add_f32 v[28:29], v[50:51], v[28:29]
	v_pk_mul_f32 v[84:85], v[66:67], v[42:43] op_sel:[1,1] op_sel_hi:[0,1]
	v_mov_b32_e32 v86, v45
	v_mov_b32_e32 v31, v33
	v_pk_fma_f32 v[32:33], v[64:65], v[40:41], v[34:35] neg_lo:[0,0,1] neg_hi:[0,0,1]
	v_pk_fma_f32 v[34:35], v[64:65], v[40:41], v[34:35] op_sel_hi:[1,0,1]
	v_pk_add_f32 v[28:29], v[28:29], v[78:79]
	v_pk_fma_f32 v[36:37], v[66:67], v[42:43], v[84:85] neg_lo:[0,0,1] neg_hi:[0,0,1]
	v_pk_fma_f32 v[38:39], v[66:67], v[42:43], v[84:85] op_sel_hi:[1,0,1]
	v_pk_mul_f32 v[42:43], v[68:69], v[86:87] op_sel:[1,0] op_sel_hi:[0,0]
	v_mov_b32_e32 v33, v35
	v_pk_add_f32 v[28:29], v[28:29], v[30:31]
	v_pk_mul_f32 v[88:89], v[70:71], v[46:47] op_sel:[1,1] op_sel_hi:[0,1]
	v_mov_b32_e32 v90, v49
	v_mov_b32_e32 v37, v39
	v_pk_fma_f32 v[38:39], v[68:69], v[44:45], v[42:43] neg_lo:[0,0,1] neg_hi:[0,0,1]
	v_pk_fma_f32 v[40:41], v[68:69], v[44:45], v[42:43] op_sel_hi:[1,0,1]
	v_pk_add_f32 v[28:29], v[28:29], v[32:33]
	v_pk_fma_f32 v[54:55], v[70:71], v[46:47], v[88:89] neg_lo:[0,0,1] neg_hi:[0,0,1]
	v_pk_fma_f32 v[46:47], v[70:71], v[46:47], v[88:89] op_sel_hi:[1,0,1]
	v_pk_mul_f32 v[56:57], v[72:73], v[90:91] op_sel:[1,0] op_sel_hi:[0,0]
	v_mov_b32_e32 v39, v41
	v_pk_add_f32 v[28:29], v[28:29], v[36:37]
	v_mov_b32_e32 v94, v53
	v_mov_b32_e32 v55, v47
	v_pk_fma_f32 v[42:43], v[72:73], v[48:49], v[56:57] neg_lo:[0,0,1] neg_hi:[0,0,1]
	v_pk_fma_f32 v[44:45], v[72:73], v[48:49], v[56:57] op_sel_hi:[1,0,1]
	v_pk_add_f32 v[28:29], v[28:29], v[38:39]
	v_pk_mul_f32 v[60:61], v[76:77], v[94:95] op_sel:[1,0] op_sel_hi:[0,0]
	v_mov_b32_e32 v43, v45
	v_pk_add_f32 v[28:29], v[28:29], v[54:55]
	v_pk_fma_f32 v[46:47], v[76:77], v[52:53], v[60:61] neg_lo:[0,0,1] neg_hi:[0,0,1]
	v_pk_fma_f32 v[48:49], v[76:77], v[52:53], v[60:61] op_sel_hi:[1,0,1]
	v_pk_add_f32 v[28:29], v[28:29], v[42:43]
	v_mov_b32_e32 v47, v49
	v_pk_add_f32 v[28:29], v[28:29], v[58:59]
	s_nop 0
	v_pk_add_f32 v[28:29], v[28:29], v[46:47]
	s_waitcnt vmcnt(0)
	v_pk_add_f32 v[0:1], v[0:1], v[28:29] neg_lo:[0,1] neg_hi:[0,1]
	scratch_store_dwordx2 off, v[0:1], off
	s_cbranch_vccz .LBB12_116
; %bb.92:
	v_mov_b32_e32 v0, 0
	global_load_dword v1, v0, s[16:17] offset:44
	s_waitcnt vmcnt(0)
	v_readfirstlane_b32 s0, v1
	s_add_i32 s0, s0, -1
	s_cmp_lg_u32 s0, 11
	s_cbranch_scc0 .LBB12_94
; %bb.93:
	s_lshl_b32 s0, s0, 3
	s_nop 0
	scratch_load_dwordx2 v[28:29], off, s0
	scratch_load_dwordx2 v[30:31], off, off offset:88
	s_waitcnt vmcnt(1)
	scratch_store_dwordx2 off, v[28:29], off offset:88
	s_waitcnt vmcnt(1)
	scratch_store_dwordx2 off, v[30:31], s0
.LBB12_94:
	global_load_dword v0, v0, s[16:17] offset:40
	s_waitcnt vmcnt(0)
	v_readfirstlane_b32 s0, v0
	s_add_i32 s0, s0, -1
	s_cmp_eq_u32 s0, 10
	s_cbranch_scc1 .LBB12_96
; %bb.95:
	s_lshl_b32 s0, s0, 3
	s_nop 0
	scratch_load_dwordx2 v[0:1], off, s0
	scratch_load_dwordx2 v[28:29], off, off offset:80
	s_waitcnt vmcnt(1)
	scratch_store_dwordx2 off, v[0:1], off offset:80
	s_waitcnt vmcnt(1)
	scratch_store_dwordx2 off, v[28:29], s0
.LBB12_96:
	v_mov_b32_e32 v0, 0
	global_load_dword v1, v0, s[16:17] offset:36
	s_waitcnt vmcnt(0)
	v_readfirstlane_b32 s0, v1
	s_add_i32 s0, s0, -1
	s_cmp_eq_u32 s0, 9
	s_cbranch_scc1 .LBB12_98
; %bb.97:
	s_lshl_b32 s0, s0, 3
	s_nop 0
	scratch_load_dwordx2 v[28:29], off, s0
	scratch_load_dwordx2 v[30:31], off, off offset:72
	s_waitcnt vmcnt(1)
	scratch_store_dwordx2 off, v[28:29], off offset:72
	s_waitcnt vmcnt(1)
	scratch_store_dwordx2 off, v[30:31], s0
.LBB12_98:
	global_load_dword v0, v0, s[16:17] offset:32
	s_waitcnt vmcnt(0)
	v_readfirstlane_b32 s0, v0
	s_add_i32 s0, s0, -1
	s_cmp_eq_u32 s0, 8
	s_cbranch_scc1 .LBB12_100
; %bb.99:
	s_lshl_b32 s0, s0, 3
	s_nop 0
	scratch_load_dwordx2 v[0:1], off, s0
	scratch_load_dwordx2 v[28:29], off, off offset:64
	s_waitcnt vmcnt(1)
	scratch_store_dwordx2 off, v[0:1], off offset:64
	s_waitcnt vmcnt(1)
	scratch_store_dwordx2 off, v[28:29], s0
.LBB12_100:
	v_mov_b32_e32 v0, 0
	global_load_dword v1, v0, s[16:17] offset:28
	s_waitcnt vmcnt(0)
	v_readfirstlane_b32 s0, v1
	s_add_i32 s0, s0, -1
	s_cmp_eq_u32 s0, 7
	s_cbranch_scc1 .LBB12_102
; %bb.101:
	s_lshl_b32 s0, s0, 3
	s_nop 0
	scratch_load_dwordx2 v[28:29], off, s0
	scratch_load_dwordx2 v[30:31], off, off offset:56
	s_waitcnt vmcnt(1)
	scratch_store_dwordx2 off, v[28:29], off offset:56
	s_waitcnt vmcnt(1)
	scratch_store_dwordx2 off, v[30:31], s0
.LBB12_102:
	;; [unrolled: 33-line block ×5, first 2 shown]
	global_load_dword v28, v0, s[16:17]
	s_nop 0
	scratch_load_dwordx2 v[0:1], off, off
	s_waitcnt vmcnt(1)
	v_readfirstlane_b32 s0, v28
	s_add_i32 s0, s0, -1
	s_cmp_eq_u32 s0, 0
	s_cbranch_scc1 .LBB12_116
; %bb.115:
	s_lshl_b32 s0, s0, 3
	s_nop 0
	scratch_load_dwordx2 v[28:29], off, s0
	s_waitcnt vmcnt(0)
	scratch_store_dwordx2 off, v[28:29], off
	scratch_store_dwordx2 off, v[0:1], s0
	scratch_load_dwordx2 v[0:1], off, off
.LBB12_116:
	s_nop 0
	scratch_load_dwordx4 v[28:31], off, off offset:8
	scratch_load_dwordx4 v[32:35], off, off offset:24
	;; [unrolled: 1-line block ×6, first 2 shown]
	s_waitcnt vmcnt(6)
	global_store_dwordx2 v[2:3], v[0:1], off
	s_waitcnt vmcnt(6)
	global_store_dwordx2 v[4:5], v[28:29], off
	global_store_dwordx2 v[6:7], v[30:31], off
	s_waitcnt vmcnt(7)
	global_store_dwordx2 v[8:9], v[32:33], off
	;; [unrolled: 3-line block ×6, first 2 shown]
	global_store_dwordx2 v[26:27], v[50:51], off
	s_endpgm
	.section	.rodata,"a",@progbits
	.p2align	6, 0x0
	.amdhsa_kernel _ZN9rocsolver6v33100L18getri_kernel_smallILi13E19rocblas_complex_numIfEPS3_EEvT1_iilPiilS6_bb
		.amdhsa_group_segment_fixed_size 216
		.amdhsa_private_segment_fixed_size 112
		.amdhsa_kernarg_size 60
		.amdhsa_user_sgpr_count 2
		.amdhsa_user_sgpr_dispatch_ptr 0
		.amdhsa_user_sgpr_queue_ptr 0
		.amdhsa_user_sgpr_kernarg_segment_ptr 1
		.amdhsa_user_sgpr_dispatch_id 0
		.amdhsa_user_sgpr_kernarg_preload_length 0
		.amdhsa_user_sgpr_kernarg_preload_offset 0
		.amdhsa_user_sgpr_private_segment_size 0
		.amdhsa_uses_dynamic_stack 0
		.amdhsa_enable_private_segment 1
		.amdhsa_system_sgpr_workgroup_id_x 1
		.amdhsa_system_sgpr_workgroup_id_y 0
		.amdhsa_system_sgpr_workgroup_id_z 0
		.amdhsa_system_sgpr_workgroup_info 0
		.amdhsa_system_vgpr_workitem_id 0
		.amdhsa_next_free_vgpr 96
		.amdhsa_next_free_sgpr 20
		.amdhsa_accum_offset 96
		.amdhsa_reserve_vcc 1
		.amdhsa_float_round_mode_32 0
		.amdhsa_float_round_mode_16_64 0
		.amdhsa_float_denorm_mode_32 3
		.amdhsa_float_denorm_mode_16_64 3
		.amdhsa_dx10_clamp 1
		.amdhsa_ieee_mode 1
		.amdhsa_fp16_overflow 0
		.amdhsa_tg_split 0
		.amdhsa_exception_fp_ieee_invalid_op 0
		.amdhsa_exception_fp_denorm_src 0
		.amdhsa_exception_fp_ieee_div_zero 0
		.amdhsa_exception_fp_ieee_overflow 0
		.amdhsa_exception_fp_ieee_underflow 0
		.amdhsa_exception_fp_ieee_inexact 0
		.amdhsa_exception_int_div_zero 0
	.end_amdhsa_kernel
	.section	.text._ZN9rocsolver6v33100L18getri_kernel_smallILi13E19rocblas_complex_numIfEPS3_EEvT1_iilPiilS6_bb,"axG",@progbits,_ZN9rocsolver6v33100L18getri_kernel_smallILi13E19rocblas_complex_numIfEPS3_EEvT1_iilPiilS6_bb,comdat
.Lfunc_end12:
	.size	_ZN9rocsolver6v33100L18getri_kernel_smallILi13E19rocblas_complex_numIfEPS3_EEvT1_iilPiilS6_bb, .Lfunc_end12-_ZN9rocsolver6v33100L18getri_kernel_smallILi13E19rocblas_complex_numIfEPS3_EEvT1_iilPiilS6_bb
                                        ; -- End function
	.set _ZN9rocsolver6v33100L18getri_kernel_smallILi13E19rocblas_complex_numIfEPS3_EEvT1_iilPiilS6_bb.num_vgpr, 96
	.set _ZN9rocsolver6v33100L18getri_kernel_smallILi13E19rocblas_complex_numIfEPS3_EEvT1_iilPiilS6_bb.num_agpr, 0
	.set _ZN9rocsolver6v33100L18getri_kernel_smallILi13E19rocblas_complex_numIfEPS3_EEvT1_iilPiilS6_bb.numbered_sgpr, 20
	.set _ZN9rocsolver6v33100L18getri_kernel_smallILi13E19rocblas_complex_numIfEPS3_EEvT1_iilPiilS6_bb.num_named_barrier, 0
	.set _ZN9rocsolver6v33100L18getri_kernel_smallILi13E19rocblas_complex_numIfEPS3_EEvT1_iilPiilS6_bb.private_seg_size, 112
	.set _ZN9rocsolver6v33100L18getri_kernel_smallILi13E19rocblas_complex_numIfEPS3_EEvT1_iilPiilS6_bb.uses_vcc, 1
	.set _ZN9rocsolver6v33100L18getri_kernel_smallILi13E19rocblas_complex_numIfEPS3_EEvT1_iilPiilS6_bb.uses_flat_scratch, 0
	.set _ZN9rocsolver6v33100L18getri_kernel_smallILi13E19rocblas_complex_numIfEPS3_EEvT1_iilPiilS6_bb.has_dyn_sized_stack, 0
	.set _ZN9rocsolver6v33100L18getri_kernel_smallILi13E19rocblas_complex_numIfEPS3_EEvT1_iilPiilS6_bb.has_recursion, 0
	.set _ZN9rocsolver6v33100L18getri_kernel_smallILi13E19rocblas_complex_numIfEPS3_EEvT1_iilPiilS6_bb.has_indirect_call, 0
	.section	.AMDGPU.csdata,"",@progbits
; Kernel info:
; codeLenInByte = 9748
; TotalNumSgprs: 26
; NumVgprs: 96
; NumAgprs: 0
; TotalNumVgprs: 96
; ScratchSize: 112
; MemoryBound: 0
; FloatMode: 240
; IeeeMode: 1
; LDSByteSize: 216 bytes/workgroup (compile time only)
; SGPRBlocks: 3
; VGPRBlocks: 11
; NumSGPRsForWavesPerEU: 26
; NumVGPRsForWavesPerEU: 96
; AccumOffset: 96
; Occupancy: 5
; WaveLimiterHint : 1
; COMPUTE_PGM_RSRC2:SCRATCH_EN: 1
; COMPUTE_PGM_RSRC2:USER_SGPR: 2
; COMPUTE_PGM_RSRC2:TRAP_HANDLER: 0
; COMPUTE_PGM_RSRC2:TGID_X_EN: 1
; COMPUTE_PGM_RSRC2:TGID_Y_EN: 0
; COMPUTE_PGM_RSRC2:TGID_Z_EN: 0
; COMPUTE_PGM_RSRC2:TIDIG_COMP_CNT: 0
; COMPUTE_PGM_RSRC3_GFX90A:ACCUM_OFFSET: 23
; COMPUTE_PGM_RSRC3_GFX90A:TG_SPLIT: 0
	.section	.text._ZN9rocsolver6v33100L18getri_kernel_smallILi14E19rocblas_complex_numIfEPS3_EEvT1_iilPiilS6_bb,"axG",@progbits,_ZN9rocsolver6v33100L18getri_kernel_smallILi14E19rocblas_complex_numIfEPS3_EEvT1_iilPiilS6_bb,comdat
	.globl	_ZN9rocsolver6v33100L18getri_kernel_smallILi14E19rocblas_complex_numIfEPS3_EEvT1_iilPiilS6_bb ; -- Begin function _ZN9rocsolver6v33100L18getri_kernel_smallILi14E19rocblas_complex_numIfEPS3_EEvT1_iilPiilS6_bb
	.p2align	8
	.type	_ZN9rocsolver6v33100L18getri_kernel_smallILi14E19rocblas_complex_numIfEPS3_EEvT1_iilPiilS6_bb,@function
_ZN9rocsolver6v33100L18getri_kernel_smallILi14E19rocblas_complex_numIfEPS3_EEvT1_iilPiilS6_bb: ; @_ZN9rocsolver6v33100L18getri_kernel_smallILi14E19rocblas_complex_numIfEPS3_EEvT1_iilPiilS6_bb
; %bb.0:
	v_cmp_gt_u32_e32 vcc, 14, v0
	s_and_saveexec_b64 s[4:5], vcc
	s_cbranch_execz .LBB13_70
; %bb.1:
	s_load_dword s8, s[0:1], 0x38
	s_load_dwordx4 s[12:15], s[0:1], 0x10
	s_load_dwordx4 s[4:7], s[0:1], 0x28
                                        ; implicit-def: $sgpr16_sgpr17
	s_waitcnt lgkmcnt(0)
	s_bitcmp1_b32 s8, 8
	s_cselect_b64 s[18:19], -1, 0
	s_ashr_i32 s3, s2, 31
	s_bfe_u32 s8, s8, 0x10008
	s_cmp_eq_u32 s8, 0
	s_cbranch_scc1 .LBB13_3
; %bb.2:
	s_load_dword s8, s[0:1], 0x20
	s_mul_i32 s9, s4, s3
	s_mul_hi_u32 s10, s4, s2
	s_mul_i32 s5, s5, s2
	s_add_i32 s10, s10, s9
	s_add_i32 s5, s10, s5
	s_mul_i32 s4, s4, s2
	s_waitcnt lgkmcnt(0)
	s_ashr_i32 s9, s8, 31
	s_lshl_b64 s[4:5], s[4:5], 2
	s_add_u32 s10, s14, s4
	s_addc_u32 s11, s15, s5
	s_lshl_b64 s[4:5], s[8:9], 2
	s_add_u32 s16, s10, s4
	s_addc_u32 s17, s11, s5
.LBB13_3:
	s_load_dwordx4 s[8:11], s[0:1], 0x0
	s_load_dword s14, s[0:1], 0x38
	s_mul_i32 s4, s12, s3
	s_mul_hi_u32 s5, s12, s2
	s_add_i32 s4, s5, s4
	s_mul_i32 s5, s13, s2
	s_add_i32 s5, s4, s5
	s_mul_i32 s4, s12, s2
	s_waitcnt lgkmcnt(0)
	s_ashr_i32 s1, s10, 31
	s_lshl_b64 s[4:5], s[4:5], 3
	s_mov_b32 s0, s10
	s_add_u32 s4, s8, s4
	s_addc_u32 s5, s9, s5
	s_lshl_b64 s[0:1], s[0:1], 3
	s_add_u32 s0, s4, s0
	s_addc_u32 s1, s5, s1
	v_lshlrev_b32_e32 v30, 3, v0
	v_mov_b32_e32 v31, 0
	v_lshl_add_u64 v[2:3], s[0:1], 0, v[30:31]
	s_ashr_i32 s5, s11, 31
	s_mov_b32 s4, s11
	v_lshl_add_u64 v[4:5], s[4:5], 3, v[2:3]
	s_add_i32 s4, s11, s11
	v_add_u32_e32 v8, s4, v0
	v_add_u32_e32 v10, s11, v8
	;; [unrolled: 1-line block ×10, first 2 shown]
	v_ashrrev_i32_e32 v9, 31, v8
	v_ashrrev_i32_e32 v11, 31, v10
	;; [unrolled: 1-line block ×8, first 2 shown]
	v_add_u32_e32 v28, s11, v26
	v_lshl_add_u64 v[6:7], v[8:9], 3, s[0:1]
	v_lshl_add_u64 v[8:9], v[10:11], 3, s[0:1]
	;; [unrolled: 1-line block ×8, first 2 shown]
	v_ashrrev_i32_e32 v25, 31, v24
	v_ashrrev_i32_e32 v27, 31, v26
	;; [unrolled: 1-line block ×3, first 2 shown]
	global_load_dwordx2 v[32:33], v30, s[0:1]
	global_load_dwordx2 v[34:35], v[4:5], off
	global_load_dwordx2 v[36:37], v[6:7], off
	;; [unrolled: 1-line block ×8, first 2 shown]
	v_lshl_add_u64 v[22:23], v[24:25], 3, s[0:1]
	v_lshl_add_u64 v[24:25], v[26:27], 3, s[0:1]
	;; [unrolled: 1-line block ×3, first 2 shown]
	global_load_dwordx2 v[50:51], v[20:21], off
	global_load_dwordx2 v[52:53], v[22:23], off
	;; [unrolled: 1-line block ×4, first 2 shown]
	v_add_u32_e32 v28, s11, v28
	v_ashrrev_i32_e32 v29, 31, v28
	v_lshl_add_u64 v[28:29], v[28:29], 3, s[0:1]
	global_load_dwordx2 v[58:59], v[28:29], off
	s_bitcmp0_b32 s14, 0
	s_mov_b64 s[4:5], -1
	s_waitcnt vmcnt(12)
	scratch_store_dwordx4 off, v[32:35], off
	s_waitcnt vmcnt(11)
	scratch_store_dwordx4 off, v[36:39], off offset:16
	s_waitcnt vmcnt(10)
	scratch_store_dwordx4 off, v[40:43], off offset:32
	;; [unrolled: 2-line block ×6, first 2 shown]
	s_cbranch_scc1 .LBB13_68
; %bb.4:
	v_cmp_eq_u32_e64 s[0:1], 0, v0
	s_and_saveexec_b64 s[4:5], s[0:1]
; %bb.5:
	v_mov_b32_e32 v1, 0
	ds_write_b32 v1, v1 offset:224
; %bb.6:
	s_or_b64 exec, exec, s[4:5]
	s_waitcnt lgkmcnt(0)
	; wave barrier
	scratch_load_dwordx2 v[32:33], v30, off
	s_waitcnt vmcnt(0)
	v_cmp_eq_f32_e32 vcc, 0, v32
	v_cmp_eq_f32_e64 s[4:5], 0, v33
	s_and_b64 s[4:5], vcc, s[4:5]
	s_and_saveexec_b64 s[8:9], s[4:5]
	s_cbranch_execz .LBB13_10
; %bb.7:
	v_mov_b32_e32 v1, 0
	ds_read_b32 v32, v1 offset:224
	v_add_u32_e32 v31, 1, v0
	s_waitcnt lgkmcnt(0)
	v_readfirstlane_b32 s4, v32
	s_cmp_eq_u32 s4, 0
	s_cselect_b64 s[10:11], -1, 0
	v_cmp_gt_i32_e32 vcc, s4, v31
	s_or_b64 s[10:11], s[10:11], vcc
	s_and_b64 exec, exec, s[10:11]
	s_cbranch_execz .LBB13_10
; %bb.8:
	s_mov_b64 s[10:11], 0
	v_mov_b32_e32 v32, s4
.LBB13_9:                               ; =>This Inner Loop Header: Depth=1
	ds_cmpst_rtn_b32 v32, v1, v32, v31 offset:224
	s_waitcnt lgkmcnt(0)
	v_cmp_ne_u32_e32 vcc, 0, v32
	v_cmp_le_i32_e64 s[4:5], v32, v31
	s_and_b64 s[4:5], vcc, s[4:5]
	s_and_b64 s[4:5], exec, s[4:5]
	s_or_b64 s[10:11], s[4:5], s[10:11]
	s_andn2_b64 exec, exec, s[10:11]
	s_cbranch_execnz .LBB13_9
.LBB13_10:
	s_or_b64 exec, exec, s[8:9]
	v_mov_b32_e32 v31, 0
	; wave barrier
	ds_read_b32 v1, v31 offset:224
	s_and_saveexec_b64 s[4:5], s[0:1]
	s_cbranch_execz .LBB13_12
; %bb.11:
	s_lshl_b64 s[8:9], s[2:3], 2
	s_add_u32 s8, s6, s8
	s_addc_u32 s9, s7, s9
	s_waitcnt lgkmcnt(0)
	global_store_dword v31, v1, s[8:9]
.LBB13_12:
	s_or_b64 exec, exec, s[4:5]
	s_waitcnt lgkmcnt(0)
	v_cmp_ne_u32_e32 vcc, 0, v1
	s_mov_b64 s[4:5], 0
	s_cbranch_vccnz .LBB13_68
; %bb.13:
	v_mov_b32_e32 v31, v30
	scratch_load_dwordx2 v[32:33], v31, off
                                        ; implicit-def: $vgpr35
                                        ; implicit-def: $vgpr36
	s_waitcnt vmcnt(0)
	v_cmp_ngt_f32_e64 s[4:5], |v32|, |v33|
	s_and_saveexec_b64 s[8:9], s[4:5]
	s_xor_b64 s[4:5], exec, s[8:9]
	s_cbranch_execz .LBB13_15
; %bb.14:
	v_div_scale_f32 v1, s[8:9], v33, v33, v32
	v_rcp_f32_e32 v34, v1
	v_div_scale_f32 v35, vcc, v32, v33, v32
	v_fma_f32 v36, -v1, v34, 1.0
	v_fmac_f32_e32 v34, v36, v34
	v_mul_f32_e32 v36, v35, v34
	v_fma_f32 v37, -v1, v36, v35
	v_fmac_f32_e32 v36, v37, v34
	v_fma_f32 v1, -v1, v36, v35
	v_div_fmas_f32 v1, v1, v34, v36
	v_div_fixup_f32 v1, v1, v33, v32
	v_fmac_f32_e32 v33, v32, v1
	v_div_scale_f32 v32, s[8:9], v33, v33, -1.0
	v_rcp_f32_e32 v34, v32
	s_nop 0
	v_fma_f32 v35, -v32, v34, 1.0
	v_fmac_f32_e32 v34, v35, v34
	v_div_scale_f32 v35, vcc, -1.0, v33, -1.0
	v_mul_f32_e32 v36, v35, v34
	v_fma_f32 v37, -v32, v36, v35
	v_fmac_f32_e32 v36, v37, v34
	v_fma_f32 v32, -v32, v36, v35
	v_div_fmas_f32 v32, v32, v34, v36
	v_div_fixup_f32 v35, v32, v33, -1.0
	v_mul_f32_e32 v36, v1, v35
	v_xor_b32_e32 v34, 0x80000000, v36
                                        ; implicit-def: $vgpr32_vgpr33
.LBB13_15:
	s_andn2_saveexec_b64 s[4:5], s[4:5]
	s_cbranch_execz .LBB13_17
; %bb.16:
	v_div_scale_f32 v1, s[8:9], v32, v32, v33
	v_rcp_f32_e32 v34, v1
	v_div_scale_f32 v35, vcc, v33, v32, v33
	v_fma_f32 v36, -v1, v34, 1.0
	v_fmac_f32_e32 v34, v36, v34
	v_mul_f32_e32 v36, v35, v34
	v_fma_f32 v37, -v1, v36, v35
	v_fmac_f32_e32 v36, v37, v34
	v_fma_f32 v1, -v1, v36, v35
	v_div_fmas_f32 v1, v1, v34, v36
	v_div_fixup_f32 v1, v1, v32, v33
	v_fmac_f32_e32 v32, v33, v1
	v_div_scale_f32 v33, s[8:9], v32, v32, 1.0
	v_rcp_f32_e32 v34, v33
	s_nop 0
	v_fma_f32 v35, -v33, v34, 1.0
	v_fmac_f32_e32 v34, v35, v34
	v_div_scale_f32 v35, vcc, 1.0, v32, 1.0
	v_mul_f32_e32 v36, v35, v34
	v_fma_f32 v37, -v33, v36, v35
	v_fmac_f32_e32 v36, v37, v34
	v_fma_f32 v33, -v33, v36, v35
	v_div_fmas_f32 v33, v33, v34, v36
	v_div_fixup_f32 v34, v33, v32, 1.0
	v_xor_b32_e32 v36, 0x80000000, v34
	v_mul_f32_e64 v35, v1, -v34
.LBB13_17:
	s_or_b64 exec, exec, s[4:5]
	scratch_store_dwordx2 v31, v[34:35], off
	scratch_load_dwordx2 v[32:33], off, off offset:8
	v_xor_b32_e32 v37, 0x80000000, v35
	v_add_u32_e32 v1, 0x70, v30
	s_waitcnt vmcnt(0)
	ds_write2_b64 v30, v[36:37], v[32:33] offset1:14
	s_waitcnt lgkmcnt(0)
	; wave barrier
	s_and_saveexec_b64 s[4:5], s[0:1]
	s_cbranch_execz .LBB13_19
; %bb.18:
	scratch_load_dwordx2 v[32:33], v31, off
	ds_read_b64 v[34:35], v1
	v_mov_b32_e32 v36, 0
	ds_read_b64 v[36:37], v36 offset:8
	s_waitcnt vmcnt(0) lgkmcnt(1)
	v_pk_mul_f32 v[38:39], v[34:35], v[32:33] op_sel:[1,1] op_sel_hi:[0,1]
	v_pk_fma_f32 v[40:41], v[34:35], v[32:33], v[38:39] neg_lo:[0,0,1] neg_hi:[0,0,1]
	v_pk_fma_f32 v[32:33], v[34:35], v[32:33], v[38:39] op_sel_hi:[1,0,1]
	s_nop 0
	v_mov_b32_e32 v41, v33
	v_pk_add_f32 v[32:33], v[40:41], 0 op_sel_hi:[1,0]
	s_waitcnt lgkmcnt(0)
	v_pk_mul_f32 v[34:35], v[32:33], v[36:37] op_sel:[1,1] op_sel_hi:[0,1]
	v_pk_fma_f32 v[38:39], v[32:33], v[36:37], v[34:35] neg_lo:[0,0,1] neg_hi:[0,0,1]
	v_pk_fma_f32 v[32:33], v[32:33], v[36:37], v[34:35] op_sel_hi:[1,0,1]
	s_nop 0
	v_mov_b32_e32 v39, v33
	scratch_store_dwordx2 off, v[38:39], off offset:8
.LBB13_19:
	s_or_b64 exec, exec, s[4:5]
	; wave barrier
	scratch_load_dwordx2 v[32:33], off, off offset:16
	v_cmp_gt_u32_e32 vcc, 2, v0
	s_waitcnt vmcnt(0)
	ds_write_b64 v1, v[32:33]
	s_waitcnt lgkmcnt(0)
	; wave barrier
	s_and_saveexec_b64 s[4:5], vcc
	s_cbranch_execz .LBB13_23
; %bb.20:
	scratch_load_dwordx2 v[32:33], v31, off
	ds_read_b64 v[34:35], v1
	s_waitcnt vmcnt(0) lgkmcnt(0)
	v_pk_mul_f32 v[36:37], v[34:35], v[32:33] op_sel:[1,1] op_sel_hi:[0,1]
	v_pk_fma_f32 v[38:39], v[34:35], v[32:33], v[36:37] neg_lo:[0,0,1] neg_hi:[0,0,1]
	v_pk_fma_f32 v[32:33], v[34:35], v[32:33], v[36:37] op_sel_hi:[1,0,1]
	s_nop 0
	v_mov_b32_e32 v39, v33
	v_pk_add_f32 v[32:33], v[38:39], 0 op_sel_hi:[1,0]
	s_and_saveexec_b64 s[8:9], s[0:1]
	s_cbranch_execz .LBB13_22
; %bb.21:
	scratch_load_dwordx2 v[34:35], off, off offset:8
	v_mov_b32_e32 v31, 0
	ds_read_b64 v[36:37], v31 offset:120
	s_waitcnt vmcnt(0) lgkmcnt(0)
	v_pk_mul_f32 v[38:39], v[36:37], v[34:35] op_sel:[1,1] op_sel_hi:[0,1]
	v_pk_fma_f32 v[40:41], v[36:37], v[34:35], v[38:39] neg_lo:[0,0,1] neg_hi:[0,0,1]
	v_pk_fma_f32 v[34:35], v[36:37], v[34:35], v[38:39] op_sel_hi:[1,0,1]
	s_nop 0
	v_mov_b32_e32 v41, v35
	v_pk_add_f32 v[32:33], v[32:33], v[40:41]
.LBB13_22:
	s_or_b64 exec, exec, s[8:9]
	v_mov_b32_e32 v31, 0
	ds_read_b64 v[34:35], v31 offset:16
	s_waitcnt lgkmcnt(0)
	v_pk_mul_f32 v[36:37], v[32:33], v[34:35] op_sel:[1,1] op_sel_hi:[0,1]
	v_pk_fma_f32 v[38:39], v[32:33], v[34:35], v[36:37] neg_lo:[0,0,1] neg_hi:[0,0,1]
	v_pk_fma_f32 v[32:33], v[32:33], v[34:35], v[36:37] op_sel_hi:[1,0,1]
	s_nop 0
	v_mov_b32_e32 v39, v33
	scratch_store_dwordx2 off, v[38:39], off offset:16
.LBB13_23:
	s_or_b64 exec, exec, s[4:5]
	; wave barrier
	scratch_load_dwordx2 v[32:33], off, off offset:24
	v_cmp_gt_u32_e32 vcc, 3, v0
	v_add_u32_e32 v34, -1, v0
	s_waitcnt vmcnt(0)
	ds_write_b64 v1, v[32:33]
	s_waitcnt lgkmcnt(0)
	; wave barrier
	s_and_saveexec_b64 s[0:1], vcc
	s_cbranch_execz .LBB13_27
; %bb.24:
	v_mov_b32_e32 v32, 0
	v_add_u32_e32 v31, -1, v0
	v_add_u32_e32 v35, 0x70, v30
	v_mov_b32_e32 v36, v30
	s_mov_b64 s[4:5], 0
	v_mov_b32_e32 v33, v32
.LBB13_25:                              ; =>This Inner Loop Header: Depth=1
	scratch_load_dwordx2 v[38:39], v36, off
	ds_read_b64 v[40:41], v35
	v_add_u32_e32 v31, 1, v31
	v_cmp_lt_u32_e32 vcc, 1, v31
	v_add_u32_e32 v35, 8, v35
	v_add_u32_e32 v36, 8, v36
	s_or_b64 s[4:5], vcc, s[4:5]
	s_waitcnt vmcnt(0) lgkmcnt(0)
	v_pk_mul_f32 v[42:43], v[40:41], v[38:39] op_sel:[1,1] op_sel_hi:[0,1]
	v_pk_fma_f32 v[44:45], v[40:41], v[38:39], v[42:43] neg_lo:[0,0,1] neg_hi:[0,0,1]
	v_pk_fma_f32 v[38:39], v[40:41], v[38:39], v[42:43] op_sel_hi:[1,0,1]
	s_nop 0
	v_mov_b32_e32 v45, v39
	v_pk_add_f32 v[32:33], v[32:33], v[44:45]
	s_andn2_b64 exec, exec, s[4:5]
	s_cbranch_execnz .LBB13_25
; %bb.26:
	s_or_b64 exec, exec, s[4:5]
	v_mov_b32_e32 v31, 0
	ds_read_b64 v[36:37], v31 offset:24
	s_waitcnt lgkmcnt(0)
	v_pk_mul_f32 v[38:39], v[32:33], v[36:37] op_sel:[1,1] op_sel_hi:[0,1]
	v_pk_fma_f32 v[40:41], v[32:33], v[36:37], v[38:39] neg_lo:[0,0,1] neg_hi:[0,0,1]
	v_pk_fma_f32 v[32:33], v[32:33], v[36:37], v[38:39] op_sel_hi:[1,0,1]
	s_nop 0
	v_mov_b32_e32 v41, v33
	scratch_store_dwordx2 off, v[40:41], off offset:24
.LBB13_27:
	s_or_b64 exec, exec, s[0:1]
	; wave barrier
	scratch_load_dwordx2 v[32:33], off, off offset:32
	v_cmp_gt_u32_e32 vcc, 4, v0
	s_waitcnt vmcnt(0)
	ds_write_b64 v1, v[32:33]
	s_waitcnt lgkmcnt(0)
	; wave barrier
	s_and_saveexec_b64 s[0:1], vcc
	s_cbranch_execz .LBB13_31
; %bb.28:
	v_mov_b32_e32 v32, 0
	v_add_u32_e32 v31, -1, v0
	v_add_u32_e32 v35, 0x70, v30
	v_mov_b32_e32 v36, v30
	s_mov_b64 s[4:5], 0
	v_mov_b32_e32 v33, v32
.LBB13_29:                              ; =>This Inner Loop Header: Depth=1
	scratch_load_dwordx2 v[38:39], v36, off
	ds_read_b64 v[40:41], v35
	v_add_u32_e32 v31, 1, v31
	v_cmp_lt_u32_e32 vcc, 2, v31
	v_add_u32_e32 v35, 8, v35
	v_add_u32_e32 v36, 8, v36
	s_or_b64 s[4:5], vcc, s[4:5]
	s_waitcnt vmcnt(0) lgkmcnt(0)
	v_pk_mul_f32 v[42:43], v[40:41], v[38:39] op_sel:[1,1] op_sel_hi:[0,1]
	v_pk_fma_f32 v[44:45], v[40:41], v[38:39], v[42:43] neg_lo:[0,0,1] neg_hi:[0,0,1]
	v_pk_fma_f32 v[38:39], v[40:41], v[38:39], v[42:43] op_sel_hi:[1,0,1]
	s_nop 0
	v_mov_b32_e32 v45, v39
	v_pk_add_f32 v[32:33], v[32:33], v[44:45]
	s_andn2_b64 exec, exec, s[4:5]
	s_cbranch_execnz .LBB13_29
; %bb.30:
	s_or_b64 exec, exec, s[4:5]
	v_mov_b32_e32 v31, 0
	ds_read_b64 v[36:37], v31 offset:32
	s_waitcnt lgkmcnt(0)
	v_pk_mul_f32 v[38:39], v[32:33], v[36:37] op_sel:[1,1] op_sel_hi:[0,1]
	v_pk_fma_f32 v[40:41], v[32:33], v[36:37], v[38:39] neg_lo:[0,0,1] neg_hi:[0,0,1]
	v_pk_fma_f32 v[32:33], v[32:33], v[36:37], v[38:39] op_sel_hi:[1,0,1]
	s_nop 0
	v_mov_b32_e32 v41, v33
	scratch_store_dwordx2 off, v[40:41], off offset:32
.LBB13_31:
	s_or_b64 exec, exec, s[0:1]
	; wave barrier
	scratch_load_dwordx2 v[32:33], off, off offset:40
	v_cmp_gt_u32_e32 vcc, 5, v0
	;; [unrolled: 46-line block ×9, first 2 shown]
	s_waitcnt vmcnt(0)
	ds_write_b64 v1, v[32:33]
	s_waitcnt lgkmcnt(0)
	; wave barrier
	s_and_saveexec_b64 s[0:1], vcc
	s_cbranch_execz .LBB13_63
; %bb.60:
	v_mov_b32_e32 v32, 0
	v_add_u32_e32 v31, -1, v0
	v_add_u32_e32 v35, 0x70, v30
	v_mov_b32_e32 v36, v30
	s_mov_b64 s[4:5], 0
	v_mov_b32_e32 v33, v32
.LBB13_61:                              ; =>This Inner Loop Header: Depth=1
	scratch_load_dwordx2 v[38:39], v36, off
	ds_read_b64 v[40:41], v35
	v_add_u32_e32 v31, 1, v31
	v_cmp_lt_u32_e32 vcc, 10, v31
	v_add_u32_e32 v35, 8, v35
	v_add_u32_e32 v36, 8, v36
	s_or_b64 s[4:5], vcc, s[4:5]
	s_waitcnt vmcnt(0) lgkmcnt(0)
	v_pk_mul_f32 v[42:43], v[40:41], v[38:39] op_sel:[1,1] op_sel_hi:[0,1]
	v_pk_fma_f32 v[44:45], v[40:41], v[38:39], v[42:43] neg_lo:[0,0,1] neg_hi:[0,0,1]
	v_pk_fma_f32 v[38:39], v[40:41], v[38:39], v[42:43] op_sel_hi:[1,0,1]
	s_nop 0
	v_mov_b32_e32 v45, v39
	v_pk_add_f32 v[32:33], v[32:33], v[44:45]
	s_andn2_b64 exec, exec, s[4:5]
	s_cbranch_execnz .LBB13_61
; %bb.62:
	s_or_b64 exec, exec, s[4:5]
	v_mov_b32_e32 v31, 0
	ds_read_b64 v[36:37], v31 offset:96
	s_waitcnt lgkmcnt(0)
	v_pk_mul_f32 v[38:39], v[32:33], v[36:37] op_sel:[1,1] op_sel_hi:[0,1]
	v_pk_fma_f32 v[40:41], v[32:33], v[36:37], v[38:39] neg_lo:[0,0,1] neg_hi:[0,0,1]
	v_pk_fma_f32 v[32:33], v[32:33], v[36:37], v[38:39] op_sel_hi:[1,0,1]
	s_nop 0
	v_mov_b32_e32 v41, v33
	scratch_store_dwordx2 off, v[40:41], off offset:96
.LBB13_63:
	s_or_b64 exec, exec, s[0:1]
	; wave barrier
	scratch_load_dwordx2 v[32:33], off, off offset:104
	v_cmp_ne_u32_e32 vcc, 13, v0
	s_waitcnt vmcnt(0)
	ds_write_b64 v1, v[32:33]
	s_waitcnt lgkmcnt(0)
	; wave barrier
	s_and_saveexec_b64 s[0:1], vcc
	s_cbranch_execz .LBB13_67
; %bb.64:
	v_add_u32_e32 v1, 0x70, v30
	v_mov_b32_e32 v32, v30
	v_mov_b32_e32 v30, 0
	s_mov_b64 s[4:5], 0
	v_mov_b32_e32 v31, v30
.LBB13_65:                              ; =>This Inner Loop Header: Depth=1
	scratch_load_dwordx2 v[36:37], v32, off
	ds_read_b64 v[38:39], v1
	v_add_u32_e32 v34, 1, v34
	v_cmp_lt_u32_e32 vcc, 11, v34
	v_add_u32_e32 v1, 8, v1
	v_add_u32_e32 v32, 8, v32
	s_or_b64 s[4:5], vcc, s[4:5]
	s_waitcnt vmcnt(0) lgkmcnt(0)
	v_pk_mul_f32 v[40:41], v[38:39], v[36:37] op_sel:[1,1] op_sel_hi:[0,1]
	v_pk_fma_f32 v[42:43], v[38:39], v[36:37], v[40:41] neg_lo:[0,0,1] neg_hi:[0,0,1]
	v_pk_fma_f32 v[36:37], v[38:39], v[36:37], v[40:41] op_sel_hi:[1,0,1]
	s_nop 0
	v_mov_b32_e32 v43, v37
	v_pk_add_f32 v[30:31], v[30:31], v[42:43]
	s_andn2_b64 exec, exec, s[4:5]
	s_cbranch_execnz .LBB13_65
; %bb.66:
	s_or_b64 exec, exec, s[4:5]
	v_mov_b32_e32 v1, 0
	ds_read_b64 v[32:33], v1 offset:104
	s_waitcnt lgkmcnt(0)
	v_pk_mul_f32 v[34:35], v[30:31], v[32:33] op_sel:[1,1] op_sel_hi:[0,1]
	v_pk_fma_f32 v[36:37], v[30:31], v[32:33], v[34:35] neg_lo:[0,0,1] neg_hi:[0,0,1]
	v_pk_fma_f32 v[30:31], v[30:31], v[32:33], v[34:35] op_sel_hi:[1,0,1]
	s_nop 0
	v_mov_b32_e32 v37, v31
	scratch_store_dwordx2 off, v[36:37], off offset:104
.LBB13_67:
	s_or_b64 exec, exec, s[0:1]
	s_mov_b64 s[4:5], -1
	; wave barrier
.LBB13_68:
	s_and_b64 vcc, exec, s[4:5]
	s_cbranch_vccz .LBB13_70
; %bb.69:
	s_lshl_b64 s[0:1], s[2:3], 2
	s_add_u32 s0, s6, s0
	s_addc_u32 s1, s7, s1
	v_mov_b32_e32 v1, 0
	global_load_dword v1, v1, s[0:1]
	s_waitcnt vmcnt(0)
	v_cmp_ne_u32_e32 vcc, 0, v1
	s_cbranch_vccz .LBB13_71
.LBB13_70:
	s_endpgm
.LBB13_71:
	v_mov_b32_e32 v1, 0x70
	v_lshl_add_u32 v1, v0, 3, v1
	v_cmp_eq_u32_e32 vcc, 13, v0
	s_and_saveexec_b64 s[0:1], vcc
	s_cbranch_execz .LBB13_73
; %bb.72:
	scratch_load_dwordx2 v[30:31], off, off offset:96
	v_mov_b32_e32 v32, 0
	v_mov_b32_e32 v33, v32
	scratch_store_dwordx2 off, v[32:33], off offset:96
	s_waitcnt vmcnt(1)
	ds_write_b64 v1, v[30:31]
.LBB13_73:
	s_or_b64 exec, exec, s[0:1]
	s_waitcnt lgkmcnt(0)
	; wave barrier
	scratch_load_dwordx2 v[32:33], off, off offset:104
	scratch_load_dwordx2 v[34:35], off, off offset:96
	v_mov_b32_e32 v30, 0
	ds_read_b64 v[36:37], v30 offset:216
	v_cmp_lt_u32_e32 vcc, 11, v0
	s_waitcnt vmcnt(1) lgkmcnt(0)
	v_pk_mul_f32 v[38:39], v[36:37], v[32:33] op_sel:[1,1] op_sel_hi:[0,1]
	v_pk_fma_f32 v[40:41], v[36:37], v[32:33], v[38:39] neg_lo:[0,0,1] neg_hi:[0,0,1]
	v_pk_fma_f32 v[32:33], v[36:37], v[32:33], v[38:39] op_sel_hi:[1,0,1]
	s_nop 0
	v_mov_b32_e32 v41, v33
	v_pk_add_f32 v[32:33], v[40:41], 0 op_sel_hi:[1,0]
	s_waitcnt vmcnt(0)
	v_pk_add_f32 v[32:33], v[34:35], v[32:33] neg_lo:[0,1] neg_hi:[0,1]
	scratch_store_dwordx2 off, v[32:33], off offset:96
	s_and_saveexec_b64 s[0:1], vcc
	s_cbranch_execz .LBB13_75
; %bb.74:
	scratch_load_dwordx2 v[32:33], off, off offset:88
	v_mov_b32_e32 v31, v30
	scratch_store_dwordx2 off, v[30:31], off offset:88
	s_waitcnt vmcnt(1)
	ds_write_b64 v1, v[32:33]
.LBB13_75:
	s_or_b64 exec, exec, s[0:1]
	s_waitcnt lgkmcnt(0)
	; wave barrier
	scratch_load_dwordx4 v[32:35], off, off offset:96
	scratch_load_dwordx2 v[40:41], off, off offset:88
	ds_read_b128 v[36:39], v30 offset:208
	v_cmp_lt_u32_e32 vcc, 10, v0
	s_waitcnt vmcnt(1) lgkmcnt(0)
	v_pk_mul_f32 v[30:31], v[36:37], v[32:33] op_sel:[1,1] op_sel_hi:[0,1]
	v_mov_b32_e32 v42, v35
	v_pk_fma_f32 v[44:45], v[36:37], v[32:33], v[30:31] neg_lo:[0,0,1] neg_hi:[0,0,1]
	v_pk_fma_f32 v[30:31], v[36:37], v[32:33], v[30:31] op_sel_hi:[1,0,1]
	v_pk_mul_f32 v[32:33], v[38:39], v[42:43] op_sel:[1,0] op_sel_hi:[0,0]
	v_mov_b32_e32 v45, v31
	v_pk_fma_f32 v[30:31], v[38:39], v[34:35], v[32:33] neg_lo:[0,0,1] neg_hi:[0,0,1]
	v_pk_fma_f32 v[32:33], v[38:39], v[34:35], v[32:33] op_sel_hi:[1,0,1]
	v_pk_add_f32 v[34:35], v[44:45], 0 op_sel_hi:[1,0]
	v_mov_b32_e32 v31, v33
	v_pk_add_f32 v[30:31], v[34:35], v[30:31]
	s_waitcnt vmcnt(0)
	v_pk_add_f32 v[30:31], v[40:41], v[30:31] neg_lo:[0,1] neg_hi:[0,1]
	scratch_store_dwordx2 off, v[30:31], off offset:88
	s_and_saveexec_b64 s[0:1], vcc
	s_cbranch_execz .LBB13_77
; %bb.76:
	scratch_load_dwordx2 v[30:31], off, off offset:80
	v_mov_b32_e32 v32, 0
	v_mov_b32_e32 v33, v32
	scratch_store_dwordx2 off, v[32:33], off offset:80
	s_waitcnt vmcnt(1)
	ds_write_b64 v1, v[30:31]
.LBB13_77:
	s_or_b64 exec, exec, s[0:1]
	s_waitcnt lgkmcnt(0)
	; wave barrier
	scratch_load_dwordx4 v[32:35], off, off offset:88
	scratch_load_dwordx2 v[40:41], off, off offset:104
	scratch_load_dwordx2 v[42:43], off, off offset:80
	v_mov_b32_e32 v30, 0
	ds_read2_b64 v[36:39], v30 offset0:25 offset1:26
	ds_read_b64 v[44:45], v30 offset:216
	v_cmp_lt_u32_e32 vcc, 9, v0
	s_waitcnt vmcnt(2) lgkmcnt(1)
	v_pk_mul_f32 v[46:47], v[36:37], v[32:33] op_sel:[1,1] op_sel_hi:[0,1]
	v_mov_b32_e32 v48, v35
	v_pk_fma_f32 v[52:53], v[36:37], v[32:33], v[46:47] neg_lo:[0,0,1] neg_hi:[0,0,1]
	v_pk_fma_f32 v[32:33], v[36:37], v[32:33], v[46:47] op_sel_hi:[1,0,1]
	v_pk_mul_f32 v[36:37], v[38:39], v[48:49] op_sel:[1,0] op_sel_hi:[0,0]
	s_waitcnt vmcnt(1) lgkmcnt(0)
	v_pk_mul_f32 v[50:51], v[44:45], v[40:41] op_sel:[1,1] op_sel_hi:[0,1]
	v_mov_b32_e32 v53, v33
	v_pk_fma_f32 v[32:33], v[38:39], v[34:35], v[36:37] neg_lo:[0,0,1] neg_hi:[0,0,1]
	v_pk_fma_f32 v[34:35], v[38:39], v[34:35], v[36:37] op_sel_hi:[1,0,1]
	v_pk_fma_f32 v[46:47], v[44:45], v[40:41], v[50:51] neg_lo:[0,0,1] neg_hi:[0,0,1]
	v_pk_fma_f32 v[40:41], v[44:45], v[40:41], v[50:51] op_sel_hi:[1,0,1]
	v_pk_add_f32 v[36:37], v[52:53], 0 op_sel_hi:[1,0]
	v_mov_b32_e32 v33, v35
	v_mov_b32_e32 v47, v41
	v_pk_add_f32 v[32:33], v[36:37], v[32:33]
	s_nop 0
	v_pk_add_f32 v[32:33], v[32:33], v[46:47]
	s_waitcnt vmcnt(0)
	v_pk_add_f32 v[32:33], v[42:43], v[32:33] neg_lo:[0,1] neg_hi:[0,1]
	scratch_store_dwordx2 off, v[32:33], off offset:80
	s_and_saveexec_b64 s[0:1], vcc
	s_cbranch_execz .LBB13_79
; %bb.78:
	scratch_load_dwordx2 v[32:33], off, off offset:72
	v_mov_b32_e32 v31, v30
	scratch_store_dwordx2 off, v[30:31], off offset:72
	s_waitcnt vmcnt(1)
	ds_write_b64 v1, v[32:33]
.LBB13_79:
	s_or_b64 exec, exec, s[0:1]
	s_waitcnt lgkmcnt(0)
	; wave barrier
	scratch_load_dwordx4 v[32:35], off, off offset:80
	scratch_load_dwordx4 v[36:39], off, off offset:96
	scratch_load_dwordx2 v[48:49], off, off offset:72
	ds_read_b128 v[40:43], v30 offset:192
	ds_read_b128 v[44:47], v30 offset:208
	v_cmp_lt_u32_e32 vcc, 8, v0
	s_waitcnt vmcnt(2) lgkmcnt(1)
	v_pk_mul_f32 v[30:31], v[40:41], v[32:33] op_sel:[1,1] op_sel_hi:[0,1]
	v_mov_b32_e32 v50, v35
	s_waitcnt vmcnt(1) lgkmcnt(0)
	v_pk_mul_f32 v[52:53], v[44:45], v[36:37] op_sel:[1,1] op_sel_hi:[0,1]
	v_mov_b32_e32 v54, v39
	v_pk_fma_f32 v[56:57], v[40:41], v[32:33], v[30:31] neg_lo:[0,0,1] neg_hi:[0,0,1]
	v_pk_fma_f32 v[30:31], v[40:41], v[32:33], v[30:31] op_sel_hi:[1,0,1]
	v_pk_mul_f32 v[32:33], v[42:43], v[50:51] op_sel:[1,0] op_sel_hi:[0,0]
	v_pk_fma_f32 v[40:41], v[44:45], v[36:37], v[52:53] neg_lo:[0,0,1] neg_hi:[0,0,1]
	v_pk_fma_f32 v[36:37], v[44:45], v[36:37], v[52:53] op_sel_hi:[1,0,1]
	v_pk_mul_f32 v[44:45], v[46:47], v[54:55] op_sel:[1,0] op_sel_hi:[0,0]
	v_mov_b32_e32 v57, v31
	v_pk_fma_f32 v[30:31], v[42:43], v[34:35], v[32:33] neg_lo:[0,0,1] neg_hi:[0,0,1]
	v_pk_fma_f32 v[32:33], v[42:43], v[34:35], v[32:33] op_sel_hi:[1,0,1]
	v_mov_b32_e32 v41, v37
	v_pk_fma_f32 v[34:35], v[46:47], v[38:39], v[44:45] neg_lo:[0,0,1] neg_hi:[0,0,1]
	v_pk_fma_f32 v[36:37], v[46:47], v[38:39], v[44:45] op_sel_hi:[1,0,1]
	v_pk_add_f32 v[38:39], v[56:57], 0 op_sel_hi:[1,0]
	v_mov_b32_e32 v31, v33
	v_pk_add_f32 v[30:31], v[38:39], v[30:31]
	v_mov_b32_e32 v35, v37
	v_pk_add_f32 v[30:31], v[30:31], v[40:41]
	s_nop 0
	v_pk_add_f32 v[30:31], v[30:31], v[34:35]
	s_waitcnt vmcnt(0)
	v_pk_add_f32 v[30:31], v[48:49], v[30:31] neg_lo:[0,1] neg_hi:[0,1]
	scratch_store_dwordx2 off, v[30:31], off offset:72
	s_and_saveexec_b64 s[0:1], vcc
	s_cbranch_execz .LBB13_81
; %bb.80:
	scratch_load_dwordx2 v[30:31], off, off offset:64
	v_mov_b32_e32 v32, 0
	v_mov_b32_e32 v33, v32
	scratch_store_dwordx2 off, v[32:33], off offset:64
	s_waitcnt vmcnt(1)
	ds_write_b64 v1, v[30:31]
.LBB13_81:
	s_or_b64 exec, exec, s[0:1]
	s_waitcnt lgkmcnt(0)
	; wave barrier
	scratch_load_dwordx4 v[32:35], off, off offset:72
	scratch_load_dwordx4 v[36:39], off, off offset:88
	scratch_load_dwordx2 v[48:49], off, off offset:104
	scratch_load_dwordx2 v[50:51], off, off offset:64
	v_mov_b32_e32 v30, 0
	ds_read2_b64 v[40:43], v30 offset0:23 offset1:24
	ds_read2_b64 v[44:47], v30 offset0:25 offset1:26
	ds_read_b64 v[52:53], v30 offset:216
	v_cmp_lt_u32_e32 vcc, 7, v0
	s_waitcnt vmcnt(3) lgkmcnt(2)
	v_pk_mul_f32 v[54:55], v[40:41], v[32:33] op_sel:[1,1] op_sel_hi:[0,1]
	v_mov_b32_e32 v56, v35
	v_pk_fma_f32 v[64:65], v[40:41], v[32:33], v[54:55] neg_lo:[0,0,1] neg_hi:[0,0,1]
	v_pk_fma_f32 v[32:33], v[40:41], v[32:33], v[54:55] op_sel_hi:[1,0,1]
	v_pk_mul_f32 v[40:41], v[42:43], v[56:57] op_sel:[1,0] op_sel_hi:[0,0]
	s_waitcnt vmcnt(2) lgkmcnt(1)
	v_pk_mul_f32 v[58:59], v[44:45], v[36:37] op_sel:[1,1] op_sel_hi:[0,1]
	v_mov_b32_e32 v60, v39
	v_mov_b32_e32 v65, v33
	v_pk_fma_f32 v[32:33], v[42:43], v[34:35], v[40:41] neg_lo:[0,0,1] neg_hi:[0,0,1]
	v_pk_fma_f32 v[34:35], v[42:43], v[34:35], v[40:41] op_sel_hi:[1,0,1]
	v_pk_fma_f32 v[54:55], v[44:45], v[36:37], v[58:59] neg_lo:[0,0,1] neg_hi:[0,0,1]
	v_pk_fma_f32 v[36:37], v[44:45], v[36:37], v[58:59] op_sel_hi:[1,0,1]
	v_pk_mul_f32 v[44:45], v[46:47], v[60:61] op_sel:[1,0] op_sel_hi:[0,0]
	v_pk_add_f32 v[40:41], v[64:65], 0 op_sel_hi:[1,0]
	v_mov_b32_e32 v33, v35
	s_waitcnt vmcnt(1) lgkmcnt(0)
	v_pk_mul_f32 v[62:63], v[52:53], v[48:49] op_sel:[1,1] op_sel_hi:[0,1]
	v_mov_b32_e32 v55, v37
	v_pk_fma_f32 v[36:37], v[46:47], v[38:39], v[44:45] neg_lo:[0,0,1] neg_hi:[0,0,1]
	v_pk_fma_f32 v[38:39], v[46:47], v[38:39], v[44:45] op_sel_hi:[1,0,1]
	v_pk_add_f32 v[32:33], v[40:41], v[32:33]
	v_pk_fma_f32 v[56:57], v[52:53], v[48:49], v[62:63] neg_lo:[0,0,1] neg_hi:[0,0,1]
	v_pk_fma_f32 v[48:49], v[52:53], v[48:49], v[62:63] op_sel_hi:[1,0,1]
	v_mov_b32_e32 v37, v39
	v_pk_add_f32 v[32:33], v[32:33], v[54:55]
	v_mov_b32_e32 v57, v49
	v_pk_add_f32 v[32:33], v[32:33], v[36:37]
	s_nop 0
	v_pk_add_f32 v[32:33], v[32:33], v[56:57]
	s_waitcnt vmcnt(0)
	v_pk_add_f32 v[32:33], v[50:51], v[32:33] neg_lo:[0,1] neg_hi:[0,1]
	scratch_store_dwordx2 off, v[32:33], off offset:64
	s_and_saveexec_b64 s[0:1], vcc
	s_cbranch_execz .LBB13_83
; %bb.82:
	scratch_load_dwordx2 v[32:33], off, off offset:56
	v_mov_b32_e32 v31, v30
	scratch_store_dwordx2 off, v[30:31], off offset:56
	s_waitcnt vmcnt(1)
	ds_write_b64 v1, v[32:33]
.LBB13_83:
	s_or_b64 exec, exec, s[0:1]
	s_waitcnt lgkmcnt(0)
	; wave barrier
	scratch_load_dwordx4 v[32:35], off, off offset:64
	scratch_load_dwordx4 v[36:39], off, off offset:80
	;; [unrolled: 1-line block ×3, first 2 shown]
	scratch_load_dwordx2 v[56:57], off, off offset:56
	ds_read_b128 v[44:47], v30 offset:176
	ds_read_b128 v[48:51], v30 offset:192
	;; [unrolled: 1-line block ×3, first 2 shown]
	v_cmp_lt_u32_e32 vcc, 6, v0
	s_waitcnt vmcnt(3) lgkmcnt(2)
	v_pk_mul_f32 v[30:31], v[44:45], v[32:33] op_sel:[1,1] op_sel_hi:[0,1]
	v_mov_b32_e32 v58, v35
	s_waitcnt vmcnt(2) lgkmcnt(1)
	v_pk_mul_f32 v[60:61], v[48:49], v[36:37] op_sel:[1,1] op_sel_hi:[0,1]
	v_mov_b32_e32 v62, v39
	;; [unrolled: 3-line block ×3, first 2 shown]
	v_pk_fma_f32 v[68:69], v[44:45], v[32:33], v[30:31] neg_lo:[0,0,1] neg_hi:[0,0,1]
	v_pk_fma_f32 v[30:31], v[44:45], v[32:33], v[30:31] op_sel_hi:[1,0,1]
	v_pk_mul_f32 v[32:33], v[46:47], v[58:59] op_sel:[1,0] op_sel_hi:[0,0]
	v_pk_fma_f32 v[44:45], v[48:49], v[36:37], v[60:61] neg_lo:[0,0,1] neg_hi:[0,0,1]
	v_pk_fma_f32 v[36:37], v[48:49], v[36:37], v[60:61] op_sel_hi:[1,0,1]
	v_pk_mul_f32 v[48:49], v[50:51], v[62:63] op_sel:[1,0] op_sel_hi:[0,0]
	;; [unrolled: 3-line block ×3, first 2 shown]
	v_mov_b32_e32 v69, v31
	v_pk_fma_f32 v[30:31], v[46:47], v[34:35], v[32:33] neg_lo:[0,0,1] neg_hi:[0,0,1]
	v_pk_fma_f32 v[32:33], v[46:47], v[34:35], v[32:33] op_sel_hi:[1,0,1]
	v_mov_b32_e32 v45, v37
	v_pk_fma_f32 v[34:35], v[50:51], v[38:39], v[48:49] neg_lo:[0,0,1] neg_hi:[0,0,1]
	v_pk_fma_f32 v[36:37], v[50:51], v[38:39], v[48:49] op_sel_hi:[1,0,1]
	;; [unrolled: 3-line block ×3, first 2 shown]
	v_pk_add_f32 v[42:43], v[68:69], 0 op_sel_hi:[1,0]
	v_mov_b32_e32 v31, v33
	v_pk_add_f32 v[30:31], v[42:43], v[30:31]
	v_mov_b32_e32 v35, v37
	v_pk_add_f32 v[30:31], v[30:31], v[44:45]
	;; [unrolled: 2-line block ×3, first 2 shown]
	s_nop 0
	v_pk_add_f32 v[30:31], v[30:31], v[58:59]
	s_nop 0
	v_pk_add_f32 v[30:31], v[30:31], v[38:39]
	s_waitcnt vmcnt(0)
	v_pk_add_f32 v[30:31], v[56:57], v[30:31] neg_lo:[0,1] neg_hi:[0,1]
	scratch_store_dwordx2 off, v[30:31], off offset:56
	s_and_saveexec_b64 s[0:1], vcc
	s_cbranch_execz .LBB13_85
; %bb.84:
	scratch_load_dwordx2 v[30:31], off, off offset:48
	v_mov_b32_e32 v32, 0
	v_mov_b32_e32 v33, v32
	scratch_store_dwordx2 off, v[32:33], off offset:48
	s_waitcnt vmcnt(1)
	ds_write_b64 v1, v[30:31]
.LBB13_85:
	s_or_b64 exec, exec, s[0:1]
	s_waitcnt lgkmcnt(0)
	; wave barrier
	scratch_load_dwordx4 v[32:35], off, off offset:56
	scratch_load_dwordx4 v[36:39], off, off offset:72
	;; [unrolled: 1-line block ×3, first 2 shown]
	scratch_load_dwordx2 v[56:57], off, off offset:104
	scratch_load_dwordx2 v[58:59], off, off offset:48
	v_mov_b32_e32 v30, 0
	ds_read2_b64 v[44:47], v30 offset0:21 offset1:22
	ds_read2_b64 v[48:51], v30 offset0:23 offset1:24
	;; [unrolled: 1-line block ×3, first 2 shown]
	ds_read_b64 v[60:61], v30 offset:216
	v_cmp_lt_u32_e32 vcc, 5, v0
	s_waitcnt vmcnt(4) lgkmcnt(3)
	v_pk_mul_f32 v[62:63], v[44:45], v[32:33] op_sel:[1,1] op_sel_hi:[0,1]
	v_mov_b32_e32 v64, v35
	v_pk_fma_f32 v[76:77], v[44:45], v[32:33], v[62:63] neg_lo:[0,0,1] neg_hi:[0,0,1]
	v_pk_fma_f32 v[32:33], v[44:45], v[32:33], v[62:63] op_sel_hi:[1,0,1]
	v_pk_mul_f32 v[44:45], v[46:47], v[64:65] op_sel:[1,0] op_sel_hi:[0,0]
	s_waitcnt vmcnt(3) lgkmcnt(2)
	v_pk_mul_f32 v[66:67], v[48:49], v[36:37] op_sel:[1,1] op_sel_hi:[0,1]
	v_mov_b32_e32 v68, v39
	v_mov_b32_e32 v77, v33
	v_pk_fma_f32 v[32:33], v[46:47], v[34:35], v[44:45] neg_lo:[0,0,1] neg_hi:[0,0,1]
	v_pk_fma_f32 v[34:35], v[46:47], v[34:35], v[44:45] op_sel_hi:[1,0,1]
	v_pk_fma_f32 v[62:63], v[48:49], v[36:37], v[66:67] neg_lo:[0,0,1] neg_hi:[0,0,1]
	v_pk_fma_f32 v[36:37], v[48:49], v[36:37], v[66:67] op_sel_hi:[1,0,1]
	v_pk_mul_f32 v[48:49], v[50:51], v[68:69] op_sel:[1,0] op_sel_hi:[0,0]
	v_pk_add_f32 v[44:45], v[76:77], 0 op_sel_hi:[1,0]
	v_mov_b32_e32 v33, v35
	s_waitcnt vmcnt(2) lgkmcnt(1)
	v_pk_mul_f32 v[70:71], v[52:53], v[40:41] op_sel:[1,1] op_sel_hi:[0,1]
	v_mov_b32_e32 v72, v43
	v_mov_b32_e32 v63, v37
	v_pk_fma_f32 v[36:37], v[50:51], v[38:39], v[48:49] neg_lo:[0,0,1] neg_hi:[0,0,1]
	v_pk_fma_f32 v[38:39], v[50:51], v[38:39], v[48:49] op_sel_hi:[1,0,1]
	v_pk_add_f32 v[32:33], v[44:45], v[32:33]
	v_pk_fma_f32 v[64:65], v[52:53], v[40:41], v[70:71] neg_lo:[0,0,1] neg_hi:[0,0,1]
	v_pk_fma_f32 v[40:41], v[52:53], v[40:41], v[70:71] op_sel_hi:[1,0,1]
	v_pk_mul_f32 v[52:53], v[54:55], v[72:73] op_sel:[1,0] op_sel_hi:[0,0]
	v_mov_b32_e32 v37, v39
	v_pk_add_f32 v[32:33], v[32:33], v[62:63]
	s_waitcnt vmcnt(1) lgkmcnt(0)
	v_pk_mul_f32 v[74:75], v[60:61], v[56:57] op_sel:[1,1] op_sel_hi:[0,1]
	v_mov_b32_e32 v65, v41
	v_pk_fma_f32 v[40:41], v[54:55], v[42:43], v[52:53] neg_lo:[0,0,1] neg_hi:[0,0,1]
	v_pk_fma_f32 v[42:43], v[54:55], v[42:43], v[52:53] op_sel_hi:[1,0,1]
	v_pk_add_f32 v[32:33], v[32:33], v[36:37]
	v_pk_fma_f32 v[66:67], v[60:61], v[56:57], v[74:75] neg_lo:[0,0,1] neg_hi:[0,0,1]
	v_pk_fma_f32 v[56:57], v[60:61], v[56:57], v[74:75] op_sel_hi:[1,0,1]
	v_mov_b32_e32 v41, v43
	v_pk_add_f32 v[32:33], v[32:33], v[64:65]
	v_mov_b32_e32 v67, v57
	v_pk_add_f32 v[32:33], v[32:33], v[40:41]
	s_nop 0
	v_pk_add_f32 v[32:33], v[32:33], v[66:67]
	s_waitcnt vmcnt(0)
	v_pk_add_f32 v[32:33], v[58:59], v[32:33] neg_lo:[0,1] neg_hi:[0,1]
	scratch_store_dwordx2 off, v[32:33], off offset:48
	s_and_saveexec_b64 s[0:1], vcc
	s_cbranch_execz .LBB13_87
; %bb.86:
	scratch_load_dwordx2 v[32:33], off, off offset:40
	v_mov_b32_e32 v31, v30
	scratch_store_dwordx2 off, v[30:31], off offset:40
	s_waitcnt vmcnt(1)
	ds_write_b64 v1, v[32:33]
.LBB13_87:
	s_or_b64 exec, exec, s[0:1]
	s_waitcnt lgkmcnt(0)
	; wave barrier
	scratch_load_dwordx4 v[32:35], off, off offset:48
	scratch_load_dwordx4 v[36:39], off, off offset:64
	;; [unrolled: 1-line block ×4, first 2 shown]
	scratch_load_dwordx2 v[64:65], off, off offset:40
	ds_read_b128 v[48:51], v30 offset:160
	ds_read_b128 v[52:55], v30 offset:176
	ds_read_b128 v[56:59], v30 offset:192
	ds_read_b128 v[60:63], v30 offset:208
	v_cmp_lt_u32_e32 vcc, 4, v0
	s_waitcnt vmcnt(4) lgkmcnt(3)
	v_pk_mul_f32 v[30:31], v[48:49], v[32:33] op_sel:[1,1] op_sel_hi:[0,1]
	v_mov_b32_e32 v66, v35
	s_waitcnt vmcnt(3) lgkmcnt(2)
	v_pk_mul_f32 v[68:69], v[52:53], v[36:37] op_sel:[1,1] op_sel_hi:[0,1]
	v_mov_b32_e32 v70, v39
	;; [unrolled: 3-line block ×4, first 2 shown]
	v_pk_fma_f32 v[80:81], v[48:49], v[32:33], v[30:31] neg_lo:[0,0,1] neg_hi:[0,0,1]
	v_pk_fma_f32 v[30:31], v[48:49], v[32:33], v[30:31] op_sel_hi:[1,0,1]
	v_pk_mul_f32 v[32:33], v[50:51], v[66:67] op_sel:[1,0] op_sel_hi:[0,0]
	v_pk_fma_f32 v[48:49], v[52:53], v[36:37], v[68:69] neg_lo:[0,0,1] neg_hi:[0,0,1]
	v_pk_fma_f32 v[36:37], v[52:53], v[36:37], v[68:69] op_sel_hi:[1,0,1]
	v_pk_mul_f32 v[52:53], v[54:55], v[70:71] op_sel:[1,0] op_sel_hi:[0,0]
	;; [unrolled: 3-line block ×4, first 2 shown]
	v_mov_b32_e32 v81, v31
	v_pk_fma_f32 v[30:31], v[50:51], v[34:35], v[32:33] neg_lo:[0,0,1] neg_hi:[0,0,1]
	v_pk_fma_f32 v[32:33], v[50:51], v[34:35], v[32:33] op_sel_hi:[1,0,1]
	v_mov_b32_e32 v49, v37
	v_pk_fma_f32 v[34:35], v[54:55], v[38:39], v[52:53] neg_lo:[0,0,1] neg_hi:[0,0,1]
	v_pk_fma_f32 v[36:37], v[54:55], v[38:39], v[52:53] op_sel_hi:[1,0,1]
	;; [unrolled: 3-line block ×4, first 2 shown]
	v_pk_add_f32 v[46:47], v[80:81], 0 op_sel_hi:[1,0]
	v_mov_b32_e32 v31, v33
	v_pk_add_f32 v[30:31], v[46:47], v[30:31]
	v_mov_b32_e32 v35, v37
	v_pk_add_f32 v[30:31], v[30:31], v[48:49]
	;; [unrolled: 2-line block ×4, first 2 shown]
	s_nop 0
	v_pk_add_f32 v[30:31], v[30:31], v[38:39]
	s_nop 0
	v_pk_add_f32 v[30:31], v[30:31], v[68:69]
	;; [unrolled: 2-line block ×3, first 2 shown]
	s_waitcnt vmcnt(0)
	v_pk_add_f32 v[30:31], v[64:65], v[30:31] neg_lo:[0,1] neg_hi:[0,1]
	scratch_store_dwordx2 off, v[30:31], off offset:40
	s_and_saveexec_b64 s[0:1], vcc
	s_cbranch_execz .LBB13_89
; %bb.88:
	scratch_load_dwordx2 v[30:31], off, off offset:32
	v_mov_b32_e32 v32, 0
	v_mov_b32_e32 v33, v32
	scratch_store_dwordx2 off, v[32:33], off offset:32
	s_waitcnt vmcnt(1)
	ds_write_b64 v1, v[30:31]
.LBB13_89:
	s_or_b64 exec, exec, s[0:1]
	s_waitcnt lgkmcnt(0)
	; wave barrier
	scratch_load_dwordx4 v[32:35], off, off offset:40
	scratch_load_dwordx4 v[36:39], off, off offset:56
	;; [unrolled: 1-line block ×4, first 2 shown]
	scratch_load_dwordx2 v[64:65], off, off offset:104
	scratch_load_dwordx2 v[66:67], off, off offset:32
	v_mov_b32_e32 v30, 0
	ds_read2_b64 v[48:51], v30 offset0:19 offset1:20
	ds_read2_b64 v[52:55], v30 offset0:21 offset1:22
	;; [unrolled: 1-line block ×4, first 2 shown]
	ds_read_b64 v[68:69], v30 offset:216
	v_cmp_lt_u32_e32 vcc, 3, v0
	s_waitcnt vmcnt(5) lgkmcnt(4)
	v_mul_f32_e32 v71, v48, v33
	v_mul_f32_e32 v31, v49, v33
	v_mov_b32_e32 v72, v35
	s_waitcnt vmcnt(4) lgkmcnt(3)
	v_pk_mul_f32 v[74:75], v[52:53], v[36:37] op_sel:[1,1] op_sel_hi:[0,1]
	v_mov_b32_e32 v76, v39
	s_waitcnt vmcnt(1) lgkmcnt(0)
	v_pk_mul_f32 v[86:87], v[68:69], v[64:65] op_sel:[1,1] op_sel_hi:[0,1]
	v_fmac_f32_e32 v71, v49, v32
	v_fma_f32 v70, v48, v32, -v31
	v_pk_mul_f32 v[32:33], v[50:51], v[72:73] op_sel:[1,0] op_sel_hi:[0,0]
	v_pk_fma_f32 v[48:49], v[52:53], v[36:37], v[74:75] neg_lo:[0,0,1] neg_hi:[0,0,1]
	v_pk_fma_f32 v[36:37], v[52:53], v[36:37], v[74:75] op_sel_hi:[1,0,1]
	v_pk_mul_f32 v[52:53], v[54:55], v[76:77] op_sel:[1,0] op_sel_hi:[0,0]
	v_pk_fma_f32 v[76:77], v[68:69], v[64:65], v[86:87] neg_lo:[0,0,1] neg_hi:[0,0,1]
	v_pk_fma_f32 v[64:65], v[68:69], v[64:65], v[86:87] op_sel_hi:[1,0,1]
	v_pk_add_f32 v[68:69], v[70:71], 0 op_sel_hi:[1,0]
	v_pk_fma_f32 v[70:71], v[50:51], v[34:35], v[32:33] neg_lo:[0,0,1] neg_hi:[0,0,1]
	v_pk_fma_f32 v[32:33], v[50:51], v[34:35], v[32:33] op_sel_hi:[1,0,1]
	v_pk_mul_f32 v[78:79], v[56:57], v[40:41] op_sel:[1,1] op_sel_hi:[0,1]
	v_mov_b32_e32 v71, v33
	v_mov_b32_e32 v80, v43
	;; [unrolled: 1-line block ×3, first 2 shown]
	v_pk_fma_f32 v[34:35], v[54:55], v[38:39], v[52:53] neg_lo:[0,0,1] neg_hi:[0,0,1]
	v_pk_fma_f32 v[36:37], v[54:55], v[38:39], v[52:53] op_sel_hi:[1,0,1]
	v_pk_add_f32 v[32:33], v[68:69], v[70:71]
	v_pk_fma_f32 v[72:73], v[56:57], v[40:41], v[78:79] neg_lo:[0,0,1] neg_hi:[0,0,1]
	v_pk_fma_f32 v[40:41], v[56:57], v[40:41], v[78:79] op_sel_hi:[1,0,1]
	v_pk_mul_f32 v[56:57], v[58:59], v[80:81] op_sel:[1,0] op_sel_hi:[0,0]
	v_mov_b32_e32 v35, v37
	v_pk_add_f32 v[32:33], v[32:33], v[48:49]
	v_pk_mul_f32 v[82:83], v[60:61], v[44:45] op_sel:[1,1] op_sel_hi:[0,1]
	v_mov_b32_e32 v84, v47
	v_mov_b32_e32 v73, v41
	v_pk_fma_f32 v[38:39], v[58:59], v[42:43], v[56:57] neg_lo:[0,0,1] neg_hi:[0,0,1]
	v_pk_fma_f32 v[40:41], v[58:59], v[42:43], v[56:57] op_sel_hi:[1,0,1]
	v_pk_add_f32 v[32:33], v[32:33], v[34:35]
	v_pk_fma_f32 v[74:75], v[60:61], v[44:45], v[82:83] neg_lo:[0,0,1] neg_hi:[0,0,1]
	v_pk_fma_f32 v[44:45], v[60:61], v[44:45], v[82:83] op_sel_hi:[1,0,1]
	v_pk_mul_f32 v[60:61], v[62:63], v[84:85] op_sel:[1,0] op_sel_hi:[0,0]
	v_mov_b32_e32 v39, v41
	v_pk_add_f32 v[32:33], v[32:33], v[72:73]
	v_mov_b32_e32 v75, v45
	v_pk_fma_f32 v[42:43], v[62:63], v[46:47], v[60:61] neg_lo:[0,0,1] neg_hi:[0,0,1]
	v_pk_fma_f32 v[44:45], v[62:63], v[46:47], v[60:61] op_sel_hi:[1,0,1]
	v_pk_add_f32 v[32:33], v[32:33], v[38:39]
	v_mov_b32_e32 v43, v45
	v_pk_add_f32 v[32:33], v[32:33], v[74:75]
	v_mov_b32_e32 v77, v65
	v_pk_add_f32 v[32:33], v[32:33], v[42:43]
	s_nop 0
	v_pk_add_f32 v[32:33], v[32:33], v[76:77]
	s_waitcnt vmcnt(0)
	v_pk_add_f32 v[32:33], v[66:67], v[32:33] neg_lo:[0,1] neg_hi:[0,1]
	scratch_store_dwordx2 off, v[32:33], off offset:32
	s_and_saveexec_b64 s[0:1], vcc
	s_cbranch_execz .LBB13_91
; %bb.90:
	scratch_load_dwordx2 v[32:33], off, off offset:24
	v_mov_b32_e32 v31, v30
	scratch_store_dwordx2 off, v[30:31], off offset:24
	s_waitcnt vmcnt(1)
	ds_write_b64 v1, v[32:33]
.LBB13_91:
	s_or_b64 exec, exec, s[0:1]
	s_waitcnt lgkmcnt(0)
	; wave barrier
	scratch_load_dwordx4 v[32:35], off, off offset:32
	scratch_load_dwordx4 v[36:39], off, off offset:48
	;; [unrolled: 1-line block ×5, first 2 shown]
	scratch_load_dwordx2 v[72:73], off, off offset:24
	ds_read_b128 v[52:55], v30 offset:144
	ds_read_b128 v[56:59], v30 offset:160
	;; [unrolled: 1-line block ×5, first 2 shown]
	v_cmp_lt_u32_e32 vcc, 2, v0
	s_waitcnt vmcnt(5) lgkmcnt(4)
	v_mul_f32_e32 v31, v52, v33
	v_mul_f32_e32 v30, v53, v33
	;; [unrolled: 1-line block ×4, first 2 shown]
	s_waitcnt vmcnt(4) lgkmcnt(3)
	v_pk_mul_f32 v[76:77], v[56:57], v[36:37] op_sel:[1,1] op_sel_hi:[0,1]
	v_mov_b32_e32 v78, v39
	v_fmac_f32_e32 v31, v53, v32
	v_fma_f32 v30, v52, v32, -v30
	v_fmac_f32_e32 v75, v55, v34
	v_fma_f32 v74, v54, v34, -v33
	v_pk_fma_f32 v[32:33], v[56:57], v[36:37], v[76:77] neg_lo:[0,0,1] neg_hi:[0,0,1]
	v_pk_fma_f32 v[34:35], v[56:57], v[36:37], v[76:77] op_sel_hi:[1,0,1]
	v_pk_mul_f32 v[36:37], v[58:59], v[78:79] op_sel:[1,0] op_sel_hi:[0,0]
	v_pk_add_f32 v[30:31], v[30:31], 0 op_sel_hi:[1,0]
	s_waitcnt vmcnt(3) lgkmcnt(2)
	v_pk_mul_f32 v[80:81], v[60:61], v[40:41] op_sel:[1,1] op_sel_hi:[0,1]
	v_mov_b32_e32 v82, v43
	v_mov_b32_e32 v33, v35
	v_pk_fma_f32 v[34:35], v[58:59], v[38:39], v[36:37] neg_lo:[0,0,1] neg_hi:[0,0,1]
	v_pk_fma_f32 v[36:37], v[58:59], v[38:39], v[36:37] op_sel_hi:[1,0,1]
	v_pk_add_f32 v[30:31], v[30:31], v[74:75]
	v_pk_fma_f32 v[52:53], v[60:61], v[40:41], v[80:81] neg_lo:[0,0,1] neg_hi:[0,0,1]
	v_pk_fma_f32 v[40:41], v[60:61], v[40:41], v[80:81] op_sel_hi:[1,0,1]
	v_pk_mul_f32 v[54:55], v[62:63], v[82:83] op_sel:[1,0] op_sel_hi:[0,0]
	v_mov_b32_e32 v35, v37
	v_pk_add_f32 v[30:31], v[30:31], v[32:33]
	s_waitcnt vmcnt(2) lgkmcnt(1)
	v_pk_mul_f32 v[84:85], v[64:65], v[44:45] op_sel:[1,1] op_sel_hi:[0,1]
	v_mov_b32_e32 v86, v47
	v_mov_b32_e32 v53, v41
	v_pk_fma_f32 v[38:39], v[62:63], v[42:43], v[54:55] neg_lo:[0,0,1] neg_hi:[0,0,1]
	v_pk_fma_f32 v[40:41], v[62:63], v[42:43], v[54:55] op_sel_hi:[1,0,1]
	v_pk_add_f32 v[30:31], v[30:31], v[34:35]
	v_pk_fma_f32 v[56:57], v[64:65], v[44:45], v[84:85] neg_lo:[0,0,1] neg_hi:[0,0,1]
	v_pk_fma_f32 v[44:45], v[64:65], v[44:45], v[84:85] op_sel_hi:[1,0,1]
	v_pk_mul_f32 v[60:61], v[66:67], v[86:87] op_sel:[1,0] op_sel_hi:[0,0]
	v_mov_b32_e32 v39, v41
	v_pk_add_f32 v[30:31], v[30:31], v[52:53]
	;; [unrolled: 12-line block ×3, first 2 shown]
	v_mov_b32_e32 v65, v49
	v_pk_fma_f32 v[46:47], v[70:71], v[50:51], v[68:69] neg_lo:[0,0,1] neg_hi:[0,0,1]
	v_pk_fma_f32 v[48:49], v[70:71], v[50:51], v[68:69] op_sel_hi:[1,0,1]
	v_pk_add_f32 v[30:31], v[30:31], v[42:43]
	v_mov_b32_e32 v47, v49
	v_pk_add_f32 v[30:31], v[30:31], v[64:65]
	s_nop 0
	v_pk_add_f32 v[30:31], v[30:31], v[46:47]
	s_waitcnt vmcnt(0)
	v_pk_add_f32 v[30:31], v[72:73], v[30:31] neg_lo:[0,1] neg_hi:[0,1]
	scratch_store_dwordx2 off, v[30:31], off offset:24
	s_and_saveexec_b64 s[0:1], vcc
	s_cbranch_execz .LBB13_93
; %bb.92:
	scratch_load_dwordx2 v[30:31], off, off offset:16
	v_mov_b32_e32 v32, 0
	v_mov_b32_e32 v33, v32
	scratch_store_dwordx2 off, v[32:33], off offset:16
	s_waitcnt vmcnt(1)
	ds_write_b64 v1, v[30:31]
.LBB13_93:
	s_or_b64 exec, exec, s[0:1]
	s_waitcnt lgkmcnt(0)
	; wave barrier
	scratch_load_dwordx4 v[32:35], off, off offset:24
	scratch_load_dwordx4 v[36:39], off, off offset:40
	;; [unrolled: 1-line block ×5, first 2 shown]
	scratch_load_dwordx2 v[72:73], off, off offset:104
	scratch_load_dwordx2 v[74:75], off, off offset:16
	v_mov_b32_e32 v30, 0
	ds_read2_b64 v[52:55], v30 offset0:17 offset1:18
	ds_read2_b64 v[56:59], v30 offset0:19 offset1:20
	;; [unrolled: 1-line block ×5, first 2 shown]
	ds_read_b64 v[76:77], v30 offset:216
	v_cmp_lt_u32_e32 vcc, 1, v0
	s_waitcnt vmcnt(6) lgkmcnt(5)
	v_mul_f32_e32 v31, v52, v33
	v_mul_f32_e32 v33, v53, v33
	;; [unrolled: 1-line block ×3, first 2 shown]
	s_waitcnt vmcnt(5) lgkmcnt(4)
	v_mul_f32_e32 v81, v56, v37
	v_mul_f32_e32 v35, v55, v35
	;; [unrolled: 1-line block ×3, first 2 shown]
	v_mov_b32_e32 v82, v39
	s_waitcnt vmcnt(3) lgkmcnt(2)
	v_pk_mul_f32 v[88:89], v[64:65], v[44:45] op_sel:[1,1] op_sel_hi:[0,1]
	s_waitcnt vmcnt(2) lgkmcnt(1)
	v_pk_mul_f32 v[92:93], v[68:69], v[48:49] op_sel:[1,1] op_sel_hi:[0,1]
	;; [unrolled: 2-line block ×3, first 2 shown]
	v_fmac_f32_e32 v31, v53, v32
	v_fma_f32 v83, v52, v32, -v33
	v_fmac_f32_e32 v79, v55, v34
	v_fmac_f32_e32 v81, v57, v36
	v_fma_f32 v78, v54, v34, -v35
	v_fma_f32 v80, v56, v36, -v37
	v_pk_mul_f32 v[32:33], v[58:59], v[82:83] op_sel:[1,0] op_sel_hi:[0,0]
	v_pk_fma_f32 v[52:53], v[64:65], v[44:45], v[88:89] neg_lo:[0,0,1] neg_hi:[0,0,1]
	v_pk_fma_f32 v[44:45], v[64:65], v[44:45], v[88:89] op_sel_hi:[1,0,1]
	v_pk_fma_f32 v[56:57], v[68:69], v[48:49], v[92:93] neg_lo:[0,0,1] neg_hi:[0,0,1]
	v_pk_fma_f32 v[48:49], v[68:69], v[48:49], v[92:93] op_sel_hi:[1,0,1]
	;; [unrolled: 2-line block ×3, first 2 shown]
	v_add_f32_e32 v73, 0, v31
	v_add_f32_e32 v72, 0, v83
	v_pk_mul_f32 v[84:85], v[60:61], v[40:41] op_sel:[1,1] op_sel_hi:[0,1]
	v_mov_b32_e32 v86, v43
	v_pk_fma_f32 v[76:77], v[58:59], v[38:39], v[32:33] neg_lo:[0,0,1] neg_hi:[0,0,1]
	v_pk_fma_f32 v[32:33], v[58:59], v[38:39], v[32:33] op_sel_hi:[1,0,1]
	v_mov_b32_e32 v57, v49
	v_pk_add_f32 v[48:49], v[72:73], v[78:79]
	v_pk_fma_f32 v[34:35], v[60:61], v[40:41], v[84:85] neg_lo:[0,0,1] neg_hi:[0,0,1]
	v_pk_fma_f32 v[36:37], v[60:61], v[40:41], v[84:85] op_sel_hi:[1,0,1]
	v_pk_mul_f32 v[40:41], v[62:63], v[86:87] op_sel:[1,0] op_sel_hi:[0,0]
	v_mov_b32_e32 v77, v33
	v_pk_add_f32 v[32:33], v[48:49], v[80:81]
	v_mov_b32_e32 v90, v47
	v_mov_b32_e32 v35, v37
	v_pk_fma_f32 v[36:37], v[62:63], v[42:43], v[40:41] neg_lo:[0,0,1] neg_hi:[0,0,1]
	v_pk_fma_f32 v[38:39], v[62:63], v[42:43], v[40:41] op_sel_hi:[1,0,1]
	v_pk_add_f32 v[32:33], v[32:33], v[76:77]
	v_pk_mul_f32 v[54:55], v[66:67], v[90:91] op_sel:[1,0] op_sel_hi:[0,0]
	v_mov_b32_e32 v37, v39
	v_pk_add_f32 v[32:33], v[32:33], v[34:35]
	v_mov_b32_e32 v94, v51
	v_mov_b32_e32 v53, v45
	v_pk_fma_f32 v[40:41], v[66:67], v[46:47], v[54:55] neg_lo:[0,0,1] neg_hi:[0,0,1]
	v_pk_fma_f32 v[42:43], v[66:67], v[46:47], v[54:55] op_sel_hi:[1,0,1]
	v_pk_add_f32 v[32:33], v[32:33], v[36:37]
	v_pk_mul_f32 v[60:61], v[70:71], v[94:95] op_sel:[1,0] op_sel_hi:[0,0]
	v_mov_b32_e32 v41, v43
	v_pk_add_f32 v[32:33], v[32:33], v[52:53]
	v_pk_fma_f32 v[44:45], v[70:71], v[50:51], v[60:61] neg_lo:[0,0,1] neg_hi:[0,0,1]
	v_pk_fma_f32 v[46:47], v[70:71], v[50:51], v[60:61] op_sel_hi:[1,0,1]
	v_pk_add_f32 v[32:33], v[32:33], v[40:41]
	v_mov_b32_e32 v45, v47
	v_pk_add_f32 v[32:33], v[32:33], v[56:57]
	v_mov_b32_e32 v65, v69
	v_pk_add_f32 v[32:33], v[32:33], v[44:45]
	s_nop 0
	v_pk_add_f32 v[32:33], v[32:33], v[64:65]
	s_waitcnt vmcnt(0)
	v_pk_add_f32 v[32:33], v[74:75], v[32:33] neg_lo:[0,1] neg_hi:[0,1]
	scratch_store_dwordx2 off, v[32:33], off offset:16
	s_and_saveexec_b64 s[0:1], vcc
	s_cbranch_execz .LBB13_95
; %bb.94:
	scratch_load_dwordx2 v[32:33], off, off offset:8
	v_mov_b32_e32 v31, v30
	scratch_store_dwordx2 off, v[30:31], off offset:8
	s_waitcnt vmcnt(1)
	ds_write_b64 v1, v[32:33]
.LBB13_95:
	s_or_b64 exec, exec, s[0:1]
	s_waitcnt lgkmcnt(0)
	; wave barrier
	scratch_load_dwordx4 v[32:35], off, off offset:16
	scratch_load_dwordx4 v[36:39], off, off offset:32
	;; [unrolled: 1-line block ×6, first 2 shown]
	scratch_load_dwordx2 v[80:81], off, off offset:8
	ds_read_b128 v[56:59], v30 offset:128
	ds_read_b128 v[60:63], v30 offset:144
	;; [unrolled: 1-line block ×6, first 2 shown]
	v_cmp_ne_u32_e32 vcc, 0, v0
	s_waitcnt vmcnt(6) lgkmcnt(5)
	v_mul_f32_e32 v87, v56, v33
	v_mul_f32_e32 v91, v58, v35
	s_waitcnt vmcnt(5) lgkmcnt(4)
	v_mul_f32_e32 v31, v60, v37
	v_mul_f32_e32 v30, v57, v33
	;; [unrolled: 1-line block ×4, first 2 shown]
	s_waitcnt vmcnt(1) lgkmcnt(0)
	v_pk_mul_f32 v[96:97], v[76:77], v[52:53] op_sel:[1,1] op_sel_hi:[0,1]
	v_pk_mul_f32 v[84:85], v[64:65], v[40:41] op_sel:[1,1] op_sel_hi:[0,1]
	v_fmac_f32_e32 v87, v57, v32
	v_fmac_f32_e32 v31, v61, v36
	v_fma_f32 v95, v56, v32, -v30
	v_fma_f32 v30, v60, v36, -v35
	v_pk_fma_f32 v[60:61], v[76:77], v[52:53], v[96:97] neg_lo:[0,0,1] neg_hi:[0,0,1]
	v_pk_fma_f32 v[52:53], v[76:77], v[52:53], v[96:97] op_sel_hi:[1,0,1]
	v_fmac_f32_e32 v91, v59, v34
	v_fma_f32 v99, v58, v34, -v33
	v_pk_fma_f32 v[32:33], v[64:65], v[40:41], v[84:85] neg_lo:[0,0,1] neg_hi:[0,0,1]
	v_pk_fma_f32 v[34:35], v[64:65], v[40:41], v[84:85] op_sel_hi:[1,0,1]
	v_add_f32_e32 v52, 0, v87
	v_add_f32_e32 v64, 0, v95
	v_mul_f32_e32 v83, v62, v39
	v_mul_f32_e32 v37, v63, v39
	v_mov_b32_e32 v86, v43
	v_mov_b32_e32 v61, v53
	v_add_f32_e32 v53, v52, v91
	v_add_f32_e32 v52, v64, v99
	v_fmac_f32_e32 v83, v63, v38
	v_fma_f32 v82, v62, v38, -v37
	v_pk_mul_f32 v[36:37], v[66:67], v[86:87] op_sel:[1,0] op_sel_hi:[0,0]
	v_pk_add_f32 v[30:31], v[52:53], v[30:31]
	v_pk_mul_f32 v[88:89], v[68:69], v[44:45] op_sel:[1,1] op_sel_hi:[0,1]
	v_mov_b32_e32 v90, v47
	v_mov_b32_e32 v33, v35
	v_pk_fma_f32 v[34:35], v[66:67], v[42:43], v[36:37] neg_lo:[0,0,1] neg_hi:[0,0,1]
	v_pk_fma_f32 v[36:37], v[66:67], v[42:43], v[36:37] op_sel_hi:[1,0,1]
	v_pk_add_f32 v[30:31], v[30:31], v[82:83]
	v_pk_fma_f32 v[38:39], v[68:69], v[44:45], v[88:89] neg_lo:[0,0,1] neg_hi:[0,0,1]
	v_pk_fma_f32 v[40:41], v[68:69], v[44:45], v[88:89] op_sel_hi:[1,0,1]
	v_pk_mul_f32 v[44:45], v[70:71], v[90:91] op_sel:[1,0] op_sel_hi:[0,0]
	v_mov_b32_e32 v35, v37
	v_pk_add_f32 v[30:31], v[30:31], v[32:33]
	v_pk_mul_f32 v[92:93], v[72:73], v[48:49] op_sel:[1,1] op_sel_hi:[0,1]
	v_mov_b32_e32 v94, v51
	v_mov_b32_e32 v39, v41
	v_pk_fma_f32 v[40:41], v[70:71], v[46:47], v[44:45] neg_lo:[0,0,1] neg_hi:[0,0,1]
	v_pk_fma_f32 v[42:43], v[70:71], v[46:47], v[44:45] op_sel_hi:[1,0,1]
	v_pk_add_f32 v[30:31], v[30:31], v[34:35]
	v_pk_fma_f32 v[56:57], v[72:73], v[48:49], v[92:93] neg_lo:[0,0,1] neg_hi:[0,0,1]
	v_pk_fma_f32 v[48:49], v[72:73], v[48:49], v[92:93] op_sel_hi:[1,0,1]
	v_pk_mul_f32 v[58:59], v[74:75], v[94:95] op_sel:[1,0] op_sel_hi:[0,0]
	v_mov_b32_e32 v41, v43
	v_pk_add_f32 v[30:31], v[30:31], v[38:39]
	v_mov_b32_e32 v98, v55
	v_mov_b32_e32 v57, v49
	v_pk_fma_f32 v[44:45], v[74:75], v[50:51], v[58:59] neg_lo:[0,0,1] neg_hi:[0,0,1]
	v_pk_fma_f32 v[46:47], v[74:75], v[50:51], v[58:59] op_sel_hi:[1,0,1]
	v_pk_add_f32 v[30:31], v[30:31], v[40:41]
	v_pk_mul_f32 v[62:63], v[78:79], v[98:99] op_sel:[1,0] op_sel_hi:[0,0]
	v_mov_b32_e32 v45, v47
	v_pk_add_f32 v[30:31], v[30:31], v[56:57]
	v_pk_fma_f32 v[48:49], v[78:79], v[54:55], v[62:63] neg_lo:[0,0,1] neg_hi:[0,0,1]
	v_pk_fma_f32 v[50:51], v[78:79], v[54:55], v[62:63] op_sel_hi:[1,0,1]
	v_pk_add_f32 v[30:31], v[30:31], v[44:45]
	v_mov_b32_e32 v49, v51
	v_pk_add_f32 v[30:31], v[30:31], v[60:61]
	s_nop 0
	v_pk_add_f32 v[30:31], v[30:31], v[48:49]
	s_waitcnt vmcnt(0)
	v_pk_add_f32 v[30:31], v[80:81], v[30:31] neg_lo:[0,1] neg_hi:[0,1]
	scratch_store_dwordx2 off, v[30:31], off offset:8
	s_and_saveexec_b64 s[0:1], vcc
	s_cbranch_execz .LBB13_97
; %bb.96:
	scratch_load_dwordx2 v[30:31], off, off
	v_mov_b32_e32 v32, 0
	v_mov_b32_e32 v33, v32
	scratch_store_dwordx2 off, v[32:33], off
	s_waitcnt vmcnt(1)
	ds_write_b64 v1, v[30:31]
.LBB13_97:
	s_or_b64 exec, exec, s[0:1]
	s_waitcnt lgkmcnt(0)
	; wave barrier
	scratch_load_dwordx4 v[32:35], off, off offset:8
	scratch_load_dwordx4 v[36:39], off, off offset:24
	;; [unrolled: 1-line block ×6, first 2 shown]
	scratch_load_dwordx2 v[0:1], off, off offset:104
	scratch_load_dwordx2 v[80:81], off, off
	v_mov_b32_e32 v30, 0
	ds_read2_b64 v[56:59], v30 offset0:15 offset1:16
	ds_read2_b64 v[60:63], v30 offset0:17 offset1:18
	;; [unrolled: 1-line block ×6, first 2 shown]
	ds_read_b64 v[82:83], v30 offset:216
	s_and_b64 vcc, exec, s[18:19]
	s_waitcnt vmcnt(7) lgkmcnt(6)
	v_mul_f32_e32 v31, v56, v33
	s_waitcnt vmcnt(6) lgkmcnt(5)
	v_mul_f32_e32 v93, v60, v37
	v_mul_f32_e32 v85, v62, v39
	;; [unrolled: 1-line block ×5, first 2 shown]
	s_waitcnt vmcnt(1) lgkmcnt(0)
	v_pk_mul_f32 v[102:103], v[82:83], v[0:1] op_sel:[1,1] op_sel_hi:[0,1]
	v_mul_f32_e32 v87, v64, v41
	v_mul_f32_e32 v35, v59, v35
	;; [unrolled: 1-line block ×3, first 2 shown]
	v_fmac_f32_e32 v31, v57, v32
	v_fmac_f32_e32 v93, v61, v36
	;; [unrolled: 1-line block ×3, first 2 shown]
	v_fma_f32 v63, v56, v32, -v33
	v_fma_f32 v97, v60, v36, -v37
	v_pk_fma_f32 v[60:61], v[82:83], v[0:1], v[102:103] neg_lo:[0,0,1] neg_hi:[0,0,1]
	v_pk_fma_f32 v[0:1], v[82:83], v[0:1], v[102:103] op_sel_hi:[1,0,1]
	v_mul_f32_e32 v41, v65, v41
	v_fmac_f32_e32 v89, v59, v34
	v_fmac_f32_e32 v87, v65, v40
	v_fma_f32 v65, v58, v34, -v35
	v_add_f32_e32 v0, 0, v31
	v_add_f32_e32 v31, 0, v63
	v_mov_b32_e32 v88, v43
	v_add_f32_e32 v0, v0, v89
	v_add_f32_e32 v31, v31, v65
	v_fma_f32 v84, v62, v38, -v39
	v_pk_mul_f32 v[32:33], v[66:67], v[88:89] op_sel:[1,0] op_sel_hi:[0,0]
	v_mov_b32_e32 v61, v1
	v_add_f32_e32 v1, v0, v93
	v_add_f32_e32 v0, v31, v97
	v_pk_mul_f32 v[90:91], v[68:69], v[44:45] op_sel:[1,1] op_sel_hi:[0,1]
	v_mov_b32_e32 v92, v47
	v_fma_f32 v86, v64, v40, -v41
	v_pk_fma_f32 v[62:63], v[66:67], v[42:43], v[32:33] neg_lo:[0,0,1] neg_hi:[0,0,1]
	v_pk_fma_f32 v[32:33], v[66:67], v[42:43], v[32:33] op_sel_hi:[1,0,1]
	v_pk_add_f32 v[0:1], v[0:1], v[84:85]
	v_pk_fma_f32 v[34:35], v[68:69], v[44:45], v[90:91] neg_lo:[0,0,1] neg_hi:[0,0,1]
	v_pk_fma_f32 v[36:37], v[68:69], v[44:45], v[90:91] op_sel_hi:[1,0,1]
	v_pk_mul_f32 v[38:39], v[70:71], v[92:93] op_sel:[1,0] op_sel_hi:[0,0]
	v_mov_b32_e32 v63, v33
	v_pk_add_f32 v[0:1], v[0:1], v[86:87]
	v_pk_mul_f32 v[94:95], v[72:73], v[48:49] op_sel:[1,1] op_sel_hi:[0,1]
	v_mov_b32_e32 v96, v51
	v_mov_b32_e32 v35, v37
	v_pk_fma_f32 v[36:37], v[70:71], v[46:47], v[38:39] neg_lo:[0,0,1] neg_hi:[0,0,1]
	v_pk_fma_f32 v[38:39], v[70:71], v[46:47], v[38:39] op_sel_hi:[1,0,1]
	v_pk_add_f32 v[0:1], v[0:1], v[62:63]
	v_pk_fma_f32 v[40:41], v[72:73], v[48:49], v[94:95] neg_lo:[0,0,1] neg_hi:[0,0,1]
	v_pk_fma_f32 v[44:45], v[72:73], v[48:49], v[94:95] op_sel_hi:[1,0,1]
	v_pk_mul_f32 v[48:49], v[74:75], v[96:97] op_sel:[1,0] op_sel_hi:[0,0]
	v_mov_b32_e32 v37, v39
	v_pk_add_f32 v[0:1], v[0:1], v[34:35]
	v_pk_mul_f32 v[98:99], v[76:77], v[52:53] op_sel:[1,1] op_sel_hi:[0,1]
	v_mov_b32_e32 v100, v55
	v_mov_b32_e32 v41, v45
	v_pk_fma_f32 v[42:43], v[74:75], v[50:51], v[48:49] neg_lo:[0,0,1] neg_hi:[0,0,1]
	v_pk_fma_f32 v[44:45], v[74:75], v[50:51], v[48:49] op_sel_hi:[1,0,1]
	v_pk_add_f32 v[0:1], v[0:1], v[36:37]
	v_pk_fma_f32 v[56:57], v[76:77], v[52:53], v[98:99] neg_lo:[0,0,1] neg_hi:[0,0,1]
	v_pk_fma_f32 v[52:53], v[76:77], v[52:53], v[98:99] op_sel_hi:[1,0,1]
	v_pk_mul_f32 v[58:59], v[78:79], v[100:101] op_sel:[1,0] op_sel_hi:[0,0]
	v_mov_b32_e32 v43, v45
	v_pk_add_f32 v[0:1], v[0:1], v[40:41]
	v_mov_b32_e32 v57, v53
	v_pk_fma_f32 v[46:47], v[78:79], v[54:55], v[58:59] neg_lo:[0,0,1] neg_hi:[0,0,1]
	v_pk_fma_f32 v[48:49], v[78:79], v[54:55], v[58:59] op_sel_hi:[1,0,1]
	v_pk_add_f32 v[0:1], v[0:1], v[42:43]
	v_mov_b32_e32 v47, v49
	v_pk_add_f32 v[0:1], v[0:1], v[56:57]
	s_nop 0
	v_pk_add_f32 v[0:1], v[0:1], v[46:47]
	s_nop 0
	v_pk_add_f32 v[0:1], v[0:1], v[60:61]
	s_waitcnt vmcnt(0)
	v_pk_add_f32 v[0:1], v[80:81], v[0:1] neg_lo:[0,1] neg_hi:[0,1]
	scratch_store_dwordx2 off, v[0:1], off
	s_cbranch_vccz .LBB13_124
; %bb.98:
	global_load_dword v0, v30, s[16:17] offset:48
	s_waitcnt vmcnt(0)
	v_readfirstlane_b32 s0, v0
	s_add_i32 s0, s0, -1
	s_cmp_lg_u32 s0, 12
	s_cbranch_scc0 .LBB13_100
; %bb.99:
	s_lshl_b32 s0, s0, 3
	s_nop 0
	scratch_load_dwordx2 v[0:1], off, s0
	scratch_load_dwordx2 v[30:31], off, off offset:96
	s_waitcnt vmcnt(1)
	scratch_store_dwordx2 off, v[0:1], off offset:96
	s_waitcnt vmcnt(1)
	scratch_store_dwordx2 off, v[30:31], s0
.LBB13_100:
	v_mov_b32_e32 v0, 0
	global_load_dword v1, v0, s[16:17] offset:44
	s_waitcnt vmcnt(0)
	v_readfirstlane_b32 s0, v1
	s_add_i32 s0, s0, -1
	s_cmp_eq_u32 s0, 11
	s_cbranch_scc1 .LBB13_102
; %bb.101:
	s_lshl_b32 s0, s0, 3
	s_nop 0
	scratch_load_dwordx2 v[30:31], off, s0
	scratch_load_dwordx2 v[32:33], off, off offset:88
	s_waitcnt vmcnt(1)
	scratch_store_dwordx2 off, v[30:31], off offset:88
	s_waitcnt vmcnt(1)
	scratch_store_dwordx2 off, v[32:33], s0
.LBB13_102:
	global_load_dword v0, v0, s[16:17] offset:40
	s_waitcnt vmcnt(0)
	v_readfirstlane_b32 s0, v0
	s_add_i32 s0, s0, -1
	s_cmp_eq_u32 s0, 10
	s_cbranch_scc1 .LBB13_104
; %bb.103:
	s_lshl_b32 s0, s0, 3
	s_nop 0
	scratch_load_dwordx2 v[0:1], off, s0
	scratch_load_dwordx2 v[30:31], off, off offset:80
	s_waitcnt vmcnt(1)
	scratch_store_dwordx2 off, v[0:1], off offset:80
	s_waitcnt vmcnt(1)
	scratch_store_dwordx2 off, v[30:31], s0
.LBB13_104:
	v_mov_b32_e32 v0, 0
	global_load_dword v1, v0, s[16:17] offset:36
	s_waitcnt vmcnt(0)
	v_readfirstlane_b32 s0, v1
	s_add_i32 s0, s0, -1
	s_cmp_eq_u32 s0, 9
	s_cbranch_scc1 .LBB13_106
; %bb.105:
	s_lshl_b32 s0, s0, 3
	s_nop 0
	scratch_load_dwordx2 v[30:31], off, s0
	scratch_load_dwordx2 v[32:33], off, off offset:72
	s_waitcnt vmcnt(1)
	scratch_store_dwordx2 off, v[30:31], off offset:72
	s_waitcnt vmcnt(1)
	scratch_store_dwordx2 off, v[32:33], s0
.LBB13_106:
	global_load_dword v0, v0, s[16:17] offset:32
	s_waitcnt vmcnt(0)
	v_readfirstlane_b32 s0, v0
	s_add_i32 s0, s0, -1
	s_cmp_eq_u32 s0, 8
	s_cbranch_scc1 .LBB13_108
; %bb.107:
	s_lshl_b32 s0, s0, 3
	s_nop 0
	scratch_load_dwordx2 v[0:1], off, s0
	scratch_load_dwordx2 v[30:31], off, off offset:64
	s_waitcnt vmcnt(1)
	scratch_store_dwordx2 off, v[0:1], off offset:64
	s_waitcnt vmcnt(1)
	scratch_store_dwordx2 off, v[30:31], s0
.LBB13_108:
	;; [unrolled: 33-line block ×5, first 2 shown]
	v_mov_b32_e32 v0, 0
	global_load_dword v1, v0, s[16:17] offset:4
	s_waitcnt vmcnt(0)
	v_readfirstlane_b32 s0, v1
	s_add_i32 s0, s0, -1
	s_cmp_eq_u32 s0, 1
	s_cbranch_scc1 .LBB13_122
; %bb.121:
	s_lshl_b32 s0, s0, 3
	s_nop 0
	scratch_load_dwordx2 v[30:31], off, s0
	scratch_load_dwordx2 v[32:33], off, off offset:8
	s_waitcnt vmcnt(1)
	scratch_store_dwordx2 off, v[30:31], off offset:8
	s_waitcnt vmcnt(1)
	scratch_store_dwordx2 off, v[32:33], s0
.LBB13_122:
	global_load_dword v30, v0, s[16:17]
	s_nop 0
	scratch_load_dwordx2 v[0:1], off, off
	s_waitcnt vmcnt(1)
	v_readfirstlane_b32 s0, v30
	s_add_i32 s0, s0, -1
	s_cmp_eq_u32 s0, 0
	s_cbranch_scc1 .LBB13_124
; %bb.123:
	s_lshl_b32 s0, s0, 3
	s_nop 0
	scratch_load_dwordx2 v[30:31], off, s0
	s_waitcnt vmcnt(0)
	scratch_store_dwordx2 off, v[30:31], off
	scratch_store_dwordx2 off, v[0:1], s0
	scratch_load_dwordx2 v[0:1], off, off
.LBB13_124:
	s_nop 0
	scratch_load_dwordx4 v[32:35], off, off offset:8
	scratch_load_dwordx4 v[36:39], off, off offset:24
	;; [unrolled: 1-line block ×6, first 2 shown]
	scratch_load_dwordx2 v[30:31], off, off offset:104
	s_waitcnt vmcnt(7)
	global_store_dwordx2 v[2:3], v[0:1], off
	s_waitcnt vmcnt(7)
	global_store_dwordx2 v[4:5], v[32:33], off
	global_store_dwordx2 v[6:7], v[34:35], off
	s_waitcnt vmcnt(8)
	global_store_dwordx2 v[8:9], v[36:37], off
	;; [unrolled: 3-line block ×7, first 2 shown]
	s_endpgm
	.section	.rodata,"a",@progbits
	.p2align	6, 0x0
	.amdhsa_kernel _ZN9rocsolver6v33100L18getri_kernel_smallILi14E19rocblas_complex_numIfEPS3_EEvT1_iilPiilS6_bb
		.amdhsa_group_segment_fixed_size 228
		.amdhsa_private_segment_fixed_size 128
		.amdhsa_kernarg_size 60
		.amdhsa_user_sgpr_count 2
		.amdhsa_user_sgpr_dispatch_ptr 0
		.amdhsa_user_sgpr_queue_ptr 0
		.amdhsa_user_sgpr_kernarg_segment_ptr 1
		.amdhsa_user_sgpr_dispatch_id 0
		.amdhsa_user_sgpr_kernarg_preload_length 0
		.amdhsa_user_sgpr_kernarg_preload_offset 0
		.amdhsa_user_sgpr_private_segment_size 0
		.amdhsa_uses_dynamic_stack 0
		.amdhsa_enable_private_segment 1
		.amdhsa_system_sgpr_workgroup_id_x 1
		.amdhsa_system_sgpr_workgroup_id_y 0
		.amdhsa_system_sgpr_workgroup_id_z 0
		.amdhsa_system_sgpr_workgroup_info 0
		.amdhsa_system_vgpr_workitem_id 0
		.amdhsa_next_free_vgpr 104
		.amdhsa_next_free_sgpr 20
		.amdhsa_accum_offset 104
		.amdhsa_reserve_vcc 1
		.amdhsa_float_round_mode_32 0
		.amdhsa_float_round_mode_16_64 0
		.amdhsa_float_denorm_mode_32 3
		.amdhsa_float_denorm_mode_16_64 3
		.amdhsa_dx10_clamp 1
		.amdhsa_ieee_mode 1
		.amdhsa_fp16_overflow 0
		.amdhsa_tg_split 0
		.amdhsa_exception_fp_ieee_invalid_op 0
		.amdhsa_exception_fp_denorm_src 0
		.amdhsa_exception_fp_ieee_div_zero 0
		.amdhsa_exception_fp_ieee_overflow 0
		.amdhsa_exception_fp_ieee_underflow 0
		.amdhsa_exception_fp_ieee_inexact 0
		.amdhsa_exception_int_div_zero 0
	.end_amdhsa_kernel
	.section	.text._ZN9rocsolver6v33100L18getri_kernel_smallILi14E19rocblas_complex_numIfEPS3_EEvT1_iilPiilS6_bb,"axG",@progbits,_ZN9rocsolver6v33100L18getri_kernel_smallILi14E19rocblas_complex_numIfEPS3_EEvT1_iilPiilS6_bb,comdat
.Lfunc_end13:
	.size	_ZN9rocsolver6v33100L18getri_kernel_smallILi14E19rocblas_complex_numIfEPS3_EEvT1_iilPiilS6_bb, .Lfunc_end13-_ZN9rocsolver6v33100L18getri_kernel_smallILi14E19rocblas_complex_numIfEPS3_EEvT1_iilPiilS6_bb
                                        ; -- End function
	.set _ZN9rocsolver6v33100L18getri_kernel_smallILi14E19rocblas_complex_numIfEPS3_EEvT1_iilPiilS6_bb.num_vgpr, 104
	.set _ZN9rocsolver6v33100L18getri_kernel_smallILi14E19rocblas_complex_numIfEPS3_EEvT1_iilPiilS6_bb.num_agpr, 0
	.set _ZN9rocsolver6v33100L18getri_kernel_smallILi14E19rocblas_complex_numIfEPS3_EEvT1_iilPiilS6_bb.numbered_sgpr, 20
	.set _ZN9rocsolver6v33100L18getri_kernel_smallILi14E19rocblas_complex_numIfEPS3_EEvT1_iilPiilS6_bb.num_named_barrier, 0
	.set _ZN9rocsolver6v33100L18getri_kernel_smallILi14E19rocblas_complex_numIfEPS3_EEvT1_iilPiilS6_bb.private_seg_size, 128
	.set _ZN9rocsolver6v33100L18getri_kernel_smallILi14E19rocblas_complex_numIfEPS3_EEvT1_iilPiilS6_bb.uses_vcc, 1
	.set _ZN9rocsolver6v33100L18getri_kernel_smallILi14E19rocblas_complex_numIfEPS3_EEvT1_iilPiilS6_bb.uses_flat_scratch, 0
	.set _ZN9rocsolver6v33100L18getri_kernel_smallILi14E19rocblas_complex_numIfEPS3_EEvT1_iilPiilS6_bb.has_dyn_sized_stack, 0
	.set _ZN9rocsolver6v33100L18getri_kernel_smallILi14E19rocblas_complex_numIfEPS3_EEvT1_iilPiilS6_bb.has_recursion, 0
	.set _ZN9rocsolver6v33100L18getri_kernel_smallILi14E19rocblas_complex_numIfEPS3_EEvT1_iilPiilS6_bb.has_indirect_call, 0
	.section	.AMDGPU.csdata,"",@progbits
; Kernel info:
; codeLenInByte = 10748
; TotalNumSgprs: 26
; NumVgprs: 104
; NumAgprs: 0
; TotalNumVgprs: 104
; ScratchSize: 128
; MemoryBound: 0
; FloatMode: 240
; IeeeMode: 1
; LDSByteSize: 228 bytes/workgroup (compile time only)
; SGPRBlocks: 3
; VGPRBlocks: 12
; NumSGPRsForWavesPerEU: 26
; NumVGPRsForWavesPerEU: 104
; AccumOffset: 104
; Occupancy: 4
; WaveLimiterHint : 1
; COMPUTE_PGM_RSRC2:SCRATCH_EN: 1
; COMPUTE_PGM_RSRC2:USER_SGPR: 2
; COMPUTE_PGM_RSRC2:TRAP_HANDLER: 0
; COMPUTE_PGM_RSRC2:TGID_X_EN: 1
; COMPUTE_PGM_RSRC2:TGID_Y_EN: 0
; COMPUTE_PGM_RSRC2:TGID_Z_EN: 0
; COMPUTE_PGM_RSRC2:TIDIG_COMP_CNT: 0
; COMPUTE_PGM_RSRC3_GFX90A:ACCUM_OFFSET: 25
; COMPUTE_PGM_RSRC3_GFX90A:TG_SPLIT: 0
	.section	.text._ZN9rocsolver6v33100L18getri_kernel_smallILi15E19rocblas_complex_numIfEPS3_EEvT1_iilPiilS6_bb,"axG",@progbits,_ZN9rocsolver6v33100L18getri_kernel_smallILi15E19rocblas_complex_numIfEPS3_EEvT1_iilPiilS6_bb,comdat
	.globl	_ZN9rocsolver6v33100L18getri_kernel_smallILi15E19rocblas_complex_numIfEPS3_EEvT1_iilPiilS6_bb ; -- Begin function _ZN9rocsolver6v33100L18getri_kernel_smallILi15E19rocblas_complex_numIfEPS3_EEvT1_iilPiilS6_bb
	.p2align	8
	.type	_ZN9rocsolver6v33100L18getri_kernel_smallILi15E19rocblas_complex_numIfEPS3_EEvT1_iilPiilS6_bb,@function
_ZN9rocsolver6v33100L18getri_kernel_smallILi15E19rocblas_complex_numIfEPS3_EEvT1_iilPiilS6_bb: ; @_ZN9rocsolver6v33100L18getri_kernel_smallILi15E19rocblas_complex_numIfEPS3_EEvT1_iilPiilS6_bb
; %bb.0:
	v_cmp_gt_u32_e32 vcc, 15, v0
	s_and_saveexec_b64 s[4:5], vcc
	s_cbranch_execz .LBB14_74
; %bb.1:
	s_load_dword s8, s[0:1], 0x38
	s_load_dwordx4 s[12:15], s[0:1], 0x10
	s_load_dwordx4 s[4:7], s[0:1], 0x28
                                        ; implicit-def: $sgpr16_sgpr17
	s_waitcnt lgkmcnt(0)
	s_bitcmp1_b32 s8, 8
	s_cselect_b64 s[18:19], -1, 0
	s_ashr_i32 s3, s2, 31
	s_bfe_u32 s8, s8, 0x10008
	s_cmp_eq_u32 s8, 0
	s_cbranch_scc1 .LBB14_3
; %bb.2:
	s_load_dword s8, s[0:1], 0x20
	s_mul_i32 s9, s4, s3
	s_mul_hi_u32 s10, s4, s2
	s_mul_i32 s5, s5, s2
	s_add_i32 s10, s10, s9
	s_add_i32 s5, s10, s5
	s_mul_i32 s4, s4, s2
	s_waitcnt lgkmcnt(0)
	s_ashr_i32 s9, s8, 31
	s_lshl_b64 s[4:5], s[4:5], 2
	s_add_u32 s10, s14, s4
	s_addc_u32 s11, s15, s5
	s_lshl_b64 s[4:5], s[8:9], 2
	s_add_u32 s16, s10, s4
	s_addc_u32 s17, s11, s5
.LBB14_3:
	s_load_dwordx4 s[8:11], s[0:1], 0x0
	s_load_dword s14, s[0:1], 0x38
	s_mul_i32 s4, s12, s3
	s_mul_hi_u32 s5, s12, s2
	s_add_i32 s4, s5, s4
	s_mul_i32 s5, s13, s2
	s_add_i32 s5, s4, s5
	s_mul_i32 s4, s12, s2
	s_waitcnt lgkmcnt(0)
	s_ashr_i32 s1, s10, 31
	s_lshl_b64 s[4:5], s[4:5], 3
	s_mov_b32 s0, s10
	s_add_u32 s4, s8, s4
	s_addc_u32 s5, s9, s5
	s_lshl_b64 s[0:1], s[0:1], 3
	s_add_u32 s0, s4, s0
	s_addc_u32 s1, s5, s1
	v_lshlrev_b32_e32 v32, 3, v0
	v_mov_b32_e32 v33, 0
	v_lshl_add_u64 v[2:3], s[0:1], 0, v[32:33]
	s_ashr_i32 s5, s11, 31
	s_mov_b32 s4, s11
	v_lshl_add_u64 v[4:5], s[4:5], 3, v[2:3]
	s_add_i32 s4, s11, s11
	v_add_u32_e32 v8, s4, v0
	v_add_u32_e32 v10, s11, v8
	;; [unrolled: 1-line block ×12, first 2 shown]
	v_ashrrev_i32_e32 v9, 31, v8
	v_ashrrev_i32_e32 v11, 31, v10
	;; [unrolled: 1-line block ×12, first 2 shown]
	v_lshl_add_u64 v[6:7], v[8:9], 3, s[0:1]
	v_lshl_add_u64 v[8:9], v[10:11], 3, s[0:1]
	v_lshl_add_u64 v[10:11], v[12:13], 3, s[0:1]
	v_lshl_add_u64 v[12:13], v[14:15], 3, s[0:1]
	v_lshl_add_u64 v[14:15], v[16:17], 3, s[0:1]
	v_lshl_add_u64 v[16:17], v[18:19], 3, s[0:1]
	v_lshl_add_u64 v[18:19], v[20:21], 3, s[0:1]
	v_lshl_add_u64 v[20:21], v[22:23], 3, s[0:1]
	v_lshl_add_u64 v[22:23], v[24:25], 3, s[0:1]
	v_lshl_add_u64 v[24:25], v[26:27], 3, s[0:1]
	v_lshl_add_u64 v[26:27], v[28:29], 3, s[0:1]
	v_lshl_add_u64 v[28:29], v[30:31], 3, s[0:1]
	v_add_u32_e32 v30, s11, v30
	v_ashrrev_i32_e32 v31, 31, v30
	global_load_dwordx2 v[36:37], v32, s[0:1]
	global_load_dwordx2 v[38:39], v[4:5], off
	global_load_dwordx2 v[40:41], v[6:7], off
	;; [unrolled: 1-line block ×12, first 2 shown]
	v_lshl_add_u64 v[30:31], v[30:31], 3, s[0:1]
	global_load_dwordx2 v[62:63], v[28:29], off
	global_load_dwordx2 v[34:35], v[30:31], off
	s_bitcmp0_b32 s14, 0
	s_mov_b64 s[4:5], -1
	s_waitcnt vmcnt(13)
	scratch_store_dwordx4 off, v[36:39], off
	s_waitcnt vmcnt(12)
	scratch_store_dwordx4 off, v[40:43], off offset:16
	s_waitcnt vmcnt(11)
	scratch_store_dwordx4 off, v[44:47], off offset:32
	;; [unrolled: 2-line block ×6, first 2 shown]
	s_waitcnt vmcnt(7)
	scratch_store_dwordx2 off, v[34:35], off offset:112
	s_cbranch_scc1 .LBB14_72
; %bb.4:
	v_cmp_eq_u32_e64 s[0:1], 0, v0
	s_and_saveexec_b64 s[4:5], s[0:1]
; %bb.5:
	v_mov_b32_e32 v1, 0
	ds_write_b32 v1, v1 offset:120
; %bb.6:
	s_or_b64 exec, exec, s[4:5]
	s_waitcnt lgkmcnt(0)
	; wave barrier
	scratch_load_dwordx2 v[34:35], v32, off
	s_waitcnt vmcnt(0)
	v_cmp_eq_f32_e32 vcc, 0, v34
	v_cmp_eq_f32_e64 s[4:5], 0, v35
	s_and_b64 s[4:5], vcc, s[4:5]
	s_and_saveexec_b64 s[8:9], s[4:5]
	s_cbranch_execz .LBB14_10
; %bb.7:
	v_mov_b32_e32 v1, 0
	ds_read_b32 v34, v1 offset:120
	v_add_u32_e32 v33, 1, v0
	s_waitcnt lgkmcnt(0)
	v_readfirstlane_b32 s4, v34
	s_cmp_eq_u32 s4, 0
	s_cselect_b64 s[10:11], -1, 0
	v_cmp_gt_i32_e32 vcc, s4, v33
	s_or_b64 s[10:11], s[10:11], vcc
	s_and_b64 exec, exec, s[10:11]
	s_cbranch_execz .LBB14_10
; %bb.8:
	s_mov_b64 s[10:11], 0
	v_mov_b32_e32 v34, s4
.LBB14_9:                               ; =>This Inner Loop Header: Depth=1
	ds_cmpst_rtn_b32 v34, v1, v34, v33 offset:120
	s_waitcnt lgkmcnt(0)
	v_cmp_ne_u32_e32 vcc, 0, v34
	v_cmp_le_i32_e64 s[4:5], v34, v33
	s_and_b64 s[4:5], vcc, s[4:5]
	s_and_b64 s[4:5], exec, s[4:5]
	s_or_b64 s[10:11], s[4:5], s[10:11]
	s_andn2_b64 exec, exec, s[10:11]
	s_cbranch_execnz .LBB14_9
.LBB14_10:
	s_or_b64 exec, exec, s[8:9]
	v_mov_b32_e32 v33, 0
	; wave barrier
	ds_read_b32 v1, v33 offset:120
	s_and_saveexec_b64 s[4:5], s[0:1]
	s_cbranch_execz .LBB14_12
; %bb.11:
	s_lshl_b64 s[8:9], s[2:3], 2
	s_add_u32 s8, s6, s8
	s_addc_u32 s9, s7, s9
	s_waitcnt lgkmcnt(0)
	global_store_dword v33, v1, s[8:9]
.LBB14_12:
	s_or_b64 exec, exec, s[4:5]
	s_waitcnt lgkmcnt(0)
	v_cmp_ne_u32_e32 vcc, 0, v1
	s_mov_b64 s[4:5], 0
	s_cbranch_vccnz .LBB14_72
; %bb.13:
	v_mov_b32_e32 v33, v32
	scratch_load_dwordx2 v[34:35], v33, off
                                        ; implicit-def: $vgpr37
                                        ; implicit-def: $vgpr38
	s_waitcnt vmcnt(0)
	v_cmp_ngt_f32_e64 s[4:5], |v34|, |v35|
	s_and_saveexec_b64 s[8:9], s[4:5]
	s_xor_b64 s[4:5], exec, s[8:9]
	s_cbranch_execz .LBB14_15
; %bb.14:
	v_div_scale_f32 v1, s[8:9], v35, v35, v34
	v_rcp_f32_e32 v36, v1
	v_div_scale_f32 v37, vcc, v34, v35, v34
	v_fma_f32 v38, -v1, v36, 1.0
	v_fmac_f32_e32 v36, v38, v36
	v_mul_f32_e32 v38, v37, v36
	v_fma_f32 v39, -v1, v38, v37
	v_fmac_f32_e32 v38, v39, v36
	v_fma_f32 v1, -v1, v38, v37
	v_div_fmas_f32 v1, v1, v36, v38
	v_div_fixup_f32 v1, v1, v35, v34
	v_fmac_f32_e32 v35, v34, v1
	v_div_scale_f32 v34, s[8:9], v35, v35, -1.0
	v_rcp_f32_e32 v36, v34
	s_nop 0
	v_fma_f32 v37, -v34, v36, 1.0
	v_fmac_f32_e32 v36, v37, v36
	v_div_scale_f32 v37, vcc, -1.0, v35, -1.0
	v_mul_f32_e32 v38, v37, v36
	v_fma_f32 v39, -v34, v38, v37
	v_fmac_f32_e32 v38, v39, v36
	v_fma_f32 v34, -v34, v38, v37
	v_div_fmas_f32 v34, v34, v36, v38
	v_div_fixup_f32 v37, v34, v35, -1.0
	v_mul_f32_e32 v38, v1, v37
	v_xor_b32_e32 v36, 0x80000000, v38
                                        ; implicit-def: $vgpr34_vgpr35
.LBB14_15:
	s_andn2_saveexec_b64 s[4:5], s[4:5]
	s_cbranch_execz .LBB14_17
; %bb.16:
	v_div_scale_f32 v1, s[8:9], v34, v34, v35
	v_rcp_f32_e32 v36, v1
	v_div_scale_f32 v37, vcc, v35, v34, v35
	v_fma_f32 v38, -v1, v36, 1.0
	v_fmac_f32_e32 v36, v38, v36
	v_mul_f32_e32 v38, v37, v36
	v_fma_f32 v39, -v1, v38, v37
	v_fmac_f32_e32 v38, v39, v36
	v_fma_f32 v1, -v1, v38, v37
	v_div_fmas_f32 v1, v1, v36, v38
	v_div_fixup_f32 v1, v1, v34, v35
	v_fmac_f32_e32 v34, v35, v1
	v_div_scale_f32 v35, s[8:9], v34, v34, 1.0
	v_rcp_f32_e32 v36, v35
	s_nop 0
	v_fma_f32 v37, -v35, v36, 1.0
	v_fmac_f32_e32 v36, v37, v36
	v_div_scale_f32 v37, vcc, 1.0, v34, 1.0
	v_mul_f32_e32 v38, v37, v36
	v_fma_f32 v39, -v35, v38, v37
	v_fmac_f32_e32 v38, v39, v36
	v_fma_f32 v35, -v35, v38, v37
	v_div_fmas_f32 v35, v35, v36, v38
	v_div_fixup_f32 v36, v35, v34, 1.0
	v_xor_b32_e32 v38, 0x80000000, v36
	v_mul_f32_e64 v37, v1, -v36
.LBB14_17:
	s_or_b64 exec, exec, s[4:5]
	scratch_store_dwordx2 v33, v[36:37], off
	scratch_load_dwordx2 v[34:35], off, off offset:8
	v_xor_b32_e32 v39, 0x80000000, v37
	v_add_u32_e32 v1, 0x80, v32
	s_waitcnt vmcnt(0)
	ds_write2_b64 v32, v[38:39], v[34:35] offset1:16
	s_waitcnt lgkmcnt(0)
	; wave barrier
	s_and_saveexec_b64 s[4:5], s[0:1]
	s_cbranch_execz .LBB14_19
; %bb.18:
	scratch_load_dwordx2 v[34:35], v33, off
	ds_read_b64 v[36:37], v1
	v_mov_b32_e32 v38, 0
	ds_read_b64 v[38:39], v38 offset:8
	s_waitcnt vmcnt(0) lgkmcnt(1)
	v_pk_mul_f32 v[40:41], v[36:37], v[34:35] op_sel:[1,1] op_sel_hi:[0,1]
	v_pk_fma_f32 v[42:43], v[36:37], v[34:35], v[40:41] neg_lo:[0,0,1] neg_hi:[0,0,1]
	v_pk_fma_f32 v[34:35], v[36:37], v[34:35], v[40:41] op_sel_hi:[1,0,1]
	s_nop 0
	v_mov_b32_e32 v43, v35
	v_pk_add_f32 v[34:35], v[42:43], 0 op_sel_hi:[1,0]
	s_waitcnt lgkmcnt(0)
	v_pk_mul_f32 v[36:37], v[34:35], v[38:39] op_sel:[1,1] op_sel_hi:[0,1]
	v_pk_fma_f32 v[40:41], v[34:35], v[38:39], v[36:37] neg_lo:[0,0,1] neg_hi:[0,0,1]
	v_pk_fma_f32 v[34:35], v[34:35], v[38:39], v[36:37] op_sel_hi:[1,0,1]
	s_nop 0
	v_mov_b32_e32 v41, v35
	scratch_store_dwordx2 off, v[40:41], off offset:8
.LBB14_19:
	s_or_b64 exec, exec, s[4:5]
	; wave barrier
	scratch_load_dwordx2 v[34:35], off, off offset:16
	v_cmp_gt_u32_e32 vcc, 2, v0
	s_waitcnt vmcnt(0)
	ds_write_b64 v1, v[34:35]
	s_waitcnt lgkmcnt(0)
	; wave barrier
	s_and_saveexec_b64 s[4:5], vcc
	s_cbranch_execz .LBB14_23
; %bb.20:
	scratch_load_dwordx2 v[34:35], v33, off
	ds_read_b64 v[36:37], v1
	s_waitcnt vmcnt(0) lgkmcnt(0)
	v_pk_mul_f32 v[38:39], v[36:37], v[34:35] op_sel:[1,1] op_sel_hi:[0,1]
	v_pk_fma_f32 v[40:41], v[36:37], v[34:35], v[38:39] neg_lo:[0,0,1] neg_hi:[0,0,1]
	v_pk_fma_f32 v[34:35], v[36:37], v[34:35], v[38:39] op_sel_hi:[1,0,1]
	s_nop 0
	v_mov_b32_e32 v41, v35
	v_pk_add_f32 v[34:35], v[40:41], 0 op_sel_hi:[1,0]
	s_and_saveexec_b64 s[8:9], s[0:1]
	s_cbranch_execz .LBB14_22
; %bb.21:
	scratch_load_dwordx2 v[36:37], off, off offset:8
	v_mov_b32_e32 v33, 0
	ds_read_b64 v[38:39], v33 offset:136
	s_waitcnt vmcnt(0) lgkmcnt(0)
	v_pk_mul_f32 v[40:41], v[38:39], v[36:37] op_sel:[1,1] op_sel_hi:[0,1]
	v_pk_fma_f32 v[42:43], v[38:39], v[36:37], v[40:41] neg_lo:[0,0,1] neg_hi:[0,0,1]
	v_pk_fma_f32 v[36:37], v[38:39], v[36:37], v[40:41] op_sel_hi:[1,0,1]
	s_nop 0
	v_mov_b32_e32 v43, v37
	v_pk_add_f32 v[34:35], v[34:35], v[42:43]
.LBB14_22:
	s_or_b64 exec, exec, s[8:9]
	v_mov_b32_e32 v33, 0
	ds_read_b64 v[36:37], v33 offset:16
	s_waitcnt lgkmcnt(0)
	v_pk_mul_f32 v[38:39], v[34:35], v[36:37] op_sel:[1,1] op_sel_hi:[0,1]
	v_pk_fma_f32 v[40:41], v[34:35], v[36:37], v[38:39] neg_lo:[0,0,1] neg_hi:[0,0,1]
	v_pk_fma_f32 v[34:35], v[34:35], v[36:37], v[38:39] op_sel_hi:[1,0,1]
	s_nop 0
	v_mov_b32_e32 v41, v35
	scratch_store_dwordx2 off, v[40:41], off offset:16
.LBB14_23:
	s_or_b64 exec, exec, s[4:5]
	; wave barrier
	scratch_load_dwordx2 v[34:35], off, off offset:24
	v_cmp_gt_u32_e32 vcc, 3, v0
	v_add_u32_e32 v36, -1, v0
	s_waitcnt vmcnt(0)
	ds_write_b64 v1, v[34:35]
	s_waitcnt lgkmcnt(0)
	; wave barrier
	s_and_saveexec_b64 s[0:1], vcc
	s_cbranch_execz .LBB14_27
; %bb.24:
	v_mov_b32_e32 v34, 0
	v_add_u32_e32 v33, -1, v0
	v_add_u32_e32 v37, 0x80, v32
	v_mov_b32_e32 v38, v32
	s_mov_b64 s[4:5], 0
	v_mov_b32_e32 v35, v34
.LBB14_25:                              ; =>This Inner Loop Header: Depth=1
	scratch_load_dwordx2 v[40:41], v38, off
	ds_read_b64 v[42:43], v37
	v_add_u32_e32 v33, 1, v33
	v_cmp_lt_u32_e32 vcc, 1, v33
	v_add_u32_e32 v37, 8, v37
	v_add_u32_e32 v38, 8, v38
	s_or_b64 s[4:5], vcc, s[4:5]
	s_waitcnt vmcnt(0) lgkmcnt(0)
	v_pk_mul_f32 v[44:45], v[42:43], v[40:41] op_sel:[1,1] op_sel_hi:[0,1]
	v_pk_fma_f32 v[46:47], v[42:43], v[40:41], v[44:45] neg_lo:[0,0,1] neg_hi:[0,0,1]
	v_pk_fma_f32 v[40:41], v[42:43], v[40:41], v[44:45] op_sel_hi:[1,0,1]
	s_nop 0
	v_mov_b32_e32 v47, v41
	v_pk_add_f32 v[34:35], v[34:35], v[46:47]
	s_andn2_b64 exec, exec, s[4:5]
	s_cbranch_execnz .LBB14_25
; %bb.26:
	s_or_b64 exec, exec, s[4:5]
	v_mov_b32_e32 v33, 0
	ds_read_b64 v[38:39], v33 offset:24
	s_waitcnt lgkmcnt(0)
	v_pk_mul_f32 v[40:41], v[34:35], v[38:39] op_sel:[1,1] op_sel_hi:[0,1]
	v_pk_fma_f32 v[42:43], v[34:35], v[38:39], v[40:41] neg_lo:[0,0,1] neg_hi:[0,0,1]
	v_pk_fma_f32 v[34:35], v[34:35], v[38:39], v[40:41] op_sel_hi:[1,0,1]
	s_nop 0
	v_mov_b32_e32 v43, v35
	scratch_store_dwordx2 off, v[42:43], off offset:24
.LBB14_27:
	s_or_b64 exec, exec, s[0:1]
	; wave barrier
	scratch_load_dwordx2 v[34:35], off, off offset:32
	v_cmp_gt_u32_e32 vcc, 4, v0
	s_waitcnt vmcnt(0)
	ds_write_b64 v1, v[34:35]
	s_waitcnt lgkmcnt(0)
	; wave barrier
	s_and_saveexec_b64 s[0:1], vcc
	s_cbranch_execz .LBB14_31
; %bb.28:
	v_mov_b32_e32 v34, 0
	v_add_u32_e32 v33, -1, v0
	v_add_u32_e32 v37, 0x80, v32
	v_mov_b32_e32 v38, v32
	s_mov_b64 s[4:5], 0
	v_mov_b32_e32 v35, v34
.LBB14_29:                              ; =>This Inner Loop Header: Depth=1
	scratch_load_dwordx2 v[40:41], v38, off
	ds_read_b64 v[42:43], v37
	v_add_u32_e32 v33, 1, v33
	v_cmp_lt_u32_e32 vcc, 2, v33
	v_add_u32_e32 v37, 8, v37
	v_add_u32_e32 v38, 8, v38
	s_or_b64 s[4:5], vcc, s[4:5]
	s_waitcnt vmcnt(0) lgkmcnt(0)
	v_pk_mul_f32 v[44:45], v[42:43], v[40:41] op_sel:[1,1] op_sel_hi:[0,1]
	v_pk_fma_f32 v[46:47], v[42:43], v[40:41], v[44:45] neg_lo:[0,0,1] neg_hi:[0,0,1]
	v_pk_fma_f32 v[40:41], v[42:43], v[40:41], v[44:45] op_sel_hi:[1,0,1]
	s_nop 0
	v_mov_b32_e32 v47, v41
	v_pk_add_f32 v[34:35], v[34:35], v[46:47]
	s_andn2_b64 exec, exec, s[4:5]
	s_cbranch_execnz .LBB14_29
; %bb.30:
	s_or_b64 exec, exec, s[4:5]
	v_mov_b32_e32 v33, 0
	ds_read_b64 v[38:39], v33 offset:32
	s_waitcnt lgkmcnt(0)
	v_pk_mul_f32 v[40:41], v[34:35], v[38:39] op_sel:[1,1] op_sel_hi:[0,1]
	v_pk_fma_f32 v[42:43], v[34:35], v[38:39], v[40:41] neg_lo:[0,0,1] neg_hi:[0,0,1]
	v_pk_fma_f32 v[34:35], v[34:35], v[38:39], v[40:41] op_sel_hi:[1,0,1]
	s_nop 0
	v_mov_b32_e32 v43, v35
	scratch_store_dwordx2 off, v[42:43], off offset:32
.LBB14_31:
	s_or_b64 exec, exec, s[0:1]
	; wave barrier
	scratch_load_dwordx2 v[34:35], off, off offset:40
	v_cmp_gt_u32_e32 vcc, 5, v0
	;; [unrolled: 46-line block ×10, first 2 shown]
	s_waitcnt vmcnt(0)
	ds_write_b64 v1, v[34:35]
	s_waitcnt lgkmcnt(0)
	; wave barrier
	s_and_saveexec_b64 s[0:1], vcc
	s_cbranch_execz .LBB14_67
; %bb.64:
	v_mov_b32_e32 v34, 0
	v_add_u32_e32 v33, -1, v0
	v_add_u32_e32 v37, 0x80, v32
	v_mov_b32_e32 v38, v32
	s_mov_b64 s[4:5], 0
	v_mov_b32_e32 v35, v34
.LBB14_65:                              ; =>This Inner Loop Header: Depth=1
	scratch_load_dwordx2 v[40:41], v38, off
	ds_read_b64 v[42:43], v37
	v_add_u32_e32 v33, 1, v33
	v_cmp_lt_u32_e32 vcc, 11, v33
	v_add_u32_e32 v37, 8, v37
	v_add_u32_e32 v38, 8, v38
	s_or_b64 s[4:5], vcc, s[4:5]
	s_waitcnt vmcnt(0) lgkmcnt(0)
	v_pk_mul_f32 v[44:45], v[42:43], v[40:41] op_sel:[1,1] op_sel_hi:[0,1]
	v_pk_fma_f32 v[46:47], v[42:43], v[40:41], v[44:45] neg_lo:[0,0,1] neg_hi:[0,0,1]
	v_pk_fma_f32 v[40:41], v[42:43], v[40:41], v[44:45] op_sel_hi:[1,0,1]
	s_nop 0
	v_mov_b32_e32 v47, v41
	v_pk_add_f32 v[34:35], v[34:35], v[46:47]
	s_andn2_b64 exec, exec, s[4:5]
	s_cbranch_execnz .LBB14_65
; %bb.66:
	s_or_b64 exec, exec, s[4:5]
	v_mov_b32_e32 v33, 0
	ds_read_b64 v[38:39], v33 offset:104
	s_waitcnt lgkmcnt(0)
	v_pk_mul_f32 v[40:41], v[34:35], v[38:39] op_sel:[1,1] op_sel_hi:[0,1]
	v_pk_fma_f32 v[42:43], v[34:35], v[38:39], v[40:41] neg_lo:[0,0,1] neg_hi:[0,0,1]
	v_pk_fma_f32 v[34:35], v[34:35], v[38:39], v[40:41] op_sel_hi:[1,0,1]
	s_nop 0
	v_mov_b32_e32 v43, v35
	scratch_store_dwordx2 off, v[42:43], off offset:104
.LBB14_67:
	s_or_b64 exec, exec, s[0:1]
	; wave barrier
	scratch_load_dwordx2 v[34:35], off, off offset:112
	v_cmp_ne_u32_e32 vcc, 14, v0
	s_waitcnt vmcnt(0)
	ds_write_b64 v1, v[34:35]
	s_waitcnt lgkmcnt(0)
	; wave barrier
	s_and_saveexec_b64 s[0:1], vcc
	s_cbranch_execz .LBB14_71
; %bb.68:
	v_add_u32_e32 v1, 0x80, v32
	v_mov_b32_e32 v34, v32
	v_mov_b32_e32 v32, 0
	s_mov_b64 s[4:5], 0
	v_mov_b32_e32 v33, v32
.LBB14_69:                              ; =>This Inner Loop Header: Depth=1
	scratch_load_dwordx2 v[38:39], v34, off
	ds_read_b64 v[40:41], v1
	v_add_u32_e32 v36, 1, v36
	v_cmp_lt_u32_e32 vcc, 12, v36
	v_add_u32_e32 v1, 8, v1
	v_add_u32_e32 v34, 8, v34
	s_or_b64 s[4:5], vcc, s[4:5]
	s_waitcnt vmcnt(0) lgkmcnt(0)
	v_pk_mul_f32 v[42:43], v[40:41], v[38:39] op_sel:[1,1] op_sel_hi:[0,1]
	v_pk_fma_f32 v[44:45], v[40:41], v[38:39], v[42:43] neg_lo:[0,0,1] neg_hi:[0,0,1]
	v_pk_fma_f32 v[38:39], v[40:41], v[38:39], v[42:43] op_sel_hi:[1,0,1]
	s_nop 0
	v_mov_b32_e32 v45, v39
	v_pk_add_f32 v[32:33], v[32:33], v[44:45]
	s_andn2_b64 exec, exec, s[4:5]
	s_cbranch_execnz .LBB14_69
; %bb.70:
	s_or_b64 exec, exec, s[4:5]
	v_mov_b32_e32 v1, 0
	ds_read_b64 v[34:35], v1 offset:112
	s_waitcnt lgkmcnt(0)
	v_pk_mul_f32 v[36:37], v[32:33], v[34:35] op_sel:[1,1] op_sel_hi:[0,1]
	v_pk_fma_f32 v[38:39], v[32:33], v[34:35], v[36:37] neg_lo:[0,0,1] neg_hi:[0,0,1]
	v_pk_fma_f32 v[32:33], v[32:33], v[34:35], v[36:37] op_sel_hi:[1,0,1]
	s_nop 0
	v_mov_b32_e32 v39, v33
	scratch_store_dwordx2 off, v[38:39], off offset:112
.LBB14_71:
	s_or_b64 exec, exec, s[0:1]
	s_mov_b64 s[4:5], -1
	; wave barrier
.LBB14_72:
	s_and_b64 vcc, exec, s[4:5]
	s_cbranch_vccz .LBB14_74
; %bb.73:
	s_lshl_b64 s[0:1], s[2:3], 2
	s_add_u32 s0, s6, s0
	s_addc_u32 s1, s7, s1
	v_mov_b32_e32 v1, 0
	global_load_dword v1, v1, s[0:1]
	s_waitcnt vmcnt(0)
	v_cmp_ne_u32_e32 vcc, 0, v1
	s_cbranch_vccz .LBB14_75
.LBB14_74:
	s_endpgm
.LBB14_75:
	v_mov_b32_e32 v1, 0x80
	v_lshl_add_u32 v1, v0, 3, v1
	v_cmp_eq_u32_e32 vcc, 14, v0
	s_and_saveexec_b64 s[0:1], vcc
	s_cbranch_execz .LBB14_77
; %bb.76:
	scratch_load_dwordx2 v[32:33], off, off offset:104
	v_mov_b32_e32 v34, 0
	v_mov_b32_e32 v35, v34
	scratch_store_dwordx2 off, v[34:35], off offset:104
	s_waitcnt vmcnt(1)
	ds_write_b64 v1, v[32:33]
.LBB14_77:
	s_or_b64 exec, exec, s[0:1]
	s_waitcnt lgkmcnt(0)
	; wave barrier
	scratch_load_dwordx2 v[34:35], off, off offset:112
	scratch_load_dwordx2 v[36:37], off, off offset:104
	v_mov_b32_e32 v32, 0
	ds_read_b64 v[38:39], v32 offset:240
	v_cmp_lt_u32_e32 vcc, 12, v0
	s_waitcnt vmcnt(1) lgkmcnt(0)
	v_pk_mul_f32 v[40:41], v[38:39], v[34:35] op_sel:[1,1] op_sel_hi:[0,1]
	v_pk_fma_f32 v[42:43], v[38:39], v[34:35], v[40:41] neg_lo:[0,0,1] neg_hi:[0,0,1]
	v_pk_fma_f32 v[34:35], v[38:39], v[34:35], v[40:41] op_sel_hi:[1,0,1]
	s_nop 0
	v_mov_b32_e32 v43, v35
	v_pk_add_f32 v[34:35], v[42:43], 0 op_sel_hi:[1,0]
	s_waitcnt vmcnt(0)
	v_pk_add_f32 v[34:35], v[36:37], v[34:35] neg_lo:[0,1] neg_hi:[0,1]
	scratch_store_dwordx2 off, v[34:35], off offset:104
	s_and_saveexec_b64 s[0:1], vcc
	s_cbranch_execz .LBB14_79
; %bb.78:
	scratch_load_dwordx2 v[34:35], off, off offset:96
	v_mov_b32_e32 v33, v32
	scratch_store_dwordx2 off, v[32:33], off offset:96
	s_waitcnt vmcnt(1)
	ds_write_b64 v1, v[34:35]
.LBB14_79:
	s_or_b64 exec, exec, s[0:1]
	s_waitcnt lgkmcnt(0)
	; wave barrier
	scratch_load_dwordx4 v[34:37], off, off offset:104
	scratch_load_dwordx2 v[42:43], off, off offset:96
	ds_read2_b64 v[38:41], v32 offset0:29 offset1:30
	v_cmp_lt_u32_e32 vcc, 11, v0
	s_waitcnt vmcnt(1) lgkmcnt(0)
	v_pk_mul_f32 v[32:33], v[38:39], v[34:35] op_sel:[1,1] op_sel_hi:[0,1]
	v_mov_b32_e32 v44, v37
	v_pk_fma_f32 v[46:47], v[38:39], v[34:35], v[32:33] neg_lo:[0,0,1] neg_hi:[0,0,1]
	v_pk_fma_f32 v[32:33], v[38:39], v[34:35], v[32:33] op_sel_hi:[1,0,1]
	v_pk_mul_f32 v[34:35], v[40:41], v[44:45] op_sel:[1,0] op_sel_hi:[0,0]
	v_mov_b32_e32 v47, v33
	v_pk_fma_f32 v[32:33], v[40:41], v[36:37], v[34:35] neg_lo:[0,0,1] neg_hi:[0,0,1]
	v_pk_fma_f32 v[34:35], v[40:41], v[36:37], v[34:35] op_sel_hi:[1,0,1]
	v_pk_add_f32 v[36:37], v[46:47], 0 op_sel_hi:[1,0]
	v_mov_b32_e32 v33, v35
	v_pk_add_f32 v[32:33], v[36:37], v[32:33]
	s_waitcnt vmcnt(0)
	v_pk_add_f32 v[32:33], v[42:43], v[32:33] neg_lo:[0,1] neg_hi:[0,1]
	scratch_store_dwordx2 off, v[32:33], off offset:96
	s_and_saveexec_b64 s[0:1], vcc
	s_cbranch_execz .LBB14_81
; %bb.80:
	scratch_load_dwordx2 v[32:33], off, off offset:88
	v_mov_b32_e32 v34, 0
	v_mov_b32_e32 v35, v34
	scratch_store_dwordx2 off, v[34:35], off offset:88
	s_waitcnt vmcnt(1)
	ds_write_b64 v1, v[32:33]
.LBB14_81:
	s_or_b64 exec, exec, s[0:1]
	s_waitcnt lgkmcnt(0)
	; wave barrier
	scratch_load_dwordx4 v[34:37], off, off offset:96
	scratch_load_dwordx2 v[42:43], off, off offset:112
	scratch_load_dwordx2 v[44:45], off, off offset:88
	v_mov_b32_e32 v32, 0
	ds_read_b128 v[38:41], v32 offset:224
	ds_read_b64 v[46:47], v32 offset:240
	v_cmp_lt_u32_e32 vcc, 10, v0
	s_waitcnt vmcnt(2) lgkmcnt(1)
	v_pk_mul_f32 v[48:49], v[38:39], v[34:35] op_sel:[1,1] op_sel_hi:[0,1]
	v_mov_b32_e32 v50, v37
	v_pk_fma_f32 v[54:55], v[38:39], v[34:35], v[48:49] neg_lo:[0,0,1] neg_hi:[0,0,1]
	v_pk_fma_f32 v[34:35], v[38:39], v[34:35], v[48:49] op_sel_hi:[1,0,1]
	v_pk_mul_f32 v[38:39], v[40:41], v[50:51] op_sel:[1,0] op_sel_hi:[0,0]
	s_waitcnt vmcnt(1) lgkmcnt(0)
	v_pk_mul_f32 v[52:53], v[46:47], v[42:43] op_sel:[1,1] op_sel_hi:[0,1]
	v_mov_b32_e32 v55, v35
	v_pk_fma_f32 v[34:35], v[40:41], v[36:37], v[38:39] neg_lo:[0,0,1] neg_hi:[0,0,1]
	v_pk_fma_f32 v[36:37], v[40:41], v[36:37], v[38:39] op_sel_hi:[1,0,1]
	v_pk_fma_f32 v[48:49], v[46:47], v[42:43], v[52:53] neg_lo:[0,0,1] neg_hi:[0,0,1]
	v_pk_fma_f32 v[42:43], v[46:47], v[42:43], v[52:53] op_sel_hi:[1,0,1]
	v_pk_add_f32 v[38:39], v[54:55], 0 op_sel_hi:[1,0]
	v_mov_b32_e32 v35, v37
	v_mov_b32_e32 v49, v43
	v_pk_add_f32 v[34:35], v[38:39], v[34:35]
	s_nop 0
	v_pk_add_f32 v[34:35], v[34:35], v[48:49]
	s_waitcnt vmcnt(0)
	v_pk_add_f32 v[34:35], v[44:45], v[34:35] neg_lo:[0,1] neg_hi:[0,1]
	scratch_store_dwordx2 off, v[34:35], off offset:88
	s_and_saveexec_b64 s[0:1], vcc
	s_cbranch_execz .LBB14_83
; %bb.82:
	scratch_load_dwordx2 v[34:35], off, off offset:80
	v_mov_b32_e32 v33, v32
	scratch_store_dwordx2 off, v[32:33], off offset:80
	s_waitcnt vmcnt(1)
	ds_write_b64 v1, v[34:35]
.LBB14_83:
	s_or_b64 exec, exec, s[0:1]
	s_waitcnt lgkmcnt(0)
	; wave barrier
	scratch_load_dwordx4 v[34:37], off, off offset:88
	scratch_load_dwordx4 v[38:41], off, off offset:104
	scratch_load_dwordx2 v[50:51], off, off offset:80
	ds_read2_b64 v[42:45], v32 offset0:27 offset1:28
	ds_read2_b64 v[46:49], v32 offset0:29 offset1:30
	v_cmp_lt_u32_e32 vcc, 9, v0
	s_waitcnt vmcnt(2) lgkmcnt(1)
	v_pk_mul_f32 v[32:33], v[42:43], v[34:35] op_sel:[1,1] op_sel_hi:[0,1]
	v_mov_b32_e32 v52, v37
	s_waitcnt vmcnt(1) lgkmcnt(0)
	v_pk_mul_f32 v[54:55], v[46:47], v[38:39] op_sel:[1,1] op_sel_hi:[0,1]
	v_mov_b32_e32 v56, v41
	v_pk_fma_f32 v[58:59], v[42:43], v[34:35], v[32:33] neg_lo:[0,0,1] neg_hi:[0,0,1]
	v_pk_fma_f32 v[32:33], v[42:43], v[34:35], v[32:33] op_sel_hi:[1,0,1]
	v_pk_mul_f32 v[34:35], v[44:45], v[52:53] op_sel:[1,0] op_sel_hi:[0,0]
	v_pk_fma_f32 v[42:43], v[46:47], v[38:39], v[54:55] neg_lo:[0,0,1] neg_hi:[0,0,1]
	v_pk_fma_f32 v[38:39], v[46:47], v[38:39], v[54:55] op_sel_hi:[1,0,1]
	v_pk_mul_f32 v[46:47], v[48:49], v[56:57] op_sel:[1,0] op_sel_hi:[0,0]
	v_mov_b32_e32 v59, v33
	v_pk_fma_f32 v[32:33], v[44:45], v[36:37], v[34:35] neg_lo:[0,0,1] neg_hi:[0,0,1]
	v_pk_fma_f32 v[34:35], v[44:45], v[36:37], v[34:35] op_sel_hi:[1,0,1]
	v_mov_b32_e32 v43, v39
	v_pk_fma_f32 v[36:37], v[48:49], v[40:41], v[46:47] neg_lo:[0,0,1] neg_hi:[0,0,1]
	v_pk_fma_f32 v[38:39], v[48:49], v[40:41], v[46:47] op_sel_hi:[1,0,1]
	v_pk_add_f32 v[40:41], v[58:59], 0 op_sel_hi:[1,0]
	v_mov_b32_e32 v33, v35
	v_pk_add_f32 v[32:33], v[40:41], v[32:33]
	v_mov_b32_e32 v37, v39
	v_pk_add_f32 v[32:33], v[32:33], v[42:43]
	s_nop 0
	v_pk_add_f32 v[32:33], v[32:33], v[36:37]
	s_waitcnt vmcnt(0)
	v_pk_add_f32 v[32:33], v[50:51], v[32:33] neg_lo:[0,1] neg_hi:[0,1]
	scratch_store_dwordx2 off, v[32:33], off offset:80
	s_and_saveexec_b64 s[0:1], vcc
	s_cbranch_execz .LBB14_85
; %bb.84:
	scratch_load_dwordx2 v[32:33], off, off offset:72
	v_mov_b32_e32 v34, 0
	v_mov_b32_e32 v35, v34
	scratch_store_dwordx2 off, v[34:35], off offset:72
	s_waitcnt vmcnt(1)
	ds_write_b64 v1, v[32:33]
.LBB14_85:
	s_or_b64 exec, exec, s[0:1]
	s_waitcnt lgkmcnt(0)
	; wave barrier
	scratch_load_dwordx4 v[34:37], off, off offset:80
	scratch_load_dwordx4 v[38:41], off, off offset:96
	scratch_load_dwordx2 v[50:51], off, off offset:112
	scratch_load_dwordx2 v[52:53], off, off offset:72
	v_mov_b32_e32 v32, 0
	ds_read_b128 v[42:45], v32 offset:208
	ds_read_b128 v[46:49], v32 offset:224
	ds_read_b64 v[54:55], v32 offset:240
	v_cmp_lt_u32_e32 vcc, 8, v0
	s_waitcnt vmcnt(3) lgkmcnt(2)
	v_pk_mul_f32 v[56:57], v[42:43], v[34:35] op_sel:[1,1] op_sel_hi:[0,1]
	v_mov_b32_e32 v58, v37
	v_pk_fma_f32 v[66:67], v[42:43], v[34:35], v[56:57] neg_lo:[0,0,1] neg_hi:[0,0,1]
	v_pk_fma_f32 v[34:35], v[42:43], v[34:35], v[56:57] op_sel_hi:[1,0,1]
	v_pk_mul_f32 v[42:43], v[44:45], v[58:59] op_sel:[1,0] op_sel_hi:[0,0]
	s_waitcnt vmcnt(2) lgkmcnt(1)
	v_pk_mul_f32 v[60:61], v[46:47], v[38:39] op_sel:[1,1] op_sel_hi:[0,1]
	v_mov_b32_e32 v62, v41
	v_mov_b32_e32 v67, v35
	v_pk_fma_f32 v[34:35], v[44:45], v[36:37], v[42:43] neg_lo:[0,0,1] neg_hi:[0,0,1]
	v_pk_fma_f32 v[36:37], v[44:45], v[36:37], v[42:43] op_sel_hi:[1,0,1]
	v_pk_fma_f32 v[56:57], v[46:47], v[38:39], v[60:61] neg_lo:[0,0,1] neg_hi:[0,0,1]
	v_pk_fma_f32 v[38:39], v[46:47], v[38:39], v[60:61] op_sel_hi:[1,0,1]
	v_pk_mul_f32 v[46:47], v[48:49], v[62:63] op_sel:[1,0] op_sel_hi:[0,0]
	v_pk_add_f32 v[42:43], v[66:67], 0 op_sel_hi:[1,0]
	v_mov_b32_e32 v35, v37
	s_waitcnt vmcnt(1) lgkmcnt(0)
	v_pk_mul_f32 v[64:65], v[54:55], v[50:51] op_sel:[1,1] op_sel_hi:[0,1]
	v_mov_b32_e32 v57, v39
	v_pk_fma_f32 v[38:39], v[48:49], v[40:41], v[46:47] neg_lo:[0,0,1] neg_hi:[0,0,1]
	v_pk_fma_f32 v[40:41], v[48:49], v[40:41], v[46:47] op_sel_hi:[1,0,1]
	v_pk_add_f32 v[34:35], v[42:43], v[34:35]
	v_pk_fma_f32 v[58:59], v[54:55], v[50:51], v[64:65] neg_lo:[0,0,1] neg_hi:[0,0,1]
	v_pk_fma_f32 v[50:51], v[54:55], v[50:51], v[64:65] op_sel_hi:[1,0,1]
	v_mov_b32_e32 v39, v41
	v_pk_add_f32 v[34:35], v[34:35], v[56:57]
	v_mov_b32_e32 v59, v51
	v_pk_add_f32 v[34:35], v[34:35], v[38:39]
	s_nop 0
	v_pk_add_f32 v[34:35], v[34:35], v[58:59]
	s_waitcnt vmcnt(0)
	v_pk_add_f32 v[34:35], v[52:53], v[34:35] neg_lo:[0,1] neg_hi:[0,1]
	scratch_store_dwordx2 off, v[34:35], off offset:72
	s_and_saveexec_b64 s[0:1], vcc
	s_cbranch_execz .LBB14_87
; %bb.86:
	scratch_load_dwordx2 v[34:35], off, off offset:64
	v_mov_b32_e32 v33, v32
	scratch_store_dwordx2 off, v[32:33], off offset:64
	s_waitcnt vmcnt(1)
	ds_write_b64 v1, v[34:35]
.LBB14_87:
	s_or_b64 exec, exec, s[0:1]
	s_waitcnt lgkmcnt(0)
	; wave barrier
	scratch_load_dwordx4 v[34:37], off, off offset:72
	scratch_load_dwordx4 v[38:41], off, off offset:88
	;; [unrolled: 1-line block ×3, first 2 shown]
	scratch_load_dwordx2 v[58:59], off, off offset:64
	ds_read2_b64 v[46:49], v32 offset0:25 offset1:26
	ds_read2_b64 v[50:53], v32 offset0:27 offset1:28
	;; [unrolled: 1-line block ×3, first 2 shown]
	v_cmp_lt_u32_e32 vcc, 7, v0
	s_waitcnt vmcnt(3) lgkmcnt(2)
	v_pk_mul_f32 v[32:33], v[46:47], v[34:35] op_sel:[1,1] op_sel_hi:[0,1]
	v_mov_b32_e32 v60, v37
	s_waitcnt vmcnt(2) lgkmcnt(1)
	v_pk_mul_f32 v[62:63], v[50:51], v[38:39] op_sel:[1,1] op_sel_hi:[0,1]
	v_mov_b32_e32 v64, v41
	;; [unrolled: 3-line block ×3, first 2 shown]
	v_pk_fma_f32 v[70:71], v[46:47], v[34:35], v[32:33] neg_lo:[0,0,1] neg_hi:[0,0,1]
	v_pk_fma_f32 v[32:33], v[46:47], v[34:35], v[32:33] op_sel_hi:[1,0,1]
	v_pk_mul_f32 v[34:35], v[48:49], v[60:61] op_sel:[1,0] op_sel_hi:[0,0]
	v_pk_fma_f32 v[46:47], v[50:51], v[38:39], v[62:63] neg_lo:[0,0,1] neg_hi:[0,0,1]
	v_pk_fma_f32 v[38:39], v[50:51], v[38:39], v[62:63] op_sel_hi:[1,0,1]
	v_pk_mul_f32 v[50:51], v[52:53], v[64:65] op_sel:[1,0] op_sel_hi:[0,0]
	;; [unrolled: 3-line block ×3, first 2 shown]
	v_mov_b32_e32 v71, v33
	v_pk_fma_f32 v[32:33], v[48:49], v[36:37], v[34:35] neg_lo:[0,0,1] neg_hi:[0,0,1]
	v_pk_fma_f32 v[34:35], v[48:49], v[36:37], v[34:35] op_sel_hi:[1,0,1]
	v_mov_b32_e32 v47, v39
	v_pk_fma_f32 v[36:37], v[52:53], v[40:41], v[50:51] neg_lo:[0,0,1] neg_hi:[0,0,1]
	v_pk_fma_f32 v[38:39], v[52:53], v[40:41], v[50:51] op_sel_hi:[1,0,1]
	;; [unrolled: 3-line block ×3, first 2 shown]
	v_pk_add_f32 v[44:45], v[70:71], 0 op_sel_hi:[1,0]
	v_mov_b32_e32 v33, v35
	v_pk_add_f32 v[32:33], v[44:45], v[32:33]
	v_mov_b32_e32 v37, v39
	v_pk_add_f32 v[32:33], v[32:33], v[46:47]
	;; [unrolled: 2-line block ×3, first 2 shown]
	s_nop 0
	v_pk_add_f32 v[32:33], v[32:33], v[60:61]
	s_nop 0
	v_pk_add_f32 v[32:33], v[32:33], v[40:41]
	s_waitcnt vmcnt(0)
	v_pk_add_f32 v[32:33], v[58:59], v[32:33] neg_lo:[0,1] neg_hi:[0,1]
	scratch_store_dwordx2 off, v[32:33], off offset:64
	s_and_saveexec_b64 s[0:1], vcc
	s_cbranch_execz .LBB14_89
; %bb.88:
	scratch_load_dwordx2 v[32:33], off, off offset:56
	v_mov_b32_e32 v34, 0
	v_mov_b32_e32 v35, v34
	scratch_store_dwordx2 off, v[34:35], off offset:56
	s_waitcnt vmcnt(1)
	ds_write_b64 v1, v[32:33]
.LBB14_89:
	s_or_b64 exec, exec, s[0:1]
	s_waitcnt lgkmcnt(0)
	; wave barrier
	scratch_load_dwordx4 v[34:37], off, off offset:64
	scratch_load_dwordx4 v[38:41], off, off offset:80
	;; [unrolled: 1-line block ×3, first 2 shown]
	scratch_load_dwordx2 v[58:59], off, off offset:112
	scratch_load_dwordx2 v[60:61], off, off offset:56
	v_mov_b32_e32 v32, 0
	ds_read_b128 v[46:49], v32 offset:192
	ds_read_b128 v[50:53], v32 offset:208
	;; [unrolled: 1-line block ×3, first 2 shown]
	ds_read_b64 v[62:63], v32 offset:240
	v_cmp_lt_u32_e32 vcc, 6, v0
	s_waitcnt vmcnt(4) lgkmcnt(3)
	v_pk_mul_f32 v[64:65], v[46:47], v[34:35] op_sel:[1,1] op_sel_hi:[0,1]
	v_mov_b32_e32 v66, v37
	v_pk_fma_f32 v[78:79], v[46:47], v[34:35], v[64:65] neg_lo:[0,0,1] neg_hi:[0,0,1]
	v_pk_fma_f32 v[34:35], v[46:47], v[34:35], v[64:65] op_sel_hi:[1,0,1]
	v_pk_mul_f32 v[46:47], v[48:49], v[66:67] op_sel:[1,0] op_sel_hi:[0,0]
	s_waitcnt vmcnt(3) lgkmcnt(2)
	v_pk_mul_f32 v[68:69], v[50:51], v[38:39] op_sel:[1,1] op_sel_hi:[0,1]
	v_mov_b32_e32 v70, v41
	v_mov_b32_e32 v79, v35
	v_pk_fma_f32 v[34:35], v[48:49], v[36:37], v[46:47] neg_lo:[0,0,1] neg_hi:[0,0,1]
	v_pk_fma_f32 v[36:37], v[48:49], v[36:37], v[46:47] op_sel_hi:[1,0,1]
	v_pk_fma_f32 v[64:65], v[50:51], v[38:39], v[68:69] neg_lo:[0,0,1] neg_hi:[0,0,1]
	v_pk_fma_f32 v[38:39], v[50:51], v[38:39], v[68:69] op_sel_hi:[1,0,1]
	v_pk_mul_f32 v[50:51], v[52:53], v[70:71] op_sel:[1,0] op_sel_hi:[0,0]
	v_pk_add_f32 v[46:47], v[78:79], 0 op_sel_hi:[1,0]
	v_mov_b32_e32 v35, v37
	s_waitcnt vmcnt(2) lgkmcnt(1)
	v_pk_mul_f32 v[72:73], v[54:55], v[42:43] op_sel:[1,1] op_sel_hi:[0,1]
	v_mov_b32_e32 v74, v45
	v_mov_b32_e32 v65, v39
	v_pk_fma_f32 v[38:39], v[52:53], v[40:41], v[50:51] neg_lo:[0,0,1] neg_hi:[0,0,1]
	v_pk_fma_f32 v[40:41], v[52:53], v[40:41], v[50:51] op_sel_hi:[1,0,1]
	v_pk_add_f32 v[34:35], v[46:47], v[34:35]
	v_pk_fma_f32 v[66:67], v[54:55], v[42:43], v[72:73] neg_lo:[0,0,1] neg_hi:[0,0,1]
	v_pk_fma_f32 v[42:43], v[54:55], v[42:43], v[72:73] op_sel_hi:[1,0,1]
	v_pk_mul_f32 v[54:55], v[56:57], v[74:75] op_sel:[1,0] op_sel_hi:[0,0]
	v_mov_b32_e32 v39, v41
	v_pk_add_f32 v[34:35], v[34:35], v[64:65]
	s_waitcnt vmcnt(1) lgkmcnt(0)
	v_pk_mul_f32 v[76:77], v[62:63], v[58:59] op_sel:[1,1] op_sel_hi:[0,1]
	v_mov_b32_e32 v67, v43
	v_pk_fma_f32 v[42:43], v[56:57], v[44:45], v[54:55] neg_lo:[0,0,1] neg_hi:[0,0,1]
	v_pk_fma_f32 v[44:45], v[56:57], v[44:45], v[54:55] op_sel_hi:[1,0,1]
	v_pk_add_f32 v[34:35], v[34:35], v[38:39]
	v_pk_fma_f32 v[68:69], v[62:63], v[58:59], v[76:77] neg_lo:[0,0,1] neg_hi:[0,0,1]
	v_pk_fma_f32 v[58:59], v[62:63], v[58:59], v[76:77] op_sel_hi:[1,0,1]
	v_mov_b32_e32 v43, v45
	v_pk_add_f32 v[34:35], v[34:35], v[66:67]
	v_mov_b32_e32 v69, v59
	v_pk_add_f32 v[34:35], v[34:35], v[42:43]
	s_nop 0
	v_pk_add_f32 v[34:35], v[34:35], v[68:69]
	s_waitcnt vmcnt(0)
	v_pk_add_f32 v[34:35], v[60:61], v[34:35] neg_lo:[0,1] neg_hi:[0,1]
	scratch_store_dwordx2 off, v[34:35], off offset:56
	s_and_saveexec_b64 s[0:1], vcc
	s_cbranch_execz .LBB14_91
; %bb.90:
	scratch_load_dwordx2 v[34:35], off, off offset:48
	v_mov_b32_e32 v33, v32
	scratch_store_dwordx2 off, v[32:33], off offset:48
	s_waitcnt vmcnt(1)
	ds_write_b64 v1, v[34:35]
.LBB14_91:
	s_or_b64 exec, exec, s[0:1]
	s_waitcnt lgkmcnt(0)
	; wave barrier
	scratch_load_dwordx4 v[34:37], off, off offset:56
	scratch_load_dwordx4 v[38:41], off, off offset:72
	;; [unrolled: 1-line block ×4, first 2 shown]
	scratch_load_dwordx2 v[66:67], off, off offset:48
	ds_read2_b64 v[50:53], v32 offset0:23 offset1:24
	ds_read2_b64 v[54:57], v32 offset0:25 offset1:26
	;; [unrolled: 1-line block ×4, first 2 shown]
	v_cmp_lt_u32_e32 vcc, 5, v0
	s_waitcnt vmcnt(4) lgkmcnt(3)
	v_pk_mul_f32 v[32:33], v[50:51], v[34:35] op_sel:[1,1] op_sel_hi:[0,1]
	v_mov_b32_e32 v68, v37
	s_waitcnt vmcnt(3) lgkmcnt(2)
	v_pk_mul_f32 v[70:71], v[54:55], v[38:39] op_sel:[1,1] op_sel_hi:[0,1]
	v_mov_b32_e32 v72, v41
	;; [unrolled: 3-line block ×4, first 2 shown]
	v_pk_fma_f32 v[82:83], v[50:51], v[34:35], v[32:33] neg_lo:[0,0,1] neg_hi:[0,0,1]
	v_pk_fma_f32 v[32:33], v[50:51], v[34:35], v[32:33] op_sel_hi:[1,0,1]
	v_pk_mul_f32 v[34:35], v[52:53], v[68:69] op_sel:[1,0] op_sel_hi:[0,0]
	v_pk_fma_f32 v[50:51], v[54:55], v[38:39], v[70:71] neg_lo:[0,0,1] neg_hi:[0,0,1]
	v_pk_fma_f32 v[38:39], v[54:55], v[38:39], v[70:71] op_sel_hi:[1,0,1]
	v_pk_mul_f32 v[54:55], v[56:57], v[72:73] op_sel:[1,0] op_sel_hi:[0,0]
	;; [unrolled: 3-line block ×4, first 2 shown]
	v_mov_b32_e32 v83, v33
	v_pk_fma_f32 v[32:33], v[52:53], v[36:37], v[34:35] neg_lo:[0,0,1] neg_hi:[0,0,1]
	v_pk_fma_f32 v[34:35], v[52:53], v[36:37], v[34:35] op_sel_hi:[1,0,1]
	v_mov_b32_e32 v51, v39
	v_pk_fma_f32 v[36:37], v[56:57], v[40:41], v[54:55] neg_lo:[0,0,1] neg_hi:[0,0,1]
	v_pk_fma_f32 v[38:39], v[56:57], v[40:41], v[54:55] op_sel_hi:[1,0,1]
	;; [unrolled: 3-line block ×4, first 2 shown]
	v_pk_add_f32 v[48:49], v[82:83], 0 op_sel_hi:[1,0]
	v_mov_b32_e32 v33, v35
	v_pk_add_f32 v[32:33], v[48:49], v[32:33]
	v_mov_b32_e32 v37, v39
	v_pk_add_f32 v[32:33], v[32:33], v[50:51]
	;; [unrolled: 2-line block ×4, first 2 shown]
	s_nop 0
	v_pk_add_f32 v[32:33], v[32:33], v[40:41]
	s_nop 0
	v_pk_add_f32 v[32:33], v[32:33], v[70:71]
	;; [unrolled: 2-line block ×3, first 2 shown]
	s_waitcnt vmcnt(0)
	v_pk_add_f32 v[32:33], v[66:67], v[32:33] neg_lo:[0,1] neg_hi:[0,1]
	scratch_store_dwordx2 off, v[32:33], off offset:48
	s_and_saveexec_b64 s[0:1], vcc
	s_cbranch_execz .LBB14_93
; %bb.92:
	scratch_load_dwordx2 v[32:33], off, off offset:40
	v_mov_b32_e32 v34, 0
	v_mov_b32_e32 v35, v34
	scratch_store_dwordx2 off, v[34:35], off offset:40
	s_waitcnt vmcnt(1)
	ds_write_b64 v1, v[32:33]
.LBB14_93:
	s_or_b64 exec, exec, s[0:1]
	s_waitcnt lgkmcnt(0)
	; wave barrier
	scratch_load_dwordx4 v[34:37], off, off offset:48
	scratch_load_dwordx4 v[38:41], off, off offset:64
	;; [unrolled: 1-line block ×4, first 2 shown]
	scratch_load_dwordx2 v[66:67], off, off offset:112
	scratch_load_dwordx2 v[68:69], off, off offset:40
	v_mov_b32_e32 v32, 0
	ds_read_b128 v[50:53], v32 offset:176
	ds_read_b128 v[54:57], v32 offset:192
	;; [unrolled: 1-line block ×4, first 2 shown]
	ds_read_b64 v[70:71], v32 offset:240
	v_cmp_lt_u32_e32 vcc, 4, v0
	s_waitcnt vmcnt(5) lgkmcnt(4)
	v_mul_f32_e32 v73, v50, v35
	v_mul_f32_e32 v33, v51, v35
	v_mov_b32_e32 v74, v37
	s_waitcnt vmcnt(4) lgkmcnt(3)
	v_pk_mul_f32 v[76:77], v[54:55], v[38:39] op_sel:[1,1] op_sel_hi:[0,1]
	v_mov_b32_e32 v78, v41
	s_waitcnt vmcnt(1) lgkmcnt(0)
	v_pk_mul_f32 v[88:89], v[70:71], v[66:67] op_sel:[1,1] op_sel_hi:[0,1]
	v_fmac_f32_e32 v73, v51, v34
	v_fma_f32 v72, v50, v34, -v33
	v_pk_mul_f32 v[34:35], v[52:53], v[74:75] op_sel:[1,0] op_sel_hi:[0,0]
	v_pk_fma_f32 v[50:51], v[54:55], v[38:39], v[76:77] neg_lo:[0,0,1] neg_hi:[0,0,1]
	v_pk_fma_f32 v[38:39], v[54:55], v[38:39], v[76:77] op_sel_hi:[1,0,1]
	v_pk_mul_f32 v[54:55], v[56:57], v[78:79] op_sel:[1,0] op_sel_hi:[0,0]
	v_pk_fma_f32 v[78:79], v[70:71], v[66:67], v[88:89] neg_lo:[0,0,1] neg_hi:[0,0,1]
	v_pk_fma_f32 v[66:67], v[70:71], v[66:67], v[88:89] op_sel_hi:[1,0,1]
	v_pk_add_f32 v[70:71], v[72:73], 0 op_sel_hi:[1,0]
	v_pk_fma_f32 v[72:73], v[52:53], v[36:37], v[34:35] neg_lo:[0,0,1] neg_hi:[0,0,1]
	v_pk_fma_f32 v[34:35], v[52:53], v[36:37], v[34:35] op_sel_hi:[1,0,1]
	v_pk_mul_f32 v[80:81], v[58:59], v[42:43] op_sel:[1,1] op_sel_hi:[0,1]
	v_mov_b32_e32 v73, v35
	v_mov_b32_e32 v82, v45
	v_mov_b32_e32 v51, v39
	v_pk_fma_f32 v[36:37], v[56:57], v[40:41], v[54:55] neg_lo:[0,0,1] neg_hi:[0,0,1]
	v_pk_fma_f32 v[38:39], v[56:57], v[40:41], v[54:55] op_sel_hi:[1,0,1]
	v_pk_add_f32 v[34:35], v[70:71], v[72:73]
	v_pk_fma_f32 v[74:75], v[58:59], v[42:43], v[80:81] neg_lo:[0,0,1] neg_hi:[0,0,1]
	v_pk_fma_f32 v[42:43], v[58:59], v[42:43], v[80:81] op_sel_hi:[1,0,1]
	v_pk_mul_f32 v[58:59], v[60:61], v[82:83] op_sel:[1,0] op_sel_hi:[0,0]
	v_mov_b32_e32 v37, v39
	v_pk_add_f32 v[34:35], v[34:35], v[50:51]
	v_pk_mul_f32 v[84:85], v[62:63], v[46:47] op_sel:[1,1] op_sel_hi:[0,1]
	v_mov_b32_e32 v86, v49
	v_mov_b32_e32 v75, v43
	v_pk_fma_f32 v[40:41], v[60:61], v[44:45], v[58:59] neg_lo:[0,0,1] neg_hi:[0,0,1]
	v_pk_fma_f32 v[42:43], v[60:61], v[44:45], v[58:59] op_sel_hi:[1,0,1]
	v_pk_add_f32 v[34:35], v[34:35], v[36:37]
	v_pk_fma_f32 v[76:77], v[62:63], v[46:47], v[84:85] neg_lo:[0,0,1] neg_hi:[0,0,1]
	v_pk_fma_f32 v[46:47], v[62:63], v[46:47], v[84:85] op_sel_hi:[1,0,1]
	v_pk_mul_f32 v[62:63], v[64:65], v[86:87] op_sel:[1,0] op_sel_hi:[0,0]
	v_mov_b32_e32 v41, v43
	v_pk_add_f32 v[34:35], v[34:35], v[74:75]
	v_mov_b32_e32 v77, v47
	v_pk_fma_f32 v[44:45], v[64:65], v[48:49], v[62:63] neg_lo:[0,0,1] neg_hi:[0,0,1]
	v_pk_fma_f32 v[46:47], v[64:65], v[48:49], v[62:63] op_sel_hi:[1,0,1]
	v_pk_add_f32 v[34:35], v[34:35], v[40:41]
	v_mov_b32_e32 v45, v47
	v_pk_add_f32 v[34:35], v[34:35], v[76:77]
	v_mov_b32_e32 v79, v67
	v_pk_add_f32 v[34:35], v[34:35], v[44:45]
	s_nop 0
	v_pk_add_f32 v[34:35], v[34:35], v[78:79]
	s_waitcnt vmcnt(0)
	v_pk_add_f32 v[34:35], v[68:69], v[34:35] neg_lo:[0,1] neg_hi:[0,1]
	scratch_store_dwordx2 off, v[34:35], off offset:40
	s_and_saveexec_b64 s[0:1], vcc
	s_cbranch_execz .LBB14_95
; %bb.94:
	scratch_load_dwordx2 v[34:35], off, off offset:32
	v_mov_b32_e32 v33, v32
	scratch_store_dwordx2 off, v[32:33], off offset:32
	s_waitcnt vmcnt(1)
	ds_write_b64 v1, v[34:35]
.LBB14_95:
	s_or_b64 exec, exec, s[0:1]
	s_waitcnt lgkmcnt(0)
	; wave barrier
	scratch_load_dwordx4 v[34:37], off, off offset:40
	scratch_load_dwordx4 v[38:41], off, off offset:56
	;; [unrolled: 1-line block ×5, first 2 shown]
	scratch_load_dwordx2 v[74:75], off, off offset:32
	ds_read2_b64 v[54:57], v32 offset0:21 offset1:22
	ds_read2_b64 v[58:61], v32 offset0:23 offset1:24
	;; [unrolled: 1-line block ×5, first 2 shown]
	v_cmp_lt_u32_e32 vcc, 3, v0
	s_waitcnt vmcnt(5) lgkmcnt(4)
	v_mul_f32_e32 v33, v54, v35
	v_mul_f32_e32 v32, v55, v35
	;; [unrolled: 1-line block ×4, first 2 shown]
	s_waitcnt vmcnt(4) lgkmcnt(3)
	v_pk_mul_f32 v[78:79], v[58:59], v[38:39] op_sel:[1,1] op_sel_hi:[0,1]
	v_mov_b32_e32 v80, v41
	v_fmac_f32_e32 v33, v55, v34
	v_fma_f32 v32, v54, v34, -v32
	v_fmac_f32_e32 v77, v57, v36
	v_fma_f32 v76, v56, v36, -v35
	v_pk_fma_f32 v[34:35], v[58:59], v[38:39], v[78:79] neg_lo:[0,0,1] neg_hi:[0,0,1]
	v_pk_fma_f32 v[36:37], v[58:59], v[38:39], v[78:79] op_sel_hi:[1,0,1]
	v_pk_mul_f32 v[38:39], v[60:61], v[80:81] op_sel:[1,0] op_sel_hi:[0,0]
	v_pk_add_f32 v[32:33], v[32:33], 0 op_sel_hi:[1,0]
	s_waitcnt vmcnt(3) lgkmcnt(2)
	v_pk_mul_f32 v[82:83], v[62:63], v[42:43] op_sel:[1,1] op_sel_hi:[0,1]
	v_mov_b32_e32 v84, v45
	v_mov_b32_e32 v35, v37
	v_pk_fma_f32 v[36:37], v[60:61], v[40:41], v[38:39] neg_lo:[0,0,1] neg_hi:[0,0,1]
	v_pk_fma_f32 v[38:39], v[60:61], v[40:41], v[38:39] op_sel_hi:[1,0,1]
	v_pk_add_f32 v[32:33], v[32:33], v[76:77]
	v_pk_fma_f32 v[54:55], v[62:63], v[42:43], v[82:83] neg_lo:[0,0,1] neg_hi:[0,0,1]
	v_pk_fma_f32 v[42:43], v[62:63], v[42:43], v[82:83] op_sel_hi:[1,0,1]
	v_pk_mul_f32 v[56:57], v[64:65], v[84:85] op_sel:[1,0] op_sel_hi:[0,0]
	v_mov_b32_e32 v37, v39
	v_pk_add_f32 v[32:33], v[32:33], v[34:35]
	s_waitcnt vmcnt(2) lgkmcnt(1)
	v_pk_mul_f32 v[86:87], v[66:67], v[46:47] op_sel:[1,1] op_sel_hi:[0,1]
	v_mov_b32_e32 v88, v49
	v_mov_b32_e32 v55, v43
	v_pk_fma_f32 v[40:41], v[64:65], v[44:45], v[56:57] neg_lo:[0,0,1] neg_hi:[0,0,1]
	v_pk_fma_f32 v[42:43], v[64:65], v[44:45], v[56:57] op_sel_hi:[1,0,1]
	v_pk_add_f32 v[32:33], v[32:33], v[36:37]
	v_pk_fma_f32 v[58:59], v[66:67], v[46:47], v[86:87] neg_lo:[0,0,1] neg_hi:[0,0,1]
	v_pk_fma_f32 v[46:47], v[66:67], v[46:47], v[86:87] op_sel_hi:[1,0,1]
	v_pk_mul_f32 v[62:63], v[68:69], v[88:89] op_sel:[1,0] op_sel_hi:[0,0]
	v_mov_b32_e32 v41, v43
	v_pk_add_f32 v[32:33], v[32:33], v[54:55]
	;; [unrolled: 12-line block ×3, first 2 shown]
	v_mov_b32_e32 v67, v51
	v_pk_fma_f32 v[48:49], v[72:73], v[52:53], v[70:71] neg_lo:[0,0,1] neg_hi:[0,0,1]
	v_pk_fma_f32 v[50:51], v[72:73], v[52:53], v[70:71] op_sel_hi:[1,0,1]
	v_pk_add_f32 v[32:33], v[32:33], v[44:45]
	v_mov_b32_e32 v49, v51
	v_pk_add_f32 v[32:33], v[32:33], v[66:67]
	s_nop 0
	v_pk_add_f32 v[32:33], v[32:33], v[48:49]
	s_waitcnt vmcnt(0)
	v_pk_add_f32 v[32:33], v[74:75], v[32:33] neg_lo:[0,1] neg_hi:[0,1]
	scratch_store_dwordx2 off, v[32:33], off offset:32
	s_and_saveexec_b64 s[0:1], vcc
	s_cbranch_execz .LBB14_97
; %bb.96:
	scratch_load_dwordx2 v[32:33], off, off offset:24
	v_mov_b32_e32 v34, 0
	v_mov_b32_e32 v35, v34
	scratch_store_dwordx2 off, v[34:35], off offset:24
	s_waitcnt vmcnt(1)
	ds_write_b64 v1, v[32:33]
.LBB14_97:
	s_or_b64 exec, exec, s[0:1]
	s_waitcnt lgkmcnt(0)
	; wave barrier
	scratch_load_dwordx4 v[34:37], off, off offset:32
	scratch_load_dwordx4 v[38:41], off, off offset:48
	scratch_load_dwordx4 v[42:45], off, off offset:64
	scratch_load_dwordx4 v[46:49], off, off offset:80
	scratch_load_dwordx4 v[50:53], off, off offset:96
	scratch_load_dwordx2 v[74:75], off, off offset:112
	scratch_load_dwordx2 v[76:77], off, off offset:24
	v_mov_b32_e32 v32, 0
	ds_read_b128 v[54:57], v32 offset:160
	ds_read_b128 v[58:61], v32 offset:176
	;; [unrolled: 1-line block ×5, first 2 shown]
	ds_read_b64 v[78:79], v32 offset:240
	v_cmp_lt_u32_e32 vcc, 2, v0
	s_waitcnt vmcnt(6) lgkmcnt(5)
	v_mul_f32_e32 v33, v54, v35
	v_mul_f32_e32 v35, v55, v35
	;; [unrolled: 1-line block ×3, first 2 shown]
	s_waitcnt vmcnt(5) lgkmcnt(4)
	v_mul_f32_e32 v83, v58, v39
	v_mul_f32_e32 v37, v57, v37
	;; [unrolled: 1-line block ×3, first 2 shown]
	v_mov_b32_e32 v84, v41
	s_waitcnt vmcnt(3) lgkmcnt(2)
	v_pk_mul_f32 v[90:91], v[66:67], v[46:47] op_sel:[1,1] op_sel_hi:[0,1]
	s_waitcnt vmcnt(2) lgkmcnt(1)
	v_pk_mul_f32 v[94:95], v[70:71], v[50:51] op_sel:[1,1] op_sel_hi:[0,1]
	;; [unrolled: 2-line block ×3, first 2 shown]
	v_fmac_f32_e32 v33, v55, v34
	v_fma_f32 v85, v54, v34, -v35
	v_fmac_f32_e32 v81, v57, v36
	v_fmac_f32_e32 v83, v59, v38
	v_fma_f32 v80, v56, v36, -v37
	v_fma_f32 v82, v58, v38, -v39
	v_pk_mul_f32 v[34:35], v[60:61], v[84:85] op_sel:[1,0] op_sel_hi:[0,0]
	v_pk_fma_f32 v[54:55], v[66:67], v[46:47], v[90:91] neg_lo:[0,0,1] neg_hi:[0,0,1]
	v_pk_fma_f32 v[46:47], v[66:67], v[46:47], v[90:91] op_sel_hi:[1,0,1]
	v_pk_fma_f32 v[58:59], v[70:71], v[50:51], v[94:95] neg_lo:[0,0,1] neg_hi:[0,0,1]
	v_pk_fma_f32 v[50:51], v[70:71], v[50:51], v[94:95] op_sel_hi:[1,0,1]
	;; [unrolled: 2-line block ×3, first 2 shown]
	v_add_f32_e32 v75, 0, v33
	v_add_f32_e32 v74, 0, v85
	v_pk_mul_f32 v[86:87], v[62:63], v[42:43] op_sel:[1,1] op_sel_hi:[0,1]
	v_mov_b32_e32 v88, v45
	v_pk_fma_f32 v[78:79], v[60:61], v[40:41], v[34:35] neg_lo:[0,0,1] neg_hi:[0,0,1]
	v_pk_fma_f32 v[34:35], v[60:61], v[40:41], v[34:35] op_sel_hi:[1,0,1]
	v_mov_b32_e32 v59, v51
	v_pk_add_f32 v[50:51], v[74:75], v[80:81]
	v_pk_fma_f32 v[36:37], v[62:63], v[42:43], v[86:87] neg_lo:[0,0,1] neg_hi:[0,0,1]
	v_pk_fma_f32 v[38:39], v[62:63], v[42:43], v[86:87] op_sel_hi:[1,0,1]
	v_pk_mul_f32 v[42:43], v[64:65], v[88:89] op_sel:[1,0] op_sel_hi:[0,0]
	v_mov_b32_e32 v79, v35
	v_pk_add_f32 v[34:35], v[50:51], v[82:83]
	v_mov_b32_e32 v92, v49
	v_mov_b32_e32 v37, v39
	v_pk_fma_f32 v[38:39], v[64:65], v[44:45], v[42:43] neg_lo:[0,0,1] neg_hi:[0,0,1]
	v_pk_fma_f32 v[40:41], v[64:65], v[44:45], v[42:43] op_sel_hi:[1,0,1]
	v_pk_add_f32 v[34:35], v[34:35], v[78:79]
	v_pk_mul_f32 v[56:57], v[68:69], v[92:93] op_sel:[1,0] op_sel_hi:[0,0]
	v_mov_b32_e32 v39, v41
	v_pk_add_f32 v[34:35], v[34:35], v[36:37]
	v_mov_b32_e32 v96, v53
	v_mov_b32_e32 v55, v47
	v_pk_fma_f32 v[42:43], v[68:69], v[48:49], v[56:57] neg_lo:[0,0,1] neg_hi:[0,0,1]
	v_pk_fma_f32 v[44:45], v[68:69], v[48:49], v[56:57] op_sel_hi:[1,0,1]
	v_pk_add_f32 v[34:35], v[34:35], v[38:39]
	v_pk_mul_f32 v[62:63], v[72:73], v[96:97] op_sel:[1,0] op_sel_hi:[0,0]
	v_mov_b32_e32 v43, v45
	v_pk_add_f32 v[34:35], v[34:35], v[54:55]
	v_pk_fma_f32 v[46:47], v[72:73], v[52:53], v[62:63] neg_lo:[0,0,1] neg_hi:[0,0,1]
	v_pk_fma_f32 v[48:49], v[72:73], v[52:53], v[62:63] op_sel_hi:[1,0,1]
	v_pk_add_f32 v[34:35], v[34:35], v[42:43]
	v_mov_b32_e32 v47, v49
	v_pk_add_f32 v[34:35], v[34:35], v[58:59]
	v_mov_b32_e32 v67, v71
	v_pk_add_f32 v[34:35], v[34:35], v[46:47]
	s_nop 0
	v_pk_add_f32 v[34:35], v[34:35], v[66:67]
	s_waitcnt vmcnt(0)
	v_pk_add_f32 v[34:35], v[76:77], v[34:35] neg_lo:[0,1] neg_hi:[0,1]
	scratch_store_dwordx2 off, v[34:35], off offset:24
	s_and_saveexec_b64 s[0:1], vcc
	s_cbranch_execz .LBB14_99
; %bb.98:
	scratch_load_dwordx2 v[34:35], off, off offset:16
	v_mov_b32_e32 v33, v32
	scratch_store_dwordx2 off, v[32:33], off offset:16
	s_waitcnt vmcnt(1)
	ds_write_b64 v1, v[34:35]
.LBB14_99:
	s_or_b64 exec, exec, s[0:1]
	s_waitcnt lgkmcnt(0)
	; wave barrier
	scratch_load_dwordx4 v[34:37], off, off offset:24
	scratch_load_dwordx4 v[38:41], off, off offset:40
	;; [unrolled: 1-line block ×6, first 2 shown]
	scratch_load_dwordx2 v[82:83], off, off offset:16
	ds_read2_b64 v[58:61], v32 offset0:19 offset1:20
	ds_read2_b64 v[62:65], v32 offset0:21 offset1:22
	;; [unrolled: 1-line block ×6, first 2 shown]
	v_cmp_lt_u32_e32 vcc, 1, v0
	s_waitcnt vmcnt(6) lgkmcnt(5)
	v_mul_f32_e32 v89, v58, v35
	v_mul_f32_e32 v93, v60, v37
	s_waitcnt vmcnt(5) lgkmcnt(4)
	v_mul_f32_e32 v33, v62, v39
	v_mul_f32_e32 v32, v59, v35
	;; [unrolled: 1-line block ×4, first 2 shown]
	s_waitcnt vmcnt(1) lgkmcnt(0)
	v_pk_mul_f32 v[98:99], v[78:79], v[54:55] op_sel:[1,1] op_sel_hi:[0,1]
	v_pk_mul_f32 v[86:87], v[66:67], v[42:43] op_sel:[1,1] op_sel_hi:[0,1]
	v_fmac_f32_e32 v89, v59, v34
	v_fmac_f32_e32 v33, v63, v38
	v_fma_f32 v97, v58, v34, -v32
	v_fma_f32 v32, v62, v38, -v37
	v_pk_fma_f32 v[62:63], v[78:79], v[54:55], v[98:99] neg_lo:[0,0,1] neg_hi:[0,0,1]
	v_pk_fma_f32 v[54:55], v[78:79], v[54:55], v[98:99] op_sel_hi:[1,0,1]
	v_fmac_f32_e32 v93, v61, v36
	v_fma_f32 v101, v60, v36, -v35
	v_pk_fma_f32 v[34:35], v[66:67], v[42:43], v[86:87] neg_lo:[0,0,1] neg_hi:[0,0,1]
	v_pk_fma_f32 v[36:37], v[66:67], v[42:43], v[86:87] op_sel_hi:[1,0,1]
	v_add_f32_e32 v54, 0, v89
	v_add_f32_e32 v66, 0, v97
	v_mul_f32_e32 v85, v64, v41
	v_mul_f32_e32 v39, v65, v41
	v_mov_b32_e32 v88, v45
	v_mov_b32_e32 v63, v55
	v_add_f32_e32 v55, v54, v93
	v_add_f32_e32 v54, v66, v101
	v_fmac_f32_e32 v85, v65, v40
	v_fma_f32 v84, v64, v40, -v39
	v_pk_mul_f32 v[38:39], v[68:69], v[88:89] op_sel:[1,0] op_sel_hi:[0,0]
	v_pk_add_f32 v[32:33], v[54:55], v[32:33]
	v_pk_mul_f32 v[90:91], v[70:71], v[46:47] op_sel:[1,1] op_sel_hi:[0,1]
	v_mov_b32_e32 v92, v49
	v_mov_b32_e32 v35, v37
	v_pk_fma_f32 v[36:37], v[68:69], v[44:45], v[38:39] neg_lo:[0,0,1] neg_hi:[0,0,1]
	v_pk_fma_f32 v[38:39], v[68:69], v[44:45], v[38:39] op_sel_hi:[1,0,1]
	v_pk_add_f32 v[32:33], v[32:33], v[84:85]
	v_pk_fma_f32 v[40:41], v[70:71], v[46:47], v[90:91] neg_lo:[0,0,1] neg_hi:[0,0,1]
	v_pk_fma_f32 v[42:43], v[70:71], v[46:47], v[90:91] op_sel_hi:[1,0,1]
	v_pk_mul_f32 v[46:47], v[72:73], v[92:93] op_sel:[1,0] op_sel_hi:[0,0]
	v_mov_b32_e32 v37, v39
	v_pk_add_f32 v[32:33], v[32:33], v[34:35]
	v_pk_mul_f32 v[94:95], v[74:75], v[50:51] op_sel:[1,1] op_sel_hi:[0,1]
	v_mov_b32_e32 v96, v53
	v_mov_b32_e32 v41, v43
	v_pk_fma_f32 v[42:43], v[72:73], v[48:49], v[46:47] neg_lo:[0,0,1] neg_hi:[0,0,1]
	v_pk_fma_f32 v[44:45], v[72:73], v[48:49], v[46:47] op_sel_hi:[1,0,1]
	v_pk_add_f32 v[32:33], v[32:33], v[36:37]
	v_pk_fma_f32 v[58:59], v[74:75], v[50:51], v[94:95] neg_lo:[0,0,1] neg_hi:[0,0,1]
	v_pk_fma_f32 v[50:51], v[74:75], v[50:51], v[94:95] op_sel_hi:[1,0,1]
	v_pk_mul_f32 v[60:61], v[76:77], v[96:97] op_sel:[1,0] op_sel_hi:[0,0]
	v_mov_b32_e32 v43, v45
	v_pk_add_f32 v[32:33], v[32:33], v[40:41]
	v_mov_b32_e32 v100, v57
	v_mov_b32_e32 v59, v51
	v_pk_fma_f32 v[46:47], v[76:77], v[52:53], v[60:61] neg_lo:[0,0,1] neg_hi:[0,0,1]
	v_pk_fma_f32 v[48:49], v[76:77], v[52:53], v[60:61] op_sel_hi:[1,0,1]
	v_pk_add_f32 v[32:33], v[32:33], v[42:43]
	v_pk_mul_f32 v[64:65], v[80:81], v[100:101] op_sel:[1,0] op_sel_hi:[0,0]
	v_mov_b32_e32 v47, v49
	v_pk_add_f32 v[32:33], v[32:33], v[58:59]
	v_pk_fma_f32 v[50:51], v[80:81], v[56:57], v[64:65] neg_lo:[0,0,1] neg_hi:[0,0,1]
	v_pk_fma_f32 v[52:53], v[80:81], v[56:57], v[64:65] op_sel_hi:[1,0,1]
	v_pk_add_f32 v[32:33], v[32:33], v[46:47]
	v_mov_b32_e32 v51, v53
	v_pk_add_f32 v[32:33], v[32:33], v[62:63]
	s_nop 0
	v_pk_add_f32 v[32:33], v[32:33], v[50:51]
	s_waitcnt vmcnt(0)
	v_pk_add_f32 v[32:33], v[82:83], v[32:33] neg_lo:[0,1] neg_hi:[0,1]
	scratch_store_dwordx2 off, v[32:33], off offset:16
	s_and_saveexec_b64 s[0:1], vcc
	s_cbranch_execz .LBB14_101
; %bb.100:
	scratch_load_dwordx2 v[32:33], off, off offset:8
	v_mov_b32_e32 v34, 0
	v_mov_b32_e32 v35, v34
	scratch_store_dwordx2 off, v[34:35], off offset:8
	s_waitcnt vmcnt(1)
	ds_write_b64 v1, v[32:33]
.LBB14_101:
	s_or_b64 exec, exec, s[0:1]
	s_waitcnt lgkmcnt(0)
	; wave barrier
	scratch_load_dwordx4 v[34:37], off, off offset:16
	scratch_load_dwordx4 v[38:41], off, off offset:32
	scratch_load_dwordx4 v[42:45], off, off offset:48
	scratch_load_dwordx4 v[46:49], off, off offset:64
	scratch_load_dwordx4 v[50:53], off, off offset:80
	scratch_load_dwordx4 v[54:57], off, off offset:96
	scratch_load_dwordx2 v[82:83], off, off offset:112
	scratch_load_dwordx2 v[84:85], off, off offset:8
	v_mov_b32_e32 v32, 0
	ds_read_b128 v[58:61], v32 offset:144
	ds_read_b128 v[62:65], v32 offset:160
	;; [unrolled: 1-line block ×6, first 2 shown]
	ds_read_b64 v[86:87], v32 offset:240
	v_cmp_ne_u32_e32 vcc, 0, v0
	s_waitcnt vmcnt(7) lgkmcnt(6)
	v_mul_f32_e32 v93, v60, v37
	v_mul_f32_e32 v33, v58, v35
	s_waitcnt vmcnt(5) lgkmcnt(4)
	v_mul_f32_e32 v91, v66, v43
	v_mul_f32_e32 v35, v59, v35
	v_mov_b32_e32 v92, v45
	s_waitcnt vmcnt(2) lgkmcnt(1)
	v_pk_mul_f32 v[102:103], v[78:79], v[54:55] op_sel:[1,1] op_sel_hi:[0,1]
	v_fmac_f32_e32 v93, v61, v36
	v_mul_f32_e32 v37, v61, v37
	v_mul_f32_e32 v43, v67, v43
	v_fmac_f32_e32 v33, v59, v34
	v_fmac_f32_e32 v91, v67, v42
	v_fma_f32 v67, v58, v34, -v35
	v_pk_mul_f32 v[34:35], v[68:69], v[92:93] op_sel:[1,0] op_sel_hi:[0,0]
	v_pk_fma_f32 v[58:59], v[78:79], v[54:55], v[102:103] neg_lo:[0,0,1] neg_hi:[0,0,1]
	v_pk_fma_f32 v[54:55], v[78:79], v[54:55], v[102:103] op_sel_hi:[1,0,1]
	v_mul_f32_e32 v97, v62, v39
	v_mul_f32_e32 v39, v63, v39
	v_fma_f32 v101, v60, v36, -v37
	v_fma_f32 v90, v66, v42, -v43
	v_add_f32_e32 v33, 0, v33
	v_add_f32_e32 v54, 0, v67
	v_pk_fma_f32 v[66:67], v[68:69], v[44:45], v[34:35] neg_lo:[0,0,1] neg_hi:[0,0,1]
	v_pk_fma_f32 v[34:35], v[68:69], v[44:45], v[34:35] op_sel_hi:[1,0,1]
	v_mul_f32_e32 v89, v64, v41
	v_mul_f32_e32 v41, v65, v41
	v_fmac_f32_e32 v97, v63, v38
	v_fma_f32 v105, v62, v38, -v39
	v_add_f32_e32 v33, v33, v93
	v_add_f32_e32 v34, v54, v101
	v_fmac_f32_e32 v89, v65, v40
	v_fma_f32 v88, v64, v40, -v41
	v_mov_b32_e32 v67, v35
	v_add_f32_e32 v35, v33, v97
	v_add_f32_e32 v34, v34, v105
	v_pk_mul_f32 v[94:95], v[70:71], v[46:47] op_sel:[1,1] op_sel_hi:[0,1]
	v_mov_b32_e32 v96, v49
	v_pk_add_f32 v[34:35], v[34:35], v[88:89]
	v_pk_fma_f32 v[36:37], v[70:71], v[46:47], v[94:95] neg_lo:[0,0,1] neg_hi:[0,0,1]
	v_pk_fma_f32 v[38:39], v[70:71], v[46:47], v[94:95] op_sel_hi:[1,0,1]
	v_pk_mul_f32 v[40:41], v[72:73], v[96:97] op_sel:[1,0] op_sel_hi:[0,0]
	v_pk_add_f32 v[34:35], v[34:35], v[90:91]
	v_pk_mul_f32 v[98:99], v[74:75], v[50:51] op_sel:[1,1] op_sel_hi:[0,1]
	v_mov_b32_e32 v100, v53
	v_mov_b32_e32 v37, v39
	v_pk_fma_f32 v[38:39], v[72:73], v[48:49], v[40:41] neg_lo:[0,0,1] neg_hi:[0,0,1]
	v_pk_fma_f32 v[40:41], v[72:73], v[48:49], v[40:41] op_sel_hi:[1,0,1]
	v_pk_add_f32 v[34:35], v[34:35], v[66:67]
	v_pk_fma_f32 v[42:43], v[74:75], v[50:51], v[98:99] neg_lo:[0,0,1] neg_hi:[0,0,1]
	v_pk_fma_f32 v[46:47], v[74:75], v[50:51], v[98:99] op_sel_hi:[1,0,1]
	v_pk_mul_f32 v[50:51], v[76:77], v[100:101] op_sel:[1,0] op_sel_hi:[0,0]
	v_mov_b32_e32 v39, v41
	v_pk_add_f32 v[34:35], v[34:35], v[36:37]
	v_mov_b32_e32 v104, v57
	v_mov_b32_e32 v43, v47
	v_pk_fma_f32 v[44:45], v[76:77], v[52:53], v[50:51] neg_lo:[0,0,1] neg_hi:[0,0,1]
	v_pk_fma_f32 v[46:47], v[76:77], v[52:53], v[50:51] op_sel_hi:[1,0,1]
	v_pk_add_f32 v[34:35], v[34:35], v[38:39]
	v_pk_mul_f32 v[60:61], v[80:81], v[104:105] op_sel:[1,0] op_sel_hi:[0,0]
	v_mov_b32_e32 v45, v47
	v_pk_add_f32 v[34:35], v[34:35], v[42:43]
	s_waitcnt vmcnt(1) lgkmcnt(0)
	v_pk_mul_f32 v[106:107], v[86:87], v[82:83] op_sel:[1,1] op_sel_hi:[0,1]
	v_mov_b32_e32 v59, v55
	v_pk_fma_f32 v[48:49], v[80:81], v[56:57], v[60:61] neg_lo:[0,0,1] neg_hi:[0,0,1]
	v_pk_fma_f32 v[50:51], v[80:81], v[56:57], v[60:61] op_sel_hi:[1,0,1]
	v_pk_add_f32 v[34:35], v[34:35], v[44:45]
	v_pk_fma_f32 v[62:63], v[86:87], v[82:83], v[106:107] neg_lo:[0,0,1] neg_hi:[0,0,1]
	v_pk_fma_f32 v[64:65], v[86:87], v[82:83], v[106:107] op_sel_hi:[1,0,1]
	v_mov_b32_e32 v49, v51
	v_pk_add_f32 v[34:35], v[34:35], v[58:59]
	v_mov_b32_e32 v63, v65
	v_pk_add_f32 v[34:35], v[34:35], v[48:49]
	s_nop 0
	v_pk_add_f32 v[34:35], v[34:35], v[62:63]
	s_waitcnt vmcnt(0)
	v_pk_add_f32 v[34:35], v[84:85], v[34:35] neg_lo:[0,1] neg_hi:[0,1]
	scratch_store_dwordx2 off, v[34:35], off offset:8
	s_and_saveexec_b64 s[0:1], vcc
	s_cbranch_execz .LBB14_103
; %bb.102:
	scratch_load_dwordx2 v[34:35], off, off
	v_mov_b32_e32 v33, v32
	scratch_store_dwordx2 off, v[32:33], off
	s_waitcnt vmcnt(1)
	ds_write_b64 v1, v[34:35]
.LBB14_103:
	s_or_b64 exec, exec, s[0:1]
	s_waitcnt lgkmcnt(0)
	; wave barrier
	scratch_load_dwordx4 v[34:37], off, off offset:8
	scratch_load_dwordx4 v[38:41], off, off offset:24
	;; [unrolled: 1-line block ×7, first 2 shown]
	ds_read2_b64 v[62:65], v32 offset0:17 offset1:18
	ds_read2_b64 v[66:69], v32 offset0:19 offset1:20
	;; [unrolled: 1-line block ×7, first 2 shown]
	scratch_load_dwordx2 v[0:1], off, off
	s_and_b64 vcc, exec, s[18:19]
	s_waitcnt vmcnt(7) lgkmcnt(6)
	v_mul_f32_e32 v95, v62, v35
	v_mul_f32_e32 v99, v64, v37
	s_waitcnt vmcnt(6) lgkmcnt(5)
	v_mul_f32_e32 v103, v66, v39
	v_mul_f32_e32 v107, v68, v41
	;; [unrolled: 3-line block ×3, first 2 shown]
	v_mul_f32_e32 v32, v63, v35
	v_mul_f32_e32 v35, v65, v37
	;; [unrolled: 1-line block ×6, first 2 shown]
	s_waitcnt vmcnt(4) lgkmcnt(3)
	v_pk_mul_f32 v[92:93], v[74:75], v[46:47] op_sel:[1,1] op_sel_hi:[0,1]
	v_mov_b32_e32 v94, v49
	s_waitcnt vmcnt(3) lgkmcnt(2)
	v_pk_mul_f32 v[96:97], v[78:79], v[50:51] op_sel:[1,1] op_sel_hi:[0,1]
	v_mov_b32_e32 v98, v53
	s_waitcnt vmcnt(1) lgkmcnt(0)
	v_pk_mul_f32 v[104:105], v[86:87], v[58:59] op_sel:[1,1] op_sel_hi:[0,1]
	v_fmac_f32_e32 v95, v63, v34
	v_fmac_f32_e32 v99, v65, v36
	;; [unrolled: 1-line block ×6, first 2 shown]
	v_fma_f32 v67, v62, v34, -v32
	v_fma_f32 v69, v64, v36, -v35
	;; [unrolled: 1-line block ×6, first 2 shown]
	v_pk_fma_f32 v[34:35], v[74:75], v[46:47], v[92:93] neg_lo:[0,0,1] neg_hi:[0,0,1]
	v_pk_fma_f32 v[36:37], v[74:75], v[46:47], v[92:93] op_sel_hi:[1,0,1]
	v_pk_mul_f32 v[38:39], v[76:77], v[94:95] op_sel:[1,0] op_sel_hi:[0,0]
	v_pk_fma_f32 v[40:41], v[78:79], v[50:51], v[96:97] neg_lo:[0,0,1] neg_hi:[0,0,1]
	v_pk_fma_f32 v[42:43], v[78:79], v[50:51], v[96:97] op_sel_hi:[1,0,1]
	v_pk_mul_f32 v[44:45], v[80:81], v[98:99] op_sel:[1,0] op_sel_hi:[0,0]
	v_pk_fma_f32 v[62:63], v[86:87], v[58:59], v[104:105] neg_lo:[0,0,1] neg_hi:[0,0,1]
	v_pk_fma_f32 v[58:59], v[86:87], v[58:59], v[104:105] op_sel_hi:[1,0,1]
	v_add_f32_e32 v67, 0, v67
	v_add_f32_e32 v58, 0, v95
	v_mov_b32_e32 v35, v37
	v_pk_fma_f32 v[36:37], v[76:77], v[48:49], v[38:39] neg_lo:[0,0,1] neg_hi:[0,0,1]
	v_pk_fma_f32 v[38:39], v[76:77], v[48:49], v[38:39] op_sel_hi:[1,0,1]
	v_mov_b32_e32 v41, v43
	v_pk_fma_f32 v[42:43], v[80:81], v[52:53], v[44:45] neg_lo:[0,0,1] neg_hi:[0,0,1]
	v_pk_fma_f32 v[44:45], v[80:81], v[52:53], v[44:45] op_sel_hi:[1,0,1]
	v_add_f32_e32 v38, v58, v99
	v_add_f32_e32 v44, v67, v69
	;; [unrolled: 1-line block ×4, first 2 shown]
	v_mov_b32_e32 v37, v39
	v_add_f32_e32 v39, v38, v107
	v_add_f32_e32 v38, v44, v68
	v_pk_add_f32 v[32:33], v[38:39], v[32:33]
	v_pk_mul_f32 v[100:101], v[82:83], v[54:55] op_sel:[1,1] op_sel_hi:[0,1]
	v_pk_add_f32 v[32:33], v[32:33], v[90:91]
	v_mov_b32_e32 v102, v57
	v_pk_add_f32 v[32:33], v[32:33], v[34:35]
	v_pk_fma_f32 v[46:47], v[82:83], v[54:55], v[100:101] neg_lo:[0,0,1] neg_hi:[0,0,1]
	v_pk_add_f32 v[32:33], v[32:33], v[36:37]
	v_pk_fma_f32 v[50:51], v[82:83], v[54:55], v[100:101] op_sel_hi:[1,0,1]
	v_pk_mul_f32 v[54:55], v[84:85], v[102:103] op_sel:[1,0] op_sel_hi:[0,0]
	v_mov_b32_e32 v43, v45
	v_pk_add_f32 v[32:33], v[32:33], v[40:41]
	v_mov_b32_e32 v106, v61
	v_mov_b32_e32 v47, v51
	v_pk_fma_f32 v[48:49], v[84:85], v[56:57], v[54:55] neg_lo:[0,0,1] neg_hi:[0,0,1]
	v_pk_fma_f32 v[50:51], v[84:85], v[56:57], v[54:55] op_sel_hi:[1,0,1]
	v_pk_add_f32 v[32:33], v[32:33], v[42:43]
	v_pk_mul_f32 v[64:65], v[88:89], v[106:107] op_sel:[1,0] op_sel_hi:[0,0]
	v_mov_b32_e32 v49, v51
	v_pk_add_f32 v[32:33], v[32:33], v[46:47]
	v_mov_b32_e32 v63, v59
	v_pk_fma_f32 v[52:53], v[88:89], v[60:61], v[64:65] neg_lo:[0,0,1] neg_hi:[0,0,1]
	v_pk_fma_f32 v[54:55], v[88:89], v[60:61], v[64:65] op_sel_hi:[1,0,1]
	v_pk_add_f32 v[32:33], v[32:33], v[48:49]
	v_mov_b32_e32 v53, v55
	v_pk_add_f32 v[32:33], v[32:33], v[62:63]
	s_nop 0
	v_pk_add_f32 v[32:33], v[32:33], v[52:53]
	s_waitcnt vmcnt(0)
	v_pk_add_f32 v[0:1], v[0:1], v[32:33] neg_lo:[0,1] neg_hi:[0,1]
	scratch_store_dwordx2 off, v[0:1], off
	s_cbranch_vccz .LBB14_132
; %bb.104:
	v_mov_b32_e32 v0, 0
	global_load_dword v1, v0, s[16:17] offset:52
	s_waitcnt vmcnt(0)
	v_readfirstlane_b32 s0, v1
	s_add_i32 s0, s0, -1
	s_cmp_lg_u32 s0, 13
	s_cbranch_scc0 .LBB14_106
; %bb.105:
	s_lshl_b32 s0, s0, 3
	s_nop 0
	scratch_load_dwordx2 v[32:33], off, s0
	scratch_load_dwordx2 v[34:35], off, off offset:104
	s_waitcnt vmcnt(1)
	scratch_store_dwordx2 off, v[32:33], off offset:104
	s_waitcnt vmcnt(1)
	scratch_store_dwordx2 off, v[34:35], s0
.LBB14_106:
	global_load_dword v0, v0, s[16:17] offset:48
	s_waitcnt vmcnt(0)
	v_readfirstlane_b32 s0, v0
	s_add_i32 s0, s0, -1
	s_cmp_eq_u32 s0, 12
	s_cbranch_scc1 .LBB14_108
; %bb.107:
	s_lshl_b32 s0, s0, 3
	s_nop 0
	scratch_load_dwordx2 v[0:1], off, s0
	scratch_load_dwordx2 v[32:33], off, off offset:96
	s_waitcnt vmcnt(1)
	scratch_store_dwordx2 off, v[0:1], off offset:96
	s_waitcnt vmcnt(1)
	scratch_store_dwordx2 off, v[32:33], s0
.LBB14_108:
	v_mov_b32_e32 v0, 0
	global_load_dword v1, v0, s[16:17] offset:44
	s_waitcnt vmcnt(0)
	v_readfirstlane_b32 s0, v1
	s_add_i32 s0, s0, -1
	s_cmp_eq_u32 s0, 11
	s_cbranch_scc1 .LBB14_110
; %bb.109:
	s_lshl_b32 s0, s0, 3
	s_nop 0
	scratch_load_dwordx2 v[32:33], off, s0
	scratch_load_dwordx2 v[34:35], off, off offset:88
	s_waitcnt vmcnt(1)
	scratch_store_dwordx2 off, v[32:33], off offset:88
	s_waitcnt vmcnt(1)
	scratch_store_dwordx2 off, v[34:35], s0
.LBB14_110:
	global_load_dword v0, v0, s[16:17] offset:40
	s_waitcnt vmcnt(0)
	v_readfirstlane_b32 s0, v0
	s_add_i32 s0, s0, -1
	s_cmp_eq_u32 s0, 10
	s_cbranch_scc1 .LBB14_112
; %bb.111:
	s_lshl_b32 s0, s0, 3
	s_nop 0
	scratch_load_dwordx2 v[0:1], off, s0
	scratch_load_dwordx2 v[32:33], off, off offset:80
	s_waitcnt vmcnt(1)
	scratch_store_dwordx2 off, v[0:1], off offset:80
	s_waitcnt vmcnt(1)
	scratch_store_dwordx2 off, v[32:33], s0
.LBB14_112:
	v_mov_b32_e32 v0, 0
	global_load_dword v1, v0, s[16:17] offset:36
	s_waitcnt vmcnt(0)
	v_readfirstlane_b32 s0, v1
	s_add_i32 s0, s0, -1
	s_cmp_eq_u32 s0, 9
	s_cbranch_scc1 .LBB14_114
; %bb.113:
	s_lshl_b32 s0, s0, 3
	s_nop 0
	scratch_load_dwordx2 v[32:33], off, s0
	scratch_load_dwordx2 v[34:35], off, off offset:72
	s_waitcnt vmcnt(1)
	scratch_store_dwordx2 off, v[32:33], off offset:72
	s_waitcnt vmcnt(1)
	scratch_store_dwordx2 off, v[34:35], s0
.LBB14_114:
	global_load_dword v0, v0, s[16:17] offset:32
	s_waitcnt vmcnt(0)
	v_readfirstlane_b32 s0, v0
	s_add_i32 s0, s0, -1
	s_cmp_eq_u32 s0, 8
	s_cbranch_scc1 .LBB14_116
; %bb.115:
	s_lshl_b32 s0, s0, 3
	s_nop 0
	scratch_load_dwordx2 v[0:1], off, s0
	scratch_load_dwordx2 v[32:33], off, off offset:64
	s_waitcnt vmcnt(1)
	scratch_store_dwordx2 off, v[0:1], off offset:64
	s_waitcnt vmcnt(1)
	scratch_store_dwordx2 off, v[32:33], s0
.LBB14_116:
	v_mov_b32_e32 v0, 0
	global_load_dword v1, v0, s[16:17] offset:28
	s_waitcnt vmcnt(0)
	v_readfirstlane_b32 s0, v1
	s_add_i32 s0, s0, -1
	s_cmp_eq_u32 s0, 7
	s_cbranch_scc1 .LBB14_118
; %bb.117:
	s_lshl_b32 s0, s0, 3
	s_nop 0
	scratch_load_dwordx2 v[32:33], off, s0
	scratch_load_dwordx2 v[34:35], off, off offset:56
	s_waitcnt vmcnt(1)
	scratch_store_dwordx2 off, v[32:33], off offset:56
	s_waitcnt vmcnt(1)
	scratch_store_dwordx2 off, v[34:35], s0
.LBB14_118:
	global_load_dword v0, v0, s[16:17] offset:24
	s_waitcnt vmcnt(0)
	v_readfirstlane_b32 s0, v0
	s_add_i32 s0, s0, -1
	s_cmp_eq_u32 s0, 6
	s_cbranch_scc1 .LBB14_120
; %bb.119:
	s_lshl_b32 s0, s0, 3
	s_nop 0
	scratch_load_dwordx2 v[0:1], off, s0
	scratch_load_dwordx2 v[32:33], off, off offset:48
	s_waitcnt vmcnt(1)
	scratch_store_dwordx2 off, v[0:1], off offset:48
	s_waitcnt vmcnt(1)
	scratch_store_dwordx2 off, v[32:33], s0
.LBB14_120:
	v_mov_b32_e32 v0, 0
	global_load_dword v1, v0, s[16:17] offset:20
	s_waitcnt vmcnt(0)
	v_readfirstlane_b32 s0, v1
	s_add_i32 s0, s0, -1
	s_cmp_eq_u32 s0, 5
	s_cbranch_scc1 .LBB14_122
; %bb.121:
	s_lshl_b32 s0, s0, 3
	s_nop 0
	scratch_load_dwordx2 v[32:33], off, s0
	scratch_load_dwordx2 v[34:35], off, off offset:40
	s_waitcnt vmcnt(1)
	scratch_store_dwordx2 off, v[32:33], off offset:40
	s_waitcnt vmcnt(1)
	scratch_store_dwordx2 off, v[34:35], s0
.LBB14_122:
	global_load_dword v0, v0, s[16:17] offset:16
	s_waitcnt vmcnt(0)
	v_readfirstlane_b32 s0, v0
	s_add_i32 s0, s0, -1
	s_cmp_eq_u32 s0, 4
	s_cbranch_scc1 .LBB14_124
; %bb.123:
	s_lshl_b32 s0, s0, 3
	s_nop 0
	scratch_load_dwordx2 v[0:1], off, s0
	scratch_load_dwordx2 v[32:33], off, off offset:32
	s_waitcnt vmcnt(1)
	scratch_store_dwordx2 off, v[0:1], off offset:32
	s_waitcnt vmcnt(1)
	scratch_store_dwordx2 off, v[32:33], s0
.LBB14_124:
	v_mov_b32_e32 v0, 0
	global_load_dword v1, v0, s[16:17] offset:12
	s_waitcnt vmcnt(0)
	v_readfirstlane_b32 s0, v1
	s_add_i32 s0, s0, -1
	s_cmp_eq_u32 s0, 3
	s_cbranch_scc1 .LBB14_126
; %bb.125:
	s_lshl_b32 s0, s0, 3
	s_nop 0
	scratch_load_dwordx2 v[32:33], off, s0
	scratch_load_dwordx2 v[34:35], off, off offset:24
	s_waitcnt vmcnt(1)
	scratch_store_dwordx2 off, v[32:33], off offset:24
	s_waitcnt vmcnt(1)
	scratch_store_dwordx2 off, v[34:35], s0
.LBB14_126:
	global_load_dword v0, v0, s[16:17] offset:8
	s_waitcnt vmcnt(0)
	v_readfirstlane_b32 s0, v0
	s_add_i32 s0, s0, -1
	s_cmp_eq_u32 s0, 2
	s_cbranch_scc1 .LBB14_128
; %bb.127:
	s_lshl_b32 s0, s0, 3
	s_nop 0
	scratch_load_dwordx2 v[0:1], off, s0
	scratch_load_dwordx2 v[32:33], off, off offset:16
	s_waitcnt vmcnt(1)
	scratch_store_dwordx2 off, v[0:1], off offset:16
	s_waitcnt vmcnt(1)
	scratch_store_dwordx2 off, v[32:33], s0
.LBB14_128:
	v_mov_b32_e32 v0, 0
	global_load_dword v1, v0, s[16:17] offset:4
	s_waitcnt vmcnt(0)
	v_readfirstlane_b32 s0, v1
	s_add_i32 s0, s0, -1
	s_cmp_eq_u32 s0, 1
	s_cbranch_scc1 .LBB14_130
; %bb.129:
	s_lshl_b32 s0, s0, 3
	s_nop 0
	scratch_load_dwordx2 v[32:33], off, s0
	scratch_load_dwordx2 v[34:35], off, off offset:8
	s_waitcnt vmcnt(1)
	scratch_store_dwordx2 off, v[32:33], off offset:8
	s_waitcnt vmcnt(1)
	scratch_store_dwordx2 off, v[34:35], s0
.LBB14_130:
	global_load_dword v32, v0, s[16:17]
	s_nop 0
	scratch_load_dwordx2 v[0:1], off, off
	s_waitcnt vmcnt(1)
	v_readfirstlane_b32 s0, v32
	s_add_i32 s0, s0, -1
	s_cmp_eq_u32 s0, 0
	s_cbranch_scc1 .LBB14_132
; %bb.131:
	s_lshl_b32 s0, s0, 3
	s_nop 0
	scratch_load_dwordx2 v[32:33], off, s0
	s_waitcnt vmcnt(0)
	scratch_store_dwordx2 off, v[32:33], off
	scratch_store_dwordx2 off, v[0:1], s0
	scratch_load_dwordx2 v[0:1], off, off
.LBB14_132:
	s_nop 0
	scratch_load_dwordx4 v[32:35], off, off offset:8
	scratch_load_dwordx4 v[36:39], off, off offset:24
	;; [unrolled: 1-line block ×7, first 2 shown]
	s_waitcnt vmcnt(7)
	global_store_dwordx2 v[2:3], v[0:1], off
	s_waitcnt vmcnt(7)
	global_store_dwordx2 v[4:5], v[32:33], off
	global_store_dwordx2 v[6:7], v[34:35], off
	s_waitcnt vmcnt(8)
	global_store_dwordx2 v[8:9], v[36:37], off
	;; [unrolled: 3-line block ×7, first 2 shown]
	global_store_dwordx2 v[30:31], v[58:59], off
	s_endpgm
	.section	.rodata,"a",@progbits
	.p2align	6, 0x0
	.amdhsa_kernel _ZN9rocsolver6v33100L18getri_kernel_smallILi15E19rocblas_complex_numIfEPS3_EEvT1_iilPiilS6_bb
		.amdhsa_group_segment_fixed_size 248
		.amdhsa_private_segment_fixed_size 128
		.amdhsa_kernarg_size 60
		.amdhsa_user_sgpr_count 2
		.amdhsa_user_sgpr_dispatch_ptr 0
		.amdhsa_user_sgpr_queue_ptr 0
		.amdhsa_user_sgpr_kernarg_segment_ptr 1
		.amdhsa_user_sgpr_dispatch_id 0
		.amdhsa_user_sgpr_kernarg_preload_length 0
		.amdhsa_user_sgpr_kernarg_preload_offset 0
		.amdhsa_user_sgpr_private_segment_size 0
		.amdhsa_uses_dynamic_stack 0
		.amdhsa_enable_private_segment 1
		.amdhsa_system_sgpr_workgroup_id_x 1
		.amdhsa_system_sgpr_workgroup_id_y 0
		.amdhsa_system_sgpr_workgroup_id_z 0
		.amdhsa_system_sgpr_workgroup_info 0
		.amdhsa_system_vgpr_workitem_id 0
		.amdhsa_next_free_vgpr 108
		.amdhsa_next_free_sgpr 20
		.amdhsa_accum_offset 108
		.amdhsa_reserve_vcc 1
		.amdhsa_float_round_mode_32 0
		.amdhsa_float_round_mode_16_64 0
		.amdhsa_float_denorm_mode_32 3
		.amdhsa_float_denorm_mode_16_64 3
		.amdhsa_dx10_clamp 1
		.amdhsa_ieee_mode 1
		.amdhsa_fp16_overflow 0
		.amdhsa_tg_split 0
		.amdhsa_exception_fp_ieee_invalid_op 0
		.amdhsa_exception_fp_denorm_src 0
		.amdhsa_exception_fp_ieee_div_zero 0
		.amdhsa_exception_fp_ieee_overflow 0
		.amdhsa_exception_fp_ieee_underflow 0
		.amdhsa_exception_fp_ieee_inexact 0
		.amdhsa_exception_int_div_zero 0
	.end_amdhsa_kernel
	.section	.text._ZN9rocsolver6v33100L18getri_kernel_smallILi15E19rocblas_complex_numIfEPS3_EEvT1_iilPiilS6_bb,"axG",@progbits,_ZN9rocsolver6v33100L18getri_kernel_smallILi15E19rocblas_complex_numIfEPS3_EEvT1_iilPiilS6_bb,comdat
.Lfunc_end14:
	.size	_ZN9rocsolver6v33100L18getri_kernel_smallILi15E19rocblas_complex_numIfEPS3_EEvT1_iilPiilS6_bb, .Lfunc_end14-_ZN9rocsolver6v33100L18getri_kernel_smallILi15E19rocblas_complex_numIfEPS3_EEvT1_iilPiilS6_bb
                                        ; -- End function
	.set _ZN9rocsolver6v33100L18getri_kernel_smallILi15E19rocblas_complex_numIfEPS3_EEvT1_iilPiilS6_bb.num_vgpr, 108
	.set _ZN9rocsolver6v33100L18getri_kernel_smallILi15E19rocblas_complex_numIfEPS3_EEvT1_iilPiilS6_bb.num_agpr, 0
	.set _ZN9rocsolver6v33100L18getri_kernel_smallILi15E19rocblas_complex_numIfEPS3_EEvT1_iilPiilS6_bb.numbered_sgpr, 20
	.set _ZN9rocsolver6v33100L18getri_kernel_smallILi15E19rocblas_complex_numIfEPS3_EEvT1_iilPiilS6_bb.num_named_barrier, 0
	.set _ZN9rocsolver6v33100L18getri_kernel_smallILi15E19rocblas_complex_numIfEPS3_EEvT1_iilPiilS6_bb.private_seg_size, 128
	.set _ZN9rocsolver6v33100L18getri_kernel_smallILi15E19rocblas_complex_numIfEPS3_EEvT1_iilPiilS6_bb.uses_vcc, 1
	.set _ZN9rocsolver6v33100L18getri_kernel_smallILi15E19rocblas_complex_numIfEPS3_EEvT1_iilPiilS6_bb.uses_flat_scratch, 0
	.set _ZN9rocsolver6v33100L18getri_kernel_smallILi15E19rocblas_complex_numIfEPS3_EEvT1_iilPiilS6_bb.has_dyn_sized_stack, 0
	.set _ZN9rocsolver6v33100L18getri_kernel_smallILi15E19rocblas_complex_numIfEPS3_EEvT1_iilPiilS6_bb.has_recursion, 0
	.set _ZN9rocsolver6v33100L18getri_kernel_smallILi15E19rocblas_complex_numIfEPS3_EEvT1_iilPiilS6_bb.has_indirect_call, 0
	.section	.AMDGPU.csdata,"",@progbits
; Kernel info:
; codeLenInByte = 11780
; TotalNumSgprs: 26
; NumVgprs: 108
; NumAgprs: 0
; TotalNumVgprs: 108
; ScratchSize: 128
; MemoryBound: 0
; FloatMode: 240
; IeeeMode: 1
; LDSByteSize: 248 bytes/workgroup (compile time only)
; SGPRBlocks: 3
; VGPRBlocks: 13
; NumSGPRsForWavesPerEU: 26
; NumVGPRsForWavesPerEU: 108
; AccumOffset: 108
; Occupancy: 4
; WaveLimiterHint : 1
; COMPUTE_PGM_RSRC2:SCRATCH_EN: 1
; COMPUTE_PGM_RSRC2:USER_SGPR: 2
; COMPUTE_PGM_RSRC2:TRAP_HANDLER: 0
; COMPUTE_PGM_RSRC2:TGID_X_EN: 1
; COMPUTE_PGM_RSRC2:TGID_Y_EN: 0
; COMPUTE_PGM_RSRC2:TGID_Z_EN: 0
; COMPUTE_PGM_RSRC2:TIDIG_COMP_CNT: 0
; COMPUTE_PGM_RSRC3_GFX90A:ACCUM_OFFSET: 26
; COMPUTE_PGM_RSRC3_GFX90A:TG_SPLIT: 0
	.section	.text._ZN9rocsolver6v33100L18getri_kernel_smallILi16E19rocblas_complex_numIfEPS3_EEvT1_iilPiilS6_bb,"axG",@progbits,_ZN9rocsolver6v33100L18getri_kernel_smallILi16E19rocblas_complex_numIfEPS3_EEvT1_iilPiilS6_bb,comdat
	.globl	_ZN9rocsolver6v33100L18getri_kernel_smallILi16E19rocblas_complex_numIfEPS3_EEvT1_iilPiilS6_bb ; -- Begin function _ZN9rocsolver6v33100L18getri_kernel_smallILi16E19rocblas_complex_numIfEPS3_EEvT1_iilPiilS6_bb
	.p2align	8
	.type	_ZN9rocsolver6v33100L18getri_kernel_smallILi16E19rocblas_complex_numIfEPS3_EEvT1_iilPiilS6_bb,@function
_ZN9rocsolver6v33100L18getri_kernel_smallILi16E19rocblas_complex_numIfEPS3_EEvT1_iilPiilS6_bb: ; @_ZN9rocsolver6v33100L18getri_kernel_smallILi16E19rocblas_complex_numIfEPS3_EEvT1_iilPiilS6_bb
; %bb.0:
	v_cmp_gt_u32_e32 vcc, 16, v0
	s_and_saveexec_b64 s[4:5], vcc
	s_cbranch_execz .LBB15_78
; %bb.1:
	s_load_dword s8, s[0:1], 0x38
	s_load_dwordx4 s[12:15], s[0:1], 0x10
	s_load_dwordx4 s[4:7], s[0:1], 0x28
                                        ; implicit-def: $sgpr16_sgpr17
	s_waitcnt lgkmcnt(0)
	s_bitcmp1_b32 s8, 8
	s_cselect_b64 s[18:19], -1, 0
	s_ashr_i32 s3, s2, 31
	s_bfe_u32 s8, s8, 0x10008
	s_cmp_eq_u32 s8, 0
	s_cbranch_scc1 .LBB15_3
; %bb.2:
	s_load_dword s8, s[0:1], 0x20
	s_mul_i32 s9, s4, s3
	s_mul_hi_u32 s10, s4, s2
	s_mul_i32 s5, s5, s2
	s_add_i32 s10, s10, s9
	s_add_i32 s5, s10, s5
	s_mul_i32 s4, s4, s2
	s_waitcnt lgkmcnt(0)
	s_ashr_i32 s9, s8, 31
	s_lshl_b64 s[4:5], s[4:5], 2
	s_add_u32 s10, s14, s4
	s_addc_u32 s11, s15, s5
	s_lshl_b64 s[4:5], s[8:9], 2
	s_add_u32 s16, s10, s4
	s_addc_u32 s17, s11, s5
.LBB15_3:
	s_load_dwordx4 s[8:11], s[0:1], 0x0
	s_load_dword s14, s[0:1], 0x38
	s_mul_i32 s4, s12, s3
	s_mul_hi_u32 s5, s12, s2
	s_add_i32 s4, s5, s4
	s_mul_i32 s5, s13, s2
	s_add_i32 s5, s4, s5
	s_mul_i32 s4, s12, s2
	s_waitcnt lgkmcnt(0)
	s_ashr_i32 s1, s10, 31
	s_lshl_b64 s[4:5], s[4:5], 3
	s_mov_b32 s0, s10
	s_add_u32 s4, s8, s4
	s_addc_u32 s5, s9, s5
	s_lshl_b64 s[0:1], s[0:1], 3
	s_add_u32 s0, s4, s0
	s_addc_u32 s1, s5, s1
	v_lshlrev_b32_e32 v34, 3, v0
	v_mov_b32_e32 v35, 0
	v_lshl_add_u64 v[2:3], s[0:1], 0, v[34:35]
	s_ashr_i32 s5, s11, 31
	s_mov_b32 s4, s11
	v_lshl_add_u64 v[4:5], s[4:5], 3, v[2:3]
	s_add_i32 s4, s11, s11
	v_add_u32_e32 v8, s4, v0
	v_add_u32_e32 v10, s11, v8
	v_add_u32_e32 v12, s11, v10
	v_add_u32_e32 v14, s11, v12
	v_add_u32_e32 v16, s11, v14
	v_add_u32_e32 v18, s11, v16
	v_add_u32_e32 v20, s11, v18
	v_add_u32_e32 v22, s11, v20
	v_add_u32_e32 v24, s11, v22
	v_add_u32_e32 v26, s11, v24
	v_add_u32_e32 v28, s11, v26
	v_add_u32_e32 v30, s11, v28
	v_add_u32_e32 v32, s11, v30
	v_ashrrev_i32_e32 v9, 31, v8
	v_ashrrev_i32_e32 v11, 31, v10
	v_ashrrev_i32_e32 v13, 31, v12
	v_ashrrev_i32_e32 v15, 31, v14
	v_ashrrev_i32_e32 v17, 31, v16
	v_ashrrev_i32_e32 v19, 31, v18
	v_ashrrev_i32_e32 v21, 31, v20
	v_ashrrev_i32_e32 v23, 31, v22
	v_ashrrev_i32_e32 v25, 31, v24
	v_ashrrev_i32_e32 v27, 31, v26
	v_ashrrev_i32_e32 v29, 31, v28
	v_ashrrev_i32_e32 v31, 31, v30
	v_ashrrev_i32_e32 v33, 31, v32
	v_lshl_add_u64 v[6:7], v[8:9], 3, s[0:1]
	v_lshl_add_u64 v[8:9], v[10:11], 3, s[0:1]
	;; [unrolled: 1-line block ×13, first 2 shown]
	v_add_u32_e32 v32, s11, v32
	v_ashrrev_i32_e32 v33, 31, v32
	global_load_dwordx2 v[36:37], v34, s[0:1]
	global_load_dwordx2 v[38:39], v[4:5], off
	global_load_dwordx2 v[40:41], v[6:7], off
	;; [unrolled: 1-line block ×12, first 2 shown]
	v_lshl_add_u64 v[32:33], v[32:33], 3, s[0:1]
	global_load_dwordx2 v[62:63], v[28:29], off
	global_load_dwordx2 v[64:65], v[30:31], off
	;; [unrolled: 1-line block ×3, first 2 shown]
	s_bitcmp0_b32 s14, 0
	s_mov_b64 s[4:5], -1
	s_waitcnt vmcnt(14)
	scratch_store_dwordx4 off, v[36:39], off
	s_waitcnt vmcnt(13)
	scratch_store_dwordx4 off, v[40:43], off offset:16
	s_waitcnt vmcnt(12)
	scratch_store_dwordx4 off, v[44:47], off offset:32
	;; [unrolled: 2-line block ×7, first 2 shown]
	s_cbranch_scc1 .LBB15_76
; %bb.4:
	v_cmp_eq_u32_e64 s[0:1], 0, v0
	s_and_saveexec_b64 s[4:5], s[0:1]
; %bb.5:
	v_mov_b32_e32 v1, 0
	ds_write_b32 v1, v1 offset:256
; %bb.6:
	s_or_b64 exec, exec, s[4:5]
	s_waitcnt lgkmcnt(0)
	; wave barrier
	scratch_load_dwordx2 v[36:37], v34, off
	s_waitcnt vmcnt(0)
	v_cmp_eq_f32_e32 vcc, 0, v36
	v_cmp_eq_f32_e64 s[4:5], 0, v37
	s_and_b64 s[4:5], vcc, s[4:5]
	s_and_saveexec_b64 s[8:9], s[4:5]
	s_cbranch_execz .LBB15_10
; %bb.7:
	v_mov_b32_e32 v1, 0
	ds_read_b32 v36, v1 offset:256
	v_add_u32_e32 v35, 1, v0
	s_waitcnt lgkmcnt(0)
	v_readfirstlane_b32 s4, v36
	s_cmp_eq_u32 s4, 0
	s_cselect_b64 s[10:11], -1, 0
	v_cmp_gt_i32_e32 vcc, s4, v35
	s_or_b64 s[10:11], s[10:11], vcc
	s_and_b64 exec, exec, s[10:11]
	s_cbranch_execz .LBB15_10
; %bb.8:
	s_mov_b64 s[10:11], 0
	v_mov_b32_e32 v36, s4
.LBB15_9:                               ; =>This Inner Loop Header: Depth=1
	ds_cmpst_rtn_b32 v36, v1, v36, v35 offset:256
	s_waitcnt lgkmcnt(0)
	v_cmp_ne_u32_e32 vcc, 0, v36
	v_cmp_le_i32_e64 s[4:5], v36, v35
	s_and_b64 s[4:5], vcc, s[4:5]
	s_and_b64 s[4:5], exec, s[4:5]
	s_or_b64 s[10:11], s[4:5], s[10:11]
	s_andn2_b64 exec, exec, s[10:11]
	s_cbranch_execnz .LBB15_9
.LBB15_10:
	s_or_b64 exec, exec, s[8:9]
	v_mov_b32_e32 v35, 0
	; wave barrier
	ds_read_b32 v1, v35 offset:256
	s_and_saveexec_b64 s[4:5], s[0:1]
	s_cbranch_execz .LBB15_12
; %bb.11:
	s_lshl_b64 s[8:9], s[2:3], 2
	s_add_u32 s8, s6, s8
	s_addc_u32 s9, s7, s9
	s_waitcnt lgkmcnt(0)
	global_store_dword v35, v1, s[8:9]
.LBB15_12:
	s_or_b64 exec, exec, s[4:5]
	s_waitcnt lgkmcnt(0)
	v_cmp_ne_u32_e32 vcc, 0, v1
	s_mov_b64 s[4:5], 0
	s_cbranch_vccnz .LBB15_76
; %bb.13:
	v_mov_b32_e32 v35, v34
	scratch_load_dwordx2 v[36:37], v35, off
                                        ; implicit-def: $vgpr39
                                        ; implicit-def: $vgpr40
	s_waitcnt vmcnt(0)
	v_cmp_ngt_f32_e64 s[4:5], |v36|, |v37|
	s_and_saveexec_b64 s[8:9], s[4:5]
	s_xor_b64 s[4:5], exec, s[8:9]
	s_cbranch_execz .LBB15_15
; %bb.14:
	v_div_scale_f32 v1, s[8:9], v37, v37, v36
	v_rcp_f32_e32 v38, v1
	v_div_scale_f32 v39, vcc, v36, v37, v36
	v_fma_f32 v40, -v1, v38, 1.0
	v_fmac_f32_e32 v38, v40, v38
	v_mul_f32_e32 v40, v39, v38
	v_fma_f32 v41, -v1, v40, v39
	v_fmac_f32_e32 v40, v41, v38
	v_fma_f32 v1, -v1, v40, v39
	v_div_fmas_f32 v1, v1, v38, v40
	v_div_fixup_f32 v1, v1, v37, v36
	v_fmac_f32_e32 v37, v36, v1
	v_div_scale_f32 v36, s[8:9], v37, v37, -1.0
	v_rcp_f32_e32 v38, v36
	s_nop 0
	v_fma_f32 v39, -v36, v38, 1.0
	v_fmac_f32_e32 v38, v39, v38
	v_div_scale_f32 v39, vcc, -1.0, v37, -1.0
	v_mul_f32_e32 v40, v39, v38
	v_fma_f32 v41, -v36, v40, v39
	v_fmac_f32_e32 v40, v41, v38
	v_fma_f32 v36, -v36, v40, v39
	v_div_fmas_f32 v36, v36, v38, v40
	v_div_fixup_f32 v39, v36, v37, -1.0
	v_mul_f32_e32 v40, v1, v39
	v_xor_b32_e32 v38, 0x80000000, v40
                                        ; implicit-def: $vgpr36_vgpr37
.LBB15_15:
	s_andn2_saveexec_b64 s[4:5], s[4:5]
	s_cbranch_execz .LBB15_17
; %bb.16:
	v_div_scale_f32 v1, s[8:9], v36, v36, v37
	v_rcp_f32_e32 v38, v1
	v_div_scale_f32 v39, vcc, v37, v36, v37
	v_fma_f32 v40, -v1, v38, 1.0
	v_fmac_f32_e32 v38, v40, v38
	v_mul_f32_e32 v40, v39, v38
	v_fma_f32 v41, -v1, v40, v39
	v_fmac_f32_e32 v40, v41, v38
	v_fma_f32 v1, -v1, v40, v39
	v_div_fmas_f32 v1, v1, v38, v40
	v_div_fixup_f32 v1, v1, v36, v37
	v_fmac_f32_e32 v36, v37, v1
	v_div_scale_f32 v37, s[8:9], v36, v36, 1.0
	v_rcp_f32_e32 v38, v37
	s_nop 0
	v_fma_f32 v39, -v37, v38, 1.0
	v_fmac_f32_e32 v38, v39, v38
	v_div_scale_f32 v39, vcc, 1.0, v36, 1.0
	v_mul_f32_e32 v40, v39, v38
	v_fma_f32 v41, -v37, v40, v39
	v_fmac_f32_e32 v40, v41, v38
	v_fma_f32 v37, -v37, v40, v39
	v_div_fmas_f32 v37, v37, v38, v40
	v_div_fixup_f32 v38, v37, v36, 1.0
	v_xor_b32_e32 v40, 0x80000000, v38
	v_mul_f32_e64 v39, v1, -v38
.LBB15_17:
	s_or_b64 exec, exec, s[4:5]
	scratch_store_dwordx2 v35, v[38:39], off
	scratch_load_dwordx2 v[36:37], off, off offset:8
	v_xor_b32_e32 v41, 0x80000000, v39
	v_add_u32_e32 v1, 0x80, v34
	s_waitcnt vmcnt(0)
	ds_write2_b64 v34, v[40:41], v[36:37] offset1:16
	s_waitcnt lgkmcnt(0)
	; wave barrier
	s_and_saveexec_b64 s[4:5], s[0:1]
	s_cbranch_execz .LBB15_19
; %bb.18:
	scratch_load_dwordx2 v[36:37], v35, off
	ds_read_b64 v[38:39], v1
	v_mov_b32_e32 v40, 0
	ds_read_b64 v[40:41], v40 offset:8
	s_waitcnt vmcnt(0) lgkmcnt(1)
	v_pk_mul_f32 v[42:43], v[38:39], v[36:37] op_sel:[1,1] op_sel_hi:[0,1]
	v_pk_fma_f32 v[44:45], v[38:39], v[36:37], v[42:43] neg_lo:[0,0,1] neg_hi:[0,0,1]
	v_pk_fma_f32 v[36:37], v[38:39], v[36:37], v[42:43] op_sel_hi:[1,0,1]
	s_nop 0
	v_mov_b32_e32 v45, v37
	v_pk_add_f32 v[36:37], v[44:45], 0 op_sel_hi:[1,0]
	s_waitcnt lgkmcnt(0)
	v_pk_mul_f32 v[38:39], v[36:37], v[40:41] op_sel:[1,1] op_sel_hi:[0,1]
	v_pk_fma_f32 v[42:43], v[36:37], v[40:41], v[38:39] neg_lo:[0,0,1] neg_hi:[0,0,1]
	v_pk_fma_f32 v[36:37], v[36:37], v[40:41], v[38:39] op_sel_hi:[1,0,1]
	s_nop 0
	v_mov_b32_e32 v43, v37
	scratch_store_dwordx2 off, v[42:43], off offset:8
.LBB15_19:
	s_or_b64 exec, exec, s[4:5]
	; wave barrier
	scratch_load_dwordx2 v[36:37], off, off offset:16
	v_cmp_gt_u32_e32 vcc, 2, v0
	s_waitcnt vmcnt(0)
	ds_write_b64 v1, v[36:37]
	s_waitcnt lgkmcnt(0)
	; wave barrier
	s_and_saveexec_b64 s[4:5], vcc
	s_cbranch_execz .LBB15_23
; %bb.20:
	scratch_load_dwordx2 v[36:37], v35, off
	ds_read_b64 v[38:39], v1
	s_waitcnt vmcnt(0) lgkmcnt(0)
	v_pk_mul_f32 v[40:41], v[38:39], v[36:37] op_sel:[1,1] op_sel_hi:[0,1]
	v_pk_fma_f32 v[42:43], v[38:39], v[36:37], v[40:41] neg_lo:[0,0,1] neg_hi:[0,0,1]
	v_pk_fma_f32 v[36:37], v[38:39], v[36:37], v[40:41] op_sel_hi:[1,0,1]
	s_nop 0
	v_mov_b32_e32 v43, v37
	v_pk_add_f32 v[36:37], v[42:43], 0 op_sel_hi:[1,0]
	s_and_saveexec_b64 s[8:9], s[0:1]
	s_cbranch_execz .LBB15_22
; %bb.21:
	scratch_load_dwordx2 v[38:39], off, off offset:8
	v_mov_b32_e32 v35, 0
	ds_read_b64 v[40:41], v35 offset:136
	s_waitcnt vmcnt(0) lgkmcnt(0)
	v_pk_mul_f32 v[42:43], v[40:41], v[38:39] op_sel:[1,1] op_sel_hi:[0,1]
	v_pk_fma_f32 v[44:45], v[40:41], v[38:39], v[42:43] neg_lo:[0,0,1] neg_hi:[0,0,1]
	v_pk_fma_f32 v[38:39], v[40:41], v[38:39], v[42:43] op_sel_hi:[1,0,1]
	s_nop 0
	v_mov_b32_e32 v45, v39
	v_pk_add_f32 v[36:37], v[36:37], v[44:45]
.LBB15_22:
	s_or_b64 exec, exec, s[8:9]
	v_mov_b32_e32 v35, 0
	ds_read_b64 v[38:39], v35 offset:16
	s_waitcnt lgkmcnt(0)
	v_pk_mul_f32 v[40:41], v[36:37], v[38:39] op_sel:[1,1] op_sel_hi:[0,1]
	v_pk_fma_f32 v[42:43], v[36:37], v[38:39], v[40:41] neg_lo:[0,0,1] neg_hi:[0,0,1]
	v_pk_fma_f32 v[36:37], v[36:37], v[38:39], v[40:41] op_sel_hi:[1,0,1]
	s_nop 0
	v_mov_b32_e32 v43, v37
	scratch_store_dwordx2 off, v[42:43], off offset:16
.LBB15_23:
	s_or_b64 exec, exec, s[4:5]
	; wave barrier
	scratch_load_dwordx2 v[36:37], off, off offset:24
	v_cmp_gt_u32_e32 vcc, 3, v0
	v_add_u32_e32 v38, -1, v0
	s_waitcnt vmcnt(0)
	ds_write_b64 v1, v[36:37]
	s_waitcnt lgkmcnt(0)
	; wave barrier
	s_and_saveexec_b64 s[0:1], vcc
	s_cbranch_execz .LBB15_27
; %bb.24:
	v_mov_b32_e32 v36, 0
	v_add_u32_e32 v35, -1, v0
	v_add_u32_e32 v39, 0x80, v34
	v_mov_b32_e32 v40, v34
	s_mov_b64 s[4:5], 0
	v_mov_b32_e32 v37, v36
.LBB15_25:                              ; =>This Inner Loop Header: Depth=1
	scratch_load_dwordx2 v[42:43], v40, off
	ds_read_b64 v[44:45], v39
	v_add_u32_e32 v35, 1, v35
	v_cmp_lt_u32_e32 vcc, 1, v35
	v_add_u32_e32 v39, 8, v39
	v_add_u32_e32 v40, 8, v40
	s_or_b64 s[4:5], vcc, s[4:5]
	s_waitcnt vmcnt(0) lgkmcnt(0)
	v_pk_mul_f32 v[46:47], v[44:45], v[42:43] op_sel:[1,1] op_sel_hi:[0,1]
	v_pk_fma_f32 v[48:49], v[44:45], v[42:43], v[46:47] neg_lo:[0,0,1] neg_hi:[0,0,1]
	v_pk_fma_f32 v[42:43], v[44:45], v[42:43], v[46:47] op_sel_hi:[1,0,1]
	s_nop 0
	v_mov_b32_e32 v49, v43
	v_pk_add_f32 v[36:37], v[36:37], v[48:49]
	s_andn2_b64 exec, exec, s[4:5]
	s_cbranch_execnz .LBB15_25
; %bb.26:
	s_or_b64 exec, exec, s[4:5]
	v_mov_b32_e32 v35, 0
	ds_read_b64 v[40:41], v35 offset:24
	s_waitcnt lgkmcnt(0)
	v_pk_mul_f32 v[42:43], v[36:37], v[40:41] op_sel:[1,1] op_sel_hi:[0,1]
	v_pk_fma_f32 v[44:45], v[36:37], v[40:41], v[42:43] neg_lo:[0,0,1] neg_hi:[0,0,1]
	v_pk_fma_f32 v[36:37], v[36:37], v[40:41], v[42:43] op_sel_hi:[1,0,1]
	s_nop 0
	v_mov_b32_e32 v45, v37
	scratch_store_dwordx2 off, v[44:45], off offset:24
.LBB15_27:
	s_or_b64 exec, exec, s[0:1]
	; wave barrier
	scratch_load_dwordx2 v[36:37], off, off offset:32
	v_cmp_gt_u32_e32 vcc, 4, v0
	s_waitcnt vmcnt(0)
	ds_write_b64 v1, v[36:37]
	s_waitcnt lgkmcnt(0)
	; wave barrier
	s_and_saveexec_b64 s[0:1], vcc
	s_cbranch_execz .LBB15_31
; %bb.28:
	v_mov_b32_e32 v36, 0
	v_add_u32_e32 v35, -1, v0
	v_add_u32_e32 v39, 0x80, v34
	v_mov_b32_e32 v40, v34
	s_mov_b64 s[4:5], 0
	v_mov_b32_e32 v37, v36
.LBB15_29:                              ; =>This Inner Loop Header: Depth=1
	scratch_load_dwordx2 v[42:43], v40, off
	ds_read_b64 v[44:45], v39
	v_add_u32_e32 v35, 1, v35
	v_cmp_lt_u32_e32 vcc, 2, v35
	v_add_u32_e32 v39, 8, v39
	v_add_u32_e32 v40, 8, v40
	s_or_b64 s[4:5], vcc, s[4:5]
	s_waitcnt vmcnt(0) lgkmcnt(0)
	v_pk_mul_f32 v[46:47], v[44:45], v[42:43] op_sel:[1,1] op_sel_hi:[0,1]
	v_pk_fma_f32 v[48:49], v[44:45], v[42:43], v[46:47] neg_lo:[0,0,1] neg_hi:[0,0,1]
	v_pk_fma_f32 v[42:43], v[44:45], v[42:43], v[46:47] op_sel_hi:[1,0,1]
	s_nop 0
	v_mov_b32_e32 v49, v43
	v_pk_add_f32 v[36:37], v[36:37], v[48:49]
	s_andn2_b64 exec, exec, s[4:5]
	s_cbranch_execnz .LBB15_29
; %bb.30:
	s_or_b64 exec, exec, s[4:5]
	v_mov_b32_e32 v35, 0
	ds_read_b64 v[40:41], v35 offset:32
	s_waitcnt lgkmcnt(0)
	v_pk_mul_f32 v[42:43], v[36:37], v[40:41] op_sel:[1,1] op_sel_hi:[0,1]
	v_pk_fma_f32 v[44:45], v[36:37], v[40:41], v[42:43] neg_lo:[0,0,1] neg_hi:[0,0,1]
	v_pk_fma_f32 v[36:37], v[36:37], v[40:41], v[42:43] op_sel_hi:[1,0,1]
	s_nop 0
	v_mov_b32_e32 v45, v37
	scratch_store_dwordx2 off, v[44:45], off offset:32
.LBB15_31:
	s_or_b64 exec, exec, s[0:1]
	; wave barrier
	scratch_load_dwordx2 v[36:37], off, off offset:40
	v_cmp_gt_u32_e32 vcc, 5, v0
	;; [unrolled: 46-line block ×11, first 2 shown]
	s_waitcnt vmcnt(0)
	ds_write_b64 v1, v[36:37]
	s_waitcnt lgkmcnt(0)
	; wave barrier
	s_and_saveexec_b64 s[0:1], vcc
	s_cbranch_execz .LBB15_71
; %bb.68:
	v_mov_b32_e32 v36, 0
	v_add_u32_e32 v35, -1, v0
	v_add_u32_e32 v39, 0x80, v34
	v_mov_b32_e32 v40, v34
	s_mov_b64 s[4:5], 0
	v_mov_b32_e32 v37, v36
.LBB15_69:                              ; =>This Inner Loop Header: Depth=1
	scratch_load_dwordx2 v[42:43], v40, off
	ds_read_b64 v[44:45], v39
	v_add_u32_e32 v35, 1, v35
	v_cmp_lt_u32_e32 vcc, 12, v35
	v_add_u32_e32 v39, 8, v39
	v_add_u32_e32 v40, 8, v40
	s_or_b64 s[4:5], vcc, s[4:5]
	s_waitcnt vmcnt(0) lgkmcnt(0)
	v_pk_mul_f32 v[46:47], v[44:45], v[42:43] op_sel:[1,1] op_sel_hi:[0,1]
	v_pk_fma_f32 v[48:49], v[44:45], v[42:43], v[46:47] neg_lo:[0,0,1] neg_hi:[0,0,1]
	v_pk_fma_f32 v[42:43], v[44:45], v[42:43], v[46:47] op_sel_hi:[1,0,1]
	s_nop 0
	v_mov_b32_e32 v49, v43
	v_pk_add_f32 v[36:37], v[36:37], v[48:49]
	s_andn2_b64 exec, exec, s[4:5]
	s_cbranch_execnz .LBB15_69
; %bb.70:
	s_or_b64 exec, exec, s[4:5]
	v_mov_b32_e32 v35, 0
	ds_read_b64 v[40:41], v35 offset:112
	s_waitcnt lgkmcnt(0)
	v_pk_mul_f32 v[42:43], v[36:37], v[40:41] op_sel:[1,1] op_sel_hi:[0,1]
	v_pk_fma_f32 v[44:45], v[36:37], v[40:41], v[42:43] neg_lo:[0,0,1] neg_hi:[0,0,1]
	v_pk_fma_f32 v[36:37], v[36:37], v[40:41], v[42:43] op_sel_hi:[1,0,1]
	s_nop 0
	v_mov_b32_e32 v45, v37
	scratch_store_dwordx2 off, v[44:45], off offset:112
.LBB15_71:
	s_or_b64 exec, exec, s[0:1]
	; wave barrier
	scratch_load_dwordx2 v[36:37], off, off offset:120
	v_cmp_ne_u32_e32 vcc, 15, v0
	s_waitcnt vmcnt(0)
	ds_write_b64 v1, v[36:37]
	s_waitcnt lgkmcnt(0)
	; wave barrier
	s_and_saveexec_b64 s[0:1], vcc
	s_cbranch_execz .LBB15_75
; %bb.72:
	v_add_u32_e32 v1, 0x80, v34
	v_mov_b32_e32 v36, v34
	v_mov_b32_e32 v34, 0
	s_mov_b64 s[4:5], 0
	v_mov_b32_e32 v35, v34
.LBB15_73:                              ; =>This Inner Loop Header: Depth=1
	scratch_load_dwordx2 v[40:41], v36, off
	ds_read_b64 v[42:43], v1
	v_add_u32_e32 v38, 1, v38
	v_cmp_lt_u32_e32 vcc, 13, v38
	v_add_u32_e32 v1, 8, v1
	v_add_u32_e32 v36, 8, v36
	s_or_b64 s[4:5], vcc, s[4:5]
	s_waitcnt vmcnt(0) lgkmcnt(0)
	v_pk_mul_f32 v[44:45], v[42:43], v[40:41] op_sel:[1,1] op_sel_hi:[0,1]
	v_pk_fma_f32 v[46:47], v[42:43], v[40:41], v[44:45] neg_lo:[0,0,1] neg_hi:[0,0,1]
	v_pk_fma_f32 v[40:41], v[42:43], v[40:41], v[44:45] op_sel_hi:[1,0,1]
	s_nop 0
	v_mov_b32_e32 v47, v41
	v_pk_add_f32 v[34:35], v[34:35], v[46:47]
	s_andn2_b64 exec, exec, s[4:5]
	s_cbranch_execnz .LBB15_73
; %bb.74:
	s_or_b64 exec, exec, s[4:5]
	v_mov_b32_e32 v1, 0
	ds_read_b64 v[36:37], v1 offset:120
	s_waitcnt lgkmcnt(0)
	v_pk_mul_f32 v[38:39], v[34:35], v[36:37] op_sel:[1,1] op_sel_hi:[0,1]
	v_pk_fma_f32 v[40:41], v[34:35], v[36:37], v[38:39] neg_lo:[0,0,1] neg_hi:[0,0,1]
	v_pk_fma_f32 v[34:35], v[34:35], v[36:37], v[38:39] op_sel_hi:[1,0,1]
	s_nop 0
	v_mov_b32_e32 v41, v35
	scratch_store_dwordx2 off, v[40:41], off offset:120
.LBB15_75:
	s_or_b64 exec, exec, s[0:1]
	s_mov_b64 s[4:5], -1
	; wave barrier
.LBB15_76:
	s_and_b64 vcc, exec, s[4:5]
	s_cbranch_vccz .LBB15_78
; %bb.77:
	s_lshl_b64 s[0:1], s[2:3], 2
	s_add_u32 s0, s6, s0
	s_addc_u32 s1, s7, s1
	v_mov_b32_e32 v1, 0
	global_load_dword v1, v1, s[0:1]
	s_waitcnt vmcnt(0)
	v_cmp_ne_u32_e32 vcc, 0, v1
	s_cbranch_vccz .LBB15_79
.LBB15_78:
	s_endpgm
.LBB15_79:
	v_mov_b32_e32 v1, 0x80
	v_lshl_add_u32 v1, v0, 3, v1
	v_cmp_eq_u32_e32 vcc, 15, v0
	s_and_saveexec_b64 s[0:1], vcc
	s_cbranch_execz .LBB15_81
; %bb.80:
	scratch_load_dwordx2 v[34:35], off, off offset:112
	v_mov_b32_e32 v36, 0
	v_mov_b32_e32 v37, v36
	scratch_store_dwordx2 off, v[36:37], off offset:112
	s_waitcnt vmcnt(1)
	ds_write_b64 v1, v[34:35]
.LBB15_81:
	s_or_b64 exec, exec, s[0:1]
	s_waitcnt lgkmcnt(0)
	; wave barrier
	scratch_load_dwordx2 v[36:37], off, off offset:120
	scratch_load_dwordx2 v[38:39], off, off offset:112
	v_mov_b32_e32 v34, 0
	ds_read_b64 v[40:41], v34 offset:248
	v_cmp_lt_u32_e32 vcc, 13, v0
	s_waitcnt vmcnt(1) lgkmcnt(0)
	v_pk_mul_f32 v[42:43], v[40:41], v[36:37] op_sel:[1,1] op_sel_hi:[0,1]
	v_pk_fma_f32 v[44:45], v[40:41], v[36:37], v[42:43] neg_lo:[0,0,1] neg_hi:[0,0,1]
	v_pk_fma_f32 v[36:37], v[40:41], v[36:37], v[42:43] op_sel_hi:[1,0,1]
	s_nop 0
	v_mov_b32_e32 v45, v37
	v_pk_add_f32 v[36:37], v[44:45], 0 op_sel_hi:[1,0]
	s_waitcnt vmcnt(0)
	v_pk_add_f32 v[36:37], v[38:39], v[36:37] neg_lo:[0,1] neg_hi:[0,1]
	scratch_store_dwordx2 off, v[36:37], off offset:112
	s_and_saveexec_b64 s[0:1], vcc
	s_cbranch_execz .LBB15_83
; %bb.82:
	scratch_load_dwordx2 v[36:37], off, off offset:104
	v_mov_b32_e32 v35, v34
	scratch_store_dwordx2 off, v[34:35], off offset:104
	s_waitcnt vmcnt(1)
	ds_write_b64 v1, v[36:37]
.LBB15_83:
	s_or_b64 exec, exec, s[0:1]
	s_waitcnt lgkmcnt(0)
	; wave barrier
	scratch_load_dwordx4 v[36:39], off, off offset:112
	scratch_load_dwordx2 v[44:45], off, off offset:104
	ds_read_b128 v[40:43], v34 offset:240
	v_cmp_lt_u32_e32 vcc, 12, v0
	s_waitcnt vmcnt(1) lgkmcnt(0)
	v_pk_mul_f32 v[34:35], v[40:41], v[36:37] op_sel:[1,1] op_sel_hi:[0,1]
	v_mov_b32_e32 v46, v39
	v_pk_fma_f32 v[48:49], v[40:41], v[36:37], v[34:35] neg_lo:[0,0,1] neg_hi:[0,0,1]
	v_pk_fma_f32 v[34:35], v[40:41], v[36:37], v[34:35] op_sel_hi:[1,0,1]
	v_pk_mul_f32 v[36:37], v[42:43], v[46:47] op_sel:[1,0] op_sel_hi:[0,0]
	v_mov_b32_e32 v49, v35
	v_pk_fma_f32 v[34:35], v[42:43], v[38:39], v[36:37] neg_lo:[0,0,1] neg_hi:[0,0,1]
	v_pk_fma_f32 v[36:37], v[42:43], v[38:39], v[36:37] op_sel_hi:[1,0,1]
	v_pk_add_f32 v[38:39], v[48:49], 0 op_sel_hi:[1,0]
	v_mov_b32_e32 v35, v37
	v_pk_add_f32 v[34:35], v[38:39], v[34:35]
	s_waitcnt vmcnt(0)
	v_pk_add_f32 v[34:35], v[44:45], v[34:35] neg_lo:[0,1] neg_hi:[0,1]
	scratch_store_dwordx2 off, v[34:35], off offset:104
	s_and_saveexec_b64 s[0:1], vcc
	s_cbranch_execz .LBB15_85
; %bb.84:
	scratch_load_dwordx2 v[34:35], off, off offset:96
	v_mov_b32_e32 v36, 0
	v_mov_b32_e32 v37, v36
	scratch_store_dwordx2 off, v[36:37], off offset:96
	s_waitcnt vmcnt(1)
	ds_write_b64 v1, v[34:35]
.LBB15_85:
	s_or_b64 exec, exec, s[0:1]
	s_waitcnt lgkmcnt(0)
	; wave barrier
	scratch_load_dwordx4 v[36:39], off, off offset:104
	scratch_load_dwordx2 v[44:45], off, off offset:120
	scratch_load_dwordx2 v[46:47], off, off offset:96
	v_mov_b32_e32 v34, 0
	ds_read2_b64 v[40:43], v34 offset0:29 offset1:30
	ds_read_b64 v[48:49], v34 offset:248
	v_cmp_lt_u32_e32 vcc, 11, v0
	s_waitcnt vmcnt(2) lgkmcnt(1)
	v_pk_mul_f32 v[50:51], v[40:41], v[36:37] op_sel:[1,1] op_sel_hi:[0,1]
	v_mov_b32_e32 v52, v39
	v_pk_fma_f32 v[56:57], v[40:41], v[36:37], v[50:51] neg_lo:[0,0,1] neg_hi:[0,0,1]
	v_pk_fma_f32 v[36:37], v[40:41], v[36:37], v[50:51] op_sel_hi:[1,0,1]
	v_pk_mul_f32 v[40:41], v[42:43], v[52:53] op_sel:[1,0] op_sel_hi:[0,0]
	s_waitcnt vmcnt(1) lgkmcnt(0)
	v_pk_mul_f32 v[54:55], v[48:49], v[44:45] op_sel:[1,1] op_sel_hi:[0,1]
	v_mov_b32_e32 v57, v37
	v_pk_fma_f32 v[36:37], v[42:43], v[38:39], v[40:41] neg_lo:[0,0,1] neg_hi:[0,0,1]
	v_pk_fma_f32 v[38:39], v[42:43], v[38:39], v[40:41] op_sel_hi:[1,0,1]
	v_pk_fma_f32 v[50:51], v[48:49], v[44:45], v[54:55] neg_lo:[0,0,1] neg_hi:[0,0,1]
	v_pk_fma_f32 v[44:45], v[48:49], v[44:45], v[54:55] op_sel_hi:[1,0,1]
	v_pk_add_f32 v[40:41], v[56:57], 0 op_sel_hi:[1,0]
	v_mov_b32_e32 v37, v39
	v_mov_b32_e32 v51, v45
	v_pk_add_f32 v[36:37], v[40:41], v[36:37]
	s_nop 0
	v_pk_add_f32 v[36:37], v[36:37], v[50:51]
	s_waitcnt vmcnt(0)
	v_pk_add_f32 v[36:37], v[46:47], v[36:37] neg_lo:[0,1] neg_hi:[0,1]
	scratch_store_dwordx2 off, v[36:37], off offset:96
	s_and_saveexec_b64 s[0:1], vcc
	s_cbranch_execz .LBB15_87
; %bb.86:
	scratch_load_dwordx2 v[36:37], off, off offset:88
	v_mov_b32_e32 v35, v34
	scratch_store_dwordx2 off, v[34:35], off offset:88
	s_waitcnt vmcnt(1)
	ds_write_b64 v1, v[36:37]
.LBB15_87:
	s_or_b64 exec, exec, s[0:1]
	s_waitcnt lgkmcnt(0)
	; wave barrier
	scratch_load_dwordx4 v[36:39], off, off offset:96
	scratch_load_dwordx4 v[40:43], off, off offset:112
	scratch_load_dwordx2 v[52:53], off, off offset:88
	ds_read_b128 v[44:47], v34 offset:224
	ds_read_b128 v[48:51], v34 offset:240
	v_cmp_lt_u32_e32 vcc, 10, v0
	s_waitcnt vmcnt(2) lgkmcnt(1)
	v_pk_mul_f32 v[34:35], v[44:45], v[36:37] op_sel:[1,1] op_sel_hi:[0,1]
	v_mov_b32_e32 v54, v39
	s_waitcnt vmcnt(1) lgkmcnt(0)
	v_pk_mul_f32 v[56:57], v[48:49], v[40:41] op_sel:[1,1] op_sel_hi:[0,1]
	v_mov_b32_e32 v58, v43
	v_pk_fma_f32 v[60:61], v[44:45], v[36:37], v[34:35] neg_lo:[0,0,1] neg_hi:[0,0,1]
	v_pk_fma_f32 v[34:35], v[44:45], v[36:37], v[34:35] op_sel_hi:[1,0,1]
	v_pk_mul_f32 v[36:37], v[46:47], v[54:55] op_sel:[1,0] op_sel_hi:[0,0]
	v_pk_fma_f32 v[44:45], v[48:49], v[40:41], v[56:57] neg_lo:[0,0,1] neg_hi:[0,0,1]
	v_pk_fma_f32 v[40:41], v[48:49], v[40:41], v[56:57] op_sel_hi:[1,0,1]
	v_pk_mul_f32 v[48:49], v[50:51], v[58:59] op_sel:[1,0] op_sel_hi:[0,0]
	v_mov_b32_e32 v61, v35
	v_pk_fma_f32 v[34:35], v[46:47], v[38:39], v[36:37] neg_lo:[0,0,1] neg_hi:[0,0,1]
	v_pk_fma_f32 v[36:37], v[46:47], v[38:39], v[36:37] op_sel_hi:[1,0,1]
	v_mov_b32_e32 v45, v41
	v_pk_fma_f32 v[38:39], v[50:51], v[42:43], v[48:49] neg_lo:[0,0,1] neg_hi:[0,0,1]
	v_pk_fma_f32 v[40:41], v[50:51], v[42:43], v[48:49] op_sel_hi:[1,0,1]
	v_pk_add_f32 v[42:43], v[60:61], 0 op_sel_hi:[1,0]
	v_mov_b32_e32 v35, v37
	v_pk_add_f32 v[34:35], v[42:43], v[34:35]
	v_mov_b32_e32 v39, v41
	v_pk_add_f32 v[34:35], v[34:35], v[44:45]
	s_nop 0
	v_pk_add_f32 v[34:35], v[34:35], v[38:39]
	s_waitcnt vmcnt(0)
	v_pk_add_f32 v[34:35], v[52:53], v[34:35] neg_lo:[0,1] neg_hi:[0,1]
	scratch_store_dwordx2 off, v[34:35], off offset:88
	s_and_saveexec_b64 s[0:1], vcc
	s_cbranch_execz .LBB15_89
; %bb.88:
	scratch_load_dwordx2 v[34:35], off, off offset:80
	v_mov_b32_e32 v36, 0
	v_mov_b32_e32 v37, v36
	scratch_store_dwordx2 off, v[36:37], off offset:80
	s_waitcnt vmcnt(1)
	ds_write_b64 v1, v[34:35]
.LBB15_89:
	s_or_b64 exec, exec, s[0:1]
	s_waitcnt lgkmcnt(0)
	; wave barrier
	scratch_load_dwordx4 v[36:39], off, off offset:88
	scratch_load_dwordx4 v[40:43], off, off offset:104
	scratch_load_dwordx2 v[52:53], off, off offset:120
	scratch_load_dwordx2 v[54:55], off, off offset:80
	v_mov_b32_e32 v34, 0
	ds_read2_b64 v[44:47], v34 offset0:27 offset1:28
	ds_read2_b64 v[48:51], v34 offset0:29 offset1:30
	ds_read_b64 v[56:57], v34 offset:248
	v_cmp_lt_u32_e32 vcc, 9, v0
	s_waitcnt vmcnt(3) lgkmcnt(2)
	v_pk_mul_f32 v[58:59], v[44:45], v[36:37] op_sel:[1,1] op_sel_hi:[0,1]
	v_mov_b32_e32 v60, v39
	v_pk_fma_f32 v[68:69], v[44:45], v[36:37], v[58:59] neg_lo:[0,0,1] neg_hi:[0,0,1]
	v_pk_fma_f32 v[36:37], v[44:45], v[36:37], v[58:59] op_sel_hi:[1,0,1]
	v_pk_mul_f32 v[44:45], v[46:47], v[60:61] op_sel:[1,0] op_sel_hi:[0,0]
	s_waitcnt vmcnt(2) lgkmcnt(1)
	v_pk_mul_f32 v[62:63], v[48:49], v[40:41] op_sel:[1,1] op_sel_hi:[0,1]
	v_mov_b32_e32 v64, v43
	v_mov_b32_e32 v69, v37
	v_pk_fma_f32 v[36:37], v[46:47], v[38:39], v[44:45] neg_lo:[0,0,1] neg_hi:[0,0,1]
	v_pk_fma_f32 v[38:39], v[46:47], v[38:39], v[44:45] op_sel_hi:[1,0,1]
	v_pk_fma_f32 v[58:59], v[48:49], v[40:41], v[62:63] neg_lo:[0,0,1] neg_hi:[0,0,1]
	v_pk_fma_f32 v[40:41], v[48:49], v[40:41], v[62:63] op_sel_hi:[1,0,1]
	v_pk_mul_f32 v[48:49], v[50:51], v[64:65] op_sel:[1,0] op_sel_hi:[0,0]
	v_pk_add_f32 v[44:45], v[68:69], 0 op_sel_hi:[1,0]
	v_mov_b32_e32 v37, v39
	s_waitcnt vmcnt(1) lgkmcnt(0)
	v_pk_mul_f32 v[66:67], v[56:57], v[52:53] op_sel:[1,1] op_sel_hi:[0,1]
	v_mov_b32_e32 v59, v41
	v_pk_fma_f32 v[40:41], v[50:51], v[42:43], v[48:49] neg_lo:[0,0,1] neg_hi:[0,0,1]
	v_pk_fma_f32 v[42:43], v[50:51], v[42:43], v[48:49] op_sel_hi:[1,0,1]
	v_pk_add_f32 v[36:37], v[44:45], v[36:37]
	v_pk_fma_f32 v[60:61], v[56:57], v[52:53], v[66:67] neg_lo:[0,0,1] neg_hi:[0,0,1]
	v_pk_fma_f32 v[52:53], v[56:57], v[52:53], v[66:67] op_sel_hi:[1,0,1]
	v_mov_b32_e32 v41, v43
	v_pk_add_f32 v[36:37], v[36:37], v[58:59]
	v_mov_b32_e32 v61, v53
	v_pk_add_f32 v[36:37], v[36:37], v[40:41]
	s_nop 0
	v_pk_add_f32 v[36:37], v[36:37], v[60:61]
	s_waitcnt vmcnt(0)
	v_pk_add_f32 v[36:37], v[54:55], v[36:37] neg_lo:[0,1] neg_hi:[0,1]
	scratch_store_dwordx2 off, v[36:37], off offset:80
	s_and_saveexec_b64 s[0:1], vcc
	s_cbranch_execz .LBB15_91
; %bb.90:
	scratch_load_dwordx2 v[36:37], off, off offset:72
	v_mov_b32_e32 v35, v34
	scratch_store_dwordx2 off, v[34:35], off offset:72
	s_waitcnt vmcnt(1)
	ds_write_b64 v1, v[36:37]
.LBB15_91:
	s_or_b64 exec, exec, s[0:1]
	s_waitcnt lgkmcnt(0)
	; wave barrier
	scratch_load_dwordx4 v[36:39], off, off offset:80
	scratch_load_dwordx4 v[40:43], off, off offset:96
	;; [unrolled: 1-line block ×3, first 2 shown]
	scratch_load_dwordx2 v[60:61], off, off offset:72
	ds_read_b128 v[48:51], v34 offset:208
	ds_read_b128 v[52:55], v34 offset:224
	;; [unrolled: 1-line block ×3, first 2 shown]
	v_cmp_lt_u32_e32 vcc, 8, v0
	s_waitcnt vmcnt(3) lgkmcnt(2)
	v_pk_mul_f32 v[34:35], v[48:49], v[36:37] op_sel:[1,1] op_sel_hi:[0,1]
	v_mov_b32_e32 v62, v39
	s_waitcnt vmcnt(2) lgkmcnt(1)
	v_pk_mul_f32 v[64:65], v[52:53], v[40:41] op_sel:[1,1] op_sel_hi:[0,1]
	v_mov_b32_e32 v66, v43
	;; [unrolled: 3-line block ×3, first 2 shown]
	v_pk_fma_f32 v[72:73], v[48:49], v[36:37], v[34:35] neg_lo:[0,0,1] neg_hi:[0,0,1]
	v_pk_fma_f32 v[34:35], v[48:49], v[36:37], v[34:35] op_sel_hi:[1,0,1]
	v_pk_mul_f32 v[36:37], v[50:51], v[62:63] op_sel:[1,0] op_sel_hi:[0,0]
	v_pk_fma_f32 v[48:49], v[52:53], v[40:41], v[64:65] neg_lo:[0,0,1] neg_hi:[0,0,1]
	v_pk_fma_f32 v[40:41], v[52:53], v[40:41], v[64:65] op_sel_hi:[1,0,1]
	v_pk_mul_f32 v[52:53], v[54:55], v[66:67] op_sel:[1,0] op_sel_hi:[0,0]
	;; [unrolled: 3-line block ×3, first 2 shown]
	v_mov_b32_e32 v73, v35
	v_pk_fma_f32 v[34:35], v[50:51], v[38:39], v[36:37] neg_lo:[0,0,1] neg_hi:[0,0,1]
	v_pk_fma_f32 v[36:37], v[50:51], v[38:39], v[36:37] op_sel_hi:[1,0,1]
	v_mov_b32_e32 v49, v41
	v_pk_fma_f32 v[38:39], v[54:55], v[42:43], v[52:53] neg_lo:[0,0,1] neg_hi:[0,0,1]
	v_pk_fma_f32 v[40:41], v[54:55], v[42:43], v[52:53] op_sel_hi:[1,0,1]
	;; [unrolled: 3-line block ×3, first 2 shown]
	v_pk_add_f32 v[46:47], v[72:73], 0 op_sel_hi:[1,0]
	v_mov_b32_e32 v35, v37
	v_pk_add_f32 v[34:35], v[46:47], v[34:35]
	v_mov_b32_e32 v39, v41
	v_pk_add_f32 v[34:35], v[34:35], v[48:49]
	;; [unrolled: 2-line block ×3, first 2 shown]
	s_nop 0
	v_pk_add_f32 v[34:35], v[34:35], v[62:63]
	s_nop 0
	v_pk_add_f32 v[34:35], v[34:35], v[42:43]
	s_waitcnt vmcnt(0)
	v_pk_add_f32 v[34:35], v[60:61], v[34:35] neg_lo:[0,1] neg_hi:[0,1]
	scratch_store_dwordx2 off, v[34:35], off offset:72
	s_and_saveexec_b64 s[0:1], vcc
	s_cbranch_execz .LBB15_93
; %bb.92:
	scratch_load_dwordx2 v[34:35], off, off offset:64
	v_mov_b32_e32 v36, 0
	v_mov_b32_e32 v37, v36
	scratch_store_dwordx2 off, v[36:37], off offset:64
	s_waitcnt vmcnt(1)
	ds_write_b64 v1, v[34:35]
.LBB15_93:
	s_or_b64 exec, exec, s[0:1]
	s_waitcnt lgkmcnt(0)
	; wave barrier
	scratch_load_dwordx4 v[36:39], off, off offset:72
	scratch_load_dwordx4 v[40:43], off, off offset:88
	;; [unrolled: 1-line block ×3, first 2 shown]
	scratch_load_dwordx2 v[60:61], off, off offset:120
	scratch_load_dwordx2 v[62:63], off, off offset:64
	v_mov_b32_e32 v34, 0
	ds_read2_b64 v[48:51], v34 offset0:25 offset1:26
	ds_read2_b64 v[52:55], v34 offset0:27 offset1:28
	;; [unrolled: 1-line block ×3, first 2 shown]
	ds_read_b64 v[64:65], v34 offset:248
	v_cmp_lt_u32_e32 vcc, 7, v0
	s_waitcnt vmcnt(4) lgkmcnt(3)
	v_pk_mul_f32 v[66:67], v[48:49], v[36:37] op_sel:[1,1] op_sel_hi:[0,1]
	v_mov_b32_e32 v68, v39
	v_pk_fma_f32 v[80:81], v[48:49], v[36:37], v[66:67] neg_lo:[0,0,1] neg_hi:[0,0,1]
	v_pk_fma_f32 v[36:37], v[48:49], v[36:37], v[66:67] op_sel_hi:[1,0,1]
	v_pk_mul_f32 v[48:49], v[50:51], v[68:69] op_sel:[1,0] op_sel_hi:[0,0]
	s_waitcnt vmcnt(3) lgkmcnt(2)
	v_pk_mul_f32 v[70:71], v[52:53], v[40:41] op_sel:[1,1] op_sel_hi:[0,1]
	v_mov_b32_e32 v72, v43
	v_mov_b32_e32 v81, v37
	v_pk_fma_f32 v[36:37], v[50:51], v[38:39], v[48:49] neg_lo:[0,0,1] neg_hi:[0,0,1]
	v_pk_fma_f32 v[38:39], v[50:51], v[38:39], v[48:49] op_sel_hi:[1,0,1]
	v_pk_fma_f32 v[66:67], v[52:53], v[40:41], v[70:71] neg_lo:[0,0,1] neg_hi:[0,0,1]
	v_pk_fma_f32 v[40:41], v[52:53], v[40:41], v[70:71] op_sel_hi:[1,0,1]
	v_pk_mul_f32 v[52:53], v[54:55], v[72:73] op_sel:[1,0] op_sel_hi:[0,0]
	v_pk_add_f32 v[48:49], v[80:81], 0 op_sel_hi:[1,0]
	v_mov_b32_e32 v37, v39
	s_waitcnt vmcnt(2) lgkmcnt(1)
	v_pk_mul_f32 v[74:75], v[56:57], v[44:45] op_sel:[1,1] op_sel_hi:[0,1]
	v_mov_b32_e32 v76, v47
	v_mov_b32_e32 v67, v41
	v_pk_fma_f32 v[40:41], v[54:55], v[42:43], v[52:53] neg_lo:[0,0,1] neg_hi:[0,0,1]
	v_pk_fma_f32 v[42:43], v[54:55], v[42:43], v[52:53] op_sel_hi:[1,0,1]
	v_pk_add_f32 v[36:37], v[48:49], v[36:37]
	v_pk_fma_f32 v[68:69], v[56:57], v[44:45], v[74:75] neg_lo:[0,0,1] neg_hi:[0,0,1]
	v_pk_fma_f32 v[44:45], v[56:57], v[44:45], v[74:75] op_sel_hi:[1,0,1]
	v_pk_mul_f32 v[56:57], v[58:59], v[76:77] op_sel:[1,0] op_sel_hi:[0,0]
	v_mov_b32_e32 v41, v43
	v_pk_add_f32 v[36:37], v[36:37], v[66:67]
	s_waitcnt vmcnt(1) lgkmcnt(0)
	v_pk_mul_f32 v[78:79], v[64:65], v[60:61] op_sel:[1,1] op_sel_hi:[0,1]
	v_mov_b32_e32 v69, v45
	v_pk_fma_f32 v[44:45], v[58:59], v[46:47], v[56:57] neg_lo:[0,0,1] neg_hi:[0,0,1]
	v_pk_fma_f32 v[46:47], v[58:59], v[46:47], v[56:57] op_sel_hi:[1,0,1]
	v_pk_add_f32 v[36:37], v[36:37], v[40:41]
	v_pk_fma_f32 v[70:71], v[64:65], v[60:61], v[78:79] neg_lo:[0,0,1] neg_hi:[0,0,1]
	v_pk_fma_f32 v[60:61], v[64:65], v[60:61], v[78:79] op_sel_hi:[1,0,1]
	v_mov_b32_e32 v45, v47
	v_pk_add_f32 v[36:37], v[36:37], v[68:69]
	v_mov_b32_e32 v71, v61
	v_pk_add_f32 v[36:37], v[36:37], v[44:45]
	s_nop 0
	v_pk_add_f32 v[36:37], v[36:37], v[70:71]
	s_waitcnt vmcnt(0)
	v_pk_add_f32 v[36:37], v[62:63], v[36:37] neg_lo:[0,1] neg_hi:[0,1]
	scratch_store_dwordx2 off, v[36:37], off offset:64
	s_and_saveexec_b64 s[0:1], vcc
	s_cbranch_execz .LBB15_95
; %bb.94:
	scratch_load_dwordx2 v[36:37], off, off offset:56
	v_mov_b32_e32 v35, v34
	scratch_store_dwordx2 off, v[34:35], off offset:56
	s_waitcnt vmcnt(1)
	ds_write_b64 v1, v[36:37]
.LBB15_95:
	s_or_b64 exec, exec, s[0:1]
	s_waitcnt lgkmcnt(0)
	; wave barrier
	scratch_load_dwordx4 v[36:39], off, off offset:64
	scratch_load_dwordx4 v[40:43], off, off offset:80
	;; [unrolled: 1-line block ×4, first 2 shown]
	scratch_load_dwordx2 v[68:69], off, off offset:56
	ds_read_b128 v[52:55], v34 offset:192
	ds_read_b128 v[56:59], v34 offset:208
	;; [unrolled: 1-line block ×4, first 2 shown]
	v_cmp_lt_u32_e32 vcc, 6, v0
	s_waitcnt vmcnt(4) lgkmcnt(3)
	v_pk_mul_f32 v[34:35], v[52:53], v[36:37] op_sel:[1,1] op_sel_hi:[0,1]
	v_mov_b32_e32 v70, v39
	s_waitcnt vmcnt(3) lgkmcnt(2)
	v_pk_mul_f32 v[72:73], v[56:57], v[40:41] op_sel:[1,1] op_sel_hi:[0,1]
	v_mov_b32_e32 v74, v43
	;; [unrolled: 3-line block ×4, first 2 shown]
	v_pk_fma_f32 v[84:85], v[52:53], v[36:37], v[34:35] neg_lo:[0,0,1] neg_hi:[0,0,1]
	v_pk_fma_f32 v[34:35], v[52:53], v[36:37], v[34:35] op_sel_hi:[1,0,1]
	v_pk_mul_f32 v[36:37], v[54:55], v[70:71] op_sel:[1,0] op_sel_hi:[0,0]
	v_pk_fma_f32 v[52:53], v[56:57], v[40:41], v[72:73] neg_lo:[0,0,1] neg_hi:[0,0,1]
	v_pk_fma_f32 v[40:41], v[56:57], v[40:41], v[72:73] op_sel_hi:[1,0,1]
	v_pk_mul_f32 v[56:57], v[58:59], v[74:75] op_sel:[1,0] op_sel_hi:[0,0]
	;; [unrolled: 3-line block ×4, first 2 shown]
	v_mov_b32_e32 v85, v35
	v_pk_fma_f32 v[34:35], v[54:55], v[38:39], v[36:37] neg_lo:[0,0,1] neg_hi:[0,0,1]
	v_pk_fma_f32 v[36:37], v[54:55], v[38:39], v[36:37] op_sel_hi:[1,0,1]
	v_mov_b32_e32 v53, v41
	v_pk_fma_f32 v[38:39], v[58:59], v[42:43], v[56:57] neg_lo:[0,0,1] neg_hi:[0,0,1]
	v_pk_fma_f32 v[40:41], v[58:59], v[42:43], v[56:57] op_sel_hi:[1,0,1]
	;; [unrolled: 3-line block ×4, first 2 shown]
	v_pk_add_f32 v[50:51], v[84:85], 0 op_sel_hi:[1,0]
	v_mov_b32_e32 v35, v37
	v_pk_add_f32 v[34:35], v[50:51], v[34:35]
	v_mov_b32_e32 v39, v41
	v_pk_add_f32 v[34:35], v[34:35], v[52:53]
	;; [unrolled: 2-line block ×4, first 2 shown]
	s_nop 0
	v_pk_add_f32 v[34:35], v[34:35], v[42:43]
	s_nop 0
	v_pk_add_f32 v[34:35], v[34:35], v[72:73]
	;; [unrolled: 2-line block ×3, first 2 shown]
	s_waitcnt vmcnt(0)
	v_pk_add_f32 v[34:35], v[68:69], v[34:35] neg_lo:[0,1] neg_hi:[0,1]
	scratch_store_dwordx2 off, v[34:35], off offset:56
	s_and_saveexec_b64 s[0:1], vcc
	s_cbranch_execz .LBB15_97
; %bb.96:
	scratch_load_dwordx2 v[34:35], off, off offset:48
	v_mov_b32_e32 v36, 0
	v_mov_b32_e32 v37, v36
	scratch_store_dwordx2 off, v[36:37], off offset:48
	s_waitcnt vmcnt(1)
	ds_write_b64 v1, v[34:35]
.LBB15_97:
	s_or_b64 exec, exec, s[0:1]
	s_waitcnt lgkmcnt(0)
	; wave barrier
	scratch_load_dwordx4 v[36:39], off, off offset:56
	scratch_load_dwordx4 v[40:43], off, off offset:72
	scratch_load_dwordx4 v[44:47], off, off offset:88
	scratch_load_dwordx4 v[48:51], off, off offset:104
	scratch_load_dwordx2 v[68:69], off, off offset:120
	scratch_load_dwordx2 v[70:71], off, off offset:48
	v_mov_b32_e32 v34, 0
	ds_read2_b64 v[52:55], v34 offset0:23 offset1:24
	ds_read2_b64 v[56:59], v34 offset0:25 offset1:26
	;; [unrolled: 1-line block ×4, first 2 shown]
	ds_read_b64 v[72:73], v34 offset:248
	v_cmp_lt_u32_e32 vcc, 5, v0
	s_waitcnt vmcnt(5) lgkmcnt(4)
	v_mul_f32_e32 v75, v52, v37
	v_mul_f32_e32 v35, v53, v37
	v_mov_b32_e32 v76, v39
	s_waitcnt vmcnt(4) lgkmcnt(3)
	v_pk_mul_f32 v[78:79], v[56:57], v[40:41] op_sel:[1,1] op_sel_hi:[0,1]
	v_mov_b32_e32 v80, v43
	s_waitcnt vmcnt(1) lgkmcnt(0)
	v_pk_mul_f32 v[90:91], v[72:73], v[68:69] op_sel:[1,1] op_sel_hi:[0,1]
	v_fmac_f32_e32 v75, v53, v36
	v_fma_f32 v74, v52, v36, -v35
	v_pk_mul_f32 v[36:37], v[54:55], v[76:77] op_sel:[1,0] op_sel_hi:[0,0]
	v_pk_fma_f32 v[52:53], v[56:57], v[40:41], v[78:79] neg_lo:[0,0,1] neg_hi:[0,0,1]
	v_pk_fma_f32 v[40:41], v[56:57], v[40:41], v[78:79] op_sel_hi:[1,0,1]
	v_pk_mul_f32 v[56:57], v[58:59], v[80:81] op_sel:[1,0] op_sel_hi:[0,0]
	v_pk_fma_f32 v[80:81], v[72:73], v[68:69], v[90:91] neg_lo:[0,0,1] neg_hi:[0,0,1]
	v_pk_fma_f32 v[68:69], v[72:73], v[68:69], v[90:91] op_sel_hi:[1,0,1]
	v_pk_add_f32 v[72:73], v[74:75], 0 op_sel_hi:[1,0]
	v_pk_fma_f32 v[74:75], v[54:55], v[38:39], v[36:37] neg_lo:[0,0,1] neg_hi:[0,0,1]
	v_pk_fma_f32 v[36:37], v[54:55], v[38:39], v[36:37] op_sel_hi:[1,0,1]
	v_pk_mul_f32 v[82:83], v[60:61], v[44:45] op_sel:[1,1] op_sel_hi:[0,1]
	v_mov_b32_e32 v75, v37
	v_mov_b32_e32 v84, v47
	;; [unrolled: 1-line block ×3, first 2 shown]
	v_pk_fma_f32 v[38:39], v[58:59], v[42:43], v[56:57] neg_lo:[0,0,1] neg_hi:[0,0,1]
	v_pk_fma_f32 v[40:41], v[58:59], v[42:43], v[56:57] op_sel_hi:[1,0,1]
	v_pk_add_f32 v[36:37], v[72:73], v[74:75]
	v_pk_fma_f32 v[76:77], v[60:61], v[44:45], v[82:83] neg_lo:[0,0,1] neg_hi:[0,0,1]
	v_pk_fma_f32 v[44:45], v[60:61], v[44:45], v[82:83] op_sel_hi:[1,0,1]
	v_pk_mul_f32 v[60:61], v[62:63], v[84:85] op_sel:[1,0] op_sel_hi:[0,0]
	v_mov_b32_e32 v39, v41
	v_pk_add_f32 v[36:37], v[36:37], v[52:53]
	v_pk_mul_f32 v[86:87], v[64:65], v[48:49] op_sel:[1,1] op_sel_hi:[0,1]
	v_mov_b32_e32 v88, v51
	v_mov_b32_e32 v77, v45
	v_pk_fma_f32 v[42:43], v[62:63], v[46:47], v[60:61] neg_lo:[0,0,1] neg_hi:[0,0,1]
	v_pk_fma_f32 v[44:45], v[62:63], v[46:47], v[60:61] op_sel_hi:[1,0,1]
	v_pk_add_f32 v[36:37], v[36:37], v[38:39]
	v_pk_fma_f32 v[78:79], v[64:65], v[48:49], v[86:87] neg_lo:[0,0,1] neg_hi:[0,0,1]
	v_pk_fma_f32 v[48:49], v[64:65], v[48:49], v[86:87] op_sel_hi:[1,0,1]
	v_pk_mul_f32 v[64:65], v[66:67], v[88:89] op_sel:[1,0] op_sel_hi:[0,0]
	v_mov_b32_e32 v43, v45
	v_pk_add_f32 v[36:37], v[36:37], v[76:77]
	v_mov_b32_e32 v79, v49
	v_pk_fma_f32 v[46:47], v[66:67], v[50:51], v[64:65] neg_lo:[0,0,1] neg_hi:[0,0,1]
	v_pk_fma_f32 v[48:49], v[66:67], v[50:51], v[64:65] op_sel_hi:[1,0,1]
	v_pk_add_f32 v[36:37], v[36:37], v[42:43]
	v_mov_b32_e32 v47, v49
	v_pk_add_f32 v[36:37], v[36:37], v[78:79]
	v_mov_b32_e32 v81, v69
	v_pk_add_f32 v[36:37], v[36:37], v[46:47]
	s_nop 0
	v_pk_add_f32 v[36:37], v[36:37], v[80:81]
	s_waitcnt vmcnt(0)
	v_pk_add_f32 v[36:37], v[70:71], v[36:37] neg_lo:[0,1] neg_hi:[0,1]
	scratch_store_dwordx2 off, v[36:37], off offset:48
	s_and_saveexec_b64 s[0:1], vcc
	s_cbranch_execz .LBB15_99
; %bb.98:
	scratch_load_dwordx2 v[36:37], off, off offset:40
	v_mov_b32_e32 v35, v34
	scratch_store_dwordx2 off, v[34:35], off offset:40
	s_waitcnt vmcnt(1)
	ds_write_b64 v1, v[36:37]
.LBB15_99:
	s_or_b64 exec, exec, s[0:1]
	s_waitcnt lgkmcnt(0)
	; wave barrier
	scratch_load_dwordx4 v[36:39], off, off offset:48
	scratch_load_dwordx4 v[40:43], off, off offset:64
	;; [unrolled: 1-line block ×5, first 2 shown]
	scratch_load_dwordx2 v[76:77], off, off offset:40
	ds_read_b128 v[56:59], v34 offset:176
	ds_read_b128 v[60:63], v34 offset:192
	;; [unrolled: 1-line block ×5, first 2 shown]
	v_cmp_lt_u32_e32 vcc, 4, v0
	s_waitcnt vmcnt(5) lgkmcnt(4)
	v_mul_f32_e32 v35, v56, v37
	v_mul_f32_e32 v34, v57, v37
	;; [unrolled: 1-line block ×4, first 2 shown]
	s_waitcnt vmcnt(4) lgkmcnt(3)
	v_pk_mul_f32 v[80:81], v[60:61], v[40:41] op_sel:[1,1] op_sel_hi:[0,1]
	v_mov_b32_e32 v82, v43
	v_fmac_f32_e32 v35, v57, v36
	v_fma_f32 v34, v56, v36, -v34
	v_fmac_f32_e32 v79, v59, v38
	v_fma_f32 v78, v58, v38, -v37
	v_pk_fma_f32 v[36:37], v[60:61], v[40:41], v[80:81] neg_lo:[0,0,1] neg_hi:[0,0,1]
	v_pk_fma_f32 v[38:39], v[60:61], v[40:41], v[80:81] op_sel_hi:[1,0,1]
	v_pk_mul_f32 v[40:41], v[62:63], v[82:83] op_sel:[1,0] op_sel_hi:[0,0]
	v_pk_add_f32 v[34:35], v[34:35], 0 op_sel_hi:[1,0]
	s_waitcnt vmcnt(3) lgkmcnt(2)
	v_pk_mul_f32 v[84:85], v[64:65], v[44:45] op_sel:[1,1] op_sel_hi:[0,1]
	v_mov_b32_e32 v86, v47
	v_mov_b32_e32 v37, v39
	v_pk_fma_f32 v[38:39], v[62:63], v[42:43], v[40:41] neg_lo:[0,0,1] neg_hi:[0,0,1]
	v_pk_fma_f32 v[40:41], v[62:63], v[42:43], v[40:41] op_sel_hi:[1,0,1]
	v_pk_add_f32 v[34:35], v[34:35], v[78:79]
	v_pk_fma_f32 v[56:57], v[64:65], v[44:45], v[84:85] neg_lo:[0,0,1] neg_hi:[0,0,1]
	v_pk_fma_f32 v[44:45], v[64:65], v[44:45], v[84:85] op_sel_hi:[1,0,1]
	v_pk_mul_f32 v[58:59], v[66:67], v[86:87] op_sel:[1,0] op_sel_hi:[0,0]
	v_mov_b32_e32 v39, v41
	v_pk_add_f32 v[34:35], v[34:35], v[36:37]
	s_waitcnt vmcnt(2) lgkmcnt(1)
	v_pk_mul_f32 v[88:89], v[68:69], v[48:49] op_sel:[1,1] op_sel_hi:[0,1]
	v_mov_b32_e32 v90, v51
	v_mov_b32_e32 v57, v45
	v_pk_fma_f32 v[42:43], v[66:67], v[46:47], v[58:59] neg_lo:[0,0,1] neg_hi:[0,0,1]
	v_pk_fma_f32 v[44:45], v[66:67], v[46:47], v[58:59] op_sel_hi:[1,0,1]
	v_pk_add_f32 v[34:35], v[34:35], v[38:39]
	v_pk_fma_f32 v[60:61], v[68:69], v[48:49], v[88:89] neg_lo:[0,0,1] neg_hi:[0,0,1]
	v_pk_fma_f32 v[48:49], v[68:69], v[48:49], v[88:89] op_sel_hi:[1,0,1]
	v_pk_mul_f32 v[64:65], v[70:71], v[90:91] op_sel:[1,0] op_sel_hi:[0,0]
	v_mov_b32_e32 v43, v45
	v_pk_add_f32 v[34:35], v[34:35], v[56:57]
	;; [unrolled: 12-line block ×3, first 2 shown]
	v_mov_b32_e32 v69, v53
	v_pk_fma_f32 v[50:51], v[74:75], v[54:55], v[72:73] neg_lo:[0,0,1] neg_hi:[0,0,1]
	v_pk_fma_f32 v[52:53], v[74:75], v[54:55], v[72:73] op_sel_hi:[1,0,1]
	v_pk_add_f32 v[34:35], v[34:35], v[46:47]
	v_mov_b32_e32 v51, v53
	v_pk_add_f32 v[34:35], v[34:35], v[68:69]
	s_nop 0
	v_pk_add_f32 v[34:35], v[34:35], v[50:51]
	s_waitcnt vmcnt(0)
	v_pk_add_f32 v[34:35], v[76:77], v[34:35] neg_lo:[0,1] neg_hi:[0,1]
	scratch_store_dwordx2 off, v[34:35], off offset:40
	s_and_saveexec_b64 s[0:1], vcc
	s_cbranch_execz .LBB15_101
; %bb.100:
	scratch_load_dwordx2 v[34:35], off, off offset:32
	v_mov_b32_e32 v36, 0
	v_mov_b32_e32 v37, v36
	scratch_store_dwordx2 off, v[36:37], off offset:32
	s_waitcnt vmcnt(1)
	ds_write_b64 v1, v[34:35]
.LBB15_101:
	s_or_b64 exec, exec, s[0:1]
	s_waitcnt lgkmcnt(0)
	; wave barrier
	scratch_load_dwordx4 v[36:39], off, off offset:40
	scratch_load_dwordx4 v[40:43], off, off offset:56
	scratch_load_dwordx4 v[44:47], off, off offset:72
	scratch_load_dwordx4 v[48:51], off, off offset:88
	scratch_load_dwordx4 v[52:55], off, off offset:104
	scratch_load_dwordx2 v[76:77], off, off offset:120
	scratch_load_dwordx2 v[78:79], off, off offset:32
	v_mov_b32_e32 v34, 0
	ds_read2_b64 v[56:59], v34 offset0:21 offset1:22
	ds_read2_b64 v[60:63], v34 offset0:23 offset1:24
	;; [unrolled: 1-line block ×5, first 2 shown]
	ds_read_b64 v[80:81], v34 offset:248
	v_cmp_lt_u32_e32 vcc, 3, v0
	s_waitcnt vmcnt(6) lgkmcnt(5)
	v_mul_f32_e32 v35, v56, v37
	v_mul_f32_e32 v37, v57, v37
	;; [unrolled: 1-line block ×3, first 2 shown]
	s_waitcnt vmcnt(5) lgkmcnt(4)
	v_mul_f32_e32 v85, v60, v41
	v_mul_f32_e32 v39, v59, v39
	;; [unrolled: 1-line block ×3, first 2 shown]
	v_mov_b32_e32 v86, v43
	s_waitcnt vmcnt(3) lgkmcnt(2)
	v_pk_mul_f32 v[92:93], v[68:69], v[48:49] op_sel:[1,1] op_sel_hi:[0,1]
	s_waitcnt vmcnt(2) lgkmcnt(1)
	v_pk_mul_f32 v[96:97], v[72:73], v[52:53] op_sel:[1,1] op_sel_hi:[0,1]
	s_waitcnt vmcnt(1) lgkmcnt(0)
	v_pk_mul_f32 v[100:101], v[80:81], v[76:77] op_sel:[1,1] op_sel_hi:[0,1]
	v_fmac_f32_e32 v35, v57, v36
	v_fma_f32 v87, v56, v36, -v37
	v_fmac_f32_e32 v83, v59, v38
	v_fmac_f32_e32 v85, v61, v40
	v_fma_f32 v82, v58, v38, -v39
	v_fma_f32 v84, v60, v40, -v41
	v_pk_mul_f32 v[36:37], v[62:63], v[86:87] op_sel:[1,0] op_sel_hi:[0,0]
	v_pk_fma_f32 v[56:57], v[68:69], v[48:49], v[92:93] neg_lo:[0,0,1] neg_hi:[0,0,1]
	v_pk_fma_f32 v[48:49], v[68:69], v[48:49], v[92:93] op_sel_hi:[1,0,1]
	v_pk_fma_f32 v[60:61], v[72:73], v[52:53], v[96:97] neg_lo:[0,0,1] neg_hi:[0,0,1]
	v_pk_fma_f32 v[52:53], v[72:73], v[52:53], v[96:97] op_sel_hi:[1,0,1]
	;; [unrolled: 2-line block ×3, first 2 shown]
	v_add_f32_e32 v77, 0, v35
	v_add_f32_e32 v76, 0, v87
	v_pk_mul_f32 v[88:89], v[64:65], v[44:45] op_sel:[1,1] op_sel_hi:[0,1]
	v_mov_b32_e32 v90, v47
	v_pk_fma_f32 v[80:81], v[62:63], v[42:43], v[36:37] neg_lo:[0,0,1] neg_hi:[0,0,1]
	v_pk_fma_f32 v[36:37], v[62:63], v[42:43], v[36:37] op_sel_hi:[1,0,1]
	v_mov_b32_e32 v61, v53
	v_pk_add_f32 v[52:53], v[76:77], v[82:83]
	v_pk_fma_f32 v[38:39], v[64:65], v[44:45], v[88:89] neg_lo:[0,0,1] neg_hi:[0,0,1]
	v_pk_fma_f32 v[40:41], v[64:65], v[44:45], v[88:89] op_sel_hi:[1,0,1]
	v_pk_mul_f32 v[44:45], v[66:67], v[90:91] op_sel:[1,0] op_sel_hi:[0,0]
	v_mov_b32_e32 v81, v37
	v_pk_add_f32 v[36:37], v[52:53], v[84:85]
	v_mov_b32_e32 v94, v51
	v_mov_b32_e32 v39, v41
	v_pk_fma_f32 v[40:41], v[66:67], v[46:47], v[44:45] neg_lo:[0,0,1] neg_hi:[0,0,1]
	v_pk_fma_f32 v[42:43], v[66:67], v[46:47], v[44:45] op_sel_hi:[1,0,1]
	v_pk_add_f32 v[36:37], v[36:37], v[80:81]
	v_pk_mul_f32 v[58:59], v[70:71], v[94:95] op_sel:[1,0] op_sel_hi:[0,0]
	v_mov_b32_e32 v41, v43
	v_pk_add_f32 v[36:37], v[36:37], v[38:39]
	v_mov_b32_e32 v98, v55
	v_mov_b32_e32 v57, v49
	v_pk_fma_f32 v[44:45], v[70:71], v[50:51], v[58:59] neg_lo:[0,0,1] neg_hi:[0,0,1]
	v_pk_fma_f32 v[46:47], v[70:71], v[50:51], v[58:59] op_sel_hi:[1,0,1]
	v_pk_add_f32 v[36:37], v[36:37], v[40:41]
	v_pk_mul_f32 v[64:65], v[74:75], v[98:99] op_sel:[1,0] op_sel_hi:[0,0]
	v_mov_b32_e32 v45, v47
	v_pk_add_f32 v[36:37], v[36:37], v[56:57]
	v_pk_fma_f32 v[48:49], v[74:75], v[54:55], v[64:65] neg_lo:[0,0,1] neg_hi:[0,0,1]
	v_pk_fma_f32 v[50:51], v[74:75], v[54:55], v[64:65] op_sel_hi:[1,0,1]
	v_pk_add_f32 v[36:37], v[36:37], v[44:45]
	v_mov_b32_e32 v49, v51
	v_pk_add_f32 v[36:37], v[36:37], v[60:61]
	v_mov_b32_e32 v69, v73
	v_pk_add_f32 v[36:37], v[36:37], v[48:49]
	s_nop 0
	v_pk_add_f32 v[36:37], v[36:37], v[68:69]
	s_waitcnt vmcnt(0)
	v_pk_add_f32 v[36:37], v[78:79], v[36:37] neg_lo:[0,1] neg_hi:[0,1]
	scratch_store_dwordx2 off, v[36:37], off offset:32
	s_and_saveexec_b64 s[0:1], vcc
	s_cbranch_execz .LBB15_103
; %bb.102:
	scratch_load_dwordx2 v[36:37], off, off offset:24
	v_mov_b32_e32 v35, v34
	scratch_store_dwordx2 off, v[34:35], off offset:24
	s_waitcnt vmcnt(1)
	ds_write_b64 v1, v[36:37]
.LBB15_103:
	s_or_b64 exec, exec, s[0:1]
	s_waitcnt lgkmcnt(0)
	; wave barrier
	scratch_load_dwordx4 v[36:39], off, off offset:32
	scratch_load_dwordx4 v[40:43], off, off offset:48
	;; [unrolled: 1-line block ×6, first 2 shown]
	scratch_load_dwordx2 v[84:85], off, off offset:24
	ds_read_b128 v[60:63], v34 offset:160
	ds_read_b128 v[64:67], v34 offset:176
	;; [unrolled: 1-line block ×6, first 2 shown]
	v_cmp_lt_u32_e32 vcc, 2, v0
	s_waitcnt vmcnt(6) lgkmcnt(5)
	v_mul_f32_e32 v91, v60, v37
	v_mul_f32_e32 v95, v62, v39
	s_waitcnt vmcnt(5) lgkmcnt(4)
	v_mul_f32_e32 v35, v64, v41
	v_mul_f32_e32 v34, v61, v37
	;; [unrolled: 1-line block ×4, first 2 shown]
	s_waitcnt vmcnt(1) lgkmcnt(0)
	v_pk_mul_f32 v[100:101], v[80:81], v[56:57] op_sel:[1,1] op_sel_hi:[0,1]
	v_pk_mul_f32 v[88:89], v[68:69], v[44:45] op_sel:[1,1] op_sel_hi:[0,1]
	v_fmac_f32_e32 v91, v61, v36
	v_fmac_f32_e32 v35, v65, v40
	v_fma_f32 v99, v60, v36, -v34
	v_fma_f32 v34, v64, v40, -v39
	v_pk_fma_f32 v[64:65], v[80:81], v[56:57], v[100:101] neg_lo:[0,0,1] neg_hi:[0,0,1]
	v_pk_fma_f32 v[56:57], v[80:81], v[56:57], v[100:101] op_sel_hi:[1,0,1]
	v_fmac_f32_e32 v95, v63, v38
	v_fma_f32 v103, v62, v38, -v37
	v_pk_fma_f32 v[36:37], v[68:69], v[44:45], v[88:89] neg_lo:[0,0,1] neg_hi:[0,0,1]
	v_pk_fma_f32 v[38:39], v[68:69], v[44:45], v[88:89] op_sel_hi:[1,0,1]
	v_add_f32_e32 v56, 0, v91
	v_add_f32_e32 v68, 0, v99
	v_mul_f32_e32 v87, v66, v43
	v_mul_f32_e32 v41, v67, v43
	v_mov_b32_e32 v90, v47
	v_mov_b32_e32 v65, v57
	v_add_f32_e32 v57, v56, v95
	v_add_f32_e32 v56, v68, v103
	v_fmac_f32_e32 v87, v67, v42
	v_fma_f32 v86, v66, v42, -v41
	v_pk_mul_f32 v[40:41], v[70:71], v[90:91] op_sel:[1,0] op_sel_hi:[0,0]
	v_pk_add_f32 v[34:35], v[56:57], v[34:35]
	v_pk_mul_f32 v[92:93], v[72:73], v[48:49] op_sel:[1,1] op_sel_hi:[0,1]
	v_mov_b32_e32 v94, v51
	v_mov_b32_e32 v37, v39
	v_pk_fma_f32 v[38:39], v[70:71], v[46:47], v[40:41] neg_lo:[0,0,1] neg_hi:[0,0,1]
	v_pk_fma_f32 v[40:41], v[70:71], v[46:47], v[40:41] op_sel_hi:[1,0,1]
	v_pk_add_f32 v[34:35], v[34:35], v[86:87]
	v_pk_fma_f32 v[42:43], v[72:73], v[48:49], v[92:93] neg_lo:[0,0,1] neg_hi:[0,0,1]
	v_pk_fma_f32 v[44:45], v[72:73], v[48:49], v[92:93] op_sel_hi:[1,0,1]
	v_pk_mul_f32 v[48:49], v[74:75], v[94:95] op_sel:[1,0] op_sel_hi:[0,0]
	v_mov_b32_e32 v39, v41
	v_pk_add_f32 v[34:35], v[34:35], v[36:37]
	v_pk_mul_f32 v[96:97], v[76:77], v[52:53] op_sel:[1,1] op_sel_hi:[0,1]
	v_mov_b32_e32 v98, v55
	v_mov_b32_e32 v43, v45
	v_pk_fma_f32 v[44:45], v[74:75], v[50:51], v[48:49] neg_lo:[0,0,1] neg_hi:[0,0,1]
	v_pk_fma_f32 v[46:47], v[74:75], v[50:51], v[48:49] op_sel_hi:[1,0,1]
	v_pk_add_f32 v[34:35], v[34:35], v[38:39]
	v_pk_fma_f32 v[60:61], v[76:77], v[52:53], v[96:97] neg_lo:[0,0,1] neg_hi:[0,0,1]
	v_pk_fma_f32 v[52:53], v[76:77], v[52:53], v[96:97] op_sel_hi:[1,0,1]
	v_pk_mul_f32 v[62:63], v[78:79], v[98:99] op_sel:[1,0] op_sel_hi:[0,0]
	v_mov_b32_e32 v45, v47
	v_pk_add_f32 v[34:35], v[34:35], v[42:43]
	v_mov_b32_e32 v102, v59
	v_mov_b32_e32 v61, v53
	v_pk_fma_f32 v[48:49], v[78:79], v[54:55], v[62:63] neg_lo:[0,0,1] neg_hi:[0,0,1]
	v_pk_fma_f32 v[50:51], v[78:79], v[54:55], v[62:63] op_sel_hi:[1,0,1]
	v_pk_add_f32 v[34:35], v[34:35], v[44:45]
	v_pk_mul_f32 v[66:67], v[82:83], v[102:103] op_sel:[1,0] op_sel_hi:[0,0]
	v_mov_b32_e32 v49, v51
	v_pk_add_f32 v[34:35], v[34:35], v[60:61]
	v_pk_fma_f32 v[52:53], v[82:83], v[58:59], v[66:67] neg_lo:[0,0,1] neg_hi:[0,0,1]
	v_pk_fma_f32 v[54:55], v[82:83], v[58:59], v[66:67] op_sel_hi:[1,0,1]
	v_pk_add_f32 v[34:35], v[34:35], v[48:49]
	v_mov_b32_e32 v53, v55
	v_pk_add_f32 v[34:35], v[34:35], v[64:65]
	s_nop 0
	v_pk_add_f32 v[34:35], v[34:35], v[52:53]
	s_waitcnt vmcnt(0)
	v_pk_add_f32 v[34:35], v[84:85], v[34:35] neg_lo:[0,1] neg_hi:[0,1]
	scratch_store_dwordx2 off, v[34:35], off offset:24
	s_and_saveexec_b64 s[0:1], vcc
	s_cbranch_execz .LBB15_105
; %bb.104:
	scratch_load_dwordx2 v[34:35], off, off offset:16
	v_mov_b32_e32 v36, 0
	v_mov_b32_e32 v37, v36
	scratch_store_dwordx2 off, v[36:37], off offset:16
	s_waitcnt vmcnt(1)
	ds_write_b64 v1, v[34:35]
.LBB15_105:
	s_or_b64 exec, exec, s[0:1]
	s_waitcnt lgkmcnt(0)
	; wave barrier
	scratch_load_dwordx4 v[36:39], off, off offset:24
	scratch_load_dwordx4 v[40:43], off, off offset:40
	;; [unrolled: 1-line block ×6, first 2 shown]
	scratch_load_dwordx2 v[84:85], off, off offset:120
	scratch_load_dwordx2 v[86:87], off, off offset:16
	v_mov_b32_e32 v34, 0
	ds_read2_b64 v[60:63], v34 offset0:19 offset1:20
	ds_read2_b64 v[64:67], v34 offset0:21 offset1:22
	;; [unrolled: 1-line block ×6, first 2 shown]
	ds_read_b64 v[88:89], v34 offset:248
	v_cmp_lt_u32_e32 vcc, 1, v0
	s_waitcnt vmcnt(7) lgkmcnt(6)
	v_mul_f32_e32 v95, v62, v39
	v_mul_f32_e32 v35, v60, v37
	s_waitcnt vmcnt(5) lgkmcnt(4)
	v_mul_f32_e32 v93, v68, v45
	v_mul_f32_e32 v37, v61, v37
	v_mov_b32_e32 v94, v47
	s_waitcnt vmcnt(2) lgkmcnt(1)
	v_pk_mul_f32 v[104:105], v[80:81], v[56:57] op_sel:[1,1] op_sel_hi:[0,1]
	v_fmac_f32_e32 v95, v63, v38
	v_mul_f32_e32 v39, v63, v39
	v_mul_f32_e32 v45, v69, v45
	v_fmac_f32_e32 v35, v61, v36
	v_fmac_f32_e32 v93, v69, v44
	v_fma_f32 v69, v60, v36, -v37
	v_pk_mul_f32 v[36:37], v[70:71], v[94:95] op_sel:[1,0] op_sel_hi:[0,0]
	v_pk_fma_f32 v[60:61], v[80:81], v[56:57], v[104:105] neg_lo:[0,0,1] neg_hi:[0,0,1]
	v_pk_fma_f32 v[56:57], v[80:81], v[56:57], v[104:105] op_sel_hi:[1,0,1]
	v_mul_f32_e32 v99, v64, v41
	v_mul_f32_e32 v41, v65, v41
	v_fma_f32 v103, v62, v38, -v39
	v_fma_f32 v92, v68, v44, -v45
	v_add_f32_e32 v35, 0, v35
	v_add_f32_e32 v56, 0, v69
	v_pk_fma_f32 v[68:69], v[70:71], v[46:47], v[36:37] neg_lo:[0,0,1] neg_hi:[0,0,1]
	v_pk_fma_f32 v[36:37], v[70:71], v[46:47], v[36:37] op_sel_hi:[1,0,1]
	v_mul_f32_e32 v91, v66, v43
	v_mul_f32_e32 v43, v67, v43
	v_fmac_f32_e32 v99, v65, v40
	v_fma_f32 v107, v64, v40, -v41
	v_add_f32_e32 v35, v35, v95
	v_add_f32_e32 v36, v56, v103
	v_fmac_f32_e32 v91, v67, v42
	v_fma_f32 v90, v66, v42, -v43
	v_mov_b32_e32 v69, v37
	v_add_f32_e32 v37, v35, v99
	v_add_f32_e32 v36, v36, v107
	v_pk_mul_f32 v[96:97], v[72:73], v[48:49] op_sel:[1,1] op_sel_hi:[0,1]
	v_mov_b32_e32 v98, v51
	v_pk_add_f32 v[36:37], v[36:37], v[90:91]
	v_pk_fma_f32 v[38:39], v[72:73], v[48:49], v[96:97] neg_lo:[0,0,1] neg_hi:[0,0,1]
	v_pk_fma_f32 v[40:41], v[72:73], v[48:49], v[96:97] op_sel_hi:[1,0,1]
	v_pk_mul_f32 v[42:43], v[74:75], v[98:99] op_sel:[1,0] op_sel_hi:[0,0]
	v_pk_add_f32 v[36:37], v[36:37], v[92:93]
	v_pk_mul_f32 v[100:101], v[76:77], v[52:53] op_sel:[1,1] op_sel_hi:[0,1]
	v_mov_b32_e32 v102, v55
	v_mov_b32_e32 v39, v41
	v_pk_fma_f32 v[40:41], v[74:75], v[50:51], v[42:43] neg_lo:[0,0,1] neg_hi:[0,0,1]
	v_pk_fma_f32 v[42:43], v[74:75], v[50:51], v[42:43] op_sel_hi:[1,0,1]
	v_pk_add_f32 v[36:37], v[36:37], v[68:69]
	v_pk_fma_f32 v[44:45], v[76:77], v[52:53], v[100:101] neg_lo:[0,0,1] neg_hi:[0,0,1]
	v_pk_fma_f32 v[48:49], v[76:77], v[52:53], v[100:101] op_sel_hi:[1,0,1]
	v_pk_mul_f32 v[52:53], v[78:79], v[102:103] op_sel:[1,0] op_sel_hi:[0,0]
	v_mov_b32_e32 v41, v43
	v_pk_add_f32 v[36:37], v[36:37], v[38:39]
	v_mov_b32_e32 v106, v59
	v_mov_b32_e32 v45, v49
	v_pk_fma_f32 v[46:47], v[78:79], v[54:55], v[52:53] neg_lo:[0,0,1] neg_hi:[0,0,1]
	v_pk_fma_f32 v[48:49], v[78:79], v[54:55], v[52:53] op_sel_hi:[1,0,1]
	v_pk_add_f32 v[36:37], v[36:37], v[40:41]
	v_pk_mul_f32 v[62:63], v[82:83], v[106:107] op_sel:[1,0] op_sel_hi:[0,0]
	v_mov_b32_e32 v47, v49
	v_pk_add_f32 v[36:37], v[36:37], v[44:45]
	s_waitcnt vmcnt(1) lgkmcnt(0)
	v_pk_mul_f32 v[108:109], v[88:89], v[84:85] op_sel:[1,1] op_sel_hi:[0,1]
	v_mov_b32_e32 v61, v57
	v_pk_fma_f32 v[50:51], v[82:83], v[58:59], v[62:63] neg_lo:[0,0,1] neg_hi:[0,0,1]
	v_pk_fma_f32 v[52:53], v[82:83], v[58:59], v[62:63] op_sel_hi:[1,0,1]
	v_pk_add_f32 v[36:37], v[36:37], v[46:47]
	v_pk_fma_f32 v[64:65], v[88:89], v[84:85], v[108:109] neg_lo:[0,0,1] neg_hi:[0,0,1]
	v_pk_fma_f32 v[66:67], v[88:89], v[84:85], v[108:109] op_sel_hi:[1,0,1]
	v_mov_b32_e32 v51, v53
	v_pk_add_f32 v[36:37], v[36:37], v[60:61]
	v_mov_b32_e32 v65, v67
	v_pk_add_f32 v[36:37], v[36:37], v[50:51]
	s_nop 0
	v_pk_add_f32 v[36:37], v[36:37], v[64:65]
	s_waitcnt vmcnt(0)
	v_pk_add_f32 v[36:37], v[86:87], v[36:37] neg_lo:[0,1] neg_hi:[0,1]
	scratch_store_dwordx2 off, v[36:37], off offset:16
	s_and_saveexec_b64 s[0:1], vcc
	s_cbranch_execz .LBB15_107
; %bb.106:
	scratch_load_dwordx2 v[36:37], off, off offset:8
	v_mov_b32_e32 v35, v34
	scratch_store_dwordx2 off, v[34:35], off offset:8
	s_waitcnt vmcnt(1)
	ds_write_b64 v1, v[36:37]
.LBB15_107:
	s_or_b64 exec, exec, s[0:1]
	s_waitcnt lgkmcnt(0)
	; wave barrier
	scratch_load_dwordx4 v[36:39], off, off offset:16
	scratch_load_dwordx4 v[40:43], off, off offset:32
	;; [unrolled: 1-line block ×7, first 2 shown]
	ds_read_b128 v[64:67], v34 offset:144
	ds_read_b128 v[68:71], v34 offset:160
	;; [unrolled: 1-line block ×6, first 2 shown]
	scratch_load_dwordx2 v[92:93], off, off offset:8
	ds_read_b128 v[88:91], v34 offset:240
	v_cmp_ne_u32_e32 vcc, 0, v0
	s_waitcnt vmcnt(7) lgkmcnt(6)
	v_mul_f32_e32 v99, v64, v37
	v_mul_f32_e32 v103, v66, v39
	s_waitcnt vmcnt(6) lgkmcnt(5)
	v_mul_f32_e32 v107, v68, v41
	v_mul_f32_e32 v111, v70, v43
	;; [unrolled: 3-line block ×3, first 2 shown]
	v_mul_f32_e32 v34, v65, v37
	v_mul_f32_e32 v37, v67, v39
	;; [unrolled: 1-line block ×6, first 2 shown]
	s_waitcnt vmcnt(4) lgkmcnt(3)
	v_pk_mul_f32 v[96:97], v[76:77], v[48:49] op_sel:[1,1] op_sel_hi:[0,1]
	v_mov_b32_e32 v98, v51
	s_waitcnt vmcnt(3) lgkmcnt(2)
	v_pk_mul_f32 v[100:101], v[80:81], v[52:53] op_sel:[1,1] op_sel_hi:[0,1]
	v_mov_b32_e32 v102, v55
	s_waitcnt vmcnt(1) lgkmcnt(0)
	v_pk_mul_f32 v[108:109], v[88:89], v[60:61] op_sel:[1,1] op_sel_hi:[0,1]
	v_fmac_f32_e32 v99, v65, v36
	v_fmac_f32_e32 v103, v67, v38
	;; [unrolled: 1-line block ×6, first 2 shown]
	v_fma_f32 v69, v64, v36, -v34
	v_fma_f32 v71, v66, v38, -v37
	;; [unrolled: 1-line block ×6, first 2 shown]
	v_pk_fma_f32 v[36:37], v[76:77], v[48:49], v[96:97] neg_lo:[0,0,1] neg_hi:[0,0,1]
	v_pk_fma_f32 v[38:39], v[76:77], v[48:49], v[96:97] op_sel_hi:[1,0,1]
	v_pk_mul_f32 v[40:41], v[78:79], v[98:99] op_sel:[1,0] op_sel_hi:[0,0]
	v_pk_fma_f32 v[42:43], v[80:81], v[52:53], v[100:101] neg_lo:[0,0,1] neg_hi:[0,0,1]
	v_pk_fma_f32 v[44:45], v[80:81], v[52:53], v[100:101] op_sel_hi:[1,0,1]
	v_pk_mul_f32 v[46:47], v[82:83], v[102:103] op_sel:[1,0] op_sel_hi:[0,0]
	v_pk_fma_f32 v[64:65], v[88:89], v[60:61], v[108:109] neg_lo:[0,0,1] neg_hi:[0,0,1]
	v_pk_fma_f32 v[60:61], v[88:89], v[60:61], v[108:109] op_sel_hi:[1,0,1]
	v_add_f32_e32 v69, 0, v69
	v_add_f32_e32 v60, 0, v99
	v_mov_b32_e32 v37, v39
	v_pk_fma_f32 v[38:39], v[78:79], v[50:51], v[40:41] neg_lo:[0,0,1] neg_hi:[0,0,1]
	v_pk_fma_f32 v[40:41], v[78:79], v[50:51], v[40:41] op_sel_hi:[1,0,1]
	v_mov_b32_e32 v43, v45
	v_pk_fma_f32 v[44:45], v[82:83], v[54:55], v[46:47] neg_lo:[0,0,1] neg_hi:[0,0,1]
	v_pk_fma_f32 v[46:47], v[82:83], v[54:55], v[46:47] op_sel_hi:[1,0,1]
	v_add_f32_e32 v40, v60, v103
	v_add_f32_e32 v46, v69, v71
	;; [unrolled: 1-line block ×4, first 2 shown]
	v_mov_b32_e32 v39, v41
	v_add_f32_e32 v41, v40, v111
	v_add_f32_e32 v40, v46, v70
	v_pk_add_f32 v[34:35], v[40:41], v[34:35]
	v_pk_mul_f32 v[104:105], v[84:85], v[56:57] op_sel:[1,1] op_sel_hi:[0,1]
	v_pk_add_f32 v[34:35], v[34:35], v[94:95]
	v_mov_b32_e32 v106, v59
	v_pk_add_f32 v[34:35], v[34:35], v[36:37]
	v_pk_fma_f32 v[48:49], v[84:85], v[56:57], v[104:105] neg_lo:[0,0,1] neg_hi:[0,0,1]
	v_pk_add_f32 v[34:35], v[34:35], v[38:39]
	v_pk_fma_f32 v[52:53], v[84:85], v[56:57], v[104:105] op_sel_hi:[1,0,1]
	v_pk_mul_f32 v[56:57], v[86:87], v[106:107] op_sel:[1,0] op_sel_hi:[0,0]
	v_mov_b32_e32 v45, v47
	v_pk_add_f32 v[34:35], v[34:35], v[42:43]
	v_mov_b32_e32 v110, v63
	v_mov_b32_e32 v49, v53
	v_pk_fma_f32 v[50:51], v[86:87], v[58:59], v[56:57] neg_lo:[0,0,1] neg_hi:[0,0,1]
	v_pk_fma_f32 v[52:53], v[86:87], v[58:59], v[56:57] op_sel_hi:[1,0,1]
	v_pk_add_f32 v[34:35], v[34:35], v[44:45]
	v_pk_mul_f32 v[66:67], v[90:91], v[110:111] op_sel:[1,0] op_sel_hi:[0,0]
	v_mov_b32_e32 v51, v53
	v_pk_add_f32 v[34:35], v[34:35], v[48:49]
	v_mov_b32_e32 v65, v61
	v_pk_fma_f32 v[54:55], v[90:91], v[62:63], v[66:67] neg_lo:[0,0,1] neg_hi:[0,0,1]
	v_pk_fma_f32 v[56:57], v[90:91], v[62:63], v[66:67] op_sel_hi:[1,0,1]
	v_pk_add_f32 v[34:35], v[34:35], v[50:51]
	v_mov_b32_e32 v55, v57
	v_pk_add_f32 v[34:35], v[34:35], v[64:65]
	s_nop 0
	v_pk_add_f32 v[34:35], v[34:35], v[54:55]
	s_waitcnt vmcnt(0)
	v_pk_add_f32 v[34:35], v[92:93], v[34:35] neg_lo:[0,1] neg_hi:[0,1]
	scratch_store_dwordx2 off, v[34:35], off offset:8
	s_and_saveexec_b64 s[0:1], vcc
	s_cbranch_execz .LBB15_109
; %bb.108:
	scratch_load_dwordx2 v[34:35], off, off
	v_mov_b32_e32 v36, 0
	v_mov_b32_e32 v37, v36
	scratch_store_dwordx2 off, v[36:37], off
	s_waitcnt vmcnt(1)
	ds_write_b64 v1, v[34:35]
.LBB15_109:
	s_or_b64 exec, exec, s[0:1]
	s_waitcnt lgkmcnt(0)
	; wave barrier
	scratch_load_dwordx4 v[36:39], off, off offset:8
	scratch_load_dwordx4 v[40:43], off, off offset:24
	;; [unrolled: 1-line block ×7, first 2 shown]
	scratch_load_dwordx2 v[0:1], off, off offset:120
	scratch_load_dwordx2 v[92:93], off, off
	v_mov_b32_e32 v34, 0
	ds_read2_b64 v[64:67], v34 offset0:17 offset1:18
	ds_read2_b64 v[68:71], v34 offset0:19 offset1:20
	ds_read2_b64 v[72:75], v34 offset0:21 offset1:22
	ds_read2_b64 v[76:79], v34 offset0:23 offset1:24
	ds_read2_b64 v[80:83], v34 offset0:25 offset1:26
	ds_read2_b64 v[84:87], v34 offset0:27 offset1:28
	ds_read2_b64 v[88:91], v34 offset0:29 offset1:30
	ds_read_b64 v[94:95], v34 offset:248
	s_and_b64 vcc, exec, s[18:19]
	s_waitcnt vmcnt(8) lgkmcnt(7)
	v_mul_f32_e32 v101, v66, v39
	v_mul_f32_e32 v35, v64, v37
	s_waitcnt vmcnt(7) lgkmcnt(6)
	v_mul_f32_e32 v105, v68, v41
	s_waitcnt vmcnt(6) lgkmcnt(5)
	v_mul_f32_e32 v113, v72, v45
	v_mul_f32_e32 v97, v74, v47
	v_mul_f32_e32 v37, v65, v37
	v_mul_f32_e32 v45, v73, v45
	v_mul_f32_e32 v47, v75, v47
	s_waitcnt vmcnt(5)
	v_mov_b32_e32 v100, v51
	s_waitcnt vmcnt(3) lgkmcnt(2)
	v_pk_mul_f32 v[106:107], v[84:85], v[56:57] op_sel:[1,1] op_sel_hi:[0,1]
	s_waitcnt vmcnt(2) lgkmcnt(1)
	v_pk_mul_f32 v[110:111], v[88:89], v[60:61] op_sel:[1,1] op_sel_hi:[0,1]
	v_fmac_f32_e32 v101, v67, v38
	v_mul_f32_e32 v39, v67, v39
	v_mul_f32_e32 v41, v69, v41
	v_fmac_f32_e32 v35, v65, v36
	v_fmac_f32_e32 v105, v69, v40
	;; [unrolled: 1-line block ×4, first 2 shown]
	v_fma_f32 v64, v64, v36, -v37
	v_fma_f32 v69, v72, v44, -v45
	v_fma_f32 v96, v74, v46, -v47
	v_pk_mul_f32 v[36:37], v[78:79], v[100:101] op_sel:[1,0] op_sel_hi:[0,0]
	v_pk_fma_f32 v[44:45], v[84:85], v[56:57], v[106:107] neg_lo:[0,0,1] neg_hi:[0,0,1]
	v_pk_fma_f32 v[46:47], v[84:85], v[56:57], v[106:107] op_sel_hi:[1,0,1]
	v_pk_fma_f32 v[56:57], v[88:89], v[60:61], v[110:111] op_sel_hi:[1,0,1]
	v_fma_f32 v66, v66, v38, -v39
	v_add_f32_e32 v35, 0, v35
	v_add_f32_e32 v56, 0, v64
	v_pk_fma_f32 v[64:65], v[78:79], v[50:51], v[36:37] neg_lo:[0,0,1] neg_hi:[0,0,1]
	v_pk_fma_f32 v[36:37], v[78:79], v[50:51], v[36:37] op_sel_hi:[1,0,1]
	v_mul_f32_e32 v109, v70, v43
	v_mul_f32_e32 v43, v71, v43
	v_fma_f32 v67, v68, v40, -v41
	v_add_f32_e32 v35, v35, v101
	v_add_f32_e32 v36, v56, v66
	v_fmac_f32_e32 v109, v71, v42
	v_fma_f32 v68, v70, v42, -v43
	v_add_f32_e32 v35, v35, v105
	v_add_f32_e32 v36, v36, v67
	;; [unrolled: 1-line block ×4, first 2 shown]
	v_mul_f32_e32 v99, v76, v49
	v_mul_f32_e32 v49, v77, v49
	v_mov_b32_e32 v65, v37
	v_add_f32_e32 v37, v35, v113
	v_add_f32_e32 v36, v36, v69
	v_pk_mul_f32 v[102:103], v[80:81], v[52:53] op_sel:[1,1] op_sel_hi:[0,1]
	v_mov_b32_e32 v104, v55
	v_fmac_f32_e32 v99, v77, v48
	v_fma_f32 v98, v76, v48, -v49
	v_pk_add_f32 v[36:37], v[36:37], v[96:97]
	v_pk_fma_f32 v[38:39], v[80:81], v[52:53], v[102:103] neg_lo:[0,0,1] neg_hi:[0,0,1]
	v_pk_fma_f32 v[40:41], v[80:81], v[52:53], v[102:103] op_sel_hi:[1,0,1]
	v_pk_mul_f32 v[42:43], v[82:83], v[104:105] op_sel:[1,0] op_sel_hi:[0,0]
	v_pk_add_f32 v[36:37], v[36:37], v[98:99]
	v_mov_b32_e32 v108, v59
	v_mov_b32_e32 v39, v41
	v_pk_fma_f32 v[40:41], v[82:83], v[54:55], v[42:43] neg_lo:[0,0,1] neg_hi:[0,0,1]
	v_pk_fma_f32 v[42:43], v[82:83], v[54:55], v[42:43] op_sel_hi:[1,0,1]
	v_pk_add_f32 v[36:37], v[36:37], v[64:65]
	v_pk_mul_f32 v[48:49], v[86:87], v[108:109] op_sel:[1,0] op_sel_hi:[0,0]
	v_mov_b32_e32 v41, v43
	v_pk_add_f32 v[36:37], v[36:37], v[38:39]
	v_mov_b32_e32 v112, v63
	v_mov_b32_e32 v45, v47
	v_pk_fma_f32 v[46:47], v[86:87], v[58:59], v[48:49] neg_lo:[0,0,1] neg_hi:[0,0,1]
	v_pk_fma_f32 v[48:49], v[86:87], v[58:59], v[48:49] op_sel_hi:[1,0,1]
	v_pk_add_f32 v[36:37], v[36:37], v[40:41]
	v_pk_fma_f32 v[52:53], v[88:89], v[60:61], v[110:111] neg_lo:[0,0,1] neg_hi:[0,0,1]
	v_pk_mul_f32 v[60:61], v[90:91], v[112:113] op_sel:[1,0] op_sel_hi:[0,0]
	v_mov_b32_e32 v47, v49
	v_pk_add_f32 v[36:37], v[36:37], v[44:45]
	v_mov_b32_e32 v53, v57
	v_pk_add_f32 v[36:37], v[36:37], v[46:47]
	v_pk_fma_f32 v[38:39], v[90:91], v[62:63], v[60:61] neg_lo:[0,0,1] neg_hi:[0,0,1]
	v_pk_fma_f32 v[40:41], v[90:91], v[62:63], v[60:61] op_sel_hi:[1,0,1]
	v_pk_add_f32 v[36:37], v[36:37], v[52:53]
	v_mov_b32_e32 v39, v41
	v_pk_add_f32 v[36:37], v[36:37], v[38:39]
	s_waitcnt vmcnt(1) lgkmcnt(0)
	v_pk_mul_f32 v[38:39], v[94:95], v[0:1] op_sel:[1,1] op_sel_hi:[0,1]
	v_pk_fma_f32 v[40:41], v[94:95], v[0:1], v[38:39] neg_lo:[0,0,1] neg_hi:[0,0,1]
	v_pk_fma_f32 v[0:1], v[94:95], v[0:1], v[38:39] op_sel_hi:[1,0,1]
	s_nop 0
	v_mov_b32_e32 v41, v1
	v_pk_add_f32 v[0:1], v[36:37], v[40:41]
	s_waitcnt vmcnt(0)
	v_pk_add_f32 v[0:1], v[92:93], v[0:1] neg_lo:[0,1] neg_hi:[0,1]
	scratch_store_dwordx2 off, v[0:1], off
	s_cbranch_vccz .LBB15_140
; %bb.110:
	global_load_dword v0, v34, s[16:17] offset:56
	s_waitcnt vmcnt(0)
	v_readfirstlane_b32 s0, v0
	s_add_i32 s0, s0, -1
	s_cmp_lg_u32 s0, 14
	s_cbranch_scc0 .LBB15_112
; %bb.111:
	s_lshl_b32 s0, s0, 3
	s_nop 0
	scratch_load_dwordx2 v[0:1], off, s0
	scratch_load_dwordx2 v[34:35], off, off offset:112
	s_waitcnt vmcnt(1)
	scratch_store_dwordx2 off, v[0:1], off offset:112
	s_waitcnt vmcnt(1)
	scratch_store_dwordx2 off, v[34:35], s0
.LBB15_112:
	v_mov_b32_e32 v0, 0
	global_load_dword v1, v0, s[16:17] offset:52
	s_waitcnt vmcnt(0)
	v_readfirstlane_b32 s0, v1
	s_add_i32 s0, s0, -1
	s_cmp_eq_u32 s0, 13
	s_cbranch_scc1 .LBB15_114
; %bb.113:
	s_lshl_b32 s0, s0, 3
	s_nop 0
	scratch_load_dwordx2 v[34:35], off, s0
	scratch_load_dwordx2 v[36:37], off, off offset:104
	s_waitcnt vmcnt(1)
	scratch_store_dwordx2 off, v[34:35], off offset:104
	s_waitcnt vmcnt(1)
	scratch_store_dwordx2 off, v[36:37], s0
.LBB15_114:
	global_load_dword v0, v0, s[16:17] offset:48
	s_waitcnt vmcnt(0)
	v_readfirstlane_b32 s0, v0
	s_add_i32 s0, s0, -1
	s_cmp_eq_u32 s0, 12
	s_cbranch_scc1 .LBB15_116
; %bb.115:
	s_lshl_b32 s0, s0, 3
	s_nop 0
	scratch_load_dwordx2 v[0:1], off, s0
	scratch_load_dwordx2 v[34:35], off, off offset:96
	s_waitcnt vmcnt(1)
	scratch_store_dwordx2 off, v[0:1], off offset:96
	s_waitcnt vmcnt(1)
	scratch_store_dwordx2 off, v[34:35], s0
.LBB15_116:
	v_mov_b32_e32 v0, 0
	global_load_dword v1, v0, s[16:17] offset:44
	s_waitcnt vmcnt(0)
	v_readfirstlane_b32 s0, v1
	s_add_i32 s0, s0, -1
	s_cmp_eq_u32 s0, 11
	s_cbranch_scc1 .LBB15_118
; %bb.117:
	s_lshl_b32 s0, s0, 3
	s_nop 0
	scratch_load_dwordx2 v[34:35], off, s0
	scratch_load_dwordx2 v[36:37], off, off offset:88
	s_waitcnt vmcnt(1)
	scratch_store_dwordx2 off, v[34:35], off offset:88
	s_waitcnt vmcnt(1)
	scratch_store_dwordx2 off, v[36:37], s0
.LBB15_118:
	global_load_dword v0, v0, s[16:17] offset:40
	s_waitcnt vmcnt(0)
	v_readfirstlane_b32 s0, v0
	s_add_i32 s0, s0, -1
	s_cmp_eq_u32 s0, 10
	s_cbranch_scc1 .LBB15_120
; %bb.119:
	s_lshl_b32 s0, s0, 3
	s_nop 0
	scratch_load_dwordx2 v[0:1], off, s0
	scratch_load_dwordx2 v[34:35], off, off offset:80
	s_waitcnt vmcnt(1)
	scratch_store_dwordx2 off, v[0:1], off offset:80
	s_waitcnt vmcnt(1)
	scratch_store_dwordx2 off, v[34:35], s0
.LBB15_120:
	;; [unrolled: 33-line block ×6, first 2 shown]
	v_mov_b32_e32 v0, 0
	global_load_dword v1, v0, s[16:17] offset:4
	s_waitcnt vmcnt(0)
	v_readfirstlane_b32 s0, v1
	s_add_i32 s0, s0, -1
	s_cmp_eq_u32 s0, 1
	s_cbranch_scc1 .LBB15_138
; %bb.137:
	s_lshl_b32 s0, s0, 3
	s_nop 0
	scratch_load_dwordx2 v[34:35], off, s0
	scratch_load_dwordx2 v[36:37], off, off offset:8
	s_waitcnt vmcnt(1)
	scratch_store_dwordx2 off, v[34:35], off offset:8
	s_waitcnt vmcnt(1)
	scratch_store_dwordx2 off, v[36:37], s0
.LBB15_138:
	global_load_dword v34, v0, s[16:17]
	s_nop 0
	scratch_load_dwordx2 v[0:1], off, off
	s_waitcnt vmcnt(1)
	v_readfirstlane_b32 s0, v34
	s_add_i32 s0, s0, -1
	s_cmp_eq_u32 s0, 0
	s_cbranch_scc1 .LBB15_140
; %bb.139:
	s_lshl_b32 s0, s0, 3
	s_nop 0
	scratch_load_dwordx2 v[34:35], off, s0
	s_waitcnt vmcnt(0)
	scratch_store_dwordx2 off, v[34:35], off
	scratch_store_dwordx2 off, v[0:1], s0
	scratch_load_dwordx2 v[0:1], off, off
.LBB15_140:
	s_nop 0
	scratch_load_dwordx4 v[36:39], off, off offset:8
	scratch_load_dwordx4 v[40:43], off, off offset:24
	;; [unrolled: 1-line block ×7, first 2 shown]
	scratch_load_dwordx2 v[34:35], off, off offset:120
	s_waitcnt vmcnt(8)
	global_store_dwordx2 v[2:3], v[0:1], off
	s_waitcnt vmcnt(8)
	global_store_dwordx2 v[4:5], v[36:37], off
	global_store_dwordx2 v[6:7], v[38:39], off
	s_waitcnt vmcnt(9)
	global_store_dwordx2 v[8:9], v[40:41], off
	;; [unrolled: 3-line block ×8, first 2 shown]
	s_endpgm
	.section	.rodata,"a",@progbits
	.p2align	6, 0x0
	.amdhsa_kernel _ZN9rocsolver6v33100L18getri_kernel_smallILi16E19rocblas_complex_numIfEPS3_EEvT1_iilPiilS6_bb
		.amdhsa_group_segment_fixed_size 260
		.amdhsa_private_segment_fixed_size 144
		.amdhsa_kernarg_size 60
		.amdhsa_user_sgpr_count 2
		.amdhsa_user_sgpr_dispatch_ptr 0
		.amdhsa_user_sgpr_queue_ptr 0
		.amdhsa_user_sgpr_kernarg_segment_ptr 1
		.amdhsa_user_sgpr_dispatch_id 0
		.amdhsa_user_sgpr_kernarg_preload_length 0
		.amdhsa_user_sgpr_kernarg_preload_offset 0
		.amdhsa_user_sgpr_private_segment_size 0
		.amdhsa_uses_dynamic_stack 0
		.amdhsa_enable_private_segment 1
		.amdhsa_system_sgpr_workgroup_id_x 1
		.amdhsa_system_sgpr_workgroup_id_y 0
		.amdhsa_system_sgpr_workgroup_id_z 0
		.amdhsa_system_sgpr_workgroup_info 0
		.amdhsa_system_vgpr_workitem_id 0
		.amdhsa_next_free_vgpr 114
		.amdhsa_next_free_sgpr 20
		.amdhsa_accum_offset 116
		.amdhsa_reserve_vcc 1
		.amdhsa_float_round_mode_32 0
		.amdhsa_float_round_mode_16_64 0
		.amdhsa_float_denorm_mode_32 3
		.amdhsa_float_denorm_mode_16_64 3
		.amdhsa_dx10_clamp 1
		.amdhsa_ieee_mode 1
		.amdhsa_fp16_overflow 0
		.amdhsa_tg_split 0
		.amdhsa_exception_fp_ieee_invalid_op 0
		.amdhsa_exception_fp_denorm_src 0
		.amdhsa_exception_fp_ieee_div_zero 0
		.amdhsa_exception_fp_ieee_overflow 0
		.amdhsa_exception_fp_ieee_underflow 0
		.amdhsa_exception_fp_ieee_inexact 0
		.amdhsa_exception_int_div_zero 0
	.end_amdhsa_kernel
	.section	.text._ZN9rocsolver6v33100L18getri_kernel_smallILi16E19rocblas_complex_numIfEPS3_EEvT1_iilPiilS6_bb,"axG",@progbits,_ZN9rocsolver6v33100L18getri_kernel_smallILi16E19rocblas_complex_numIfEPS3_EEvT1_iilPiilS6_bb,comdat
.Lfunc_end15:
	.size	_ZN9rocsolver6v33100L18getri_kernel_smallILi16E19rocblas_complex_numIfEPS3_EEvT1_iilPiilS6_bb, .Lfunc_end15-_ZN9rocsolver6v33100L18getri_kernel_smallILi16E19rocblas_complex_numIfEPS3_EEvT1_iilPiilS6_bb
                                        ; -- End function
	.set _ZN9rocsolver6v33100L18getri_kernel_smallILi16E19rocblas_complex_numIfEPS3_EEvT1_iilPiilS6_bb.num_vgpr, 114
	.set _ZN9rocsolver6v33100L18getri_kernel_smallILi16E19rocblas_complex_numIfEPS3_EEvT1_iilPiilS6_bb.num_agpr, 0
	.set _ZN9rocsolver6v33100L18getri_kernel_smallILi16E19rocblas_complex_numIfEPS3_EEvT1_iilPiilS6_bb.numbered_sgpr, 20
	.set _ZN9rocsolver6v33100L18getri_kernel_smallILi16E19rocblas_complex_numIfEPS3_EEvT1_iilPiilS6_bb.num_named_barrier, 0
	.set _ZN9rocsolver6v33100L18getri_kernel_smallILi16E19rocblas_complex_numIfEPS3_EEvT1_iilPiilS6_bb.private_seg_size, 144
	.set _ZN9rocsolver6v33100L18getri_kernel_smallILi16E19rocblas_complex_numIfEPS3_EEvT1_iilPiilS6_bb.uses_vcc, 1
	.set _ZN9rocsolver6v33100L18getri_kernel_smallILi16E19rocblas_complex_numIfEPS3_EEvT1_iilPiilS6_bb.uses_flat_scratch, 0
	.set _ZN9rocsolver6v33100L18getri_kernel_smallILi16E19rocblas_complex_numIfEPS3_EEvT1_iilPiilS6_bb.has_dyn_sized_stack, 0
	.set _ZN9rocsolver6v33100L18getri_kernel_smallILi16E19rocblas_complex_numIfEPS3_EEvT1_iilPiilS6_bb.has_recursion, 0
	.set _ZN9rocsolver6v33100L18getri_kernel_smallILi16E19rocblas_complex_numIfEPS3_EEvT1_iilPiilS6_bb.has_indirect_call, 0
	.section	.AMDGPU.csdata,"",@progbits
; Kernel info:
; codeLenInByte = 12864
; TotalNumSgprs: 26
; NumVgprs: 114
; NumAgprs: 0
; TotalNumVgprs: 114
; ScratchSize: 144
; MemoryBound: 0
; FloatMode: 240
; IeeeMode: 1
; LDSByteSize: 260 bytes/workgroup (compile time only)
; SGPRBlocks: 3
; VGPRBlocks: 14
; NumSGPRsForWavesPerEU: 26
; NumVGPRsForWavesPerEU: 114
; AccumOffset: 116
; Occupancy: 4
; WaveLimiterHint : 1
; COMPUTE_PGM_RSRC2:SCRATCH_EN: 1
; COMPUTE_PGM_RSRC2:USER_SGPR: 2
; COMPUTE_PGM_RSRC2:TRAP_HANDLER: 0
; COMPUTE_PGM_RSRC2:TGID_X_EN: 1
; COMPUTE_PGM_RSRC2:TGID_Y_EN: 0
; COMPUTE_PGM_RSRC2:TGID_Z_EN: 0
; COMPUTE_PGM_RSRC2:TIDIG_COMP_CNT: 0
; COMPUTE_PGM_RSRC3_GFX90A:ACCUM_OFFSET: 28
; COMPUTE_PGM_RSRC3_GFX90A:TG_SPLIT: 0
	.section	.text._ZN9rocsolver6v33100L18getri_kernel_smallILi17E19rocblas_complex_numIfEPS3_EEvT1_iilPiilS6_bb,"axG",@progbits,_ZN9rocsolver6v33100L18getri_kernel_smallILi17E19rocblas_complex_numIfEPS3_EEvT1_iilPiilS6_bb,comdat
	.globl	_ZN9rocsolver6v33100L18getri_kernel_smallILi17E19rocblas_complex_numIfEPS3_EEvT1_iilPiilS6_bb ; -- Begin function _ZN9rocsolver6v33100L18getri_kernel_smallILi17E19rocblas_complex_numIfEPS3_EEvT1_iilPiilS6_bb
	.p2align	8
	.type	_ZN9rocsolver6v33100L18getri_kernel_smallILi17E19rocblas_complex_numIfEPS3_EEvT1_iilPiilS6_bb,@function
_ZN9rocsolver6v33100L18getri_kernel_smallILi17E19rocblas_complex_numIfEPS3_EEvT1_iilPiilS6_bb: ; @_ZN9rocsolver6v33100L18getri_kernel_smallILi17E19rocblas_complex_numIfEPS3_EEvT1_iilPiilS6_bb
; %bb.0:
	v_cmp_gt_u32_e32 vcc, 17, v0
	s_and_saveexec_b64 s[4:5], vcc
	s_cbranch_execz .LBB16_82
; %bb.1:
	s_load_dword s8, s[0:1], 0x38
	s_load_dwordx4 s[12:15], s[0:1], 0x10
	s_load_dwordx4 s[4:7], s[0:1], 0x28
                                        ; implicit-def: $sgpr16_sgpr17
	s_waitcnt lgkmcnt(0)
	s_bitcmp1_b32 s8, 8
	s_cselect_b64 s[18:19], -1, 0
	s_ashr_i32 s3, s2, 31
	s_bfe_u32 s8, s8, 0x10008
	s_cmp_eq_u32 s8, 0
	s_cbranch_scc1 .LBB16_3
; %bb.2:
	s_load_dword s8, s[0:1], 0x20
	s_mul_i32 s9, s4, s3
	s_mul_hi_u32 s10, s4, s2
	s_mul_i32 s5, s5, s2
	s_add_i32 s10, s10, s9
	s_add_i32 s5, s10, s5
	s_mul_i32 s4, s4, s2
	s_waitcnt lgkmcnt(0)
	s_ashr_i32 s9, s8, 31
	s_lshl_b64 s[4:5], s[4:5], 2
	s_add_u32 s10, s14, s4
	s_addc_u32 s11, s15, s5
	s_lshl_b64 s[4:5], s[8:9], 2
	s_add_u32 s16, s10, s4
	s_addc_u32 s17, s11, s5
.LBB16_3:
	s_load_dwordx4 s[8:11], s[0:1], 0x0
	s_load_dword s14, s[0:1], 0x38
	s_mul_i32 s4, s12, s3
	s_mul_hi_u32 s5, s12, s2
	s_add_i32 s4, s5, s4
	s_mul_i32 s5, s13, s2
	s_add_i32 s5, s4, s5
	s_mul_i32 s4, s12, s2
	s_waitcnt lgkmcnt(0)
	s_ashr_i32 s1, s10, 31
	s_lshl_b64 s[4:5], s[4:5], 3
	s_mov_b32 s0, s10
	s_add_u32 s4, s8, s4
	s_addc_u32 s5, s9, s5
	s_lshl_b64 s[0:1], s[0:1], 3
	s_add_u32 s0, s4, s0
	s_addc_u32 s1, s5, s1
	v_lshlrev_b32_e32 v36, 3, v0
	v_mov_b32_e32 v37, 0
	v_lshl_add_u64 v[2:3], s[0:1], 0, v[36:37]
	s_ashr_i32 s5, s11, 31
	s_mov_b32 s4, s11
	v_lshl_add_u64 v[4:5], s[4:5], 3, v[2:3]
	s_add_i32 s4, s11, s11
	v_add_u32_e32 v8, s4, v0
	v_add_u32_e32 v10, s11, v8
	;; [unrolled: 1-line block ×14, first 2 shown]
	v_ashrrev_i32_e32 v9, 31, v8
	v_ashrrev_i32_e32 v11, 31, v10
	;; [unrolled: 1-line block ×14, first 2 shown]
	v_lshl_add_u64 v[6:7], v[8:9], 3, s[0:1]
	v_lshl_add_u64 v[8:9], v[10:11], 3, s[0:1]
	;; [unrolled: 1-line block ×14, first 2 shown]
	v_add_u32_e32 v34, s11, v34
	v_ashrrev_i32_e32 v35, 31, v34
	global_load_dwordx2 v[40:41], v36, s[0:1]
	global_load_dwordx2 v[42:43], v[4:5], off
	global_load_dwordx2 v[44:45], v[6:7], off
	;; [unrolled: 1-line block ×12, first 2 shown]
	v_lshl_add_u64 v[34:35], v[34:35], 3, s[0:1]
	global_load_dwordx2 v[66:67], v[28:29], off
	global_load_dwordx2 v[68:69], v[30:31], off
	global_load_dwordx2 v[70:71], v[32:33], off
	global_load_dwordx2 v[38:39], v[34:35], off
	s_bitcmp0_b32 s14, 0
	s_mov_b64 s[4:5], -1
	s_waitcnt vmcnt(15)
	scratch_store_dwordx4 off, v[40:43], off
	s_waitcnt vmcnt(14)
	scratch_store_dwordx4 off, v[44:47], off offset:16
	s_waitcnt vmcnt(13)
	scratch_store_dwordx4 off, v[48:51], off offset:32
	;; [unrolled: 2-line block ×7, first 2 shown]
	s_waitcnt vmcnt(8)
	scratch_store_dwordx2 off, v[38:39], off offset:128
	s_cbranch_scc1 .LBB16_80
; %bb.4:
	v_cmp_eq_u32_e64 s[0:1], 0, v0
	s_and_saveexec_b64 s[4:5], s[0:1]
; %bb.5:
	v_mov_b32_e32 v1, 0
	ds_write_b32 v1, v1 offset:136
; %bb.6:
	s_or_b64 exec, exec, s[4:5]
	s_waitcnt lgkmcnt(0)
	; wave barrier
	scratch_load_dwordx2 v[38:39], v36, off
	s_waitcnt vmcnt(0)
	v_cmp_eq_f32_e32 vcc, 0, v38
	v_cmp_eq_f32_e64 s[4:5], 0, v39
	s_and_b64 s[4:5], vcc, s[4:5]
	s_and_saveexec_b64 s[8:9], s[4:5]
	s_cbranch_execz .LBB16_10
; %bb.7:
	v_mov_b32_e32 v1, 0
	ds_read_b32 v38, v1 offset:136
	v_add_u32_e32 v37, 1, v0
	s_waitcnt lgkmcnt(0)
	v_readfirstlane_b32 s4, v38
	s_cmp_eq_u32 s4, 0
	s_cselect_b64 s[10:11], -1, 0
	v_cmp_gt_i32_e32 vcc, s4, v37
	s_or_b64 s[10:11], s[10:11], vcc
	s_and_b64 exec, exec, s[10:11]
	s_cbranch_execz .LBB16_10
; %bb.8:
	s_mov_b64 s[10:11], 0
	v_mov_b32_e32 v38, s4
.LBB16_9:                               ; =>This Inner Loop Header: Depth=1
	ds_cmpst_rtn_b32 v38, v1, v38, v37 offset:136
	s_waitcnt lgkmcnt(0)
	v_cmp_ne_u32_e32 vcc, 0, v38
	v_cmp_le_i32_e64 s[4:5], v38, v37
	s_and_b64 s[4:5], vcc, s[4:5]
	s_and_b64 s[4:5], exec, s[4:5]
	s_or_b64 s[10:11], s[4:5], s[10:11]
	s_andn2_b64 exec, exec, s[10:11]
	s_cbranch_execnz .LBB16_9
.LBB16_10:
	s_or_b64 exec, exec, s[8:9]
	v_mov_b32_e32 v37, 0
	; wave barrier
	ds_read_b32 v1, v37 offset:136
	s_and_saveexec_b64 s[4:5], s[0:1]
	s_cbranch_execz .LBB16_12
; %bb.11:
	s_lshl_b64 s[8:9], s[2:3], 2
	s_add_u32 s8, s6, s8
	s_addc_u32 s9, s7, s9
	s_waitcnt lgkmcnt(0)
	global_store_dword v37, v1, s[8:9]
.LBB16_12:
	s_or_b64 exec, exec, s[4:5]
	s_waitcnt lgkmcnt(0)
	v_cmp_ne_u32_e32 vcc, 0, v1
	s_mov_b64 s[4:5], 0
	s_cbranch_vccnz .LBB16_80
; %bb.13:
	v_mov_b32_e32 v37, v36
	scratch_load_dwordx2 v[38:39], v37, off
                                        ; implicit-def: $vgpr41
                                        ; implicit-def: $vgpr42
	s_waitcnt vmcnt(0)
	v_cmp_ngt_f32_e64 s[4:5], |v38|, |v39|
	s_and_saveexec_b64 s[8:9], s[4:5]
	s_xor_b64 s[4:5], exec, s[8:9]
	s_cbranch_execz .LBB16_15
; %bb.14:
	v_div_scale_f32 v1, s[8:9], v39, v39, v38
	v_rcp_f32_e32 v40, v1
	v_div_scale_f32 v41, vcc, v38, v39, v38
	v_fma_f32 v42, -v1, v40, 1.0
	v_fmac_f32_e32 v40, v42, v40
	v_mul_f32_e32 v42, v41, v40
	v_fma_f32 v43, -v1, v42, v41
	v_fmac_f32_e32 v42, v43, v40
	v_fma_f32 v1, -v1, v42, v41
	v_div_fmas_f32 v1, v1, v40, v42
	v_div_fixup_f32 v1, v1, v39, v38
	v_fmac_f32_e32 v39, v38, v1
	v_div_scale_f32 v38, s[8:9], v39, v39, -1.0
	v_rcp_f32_e32 v40, v38
	s_nop 0
	v_fma_f32 v41, -v38, v40, 1.0
	v_fmac_f32_e32 v40, v41, v40
	v_div_scale_f32 v41, vcc, -1.0, v39, -1.0
	v_mul_f32_e32 v42, v41, v40
	v_fma_f32 v43, -v38, v42, v41
	v_fmac_f32_e32 v42, v43, v40
	v_fma_f32 v38, -v38, v42, v41
	v_div_fmas_f32 v38, v38, v40, v42
	v_div_fixup_f32 v41, v38, v39, -1.0
	v_mul_f32_e32 v42, v1, v41
	v_xor_b32_e32 v40, 0x80000000, v42
                                        ; implicit-def: $vgpr38_vgpr39
.LBB16_15:
	s_andn2_saveexec_b64 s[4:5], s[4:5]
	s_cbranch_execz .LBB16_17
; %bb.16:
	v_div_scale_f32 v1, s[8:9], v38, v38, v39
	v_rcp_f32_e32 v40, v1
	v_div_scale_f32 v41, vcc, v39, v38, v39
	v_fma_f32 v42, -v1, v40, 1.0
	v_fmac_f32_e32 v40, v42, v40
	v_mul_f32_e32 v42, v41, v40
	v_fma_f32 v43, -v1, v42, v41
	v_fmac_f32_e32 v42, v43, v40
	v_fma_f32 v1, -v1, v42, v41
	v_div_fmas_f32 v1, v1, v40, v42
	v_div_fixup_f32 v1, v1, v38, v39
	v_fmac_f32_e32 v38, v39, v1
	v_div_scale_f32 v39, s[8:9], v38, v38, 1.0
	v_rcp_f32_e32 v40, v39
	s_nop 0
	v_fma_f32 v41, -v39, v40, 1.0
	v_fmac_f32_e32 v40, v41, v40
	v_div_scale_f32 v41, vcc, 1.0, v38, 1.0
	v_mul_f32_e32 v42, v41, v40
	v_fma_f32 v43, -v39, v42, v41
	v_fmac_f32_e32 v42, v43, v40
	v_fma_f32 v39, -v39, v42, v41
	v_div_fmas_f32 v39, v39, v40, v42
	v_div_fixup_f32 v40, v39, v38, 1.0
	v_xor_b32_e32 v42, 0x80000000, v40
	v_mul_f32_e64 v41, v1, -v40
.LBB16_17:
	s_or_b64 exec, exec, s[4:5]
	scratch_store_dwordx2 v37, v[40:41], off
	scratch_load_dwordx2 v[38:39], off, off offset:8
	v_xor_b32_e32 v43, 0x80000000, v41
	v_add_u32_e32 v1, 0x90, v36
	s_waitcnt vmcnt(0)
	ds_write2_b64 v36, v[42:43], v[38:39] offset1:18
	s_waitcnt lgkmcnt(0)
	; wave barrier
	s_and_saveexec_b64 s[4:5], s[0:1]
	s_cbranch_execz .LBB16_19
; %bb.18:
	scratch_load_dwordx2 v[38:39], v37, off
	ds_read_b64 v[40:41], v1
	v_mov_b32_e32 v42, 0
	ds_read_b64 v[42:43], v42 offset:8
	s_waitcnt vmcnt(0) lgkmcnt(1)
	v_pk_mul_f32 v[44:45], v[40:41], v[38:39] op_sel:[1,1] op_sel_hi:[0,1]
	v_pk_fma_f32 v[46:47], v[40:41], v[38:39], v[44:45] neg_lo:[0,0,1] neg_hi:[0,0,1]
	v_pk_fma_f32 v[38:39], v[40:41], v[38:39], v[44:45] op_sel_hi:[1,0,1]
	s_nop 0
	v_mov_b32_e32 v47, v39
	v_pk_add_f32 v[38:39], v[46:47], 0 op_sel_hi:[1,0]
	s_waitcnt lgkmcnt(0)
	v_pk_mul_f32 v[40:41], v[38:39], v[42:43] op_sel:[1,1] op_sel_hi:[0,1]
	v_pk_fma_f32 v[44:45], v[38:39], v[42:43], v[40:41] neg_lo:[0,0,1] neg_hi:[0,0,1]
	v_pk_fma_f32 v[38:39], v[38:39], v[42:43], v[40:41] op_sel_hi:[1,0,1]
	s_nop 0
	v_mov_b32_e32 v45, v39
	scratch_store_dwordx2 off, v[44:45], off offset:8
.LBB16_19:
	s_or_b64 exec, exec, s[4:5]
	; wave barrier
	scratch_load_dwordx2 v[38:39], off, off offset:16
	v_cmp_gt_u32_e32 vcc, 2, v0
	s_waitcnt vmcnt(0)
	ds_write_b64 v1, v[38:39]
	s_waitcnt lgkmcnt(0)
	; wave barrier
	s_and_saveexec_b64 s[4:5], vcc
	s_cbranch_execz .LBB16_23
; %bb.20:
	scratch_load_dwordx2 v[38:39], v37, off
	ds_read_b64 v[40:41], v1
	s_waitcnt vmcnt(0) lgkmcnt(0)
	v_pk_mul_f32 v[42:43], v[40:41], v[38:39] op_sel:[1,1] op_sel_hi:[0,1]
	v_pk_fma_f32 v[44:45], v[40:41], v[38:39], v[42:43] neg_lo:[0,0,1] neg_hi:[0,0,1]
	v_pk_fma_f32 v[38:39], v[40:41], v[38:39], v[42:43] op_sel_hi:[1,0,1]
	s_nop 0
	v_mov_b32_e32 v45, v39
	v_pk_add_f32 v[38:39], v[44:45], 0 op_sel_hi:[1,0]
	s_and_saveexec_b64 s[8:9], s[0:1]
	s_cbranch_execz .LBB16_22
; %bb.21:
	scratch_load_dwordx2 v[40:41], off, off offset:8
	v_mov_b32_e32 v37, 0
	ds_read_b64 v[42:43], v37 offset:152
	s_waitcnt vmcnt(0) lgkmcnt(0)
	v_pk_mul_f32 v[44:45], v[42:43], v[40:41] op_sel:[1,1] op_sel_hi:[0,1]
	v_pk_fma_f32 v[46:47], v[42:43], v[40:41], v[44:45] neg_lo:[0,0,1] neg_hi:[0,0,1]
	v_pk_fma_f32 v[40:41], v[42:43], v[40:41], v[44:45] op_sel_hi:[1,0,1]
	s_nop 0
	v_mov_b32_e32 v47, v41
	v_pk_add_f32 v[38:39], v[38:39], v[46:47]
.LBB16_22:
	s_or_b64 exec, exec, s[8:9]
	v_mov_b32_e32 v37, 0
	ds_read_b64 v[40:41], v37 offset:16
	s_waitcnt lgkmcnt(0)
	v_pk_mul_f32 v[42:43], v[38:39], v[40:41] op_sel:[1,1] op_sel_hi:[0,1]
	v_pk_fma_f32 v[44:45], v[38:39], v[40:41], v[42:43] neg_lo:[0,0,1] neg_hi:[0,0,1]
	v_pk_fma_f32 v[38:39], v[38:39], v[40:41], v[42:43] op_sel_hi:[1,0,1]
	s_nop 0
	v_mov_b32_e32 v45, v39
	scratch_store_dwordx2 off, v[44:45], off offset:16
.LBB16_23:
	s_or_b64 exec, exec, s[4:5]
	; wave barrier
	scratch_load_dwordx2 v[38:39], off, off offset:24
	v_cmp_gt_u32_e32 vcc, 3, v0
	v_add_u32_e32 v40, -1, v0
	s_waitcnt vmcnt(0)
	ds_write_b64 v1, v[38:39]
	s_waitcnt lgkmcnt(0)
	; wave barrier
	s_and_saveexec_b64 s[0:1], vcc
	s_cbranch_execz .LBB16_27
; %bb.24:
	v_mov_b32_e32 v38, 0
	v_add_u32_e32 v37, -1, v0
	v_add_u32_e32 v41, 0x90, v36
	v_mov_b32_e32 v42, v36
	s_mov_b64 s[4:5], 0
	v_mov_b32_e32 v39, v38
.LBB16_25:                              ; =>This Inner Loop Header: Depth=1
	scratch_load_dwordx2 v[44:45], v42, off
	ds_read_b64 v[46:47], v41
	v_add_u32_e32 v37, 1, v37
	v_cmp_lt_u32_e32 vcc, 1, v37
	v_add_u32_e32 v41, 8, v41
	v_add_u32_e32 v42, 8, v42
	s_or_b64 s[4:5], vcc, s[4:5]
	s_waitcnt vmcnt(0) lgkmcnt(0)
	v_pk_mul_f32 v[48:49], v[46:47], v[44:45] op_sel:[1,1] op_sel_hi:[0,1]
	v_pk_fma_f32 v[50:51], v[46:47], v[44:45], v[48:49] neg_lo:[0,0,1] neg_hi:[0,0,1]
	v_pk_fma_f32 v[44:45], v[46:47], v[44:45], v[48:49] op_sel_hi:[1,0,1]
	s_nop 0
	v_mov_b32_e32 v51, v45
	v_pk_add_f32 v[38:39], v[38:39], v[50:51]
	s_andn2_b64 exec, exec, s[4:5]
	s_cbranch_execnz .LBB16_25
; %bb.26:
	s_or_b64 exec, exec, s[4:5]
	v_mov_b32_e32 v37, 0
	ds_read_b64 v[42:43], v37 offset:24
	s_waitcnt lgkmcnt(0)
	v_pk_mul_f32 v[44:45], v[38:39], v[42:43] op_sel:[1,1] op_sel_hi:[0,1]
	v_pk_fma_f32 v[46:47], v[38:39], v[42:43], v[44:45] neg_lo:[0,0,1] neg_hi:[0,0,1]
	v_pk_fma_f32 v[38:39], v[38:39], v[42:43], v[44:45] op_sel_hi:[1,0,1]
	s_nop 0
	v_mov_b32_e32 v47, v39
	scratch_store_dwordx2 off, v[46:47], off offset:24
.LBB16_27:
	s_or_b64 exec, exec, s[0:1]
	; wave barrier
	scratch_load_dwordx2 v[38:39], off, off offset:32
	v_cmp_gt_u32_e32 vcc, 4, v0
	s_waitcnt vmcnt(0)
	ds_write_b64 v1, v[38:39]
	s_waitcnt lgkmcnt(0)
	; wave barrier
	s_and_saveexec_b64 s[0:1], vcc
	s_cbranch_execz .LBB16_31
; %bb.28:
	v_mov_b32_e32 v38, 0
	v_add_u32_e32 v37, -1, v0
	v_add_u32_e32 v41, 0x90, v36
	v_mov_b32_e32 v42, v36
	s_mov_b64 s[4:5], 0
	v_mov_b32_e32 v39, v38
.LBB16_29:                              ; =>This Inner Loop Header: Depth=1
	scratch_load_dwordx2 v[44:45], v42, off
	ds_read_b64 v[46:47], v41
	v_add_u32_e32 v37, 1, v37
	v_cmp_lt_u32_e32 vcc, 2, v37
	v_add_u32_e32 v41, 8, v41
	v_add_u32_e32 v42, 8, v42
	s_or_b64 s[4:5], vcc, s[4:5]
	s_waitcnt vmcnt(0) lgkmcnt(0)
	v_pk_mul_f32 v[48:49], v[46:47], v[44:45] op_sel:[1,1] op_sel_hi:[0,1]
	v_pk_fma_f32 v[50:51], v[46:47], v[44:45], v[48:49] neg_lo:[0,0,1] neg_hi:[0,0,1]
	v_pk_fma_f32 v[44:45], v[46:47], v[44:45], v[48:49] op_sel_hi:[1,0,1]
	s_nop 0
	v_mov_b32_e32 v51, v45
	v_pk_add_f32 v[38:39], v[38:39], v[50:51]
	s_andn2_b64 exec, exec, s[4:5]
	s_cbranch_execnz .LBB16_29
; %bb.30:
	s_or_b64 exec, exec, s[4:5]
	v_mov_b32_e32 v37, 0
	ds_read_b64 v[42:43], v37 offset:32
	s_waitcnt lgkmcnt(0)
	v_pk_mul_f32 v[44:45], v[38:39], v[42:43] op_sel:[1,1] op_sel_hi:[0,1]
	v_pk_fma_f32 v[46:47], v[38:39], v[42:43], v[44:45] neg_lo:[0,0,1] neg_hi:[0,0,1]
	v_pk_fma_f32 v[38:39], v[38:39], v[42:43], v[44:45] op_sel_hi:[1,0,1]
	s_nop 0
	v_mov_b32_e32 v47, v39
	scratch_store_dwordx2 off, v[46:47], off offset:32
.LBB16_31:
	s_or_b64 exec, exec, s[0:1]
	; wave barrier
	scratch_load_dwordx2 v[38:39], off, off offset:40
	v_cmp_gt_u32_e32 vcc, 5, v0
	;; [unrolled: 46-line block ×12, first 2 shown]
	s_waitcnt vmcnt(0)
	ds_write_b64 v1, v[38:39]
	s_waitcnt lgkmcnt(0)
	; wave barrier
	s_and_saveexec_b64 s[0:1], vcc
	s_cbranch_execz .LBB16_75
; %bb.72:
	v_mov_b32_e32 v38, 0
	v_add_u32_e32 v37, -1, v0
	v_add_u32_e32 v41, 0x90, v36
	v_mov_b32_e32 v42, v36
	s_mov_b64 s[4:5], 0
	v_mov_b32_e32 v39, v38
.LBB16_73:                              ; =>This Inner Loop Header: Depth=1
	scratch_load_dwordx2 v[44:45], v42, off
	ds_read_b64 v[46:47], v41
	v_add_u32_e32 v37, 1, v37
	v_cmp_lt_u32_e32 vcc, 13, v37
	v_add_u32_e32 v41, 8, v41
	v_add_u32_e32 v42, 8, v42
	s_or_b64 s[4:5], vcc, s[4:5]
	s_waitcnt vmcnt(0) lgkmcnt(0)
	v_pk_mul_f32 v[48:49], v[46:47], v[44:45] op_sel:[1,1] op_sel_hi:[0,1]
	v_pk_fma_f32 v[50:51], v[46:47], v[44:45], v[48:49] neg_lo:[0,0,1] neg_hi:[0,0,1]
	v_pk_fma_f32 v[44:45], v[46:47], v[44:45], v[48:49] op_sel_hi:[1,0,1]
	s_nop 0
	v_mov_b32_e32 v51, v45
	v_pk_add_f32 v[38:39], v[38:39], v[50:51]
	s_andn2_b64 exec, exec, s[4:5]
	s_cbranch_execnz .LBB16_73
; %bb.74:
	s_or_b64 exec, exec, s[4:5]
	v_mov_b32_e32 v37, 0
	ds_read_b64 v[42:43], v37 offset:120
	s_waitcnt lgkmcnt(0)
	v_pk_mul_f32 v[44:45], v[38:39], v[42:43] op_sel:[1,1] op_sel_hi:[0,1]
	v_pk_fma_f32 v[46:47], v[38:39], v[42:43], v[44:45] neg_lo:[0,0,1] neg_hi:[0,0,1]
	v_pk_fma_f32 v[38:39], v[38:39], v[42:43], v[44:45] op_sel_hi:[1,0,1]
	s_nop 0
	v_mov_b32_e32 v47, v39
	scratch_store_dwordx2 off, v[46:47], off offset:120
.LBB16_75:
	s_or_b64 exec, exec, s[0:1]
	; wave barrier
	scratch_load_dwordx2 v[38:39], off, off offset:128
	v_cmp_ne_u32_e32 vcc, 16, v0
	s_waitcnt vmcnt(0)
	ds_write_b64 v1, v[38:39]
	s_waitcnt lgkmcnt(0)
	; wave barrier
	s_and_saveexec_b64 s[0:1], vcc
	s_cbranch_execz .LBB16_79
; %bb.76:
	v_add_u32_e32 v1, 0x90, v36
	v_mov_b32_e32 v38, v36
	v_mov_b32_e32 v36, 0
	s_mov_b64 s[4:5], 0
	v_mov_b32_e32 v37, v36
.LBB16_77:                              ; =>This Inner Loop Header: Depth=1
	scratch_load_dwordx2 v[42:43], v38, off
	ds_read_b64 v[44:45], v1
	v_add_u32_e32 v40, 1, v40
	v_cmp_lt_u32_e32 vcc, 14, v40
	v_add_u32_e32 v1, 8, v1
	v_add_u32_e32 v38, 8, v38
	s_or_b64 s[4:5], vcc, s[4:5]
	s_waitcnt vmcnt(0) lgkmcnt(0)
	v_pk_mul_f32 v[46:47], v[44:45], v[42:43] op_sel:[1,1] op_sel_hi:[0,1]
	v_pk_fma_f32 v[48:49], v[44:45], v[42:43], v[46:47] neg_lo:[0,0,1] neg_hi:[0,0,1]
	v_pk_fma_f32 v[42:43], v[44:45], v[42:43], v[46:47] op_sel_hi:[1,0,1]
	s_nop 0
	v_mov_b32_e32 v49, v43
	v_pk_add_f32 v[36:37], v[36:37], v[48:49]
	s_andn2_b64 exec, exec, s[4:5]
	s_cbranch_execnz .LBB16_77
; %bb.78:
	s_or_b64 exec, exec, s[4:5]
	v_mov_b32_e32 v1, 0
	ds_read_b64 v[38:39], v1 offset:128
	s_waitcnt lgkmcnt(0)
	v_pk_mul_f32 v[40:41], v[36:37], v[38:39] op_sel:[1,1] op_sel_hi:[0,1]
	v_pk_fma_f32 v[42:43], v[36:37], v[38:39], v[40:41] neg_lo:[0,0,1] neg_hi:[0,0,1]
	v_pk_fma_f32 v[36:37], v[36:37], v[38:39], v[40:41] op_sel_hi:[1,0,1]
	s_nop 0
	v_mov_b32_e32 v43, v37
	scratch_store_dwordx2 off, v[42:43], off offset:128
.LBB16_79:
	s_or_b64 exec, exec, s[0:1]
	s_mov_b64 s[4:5], -1
	; wave barrier
.LBB16_80:
	s_and_b64 vcc, exec, s[4:5]
	s_cbranch_vccz .LBB16_82
; %bb.81:
	s_lshl_b64 s[0:1], s[2:3], 2
	s_add_u32 s0, s6, s0
	s_addc_u32 s1, s7, s1
	v_mov_b32_e32 v1, 0
	global_load_dword v1, v1, s[0:1]
	s_waitcnt vmcnt(0)
	v_cmp_ne_u32_e32 vcc, 0, v1
	s_cbranch_vccz .LBB16_83
.LBB16_82:
	s_endpgm
.LBB16_83:
	v_mov_b32_e32 v1, 0x90
	v_lshl_add_u32 v1, v0, 3, v1
	v_cmp_eq_u32_e32 vcc, 16, v0
	s_and_saveexec_b64 s[0:1], vcc
	s_cbranch_execz .LBB16_85
; %bb.84:
	scratch_load_dwordx2 v[36:37], off, off offset:120
	v_mov_b32_e32 v38, 0
	v_mov_b32_e32 v39, v38
	scratch_store_dwordx2 off, v[38:39], off offset:120
	s_waitcnt vmcnt(1)
	ds_write_b64 v1, v[36:37]
.LBB16_85:
	s_or_b64 exec, exec, s[0:1]
	s_waitcnt lgkmcnt(0)
	; wave barrier
	scratch_load_dwordx2 v[38:39], off, off offset:128
	scratch_load_dwordx2 v[40:41], off, off offset:120
	v_mov_b32_e32 v36, 0
	ds_read_b64 v[42:43], v36 offset:272
	v_cmp_lt_u32_e32 vcc, 14, v0
	s_waitcnt vmcnt(1) lgkmcnt(0)
	v_pk_mul_f32 v[44:45], v[42:43], v[38:39] op_sel:[1,1] op_sel_hi:[0,1]
	v_pk_fma_f32 v[46:47], v[42:43], v[38:39], v[44:45] neg_lo:[0,0,1] neg_hi:[0,0,1]
	v_pk_fma_f32 v[38:39], v[42:43], v[38:39], v[44:45] op_sel_hi:[1,0,1]
	s_nop 0
	v_mov_b32_e32 v47, v39
	v_pk_add_f32 v[38:39], v[46:47], 0 op_sel_hi:[1,0]
	s_waitcnt vmcnt(0)
	v_pk_add_f32 v[38:39], v[40:41], v[38:39] neg_lo:[0,1] neg_hi:[0,1]
	scratch_store_dwordx2 off, v[38:39], off offset:120
	s_and_saveexec_b64 s[0:1], vcc
	s_cbranch_execz .LBB16_87
; %bb.86:
	scratch_load_dwordx2 v[38:39], off, off offset:112
	v_mov_b32_e32 v37, v36
	scratch_store_dwordx2 off, v[36:37], off offset:112
	s_waitcnt vmcnt(1)
	ds_write_b64 v1, v[38:39]
.LBB16_87:
	s_or_b64 exec, exec, s[0:1]
	s_waitcnt lgkmcnt(0)
	; wave barrier
	scratch_load_dwordx4 v[38:41], off, off offset:120
	scratch_load_dwordx2 v[46:47], off, off offset:112
	ds_read2_b64 v[42:45], v36 offset0:33 offset1:34
	v_cmp_lt_u32_e32 vcc, 13, v0
	s_waitcnt vmcnt(1) lgkmcnt(0)
	v_pk_mul_f32 v[36:37], v[42:43], v[38:39] op_sel:[1,1] op_sel_hi:[0,1]
	v_mov_b32_e32 v48, v41
	v_pk_fma_f32 v[50:51], v[42:43], v[38:39], v[36:37] neg_lo:[0,0,1] neg_hi:[0,0,1]
	v_pk_fma_f32 v[36:37], v[42:43], v[38:39], v[36:37] op_sel_hi:[1,0,1]
	v_pk_mul_f32 v[38:39], v[44:45], v[48:49] op_sel:[1,0] op_sel_hi:[0,0]
	v_mov_b32_e32 v51, v37
	v_pk_fma_f32 v[36:37], v[44:45], v[40:41], v[38:39] neg_lo:[0,0,1] neg_hi:[0,0,1]
	v_pk_fma_f32 v[38:39], v[44:45], v[40:41], v[38:39] op_sel_hi:[1,0,1]
	v_pk_add_f32 v[40:41], v[50:51], 0 op_sel_hi:[1,0]
	v_mov_b32_e32 v37, v39
	v_pk_add_f32 v[36:37], v[40:41], v[36:37]
	s_waitcnt vmcnt(0)
	v_pk_add_f32 v[36:37], v[46:47], v[36:37] neg_lo:[0,1] neg_hi:[0,1]
	scratch_store_dwordx2 off, v[36:37], off offset:112
	s_and_saveexec_b64 s[0:1], vcc
	s_cbranch_execz .LBB16_89
; %bb.88:
	scratch_load_dwordx2 v[36:37], off, off offset:104
	v_mov_b32_e32 v38, 0
	v_mov_b32_e32 v39, v38
	scratch_store_dwordx2 off, v[38:39], off offset:104
	s_waitcnt vmcnt(1)
	ds_write_b64 v1, v[36:37]
.LBB16_89:
	s_or_b64 exec, exec, s[0:1]
	s_waitcnt lgkmcnt(0)
	; wave barrier
	scratch_load_dwordx4 v[38:41], off, off offset:112
	scratch_load_dwordx2 v[46:47], off, off offset:128
	scratch_load_dwordx2 v[48:49], off, off offset:104
	v_mov_b32_e32 v36, 0
	ds_read_b128 v[42:45], v36 offset:256
	ds_read_b64 v[50:51], v36 offset:272
	v_cmp_lt_u32_e32 vcc, 12, v0
	s_waitcnt vmcnt(2) lgkmcnt(1)
	v_pk_mul_f32 v[52:53], v[42:43], v[38:39] op_sel:[1,1] op_sel_hi:[0,1]
	v_mov_b32_e32 v54, v41
	v_pk_fma_f32 v[58:59], v[42:43], v[38:39], v[52:53] neg_lo:[0,0,1] neg_hi:[0,0,1]
	v_pk_fma_f32 v[38:39], v[42:43], v[38:39], v[52:53] op_sel_hi:[1,0,1]
	v_pk_mul_f32 v[42:43], v[44:45], v[54:55] op_sel:[1,0] op_sel_hi:[0,0]
	s_waitcnt vmcnt(1) lgkmcnt(0)
	v_pk_mul_f32 v[56:57], v[50:51], v[46:47] op_sel:[1,1] op_sel_hi:[0,1]
	v_mov_b32_e32 v59, v39
	v_pk_fma_f32 v[38:39], v[44:45], v[40:41], v[42:43] neg_lo:[0,0,1] neg_hi:[0,0,1]
	v_pk_fma_f32 v[40:41], v[44:45], v[40:41], v[42:43] op_sel_hi:[1,0,1]
	v_pk_fma_f32 v[52:53], v[50:51], v[46:47], v[56:57] neg_lo:[0,0,1] neg_hi:[0,0,1]
	v_pk_fma_f32 v[46:47], v[50:51], v[46:47], v[56:57] op_sel_hi:[1,0,1]
	v_pk_add_f32 v[42:43], v[58:59], 0 op_sel_hi:[1,0]
	v_mov_b32_e32 v39, v41
	v_mov_b32_e32 v53, v47
	v_pk_add_f32 v[38:39], v[42:43], v[38:39]
	s_nop 0
	v_pk_add_f32 v[38:39], v[38:39], v[52:53]
	s_waitcnt vmcnt(0)
	v_pk_add_f32 v[38:39], v[48:49], v[38:39] neg_lo:[0,1] neg_hi:[0,1]
	scratch_store_dwordx2 off, v[38:39], off offset:104
	s_and_saveexec_b64 s[0:1], vcc
	s_cbranch_execz .LBB16_91
; %bb.90:
	scratch_load_dwordx2 v[38:39], off, off offset:96
	v_mov_b32_e32 v37, v36
	scratch_store_dwordx2 off, v[36:37], off offset:96
	s_waitcnt vmcnt(1)
	ds_write_b64 v1, v[38:39]
.LBB16_91:
	s_or_b64 exec, exec, s[0:1]
	s_waitcnt lgkmcnt(0)
	; wave barrier
	scratch_load_dwordx4 v[38:41], off, off offset:104
	scratch_load_dwordx4 v[42:45], off, off offset:120
	scratch_load_dwordx2 v[54:55], off, off offset:96
	ds_read2_b64 v[46:49], v36 offset0:31 offset1:32
	ds_read2_b64 v[50:53], v36 offset0:33 offset1:34
	v_cmp_lt_u32_e32 vcc, 11, v0
	s_waitcnt vmcnt(2) lgkmcnt(1)
	v_pk_mul_f32 v[36:37], v[46:47], v[38:39] op_sel:[1,1] op_sel_hi:[0,1]
	v_mov_b32_e32 v56, v41
	s_waitcnt vmcnt(1) lgkmcnt(0)
	v_pk_mul_f32 v[58:59], v[50:51], v[42:43] op_sel:[1,1] op_sel_hi:[0,1]
	v_mov_b32_e32 v60, v45
	v_pk_fma_f32 v[62:63], v[46:47], v[38:39], v[36:37] neg_lo:[0,0,1] neg_hi:[0,0,1]
	v_pk_fma_f32 v[36:37], v[46:47], v[38:39], v[36:37] op_sel_hi:[1,0,1]
	v_pk_mul_f32 v[38:39], v[48:49], v[56:57] op_sel:[1,0] op_sel_hi:[0,0]
	v_pk_fma_f32 v[46:47], v[50:51], v[42:43], v[58:59] neg_lo:[0,0,1] neg_hi:[0,0,1]
	v_pk_fma_f32 v[42:43], v[50:51], v[42:43], v[58:59] op_sel_hi:[1,0,1]
	v_pk_mul_f32 v[50:51], v[52:53], v[60:61] op_sel:[1,0] op_sel_hi:[0,0]
	v_mov_b32_e32 v63, v37
	v_pk_fma_f32 v[36:37], v[48:49], v[40:41], v[38:39] neg_lo:[0,0,1] neg_hi:[0,0,1]
	v_pk_fma_f32 v[38:39], v[48:49], v[40:41], v[38:39] op_sel_hi:[1,0,1]
	v_mov_b32_e32 v47, v43
	v_pk_fma_f32 v[40:41], v[52:53], v[44:45], v[50:51] neg_lo:[0,0,1] neg_hi:[0,0,1]
	v_pk_fma_f32 v[42:43], v[52:53], v[44:45], v[50:51] op_sel_hi:[1,0,1]
	v_pk_add_f32 v[44:45], v[62:63], 0 op_sel_hi:[1,0]
	v_mov_b32_e32 v37, v39
	v_pk_add_f32 v[36:37], v[44:45], v[36:37]
	v_mov_b32_e32 v41, v43
	v_pk_add_f32 v[36:37], v[36:37], v[46:47]
	s_nop 0
	v_pk_add_f32 v[36:37], v[36:37], v[40:41]
	s_waitcnt vmcnt(0)
	v_pk_add_f32 v[36:37], v[54:55], v[36:37] neg_lo:[0,1] neg_hi:[0,1]
	scratch_store_dwordx2 off, v[36:37], off offset:96
	s_and_saveexec_b64 s[0:1], vcc
	s_cbranch_execz .LBB16_93
; %bb.92:
	scratch_load_dwordx2 v[36:37], off, off offset:88
	v_mov_b32_e32 v38, 0
	v_mov_b32_e32 v39, v38
	scratch_store_dwordx2 off, v[38:39], off offset:88
	s_waitcnt vmcnt(1)
	ds_write_b64 v1, v[36:37]
.LBB16_93:
	s_or_b64 exec, exec, s[0:1]
	s_waitcnt lgkmcnt(0)
	; wave barrier
	scratch_load_dwordx4 v[38:41], off, off offset:96
	scratch_load_dwordx4 v[42:45], off, off offset:112
	scratch_load_dwordx2 v[54:55], off, off offset:128
	scratch_load_dwordx2 v[56:57], off, off offset:88
	v_mov_b32_e32 v36, 0
	ds_read_b128 v[46:49], v36 offset:240
	ds_read_b128 v[50:53], v36 offset:256
	ds_read_b64 v[58:59], v36 offset:272
	v_cmp_lt_u32_e32 vcc, 10, v0
	s_waitcnt vmcnt(3) lgkmcnt(2)
	v_pk_mul_f32 v[60:61], v[46:47], v[38:39] op_sel:[1,1] op_sel_hi:[0,1]
	v_mov_b32_e32 v62, v41
	v_pk_fma_f32 v[70:71], v[46:47], v[38:39], v[60:61] neg_lo:[0,0,1] neg_hi:[0,0,1]
	v_pk_fma_f32 v[38:39], v[46:47], v[38:39], v[60:61] op_sel_hi:[1,0,1]
	v_pk_mul_f32 v[46:47], v[48:49], v[62:63] op_sel:[1,0] op_sel_hi:[0,0]
	s_waitcnt vmcnt(2) lgkmcnt(1)
	v_pk_mul_f32 v[64:65], v[50:51], v[42:43] op_sel:[1,1] op_sel_hi:[0,1]
	v_mov_b32_e32 v66, v45
	v_mov_b32_e32 v71, v39
	v_pk_fma_f32 v[38:39], v[48:49], v[40:41], v[46:47] neg_lo:[0,0,1] neg_hi:[0,0,1]
	v_pk_fma_f32 v[40:41], v[48:49], v[40:41], v[46:47] op_sel_hi:[1,0,1]
	v_pk_fma_f32 v[60:61], v[50:51], v[42:43], v[64:65] neg_lo:[0,0,1] neg_hi:[0,0,1]
	v_pk_fma_f32 v[42:43], v[50:51], v[42:43], v[64:65] op_sel_hi:[1,0,1]
	v_pk_mul_f32 v[50:51], v[52:53], v[66:67] op_sel:[1,0] op_sel_hi:[0,0]
	v_pk_add_f32 v[46:47], v[70:71], 0 op_sel_hi:[1,0]
	v_mov_b32_e32 v39, v41
	s_waitcnt vmcnt(1) lgkmcnt(0)
	v_pk_mul_f32 v[68:69], v[58:59], v[54:55] op_sel:[1,1] op_sel_hi:[0,1]
	v_mov_b32_e32 v61, v43
	v_pk_fma_f32 v[42:43], v[52:53], v[44:45], v[50:51] neg_lo:[0,0,1] neg_hi:[0,0,1]
	v_pk_fma_f32 v[44:45], v[52:53], v[44:45], v[50:51] op_sel_hi:[1,0,1]
	v_pk_add_f32 v[38:39], v[46:47], v[38:39]
	v_pk_fma_f32 v[62:63], v[58:59], v[54:55], v[68:69] neg_lo:[0,0,1] neg_hi:[0,0,1]
	v_pk_fma_f32 v[54:55], v[58:59], v[54:55], v[68:69] op_sel_hi:[1,0,1]
	v_mov_b32_e32 v43, v45
	v_pk_add_f32 v[38:39], v[38:39], v[60:61]
	v_mov_b32_e32 v63, v55
	v_pk_add_f32 v[38:39], v[38:39], v[42:43]
	s_nop 0
	v_pk_add_f32 v[38:39], v[38:39], v[62:63]
	s_waitcnt vmcnt(0)
	v_pk_add_f32 v[38:39], v[56:57], v[38:39] neg_lo:[0,1] neg_hi:[0,1]
	scratch_store_dwordx2 off, v[38:39], off offset:88
	s_and_saveexec_b64 s[0:1], vcc
	s_cbranch_execz .LBB16_95
; %bb.94:
	scratch_load_dwordx2 v[38:39], off, off offset:80
	v_mov_b32_e32 v37, v36
	scratch_store_dwordx2 off, v[36:37], off offset:80
	s_waitcnt vmcnt(1)
	ds_write_b64 v1, v[38:39]
.LBB16_95:
	s_or_b64 exec, exec, s[0:1]
	s_waitcnt lgkmcnt(0)
	; wave barrier
	scratch_load_dwordx4 v[38:41], off, off offset:88
	scratch_load_dwordx4 v[42:45], off, off offset:104
	;; [unrolled: 1-line block ×3, first 2 shown]
	scratch_load_dwordx2 v[62:63], off, off offset:80
	ds_read2_b64 v[50:53], v36 offset0:29 offset1:30
	ds_read2_b64 v[54:57], v36 offset0:31 offset1:32
	;; [unrolled: 1-line block ×3, first 2 shown]
	v_cmp_lt_u32_e32 vcc, 9, v0
	s_waitcnt vmcnt(3) lgkmcnt(2)
	v_pk_mul_f32 v[36:37], v[50:51], v[38:39] op_sel:[1,1] op_sel_hi:[0,1]
	v_mov_b32_e32 v64, v41
	s_waitcnt vmcnt(2) lgkmcnt(1)
	v_pk_mul_f32 v[66:67], v[54:55], v[42:43] op_sel:[1,1] op_sel_hi:[0,1]
	v_mov_b32_e32 v68, v45
	;; [unrolled: 3-line block ×3, first 2 shown]
	v_pk_fma_f32 v[74:75], v[50:51], v[38:39], v[36:37] neg_lo:[0,0,1] neg_hi:[0,0,1]
	v_pk_fma_f32 v[36:37], v[50:51], v[38:39], v[36:37] op_sel_hi:[1,0,1]
	v_pk_mul_f32 v[38:39], v[52:53], v[64:65] op_sel:[1,0] op_sel_hi:[0,0]
	v_pk_fma_f32 v[50:51], v[54:55], v[42:43], v[66:67] neg_lo:[0,0,1] neg_hi:[0,0,1]
	v_pk_fma_f32 v[42:43], v[54:55], v[42:43], v[66:67] op_sel_hi:[1,0,1]
	v_pk_mul_f32 v[54:55], v[56:57], v[68:69] op_sel:[1,0] op_sel_hi:[0,0]
	;; [unrolled: 3-line block ×3, first 2 shown]
	v_mov_b32_e32 v75, v37
	v_pk_fma_f32 v[36:37], v[52:53], v[40:41], v[38:39] neg_lo:[0,0,1] neg_hi:[0,0,1]
	v_pk_fma_f32 v[38:39], v[52:53], v[40:41], v[38:39] op_sel_hi:[1,0,1]
	v_mov_b32_e32 v51, v43
	v_pk_fma_f32 v[40:41], v[56:57], v[44:45], v[54:55] neg_lo:[0,0,1] neg_hi:[0,0,1]
	v_pk_fma_f32 v[42:43], v[56:57], v[44:45], v[54:55] op_sel_hi:[1,0,1]
	;; [unrolled: 3-line block ×3, first 2 shown]
	v_pk_add_f32 v[48:49], v[74:75], 0 op_sel_hi:[1,0]
	v_mov_b32_e32 v37, v39
	v_pk_add_f32 v[36:37], v[48:49], v[36:37]
	v_mov_b32_e32 v41, v43
	v_pk_add_f32 v[36:37], v[36:37], v[50:51]
	;; [unrolled: 2-line block ×3, first 2 shown]
	s_nop 0
	v_pk_add_f32 v[36:37], v[36:37], v[64:65]
	s_nop 0
	v_pk_add_f32 v[36:37], v[36:37], v[44:45]
	s_waitcnt vmcnt(0)
	v_pk_add_f32 v[36:37], v[62:63], v[36:37] neg_lo:[0,1] neg_hi:[0,1]
	scratch_store_dwordx2 off, v[36:37], off offset:80
	s_and_saveexec_b64 s[0:1], vcc
	s_cbranch_execz .LBB16_97
; %bb.96:
	scratch_load_dwordx2 v[36:37], off, off offset:72
	v_mov_b32_e32 v38, 0
	v_mov_b32_e32 v39, v38
	scratch_store_dwordx2 off, v[38:39], off offset:72
	s_waitcnt vmcnt(1)
	ds_write_b64 v1, v[36:37]
.LBB16_97:
	s_or_b64 exec, exec, s[0:1]
	s_waitcnt lgkmcnt(0)
	; wave barrier
	scratch_load_dwordx4 v[38:41], off, off offset:80
	scratch_load_dwordx4 v[42:45], off, off offset:96
	;; [unrolled: 1-line block ×3, first 2 shown]
	scratch_load_dwordx2 v[62:63], off, off offset:128
	scratch_load_dwordx2 v[64:65], off, off offset:72
	v_mov_b32_e32 v36, 0
	ds_read_b128 v[50:53], v36 offset:224
	ds_read_b128 v[54:57], v36 offset:240
	;; [unrolled: 1-line block ×3, first 2 shown]
	ds_read_b64 v[66:67], v36 offset:272
	v_cmp_lt_u32_e32 vcc, 8, v0
	s_waitcnt vmcnt(4) lgkmcnt(3)
	v_pk_mul_f32 v[68:69], v[50:51], v[38:39] op_sel:[1,1] op_sel_hi:[0,1]
	v_mov_b32_e32 v70, v41
	v_pk_fma_f32 v[82:83], v[50:51], v[38:39], v[68:69] neg_lo:[0,0,1] neg_hi:[0,0,1]
	v_pk_fma_f32 v[38:39], v[50:51], v[38:39], v[68:69] op_sel_hi:[1,0,1]
	v_pk_mul_f32 v[50:51], v[52:53], v[70:71] op_sel:[1,0] op_sel_hi:[0,0]
	s_waitcnt vmcnt(3) lgkmcnt(2)
	v_pk_mul_f32 v[72:73], v[54:55], v[42:43] op_sel:[1,1] op_sel_hi:[0,1]
	v_mov_b32_e32 v74, v45
	v_mov_b32_e32 v83, v39
	v_pk_fma_f32 v[38:39], v[52:53], v[40:41], v[50:51] neg_lo:[0,0,1] neg_hi:[0,0,1]
	v_pk_fma_f32 v[40:41], v[52:53], v[40:41], v[50:51] op_sel_hi:[1,0,1]
	v_pk_fma_f32 v[68:69], v[54:55], v[42:43], v[72:73] neg_lo:[0,0,1] neg_hi:[0,0,1]
	v_pk_fma_f32 v[42:43], v[54:55], v[42:43], v[72:73] op_sel_hi:[1,0,1]
	v_pk_mul_f32 v[54:55], v[56:57], v[74:75] op_sel:[1,0] op_sel_hi:[0,0]
	v_pk_add_f32 v[50:51], v[82:83], 0 op_sel_hi:[1,0]
	v_mov_b32_e32 v39, v41
	s_waitcnt vmcnt(2) lgkmcnt(1)
	v_pk_mul_f32 v[76:77], v[58:59], v[46:47] op_sel:[1,1] op_sel_hi:[0,1]
	v_mov_b32_e32 v78, v49
	v_mov_b32_e32 v69, v43
	v_pk_fma_f32 v[42:43], v[56:57], v[44:45], v[54:55] neg_lo:[0,0,1] neg_hi:[0,0,1]
	v_pk_fma_f32 v[44:45], v[56:57], v[44:45], v[54:55] op_sel_hi:[1,0,1]
	v_pk_add_f32 v[38:39], v[50:51], v[38:39]
	v_pk_fma_f32 v[70:71], v[58:59], v[46:47], v[76:77] neg_lo:[0,0,1] neg_hi:[0,0,1]
	v_pk_fma_f32 v[46:47], v[58:59], v[46:47], v[76:77] op_sel_hi:[1,0,1]
	v_pk_mul_f32 v[58:59], v[60:61], v[78:79] op_sel:[1,0] op_sel_hi:[0,0]
	v_mov_b32_e32 v43, v45
	v_pk_add_f32 v[38:39], v[38:39], v[68:69]
	s_waitcnt vmcnt(1) lgkmcnt(0)
	v_pk_mul_f32 v[80:81], v[66:67], v[62:63] op_sel:[1,1] op_sel_hi:[0,1]
	v_mov_b32_e32 v71, v47
	v_pk_fma_f32 v[46:47], v[60:61], v[48:49], v[58:59] neg_lo:[0,0,1] neg_hi:[0,0,1]
	v_pk_fma_f32 v[48:49], v[60:61], v[48:49], v[58:59] op_sel_hi:[1,0,1]
	v_pk_add_f32 v[38:39], v[38:39], v[42:43]
	v_pk_fma_f32 v[72:73], v[66:67], v[62:63], v[80:81] neg_lo:[0,0,1] neg_hi:[0,0,1]
	v_pk_fma_f32 v[62:63], v[66:67], v[62:63], v[80:81] op_sel_hi:[1,0,1]
	v_mov_b32_e32 v47, v49
	v_pk_add_f32 v[38:39], v[38:39], v[70:71]
	v_mov_b32_e32 v73, v63
	v_pk_add_f32 v[38:39], v[38:39], v[46:47]
	s_nop 0
	v_pk_add_f32 v[38:39], v[38:39], v[72:73]
	s_waitcnt vmcnt(0)
	v_pk_add_f32 v[38:39], v[64:65], v[38:39] neg_lo:[0,1] neg_hi:[0,1]
	scratch_store_dwordx2 off, v[38:39], off offset:72
	s_and_saveexec_b64 s[0:1], vcc
	s_cbranch_execz .LBB16_99
; %bb.98:
	scratch_load_dwordx2 v[38:39], off, off offset:64
	v_mov_b32_e32 v37, v36
	scratch_store_dwordx2 off, v[36:37], off offset:64
	s_waitcnt vmcnt(1)
	ds_write_b64 v1, v[38:39]
.LBB16_99:
	s_or_b64 exec, exec, s[0:1]
	s_waitcnt lgkmcnt(0)
	; wave barrier
	scratch_load_dwordx4 v[38:41], off, off offset:72
	scratch_load_dwordx4 v[42:45], off, off offset:88
	;; [unrolled: 1-line block ×4, first 2 shown]
	scratch_load_dwordx2 v[70:71], off, off offset:64
	ds_read2_b64 v[54:57], v36 offset0:27 offset1:28
	ds_read2_b64 v[58:61], v36 offset0:29 offset1:30
	;; [unrolled: 1-line block ×4, first 2 shown]
	v_cmp_lt_u32_e32 vcc, 7, v0
	s_waitcnt vmcnt(4) lgkmcnt(3)
	v_pk_mul_f32 v[36:37], v[54:55], v[38:39] op_sel:[1,1] op_sel_hi:[0,1]
	v_mov_b32_e32 v72, v41
	s_waitcnt vmcnt(3) lgkmcnt(2)
	v_pk_mul_f32 v[74:75], v[58:59], v[42:43] op_sel:[1,1] op_sel_hi:[0,1]
	v_mov_b32_e32 v76, v45
	;; [unrolled: 3-line block ×4, first 2 shown]
	v_pk_fma_f32 v[86:87], v[54:55], v[38:39], v[36:37] neg_lo:[0,0,1] neg_hi:[0,0,1]
	v_pk_fma_f32 v[36:37], v[54:55], v[38:39], v[36:37] op_sel_hi:[1,0,1]
	v_pk_mul_f32 v[38:39], v[56:57], v[72:73] op_sel:[1,0] op_sel_hi:[0,0]
	v_pk_fma_f32 v[54:55], v[58:59], v[42:43], v[74:75] neg_lo:[0,0,1] neg_hi:[0,0,1]
	v_pk_fma_f32 v[42:43], v[58:59], v[42:43], v[74:75] op_sel_hi:[1,0,1]
	v_pk_mul_f32 v[58:59], v[60:61], v[76:77] op_sel:[1,0] op_sel_hi:[0,0]
	;; [unrolled: 3-line block ×4, first 2 shown]
	v_mov_b32_e32 v87, v37
	v_pk_fma_f32 v[36:37], v[56:57], v[40:41], v[38:39] neg_lo:[0,0,1] neg_hi:[0,0,1]
	v_pk_fma_f32 v[38:39], v[56:57], v[40:41], v[38:39] op_sel_hi:[1,0,1]
	v_mov_b32_e32 v55, v43
	v_pk_fma_f32 v[40:41], v[60:61], v[44:45], v[58:59] neg_lo:[0,0,1] neg_hi:[0,0,1]
	v_pk_fma_f32 v[42:43], v[60:61], v[44:45], v[58:59] op_sel_hi:[1,0,1]
	;; [unrolled: 3-line block ×4, first 2 shown]
	v_pk_add_f32 v[52:53], v[86:87], 0 op_sel_hi:[1,0]
	v_mov_b32_e32 v37, v39
	v_pk_add_f32 v[36:37], v[52:53], v[36:37]
	v_mov_b32_e32 v41, v43
	v_pk_add_f32 v[36:37], v[36:37], v[54:55]
	;; [unrolled: 2-line block ×4, first 2 shown]
	s_nop 0
	v_pk_add_f32 v[36:37], v[36:37], v[44:45]
	s_nop 0
	v_pk_add_f32 v[36:37], v[36:37], v[74:75]
	;; [unrolled: 2-line block ×3, first 2 shown]
	s_waitcnt vmcnt(0)
	v_pk_add_f32 v[36:37], v[70:71], v[36:37] neg_lo:[0,1] neg_hi:[0,1]
	scratch_store_dwordx2 off, v[36:37], off offset:64
	s_and_saveexec_b64 s[0:1], vcc
	s_cbranch_execz .LBB16_101
; %bb.100:
	scratch_load_dwordx2 v[36:37], off, off offset:56
	v_mov_b32_e32 v38, 0
	v_mov_b32_e32 v39, v38
	scratch_store_dwordx2 off, v[38:39], off offset:56
	s_waitcnt vmcnt(1)
	ds_write_b64 v1, v[36:37]
.LBB16_101:
	s_or_b64 exec, exec, s[0:1]
	s_waitcnt lgkmcnt(0)
	; wave barrier
	scratch_load_dwordx4 v[38:41], off, off offset:64
	scratch_load_dwordx4 v[42:45], off, off offset:80
	;; [unrolled: 1-line block ×4, first 2 shown]
	scratch_load_dwordx2 v[70:71], off, off offset:128
	scratch_load_dwordx2 v[72:73], off, off offset:56
	v_mov_b32_e32 v36, 0
	ds_read_b128 v[54:57], v36 offset:208
	ds_read_b128 v[58:61], v36 offset:224
	;; [unrolled: 1-line block ×4, first 2 shown]
	ds_read_b64 v[74:75], v36 offset:272
	v_cmp_lt_u32_e32 vcc, 6, v0
	s_waitcnt vmcnt(5) lgkmcnt(4)
	v_mul_f32_e32 v77, v54, v39
	v_mul_f32_e32 v37, v55, v39
	v_mov_b32_e32 v78, v41
	s_waitcnt vmcnt(4) lgkmcnt(3)
	v_pk_mul_f32 v[80:81], v[58:59], v[42:43] op_sel:[1,1] op_sel_hi:[0,1]
	v_mov_b32_e32 v82, v45
	s_waitcnt vmcnt(1) lgkmcnt(0)
	v_pk_mul_f32 v[92:93], v[74:75], v[70:71] op_sel:[1,1] op_sel_hi:[0,1]
	v_fmac_f32_e32 v77, v55, v38
	v_fma_f32 v76, v54, v38, -v37
	v_pk_mul_f32 v[38:39], v[56:57], v[78:79] op_sel:[1,0] op_sel_hi:[0,0]
	v_pk_fma_f32 v[54:55], v[58:59], v[42:43], v[80:81] neg_lo:[0,0,1] neg_hi:[0,0,1]
	v_pk_fma_f32 v[42:43], v[58:59], v[42:43], v[80:81] op_sel_hi:[1,0,1]
	v_pk_mul_f32 v[58:59], v[60:61], v[82:83] op_sel:[1,0] op_sel_hi:[0,0]
	v_pk_fma_f32 v[82:83], v[74:75], v[70:71], v[92:93] neg_lo:[0,0,1] neg_hi:[0,0,1]
	v_pk_fma_f32 v[70:71], v[74:75], v[70:71], v[92:93] op_sel_hi:[1,0,1]
	v_pk_add_f32 v[74:75], v[76:77], 0 op_sel_hi:[1,0]
	v_pk_fma_f32 v[76:77], v[56:57], v[40:41], v[38:39] neg_lo:[0,0,1] neg_hi:[0,0,1]
	v_pk_fma_f32 v[38:39], v[56:57], v[40:41], v[38:39] op_sel_hi:[1,0,1]
	v_pk_mul_f32 v[84:85], v[62:63], v[46:47] op_sel:[1,1] op_sel_hi:[0,1]
	v_mov_b32_e32 v77, v39
	v_mov_b32_e32 v86, v49
	;; [unrolled: 1-line block ×3, first 2 shown]
	v_pk_fma_f32 v[40:41], v[60:61], v[44:45], v[58:59] neg_lo:[0,0,1] neg_hi:[0,0,1]
	v_pk_fma_f32 v[42:43], v[60:61], v[44:45], v[58:59] op_sel_hi:[1,0,1]
	v_pk_add_f32 v[38:39], v[74:75], v[76:77]
	v_pk_fma_f32 v[78:79], v[62:63], v[46:47], v[84:85] neg_lo:[0,0,1] neg_hi:[0,0,1]
	v_pk_fma_f32 v[46:47], v[62:63], v[46:47], v[84:85] op_sel_hi:[1,0,1]
	v_pk_mul_f32 v[62:63], v[64:65], v[86:87] op_sel:[1,0] op_sel_hi:[0,0]
	v_mov_b32_e32 v41, v43
	v_pk_add_f32 v[38:39], v[38:39], v[54:55]
	v_pk_mul_f32 v[88:89], v[66:67], v[50:51] op_sel:[1,1] op_sel_hi:[0,1]
	v_mov_b32_e32 v90, v53
	v_mov_b32_e32 v79, v47
	v_pk_fma_f32 v[44:45], v[64:65], v[48:49], v[62:63] neg_lo:[0,0,1] neg_hi:[0,0,1]
	v_pk_fma_f32 v[46:47], v[64:65], v[48:49], v[62:63] op_sel_hi:[1,0,1]
	v_pk_add_f32 v[38:39], v[38:39], v[40:41]
	v_pk_fma_f32 v[80:81], v[66:67], v[50:51], v[88:89] neg_lo:[0,0,1] neg_hi:[0,0,1]
	v_pk_fma_f32 v[50:51], v[66:67], v[50:51], v[88:89] op_sel_hi:[1,0,1]
	v_pk_mul_f32 v[66:67], v[68:69], v[90:91] op_sel:[1,0] op_sel_hi:[0,0]
	v_mov_b32_e32 v45, v47
	v_pk_add_f32 v[38:39], v[38:39], v[78:79]
	v_mov_b32_e32 v81, v51
	v_pk_fma_f32 v[48:49], v[68:69], v[52:53], v[66:67] neg_lo:[0,0,1] neg_hi:[0,0,1]
	v_pk_fma_f32 v[50:51], v[68:69], v[52:53], v[66:67] op_sel_hi:[1,0,1]
	v_pk_add_f32 v[38:39], v[38:39], v[44:45]
	v_mov_b32_e32 v49, v51
	v_pk_add_f32 v[38:39], v[38:39], v[80:81]
	v_mov_b32_e32 v83, v71
	v_pk_add_f32 v[38:39], v[38:39], v[48:49]
	s_nop 0
	v_pk_add_f32 v[38:39], v[38:39], v[82:83]
	s_waitcnt vmcnt(0)
	v_pk_add_f32 v[38:39], v[72:73], v[38:39] neg_lo:[0,1] neg_hi:[0,1]
	scratch_store_dwordx2 off, v[38:39], off offset:56
	s_and_saveexec_b64 s[0:1], vcc
	s_cbranch_execz .LBB16_103
; %bb.102:
	scratch_load_dwordx2 v[38:39], off, off offset:48
	v_mov_b32_e32 v37, v36
	scratch_store_dwordx2 off, v[36:37], off offset:48
	s_waitcnt vmcnt(1)
	ds_write_b64 v1, v[38:39]
.LBB16_103:
	s_or_b64 exec, exec, s[0:1]
	s_waitcnt lgkmcnt(0)
	; wave barrier
	scratch_load_dwordx4 v[38:41], off, off offset:56
	scratch_load_dwordx4 v[42:45], off, off offset:72
	;; [unrolled: 1-line block ×5, first 2 shown]
	scratch_load_dwordx2 v[78:79], off, off offset:48
	ds_read2_b64 v[58:61], v36 offset0:25 offset1:26
	ds_read2_b64 v[62:65], v36 offset0:27 offset1:28
	;; [unrolled: 1-line block ×5, first 2 shown]
	v_cmp_lt_u32_e32 vcc, 5, v0
	s_waitcnt vmcnt(5) lgkmcnt(4)
	v_mul_f32_e32 v37, v58, v39
	v_mul_f32_e32 v36, v59, v39
	;; [unrolled: 1-line block ×4, first 2 shown]
	s_waitcnt vmcnt(4) lgkmcnt(3)
	v_pk_mul_f32 v[82:83], v[62:63], v[42:43] op_sel:[1,1] op_sel_hi:[0,1]
	v_mov_b32_e32 v84, v45
	v_fmac_f32_e32 v37, v59, v38
	v_fma_f32 v36, v58, v38, -v36
	v_fmac_f32_e32 v81, v61, v40
	v_fma_f32 v80, v60, v40, -v39
	v_pk_fma_f32 v[38:39], v[62:63], v[42:43], v[82:83] neg_lo:[0,0,1] neg_hi:[0,0,1]
	v_pk_fma_f32 v[40:41], v[62:63], v[42:43], v[82:83] op_sel_hi:[1,0,1]
	v_pk_mul_f32 v[42:43], v[64:65], v[84:85] op_sel:[1,0] op_sel_hi:[0,0]
	v_pk_add_f32 v[36:37], v[36:37], 0 op_sel_hi:[1,0]
	s_waitcnt vmcnt(3) lgkmcnt(2)
	v_pk_mul_f32 v[86:87], v[66:67], v[46:47] op_sel:[1,1] op_sel_hi:[0,1]
	v_mov_b32_e32 v88, v49
	v_mov_b32_e32 v39, v41
	v_pk_fma_f32 v[40:41], v[64:65], v[44:45], v[42:43] neg_lo:[0,0,1] neg_hi:[0,0,1]
	v_pk_fma_f32 v[42:43], v[64:65], v[44:45], v[42:43] op_sel_hi:[1,0,1]
	v_pk_add_f32 v[36:37], v[36:37], v[80:81]
	v_pk_fma_f32 v[58:59], v[66:67], v[46:47], v[86:87] neg_lo:[0,0,1] neg_hi:[0,0,1]
	v_pk_fma_f32 v[46:47], v[66:67], v[46:47], v[86:87] op_sel_hi:[1,0,1]
	v_pk_mul_f32 v[60:61], v[68:69], v[88:89] op_sel:[1,0] op_sel_hi:[0,0]
	v_mov_b32_e32 v41, v43
	v_pk_add_f32 v[36:37], v[36:37], v[38:39]
	s_waitcnt vmcnt(2) lgkmcnt(1)
	v_pk_mul_f32 v[90:91], v[70:71], v[50:51] op_sel:[1,1] op_sel_hi:[0,1]
	v_mov_b32_e32 v92, v53
	v_mov_b32_e32 v59, v47
	v_pk_fma_f32 v[44:45], v[68:69], v[48:49], v[60:61] neg_lo:[0,0,1] neg_hi:[0,0,1]
	v_pk_fma_f32 v[46:47], v[68:69], v[48:49], v[60:61] op_sel_hi:[1,0,1]
	v_pk_add_f32 v[36:37], v[36:37], v[40:41]
	v_pk_fma_f32 v[62:63], v[70:71], v[50:51], v[90:91] neg_lo:[0,0,1] neg_hi:[0,0,1]
	v_pk_fma_f32 v[50:51], v[70:71], v[50:51], v[90:91] op_sel_hi:[1,0,1]
	v_pk_mul_f32 v[66:67], v[72:73], v[92:93] op_sel:[1,0] op_sel_hi:[0,0]
	v_mov_b32_e32 v45, v47
	v_pk_add_f32 v[36:37], v[36:37], v[58:59]
	s_waitcnt vmcnt(1) lgkmcnt(0)
	v_pk_mul_f32 v[94:95], v[74:75], v[54:55] op_sel:[1,1] op_sel_hi:[0,1]
	v_mov_b32_e32 v96, v57
	v_mov_b32_e32 v63, v51
	v_pk_fma_f32 v[48:49], v[72:73], v[52:53], v[66:67] neg_lo:[0,0,1] neg_hi:[0,0,1]
	v_pk_fma_f32 v[50:51], v[72:73], v[52:53], v[66:67] op_sel_hi:[1,0,1]
	v_pk_add_f32 v[36:37], v[36:37], v[44:45]
	v_pk_fma_f32 v[70:71], v[74:75], v[54:55], v[94:95] neg_lo:[0,0,1] neg_hi:[0,0,1]
	v_pk_fma_f32 v[54:55], v[74:75], v[54:55], v[94:95] op_sel_hi:[1,0,1]
	v_pk_mul_f32 v[74:75], v[76:77], v[96:97] op_sel:[1,0] op_sel_hi:[0,0]
	v_mov_b32_e32 v49, v51
	v_pk_add_f32 v[36:37], v[36:37], v[62:63]
	v_mov_b32_e32 v71, v55
	v_pk_fma_f32 v[52:53], v[76:77], v[56:57], v[74:75] neg_lo:[0,0,1] neg_hi:[0,0,1]
	v_pk_fma_f32 v[54:55], v[76:77], v[56:57], v[74:75] op_sel_hi:[1,0,1]
	v_pk_add_f32 v[36:37], v[36:37], v[48:49]
	v_mov_b32_e32 v53, v55
	v_pk_add_f32 v[36:37], v[36:37], v[70:71]
	s_nop 0
	v_pk_add_f32 v[36:37], v[36:37], v[52:53]
	s_waitcnt vmcnt(0)
	v_pk_add_f32 v[36:37], v[78:79], v[36:37] neg_lo:[0,1] neg_hi:[0,1]
	scratch_store_dwordx2 off, v[36:37], off offset:48
	s_and_saveexec_b64 s[0:1], vcc
	s_cbranch_execz .LBB16_105
; %bb.104:
	scratch_load_dwordx2 v[36:37], off, off offset:40
	v_mov_b32_e32 v38, 0
	v_mov_b32_e32 v39, v38
	scratch_store_dwordx2 off, v[38:39], off offset:40
	s_waitcnt vmcnt(1)
	ds_write_b64 v1, v[36:37]
.LBB16_105:
	s_or_b64 exec, exec, s[0:1]
	s_waitcnt lgkmcnt(0)
	; wave barrier
	scratch_load_dwordx4 v[38:41], off, off offset:48
	scratch_load_dwordx4 v[42:45], off, off offset:64
	;; [unrolled: 1-line block ×5, first 2 shown]
	scratch_load_dwordx2 v[78:79], off, off offset:128
	scratch_load_dwordx2 v[80:81], off, off offset:40
	v_mov_b32_e32 v36, 0
	ds_read_b128 v[58:61], v36 offset:192
	ds_read_b128 v[62:65], v36 offset:208
	;; [unrolled: 1-line block ×5, first 2 shown]
	ds_read_b64 v[82:83], v36 offset:272
	v_cmp_lt_u32_e32 vcc, 4, v0
	s_waitcnt vmcnt(6) lgkmcnt(5)
	v_mul_f32_e32 v37, v58, v39
	v_mul_f32_e32 v39, v59, v39
	;; [unrolled: 1-line block ×3, first 2 shown]
	s_waitcnt vmcnt(5) lgkmcnt(4)
	v_mul_f32_e32 v87, v62, v43
	v_mul_f32_e32 v41, v61, v41
	;; [unrolled: 1-line block ×3, first 2 shown]
	v_mov_b32_e32 v88, v45
	s_waitcnt vmcnt(3) lgkmcnt(2)
	v_pk_mul_f32 v[94:95], v[70:71], v[50:51] op_sel:[1,1] op_sel_hi:[0,1]
	s_waitcnt vmcnt(2) lgkmcnt(1)
	v_pk_mul_f32 v[98:99], v[74:75], v[54:55] op_sel:[1,1] op_sel_hi:[0,1]
	;; [unrolled: 2-line block ×3, first 2 shown]
	v_fmac_f32_e32 v37, v59, v38
	v_fma_f32 v89, v58, v38, -v39
	v_fmac_f32_e32 v85, v61, v40
	v_fmac_f32_e32 v87, v63, v42
	v_fma_f32 v84, v60, v40, -v41
	v_fma_f32 v86, v62, v42, -v43
	v_pk_mul_f32 v[38:39], v[64:65], v[88:89] op_sel:[1,0] op_sel_hi:[0,0]
	v_pk_fma_f32 v[58:59], v[70:71], v[50:51], v[94:95] neg_lo:[0,0,1] neg_hi:[0,0,1]
	v_pk_fma_f32 v[50:51], v[70:71], v[50:51], v[94:95] op_sel_hi:[1,0,1]
	v_pk_fma_f32 v[62:63], v[74:75], v[54:55], v[98:99] neg_lo:[0,0,1] neg_hi:[0,0,1]
	v_pk_fma_f32 v[54:55], v[74:75], v[54:55], v[98:99] op_sel_hi:[1,0,1]
	;; [unrolled: 2-line block ×3, first 2 shown]
	v_add_f32_e32 v79, 0, v37
	v_add_f32_e32 v78, 0, v89
	v_pk_mul_f32 v[90:91], v[66:67], v[46:47] op_sel:[1,1] op_sel_hi:[0,1]
	v_mov_b32_e32 v92, v49
	v_pk_fma_f32 v[82:83], v[64:65], v[44:45], v[38:39] neg_lo:[0,0,1] neg_hi:[0,0,1]
	v_pk_fma_f32 v[38:39], v[64:65], v[44:45], v[38:39] op_sel_hi:[1,0,1]
	v_mov_b32_e32 v63, v55
	v_pk_add_f32 v[54:55], v[78:79], v[84:85]
	v_pk_fma_f32 v[40:41], v[66:67], v[46:47], v[90:91] neg_lo:[0,0,1] neg_hi:[0,0,1]
	v_pk_fma_f32 v[42:43], v[66:67], v[46:47], v[90:91] op_sel_hi:[1,0,1]
	v_pk_mul_f32 v[46:47], v[68:69], v[92:93] op_sel:[1,0] op_sel_hi:[0,0]
	v_mov_b32_e32 v83, v39
	v_pk_add_f32 v[38:39], v[54:55], v[86:87]
	v_mov_b32_e32 v96, v53
	v_mov_b32_e32 v41, v43
	v_pk_fma_f32 v[42:43], v[68:69], v[48:49], v[46:47] neg_lo:[0,0,1] neg_hi:[0,0,1]
	v_pk_fma_f32 v[44:45], v[68:69], v[48:49], v[46:47] op_sel_hi:[1,0,1]
	v_pk_add_f32 v[38:39], v[38:39], v[82:83]
	v_pk_mul_f32 v[60:61], v[72:73], v[96:97] op_sel:[1,0] op_sel_hi:[0,0]
	v_mov_b32_e32 v43, v45
	v_pk_add_f32 v[38:39], v[38:39], v[40:41]
	v_mov_b32_e32 v100, v57
	v_mov_b32_e32 v59, v51
	v_pk_fma_f32 v[46:47], v[72:73], v[52:53], v[60:61] neg_lo:[0,0,1] neg_hi:[0,0,1]
	v_pk_fma_f32 v[48:49], v[72:73], v[52:53], v[60:61] op_sel_hi:[1,0,1]
	v_pk_add_f32 v[38:39], v[38:39], v[42:43]
	v_pk_mul_f32 v[66:67], v[76:77], v[100:101] op_sel:[1,0] op_sel_hi:[0,0]
	v_mov_b32_e32 v47, v49
	v_pk_add_f32 v[38:39], v[38:39], v[58:59]
	v_pk_fma_f32 v[50:51], v[76:77], v[56:57], v[66:67] neg_lo:[0,0,1] neg_hi:[0,0,1]
	v_pk_fma_f32 v[52:53], v[76:77], v[56:57], v[66:67] op_sel_hi:[1,0,1]
	v_pk_add_f32 v[38:39], v[38:39], v[46:47]
	v_mov_b32_e32 v51, v53
	v_pk_add_f32 v[38:39], v[38:39], v[62:63]
	v_mov_b32_e32 v71, v75
	v_pk_add_f32 v[38:39], v[38:39], v[50:51]
	s_nop 0
	v_pk_add_f32 v[38:39], v[38:39], v[70:71]
	s_waitcnt vmcnt(0)
	v_pk_add_f32 v[38:39], v[80:81], v[38:39] neg_lo:[0,1] neg_hi:[0,1]
	scratch_store_dwordx2 off, v[38:39], off offset:40
	s_and_saveexec_b64 s[0:1], vcc
	s_cbranch_execz .LBB16_107
; %bb.106:
	scratch_load_dwordx2 v[38:39], off, off offset:32
	v_mov_b32_e32 v37, v36
	scratch_store_dwordx2 off, v[36:37], off offset:32
	s_waitcnt vmcnt(1)
	ds_write_b64 v1, v[38:39]
.LBB16_107:
	s_or_b64 exec, exec, s[0:1]
	s_waitcnt lgkmcnt(0)
	; wave barrier
	scratch_load_dwordx4 v[38:41], off, off offset:40
	scratch_load_dwordx4 v[42:45], off, off offset:56
	;; [unrolled: 1-line block ×6, first 2 shown]
	scratch_load_dwordx2 v[86:87], off, off offset:32
	ds_read2_b64 v[62:65], v36 offset0:23 offset1:24
	ds_read2_b64 v[66:69], v36 offset0:25 offset1:26
	;; [unrolled: 1-line block ×6, first 2 shown]
	v_cmp_lt_u32_e32 vcc, 3, v0
	s_waitcnt vmcnt(6) lgkmcnt(5)
	v_mul_f32_e32 v93, v62, v39
	v_mul_f32_e32 v97, v64, v41
	s_waitcnt vmcnt(5) lgkmcnt(4)
	v_mul_f32_e32 v37, v66, v43
	v_mul_f32_e32 v36, v63, v39
	;; [unrolled: 1-line block ×4, first 2 shown]
	s_waitcnt vmcnt(1) lgkmcnt(0)
	v_pk_mul_f32 v[102:103], v[82:83], v[58:59] op_sel:[1,1] op_sel_hi:[0,1]
	v_pk_mul_f32 v[90:91], v[70:71], v[46:47] op_sel:[1,1] op_sel_hi:[0,1]
	v_fmac_f32_e32 v93, v63, v38
	v_fmac_f32_e32 v37, v67, v42
	v_fma_f32 v101, v62, v38, -v36
	v_fma_f32 v36, v66, v42, -v41
	v_pk_fma_f32 v[66:67], v[82:83], v[58:59], v[102:103] neg_lo:[0,0,1] neg_hi:[0,0,1]
	v_pk_fma_f32 v[58:59], v[82:83], v[58:59], v[102:103] op_sel_hi:[1,0,1]
	v_fmac_f32_e32 v97, v65, v40
	v_fma_f32 v105, v64, v40, -v39
	v_pk_fma_f32 v[38:39], v[70:71], v[46:47], v[90:91] neg_lo:[0,0,1] neg_hi:[0,0,1]
	v_pk_fma_f32 v[40:41], v[70:71], v[46:47], v[90:91] op_sel_hi:[1,0,1]
	v_add_f32_e32 v58, 0, v93
	v_add_f32_e32 v70, 0, v101
	v_mul_f32_e32 v89, v68, v45
	v_mul_f32_e32 v43, v69, v45
	v_mov_b32_e32 v92, v49
	v_mov_b32_e32 v67, v59
	v_add_f32_e32 v59, v58, v97
	v_add_f32_e32 v58, v70, v105
	v_fmac_f32_e32 v89, v69, v44
	v_fma_f32 v88, v68, v44, -v43
	v_pk_mul_f32 v[42:43], v[72:73], v[92:93] op_sel:[1,0] op_sel_hi:[0,0]
	v_pk_add_f32 v[36:37], v[58:59], v[36:37]
	v_pk_mul_f32 v[94:95], v[74:75], v[50:51] op_sel:[1,1] op_sel_hi:[0,1]
	v_mov_b32_e32 v96, v53
	v_mov_b32_e32 v39, v41
	v_pk_fma_f32 v[40:41], v[72:73], v[48:49], v[42:43] neg_lo:[0,0,1] neg_hi:[0,0,1]
	v_pk_fma_f32 v[42:43], v[72:73], v[48:49], v[42:43] op_sel_hi:[1,0,1]
	v_pk_add_f32 v[36:37], v[36:37], v[88:89]
	v_pk_fma_f32 v[44:45], v[74:75], v[50:51], v[94:95] neg_lo:[0,0,1] neg_hi:[0,0,1]
	v_pk_fma_f32 v[46:47], v[74:75], v[50:51], v[94:95] op_sel_hi:[1,0,1]
	v_pk_mul_f32 v[50:51], v[76:77], v[96:97] op_sel:[1,0] op_sel_hi:[0,0]
	v_mov_b32_e32 v41, v43
	v_pk_add_f32 v[36:37], v[36:37], v[38:39]
	v_pk_mul_f32 v[98:99], v[78:79], v[54:55] op_sel:[1,1] op_sel_hi:[0,1]
	v_mov_b32_e32 v100, v57
	v_mov_b32_e32 v45, v47
	v_pk_fma_f32 v[46:47], v[76:77], v[52:53], v[50:51] neg_lo:[0,0,1] neg_hi:[0,0,1]
	v_pk_fma_f32 v[48:49], v[76:77], v[52:53], v[50:51] op_sel_hi:[1,0,1]
	v_pk_add_f32 v[36:37], v[36:37], v[40:41]
	v_pk_fma_f32 v[62:63], v[78:79], v[54:55], v[98:99] neg_lo:[0,0,1] neg_hi:[0,0,1]
	v_pk_fma_f32 v[54:55], v[78:79], v[54:55], v[98:99] op_sel_hi:[1,0,1]
	v_pk_mul_f32 v[64:65], v[80:81], v[100:101] op_sel:[1,0] op_sel_hi:[0,0]
	v_mov_b32_e32 v47, v49
	v_pk_add_f32 v[36:37], v[36:37], v[44:45]
	v_mov_b32_e32 v104, v61
	v_mov_b32_e32 v63, v55
	v_pk_fma_f32 v[50:51], v[80:81], v[56:57], v[64:65] neg_lo:[0,0,1] neg_hi:[0,0,1]
	v_pk_fma_f32 v[52:53], v[80:81], v[56:57], v[64:65] op_sel_hi:[1,0,1]
	v_pk_add_f32 v[36:37], v[36:37], v[46:47]
	v_pk_mul_f32 v[68:69], v[84:85], v[104:105] op_sel:[1,0] op_sel_hi:[0,0]
	v_mov_b32_e32 v51, v53
	v_pk_add_f32 v[36:37], v[36:37], v[62:63]
	v_pk_fma_f32 v[54:55], v[84:85], v[60:61], v[68:69] neg_lo:[0,0,1] neg_hi:[0,0,1]
	v_pk_fma_f32 v[56:57], v[84:85], v[60:61], v[68:69] op_sel_hi:[1,0,1]
	v_pk_add_f32 v[36:37], v[36:37], v[50:51]
	v_mov_b32_e32 v55, v57
	v_pk_add_f32 v[36:37], v[36:37], v[66:67]
	s_nop 0
	v_pk_add_f32 v[36:37], v[36:37], v[54:55]
	s_waitcnt vmcnt(0)
	v_pk_add_f32 v[36:37], v[86:87], v[36:37] neg_lo:[0,1] neg_hi:[0,1]
	scratch_store_dwordx2 off, v[36:37], off offset:32
	s_and_saveexec_b64 s[0:1], vcc
	s_cbranch_execz .LBB16_109
; %bb.108:
	scratch_load_dwordx2 v[36:37], off, off offset:24
	v_mov_b32_e32 v38, 0
	v_mov_b32_e32 v39, v38
	scratch_store_dwordx2 off, v[38:39], off offset:24
	s_waitcnt vmcnt(1)
	ds_write_b64 v1, v[36:37]
.LBB16_109:
	s_or_b64 exec, exec, s[0:1]
	s_waitcnt lgkmcnt(0)
	; wave barrier
	scratch_load_dwordx4 v[38:41], off, off offset:32
	scratch_load_dwordx4 v[42:45], off, off offset:48
	;; [unrolled: 1-line block ×6, first 2 shown]
	scratch_load_dwordx2 v[86:87], off, off offset:128
	scratch_load_dwordx2 v[88:89], off, off offset:24
	v_mov_b32_e32 v36, 0
	ds_read_b128 v[62:65], v36 offset:176
	ds_read_b128 v[66:69], v36 offset:192
	;; [unrolled: 1-line block ×6, first 2 shown]
	ds_read_b64 v[90:91], v36 offset:272
	v_cmp_lt_u32_e32 vcc, 2, v0
	s_waitcnt vmcnt(7) lgkmcnt(6)
	v_mul_f32_e32 v97, v64, v41
	v_mul_f32_e32 v37, v62, v39
	s_waitcnt vmcnt(5) lgkmcnt(4)
	v_mul_f32_e32 v95, v70, v47
	v_mul_f32_e32 v39, v63, v39
	v_mov_b32_e32 v96, v49
	s_waitcnt vmcnt(2) lgkmcnt(1)
	v_pk_mul_f32 v[106:107], v[82:83], v[58:59] op_sel:[1,1] op_sel_hi:[0,1]
	v_fmac_f32_e32 v97, v65, v40
	v_mul_f32_e32 v41, v65, v41
	v_mul_f32_e32 v47, v71, v47
	v_fmac_f32_e32 v37, v63, v38
	v_fmac_f32_e32 v95, v71, v46
	v_fma_f32 v71, v62, v38, -v39
	v_pk_mul_f32 v[38:39], v[72:73], v[96:97] op_sel:[1,0] op_sel_hi:[0,0]
	v_pk_fma_f32 v[62:63], v[82:83], v[58:59], v[106:107] neg_lo:[0,0,1] neg_hi:[0,0,1]
	v_pk_fma_f32 v[58:59], v[82:83], v[58:59], v[106:107] op_sel_hi:[1,0,1]
	v_mul_f32_e32 v101, v66, v43
	v_mul_f32_e32 v43, v67, v43
	v_fma_f32 v105, v64, v40, -v41
	v_fma_f32 v94, v70, v46, -v47
	v_add_f32_e32 v37, 0, v37
	v_add_f32_e32 v58, 0, v71
	v_pk_fma_f32 v[70:71], v[72:73], v[48:49], v[38:39] neg_lo:[0,0,1] neg_hi:[0,0,1]
	v_pk_fma_f32 v[38:39], v[72:73], v[48:49], v[38:39] op_sel_hi:[1,0,1]
	v_mul_f32_e32 v93, v68, v45
	v_mul_f32_e32 v45, v69, v45
	v_fmac_f32_e32 v101, v67, v42
	v_fma_f32 v109, v66, v42, -v43
	v_add_f32_e32 v37, v37, v97
	v_add_f32_e32 v38, v58, v105
	v_fmac_f32_e32 v93, v69, v44
	v_fma_f32 v92, v68, v44, -v45
	v_mov_b32_e32 v71, v39
	v_add_f32_e32 v39, v37, v101
	v_add_f32_e32 v38, v38, v109
	v_pk_mul_f32 v[98:99], v[74:75], v[50:51] op_sel:[1,1] op_sel_hi:[0,1]
	v_mov_b32_e32 v100, v53
	v_pk_add_f32 v[38:39], v[38:39], v[92:93]
	v_pk_fma_f32 v[40:41], v[74:75], v[50:51], v[98:99] neg_lo:[0,0,1] neg_hi:[0,0,1]
	v_pk_fma_f32 v[42:43], v[74:75], v[50:51], v[98:99] op_sel_hi:[1,0,1]
	v_pk_mul_f32 v[44:45], v[76:77], v[100:101] op_sel:[1,0] op_sel_hi:[0,0]
	v_pk_add_f32 v[38:39], v[38:39], v[94:95]
	v_pk_mul_f32 v[102:103], v[78:79], v[54:55] op_sel:[1,1] op_sel_hi:[0,1]
	v_mov_b32_e32 v104, v57
	v_mov_b32_e32 v41, v43
	v_pk_fma_f32 v[42:43], v[76:77], v[52:53], v[44:45] neg_lo:[0,0,1] neg_hi:[0,0,1]
	v_pk_fma_f32 v[44:45], v[76:77], v[52:53], v[44:45] op_sel_hi:[1,0,1]
	v_pk_add_f32 v[38:39], v[38:39], v[70:71]
	v_pk_fma_f32 v[46:47], v[78:79], v[54:55], v[102:103] neg_lo:[0,0,1] neg_hi:[0,0,1]
	v_pk_fma_f32 v[50:51], v[78:79], v[54:55], v[102:103] op_sel_hi:[1,0,1]
	v_pk_mul_f32 v[54:55], v[80:81], v[104:105] op_sel:[1,0] op_sel_hi:[0,0]
	v_mov_b32_e32 v43, v45
	v_pk_add_f32 v[38:39], v[38:39], v[40:41]
	v_mov_b32_e32 v108, v61
	v_mov_b32_e32 v47, v51
	v_pk_fma_f32 v[48:49], v[80:81], v[56:57], v[54:55] neg_lo:[0,0,1] neg_hi:[0,0,1]
	v_pk_fma_f32 v[50:51], v[80:81], v[56:57], v[54:55] op_sel_hi:[1,0,1]
	v_pk_add_f32 v[38:39], v[38:39], v[42:43]
	v_pk_mul_f32 v[64:65], v[84:85], v[108:109] op_sel:[1,0] op_sel_hi:[0,0]
	v_mov_b32_e32 v49, v51
	v_pk_add_f32 v[38:39], v[38:39], v[46:47]
	s_waitcnt vmcnt(1) lgkmcnt(0)
	v_pk_mul_f32 v[110:111], v[90:91], v[86:87] op_sel:[1,1] op_sel_hi:[0,1]
	v_mov_b32_e32 v63, v59
	v_pk_fma_f32 v[52:53], v[84:85], v[60:61], v[64:65] neg_lo:[0,0,1] neg_hi:[0,0,1]
	v_pk_fma_f32 v[54:55], v[84:85], v[60:61], v[64:65] op_sel_hi:[1,0,1]
	v_pk_add_f32 v[38:39], v[38:39], v[48:49]
	v_pk_fma_f32 v[66:67], v[90:91], v[86:87], v[110:111] neg_lo:[0,0,1] neg_hi:[0,0,1]
	v_pk_fma_f32 v[68:69], v[90:91], v[86:87], v[110:111] op_sel_hi:[1,0,1]
	v_mov_b32_e32 v53, v55
	v_pk_add_f32 v[38:39], v[38:39], v[62:63]
	v_mov_b32_e32 v67, v69
	v_pk_add_f32 v[38:39], v[38:39], v[52:53]
	s_nop 0
	v_pk_add_f32 v[38:39], v[38:39], v[66:67]
	s_waitcnt vmcnt(0)
	v_pk_add_f32 v[38:39], v[88:89], v[38:39] neg_lo:[0,1] neg_hi:[0,1]
	scratch_store_dwordx2 off, v[38:39], off offset:24
	s_and_saveexec_b64 s[0:1], vcc
	s_cbranch_execz .LBB16_111
; %bb.110:
	scratch_load_dwordx2 v[38:39], off, off offset:16
	v_mov_b32_e32 v37, v36
	scratch_store_dwordx2 off, v[36:37], off offset:16
	s_waitcnt vmcnt(1)
	ds_write_b64 v1, v[38:39]
.LBB16_111:
	s_or_b64 exec, exec, s[0:1]
	s_waitcnt lgkmcnt(0)
	; wave barrier
	scratch_load_dwordx4 v[38:41], off, off offset:24
	scratch_load_dwordx4 v[42:45], off, off offset:40
	;; [unrolled: 1-line block ×7, first 2 shown]
	ds_read2_b64 v[66:69], v36 offset0:21 offset1:22
	ds_read2_b64 v[70:73], v36 offset0:23 offset1:24
	;; [unrolled: 1-line block ×6, first 2 shown]
	scratch_load_dwordx2 v[94:95], off, off offset:16
	ds_read2_b64 v[90:93], v36 offset0:33 offset1:34
	v_cmp_lt_u32_e32 vcc, 1, v0
	s_waitcnt vmcnt(7) lgkmcnt(6)
	v_mul_f32_e32 v101, v66, v39
	v_mul_f32_e32 v105, v68, v41
	s_waitcnt vmcnt(6) lgkmcnt(5)
	v_mul_f32_e32 v109, v70, v43
	v_mul_f32_e32 v113, v72, v45
	s_waitcnt vmcnt(5) lgkmcnt(4)
	v_mul_f32_e32 v37, v74, v47
	v_mul_f32_e32 v97, v76, v49
	v_mul_f32_e32 v36, v67, v39
	v_mul_f32_e32 v39, v69, v41
	;; [unrolled: 1-line block ×6, first 2 shown]
	s_waitcnt vmcnt(4) lgkmcnt(3)
	v_pk_mul_f32 v[98:99], v[78:79], v[50:51] op_sel:[1,1] op_sel_hi:[0,1]
	v_mov_b32_e32 v100, v53
	s_waitcnt vmcnt(3) lgkmcnt(2)
	v_pk_mul_f32 v[102:103], v[82:83], v[54:55] op_sel:[1,1] op_sel_hi:[0,1]
	v_mov_b32_e32 v104, v57
	s_waitcnt vmcnt(1) lgkmcnt(0)
	v_pk_mul_f32 v[110:111], v[90:91], v[62:63] op_sel:[1,1] op_sel_hi:[0,1]
	v_fmac_f32_e32 v101, v67, v38
	v_fmac_f32_e32 v105, v69, v40
	v_fmac_f32_e32 v109, v71, v42
	v_fmac_f32_e32 v113, v73, v44
	v_fmac_f32_e32 v37, v75, v46
	v_fmac_f32_e32 v97, v77, v48
	v_fma_f32 v71, v66, v38, -v36
	v_fma_f32 v73, v68, v40, -v39
	;; [unrolled: 1-line block ×6, first 2 shown]
	v_pk_fma_f32 v[38:39], v[78:79], v[50:51], v[98:99] neg_lo:[0,0,1] neg_hi:[0,0,1]
	v_pk_fma_f32 v[40:41], v[78:79], v[50:51], v[98:99] op_sel_hi:[1,0,1]
	v_pk_mul_f32 v[42:43], v[80:81], v[100:101] op_sel:[1,0] op_sel_hi:[0,0]
	v_pk_fma_f32 v[44:45], v[82:83], v[54:55], v[102:103] neg_lo:[0,0,1] neg_hi:[0,0,1]
	v_pk_fma_f32 v[46:47], v[82:83], v[54:55], v[102:103] op_sel_hi:[1,0,1]
	v_pk_mul_f32 v[48:49], v[84:85], v[104:105] op_sel:[1,0] op_sel_hi:[0,0]
	v_pk_fma_f32 v[66:67], v[90:91], v[62:63], v[110:111] neg_lo:[0,0,1] neg_hi:[0,0,1]
	v_pk_fma_f32 v[62:63], v[90:91], v[62:63], v[110:111] op_sel_hi:[1,0,1]
	v_add_f32_e32 v71, 0, v71
	v_add_f32_e32 v62, 0, v101
	v_mov_b32_e32 v39, v41
	v_pk_fma_f32 v[40:41], v[80:81], v[52:53], v[42:43] neg_lo:[0,0,1] neg_hi:[0,0,1]
	v_pk_fma_f32 v[42:43], v[80:81], v[52:53], v[42:43] op_sel_hi:[1,0,1]
	v_mov_b32_e32 v45, v47
	v_pk_fma_f32 v[46:47], v[84:85], v[56:57], v[48:49] neg_lo:[0,0,1] neg_hi:[0,0,1]
	v_pk_fma_f32 v[48:49], v[84:85], v[56:57], v[48:49] op_sel_hi:[1,0,1]
	v_add_f32_e32 v42, v62, v105
	v_add_f32_e32 v48, v71, v73
	;; [unrolled: 1-line block ×4, first 2 shown]
	v_mov_b32_e32 v41, v43
	v_add_f32_e32 v43, v42, v113
	v_add_f32_e32 v42, v48, v72
	v_pk_add_f32 v[36:37], v[42:43], v[36:37]
	v_pk_mul_f32 v[106:107], v[86:87], v[58:59] op_sel:[1,1] op_sel_hi:[0,1]
	v_pk_add_f32 v[36:37], v[36:37], v[96:97]
	v_mov_b32_e32 v108, v61
	v_pk_add_f32 v[36:37], v[36:37], v[38:39]
	v_pk_fma_f32 v[50:51], v[86:87], v[58:59], v[106:107] neg_lo:[0,0,1] neg_hi:[0,0,1]
	v_pk_add_f32 v[36:37], v[36:37], v[40:41]
	v_pk_fma_f32 v[54:55], v[86:87], v[58:59], v[106:107] op_sel_hi:[1,0,1]
	v_pk_mul_f32 v[58:59], v[88:89], v[108:109] op_sel:[1,0] op_sel_hi:[0,0]
	v_mov_b32_e32 v47, v49
	v_pk_add_f32 v[36:37], v[36:37], v[44:45]
	v_mov_b32_e32 v112, v65
	v_mov_b32_e32 v51, v55
	v_pk_fma_f32 v[52:53], v[88:89], v[60:61], v[58:59] neg_lo:[0,0,1] neg_hi:[0,0,1]
	v_pk_fma_f32 v[54:55], v[88:89], v[60:61], v[58:59] op_sel_hi:[1,0,1]
	v_pk_add_f32 v[36:37], v[36:37], v[46:47]
	v_pk_mul_f32 v[68:69], v[92:93], v[112:113] op_sel:[1,0] op_sel_hi:[0,0]
	v_mov_b32_e32 v53, v55
	v_pk_add_f32 v[36:37], v[36:37], v[50:51]
	v_mov_b32_e32 v67, v63
	v_pk_fma_f32 v[56:57], v[92:93], v[64:65], v[68:69] neg_lo:[0,0,1] neg_hi:[0,0,1]
	v_pk_fma_f32 v[58:59], v[92:93], v[64:65], v[68:69] op_sel_hi:[1,0,1]
	v_pk_add_f32 v[36:37], v[36:37], v[52:53]
	v_mov_b32_e32 v57, v59
	v_pk_add_f32 v[36:37], v[36:37], v[66:67]
	s_nop 0
	v_pk_add_f32 v[36:37], v[36:37], v[56:57]
	s_waitcnt vmcnt(0)
	v_pk_add_f32 v[36:37], v[94:95], v[36:37] neg_lo:[0,1] neg_hi:[0,1]
	scratch_store_dwordx2 off, v[36:37], off offset:16
	s_and_saveexec_b64 s[0:1], vcc
	s_cbranch_execz .LBB16_113
; %bb.112:
	scratch_load_dwordx2 v[36:37], off, off offset:8
	v_mov_b32_e32 v38, 0
	v_mov_b32_e32 v39, v38
	scratch_store_dwordx2 off, v[38:39], off offset:8
	s_waitcnt vmcnt(1)
	ds_write_b64 v1, v[36:37]
.LBB16_113:
	s_or_b64 exec, exec, s[0:1]
	s_waitcnt lgkmcnt(0)
	; wave barrier
	scratch_load_dwordx4 v[38:41], off, off offset:16
	scratch_load_dwordx4 v[42:45], off, off offset:32
	;; [unrolled: 1-line block ×7, first 2 shown]
	scratch_load_dwordx2 v[94:95], off, off offset:128
	scratch_load_dwordx2 v[96:97], off, off offset:8
	v_mov_b32_e32 v36, 0
	ds_read_b128 v[66:69], v36 offset:160
	ds_read_b128 v[70:73], v36 offset:176
	;; [unrolled: 1-line block ×7, first 2 shown]
	ds_read_b64 v[98:99], v36 offset:272
	v_cmp_ne_u32_e32 vcc, 0, v0
	s_waitcnt vmcnt(8) lgkmcnt(7)
	v_mul_f32_e32 v105, v68, v41
	v_mul_f32_e32 v37, v66, v39
	s_waitcnt vmcnt(7) lgkmcnt(6)
	v_mul_f32_e32 v109, v70, v43
	s_waitcnt vmcnt(6) lgkmcnt(5)
	v_mul_f32_e32 v117, v74, v47
	v_mul_f32_e32 v101, v76, v49
	;; [unrolled: 1-line block ×5, first 2 shown]
	s_waitcnt vmcnt(5)
	v_mov_b32_e32 v104, v53
	s_waitcnt vmcnt(3) lgkmcnt(2)
	v_pk_mul_f32 v[110:111], v[86:87], v[58:59] op_sel:[1,1] op_sel_hi:[0,1]
	s_waitcnt vmcnt(2) lgkmcnt(1)
	v_pk_mul_f32 v[114:115], v[90:91], v[62:63] op_sel:[1,1] op_sel_hi:[0,1]
	v_fmac_f32_e32 v105, v69, v40
	v_mul_f32_e32 v41, v69, v41
	v_mul_f32_e32 v43, v71, v43
	v_fmac_f32_e32 v37, v67, v38
	v_fmac_f32_e32 v109, v71, v42
	v_fmac_f32_e32 v117, v75, v46
	v_fmac_f32_e32 v101, v77, v48
	v_fma_f32 v66, v66, v38, -v39
	v_fma_f32 v71, v74, v46, -v47
	;; [unrolled: 1-line block ×3, first 2 shown]
	v_pk_mul_f32 v[38:39], v[80:81], v[104:105] op_sel:[1,0] op_sel_hi:[0,0]
	v_pk_fma_f32 v[46:47], v[86:87], v[58:59], v[110:111] neg_lo:[0,0,1] neg_hi:[0,0,1]
	v_pk_fma_f32 v[48:49], v[86:87], v[58:59], v[110:111] op_sel_hi:[1,0,1]
	v_pk_fma_f32 v[58:59], v[90:91], v[62:63], v[114:115] op_sel_hi:[1,0,1]
	v_fma_f32 v68, v68, v40, -v41
	v_add_f32_e32 v37, 0, v37
	v_add_f32_e32 v58, 0, v66
	v_pk_fma_f32 v[66:67], v[80:81], v[52:53], v[38:39] neg_lo:[0,0,1] neg_hi:[0,0,1]
	v_pk_fma_f32 v[38:39], v[80:81], v[52:53], v[38:39] op_sel_hi:[1,0,1]
	v_mul_f32_e32 v113, v72, v45
	v_mul_f32_e32 v45, v73, v45
	v_fma_f32 v69, v70, v42, -v43
	v_add_f32_e32 v37, v37, v105
	v_add_f32_e32 v38, v58, v68
	v_fmac_f32_e32 v113, v73, v44
	v_fma_f32 v70, v72, v44, -v45
	v_add_f32_e32 v37, v37, v109
	v_add_f32_e32 v38, v38, v69
	v_add_f32_e32 v37, v37, v113
	v_add_f32_e32 v38, v38, v70
	v_mul_f32_e32 v103, v78, v51
	v_mul_f32_e32 v51, v79, v51
	v_mov_b32_e32 v67, v39
	v_add_f32_e32 v39, v37, v117
	v_add_f32_e32 v38, v38, v71
	v_pk_mul_f32 v[106:107], v[82:83], v[54:55] op_sel:[1,1] op_sel_hi:[0,1]
	v_mov_b32_e32 v108, v57
	v_fmac_f32_e32 v103, v79, v50
	v_fma_f32 v102, v78, v50, -v51
	v_pk_add_f32 v[38:39], v[38:39], v[100:101]
	v_pk_fma_f32 v[40:41], v[82:83], v[54:55], v[106:107] neg_lo:[0,0,1] neg_hi:[0,0,1]
	v_pk_fma_f32 v[42:43], v[82:83], v[54:55], v[106:107] op_sel_hi:[1,0,1]
	v_pk_mul_f32 v[44:45], v[84:85], v[108:109] op_sel:[1,0] op_sel_hi:[0,0]
	v_pk_add_f32 v[38:39], v[38:39], v[102:103]
	v_mov_b32_e32 v112, v61
	v_mov_b32_e32 v41, v43
	v_pk_fma_f32 v[42:43], v[84:85], v[56:57], v[44:45] neg_lo:[0,0,1] neg_hi:[0,0,1]
	v_pk_fma_f32 v[44:45], v[84:85], v[56:57], v[44:45] op_sel_hi:[1,0,1]
	v_pk_add_f32 v[38:39], v[38:39], v[66:67]
	v_pk_mul_f32 v[50:51], v[88:89], v[112:113] op_sel:[1,0] op_sel_hi:[0,0]
	v_mov_b32_e32 v43, v45
	v_pk_add_f32 v[38:39], v[38:39], v[40:41]
	v_mov_b32_e32 v116, v65
	v_mov_b32_e32 v47, v49
	v_pk_fma_f32 v[48:49], v[88:89], v[60:61], v[50:51] neg_lo:[0,0,1] neg_hi:[0,0,1]
	v_pk_fma_f32 v[50:51], v[88:89], v[60:61], v[50:51] op_sel_hi:[1,0,1]
	v_pk_add_f32 v[38:39], v[38:39], v[42:43]
	v_pk_fma_f32 v[54:55], v[90:91], v[62:63], v[114:115] neg_lo:[0,0,1] neg_hi:[0,0,1]
	v_pk_mul_f32 v[62:63], v[92:93], v[116:117] op_sel:[1,0] op_sel_hi:[0,0]
	v_mov_b32_e32 v49, v51
	v_pk_add_f32 v[38:39], v[38:39], v[46:47]
	v_mov_b32_e32 v55, v59
	v_pk_add_f32 v[38:39], v[38:39], v[48:49]
	v_pk_fma_f32 v[40:41], v[92:93], v[64:65], v[62:63] neg_lo:[0,0,1] neg_hi:[0,0,1]
	v_pk_fma_f32 v[42:43], v[92:93], v[64:65], v[62:63] op_sel_hi:[1,0,1]
	v_pk_add_f32 v[38:39], v[38:39], v[54:55]
	v_mov_b32_e32 v41, v43
	v_pk_add_f32 v[38:39], v[38:39], v[40:41]
	s_waitcnt vmcnt(1) lgkmcnt(0)
	v_pk_mul_f32 v[40:41], v[98:99], v[94:95] op_sel:[1,1] op_sel_hi:[0,1]
	v_pk_fma_f32 v[42:43], v[98:99], v[94:95], v[40:41] neg_lo:[0,0,1] neg_hi:[0,0,1]
	v_pk_fma_f32 v[40:41], v[98:99], v[94:95], v[40:41] op_sel_hi:[1,0,1]
	s_nop 0
	v_mov_b32_e32 v43, v41
	v_pk_add_f32 v[38:39], v[38:39], v[42:43]
	s_waitcnt vmcnt(0)
	v_pk_add_f32 v[38:39], v[96:97], v[38:39] neg_lo:[0,1] neg_hi:[0,1]
	scratch_store_dwordx2 off, v[38:39], off offset:8
	s_and_saveexec_b64 s[0:1], vcc
	s_cbranch_execz .LBB16_115
; %bb.114:
	scratch_load_dwordx2 v[38:39], off, off
	v_mov_b32_e32 v37, v36
	scratch_store_dwordx2 off, v[36:37], off
	s_waitcnt vmcnt(1)
	ds_write_b64 v1, v[38:39]
.LBB16_115:
	s_or_b64 exec, exec, s[0:1]
	s_waitcnt lgkmcnt(0)
	; wave barrier
	scratch_load_dwordx4 v[38:41], off, off offset:8
	scratch_load_dwordx4 v[42:45], off, off offset:24
	;; [unrolled: 1-line block ×7, first 2 shown]
	ds_read2_b64 v[66:69], v36 offset0:19 offset1:20
	ds_read2_b64 v[70:73], v36 offset0:21 offset1:22
	;; [unrolled: 1-line block ×4, first 2 shown]
	scratch_load_dwordx4 v[82:85], off, off offset:120
	ds_read2_b64 v[86:89], v36 offset0:27 offset1:28
	ds_read2_b64 v[90:93], v36 offset0:29 offset1:30
	;; [unrolled: 1-line block ×4, first 2 shown]
	scratch_load_dwordx2 v[0:1], off, off
	s_and_b64 vcc, exec, s[18:19]
	s_waitcnt vmcnt(8) lgkmcnt(7)
	v_mul_f32_e32 v107, v66, v39
	v_mul_f32_e32 v111, v68, v41
	s_waitcnt vmcnt(7) lgkmcnt(6)
	v_mul_f32_e32 v115, v70, v43
	v_mul_f32_e32 v116, v72, v45
	;; [unrolled: 3-line block ×3, first 2 shown]
	v_mul_f32_e32 v36, v67, v39
	v_mul_f32_e32 v39, v69, v41
	;; [unrolled: 1-line block ×6, first 2 shown]
	s_waitcnt vmcnt(5) lgkmcnt(4)
	v_mul_f32_e32 v49, v79, v51
	s_waitcnt vmcnt(4) lgkmcnt(3)
	v_pk_mul_f32 v[104:105], v[86:87], v[54:55] op_sel:[1,1] op_sel_hi:[0,1]
	v_mov_b32_e32 v106, v57
	s_waitcnt vmcnt(3) lgkmcnt(2)
	v_pk_mul_f32 v[108:109], v[90:91], v[58:59] op_sel:[1,1] op_sel_hi:[0,1]
	v_mov_b32_e32 v110, v61
	v_fmac_f32_e32 v107, v67, v38
	v_fmac_f32_e32 v111, v69, v40
	;; [unrolled: 1-line block ×6, first 2 shown]
	v_fma_f32 v66, v66, v38, -v36
	v_fma_f32 v67, v68, v40, -v39
	;; [unrolled: 1-line block ×7, first 2 shown]
	v_pk_fma_f32 v[38:39], v[86:87], v[54:55], v[104:105] neg_lo:[0,0,1] neg_hi:[0,0,1]
	v_pk_fma_f32 v[40:41], v[86:87], v[54:55], v[104:105] op_sel_hi:[1,0,1]
	v_pk_mul_f32 v[42:43], v[88:89], v[106:107] op_sel:[1,0] op_sel_hi:[0,0]
	v_pk_fma_f32 v[44:45], v[90:91], v[58:59], v[108:109] neg_lo:[0,0,1] neg_hi:[0,0,1]
	v_pk_fma_f32 v[46:47], v[90:91], v[58:59], v[108:109] op_sel_hi:[1,0,1]
	v_pk_mul_f32 v[48:49], v[92:93], v[110:111] op_sel:[1,0] op_sel_hi:[0,0]
	v_add_f32_e32 v58, 0, v107
	v_add_f32_e32 v59, 0, v66
	v_mov_b32_e32 v39, v41
	v_pk_fma_f32 v[40:41], v[88:89], v[56:57], v[42:43] neg_lo:[0,0,1] neg_hi:[0,0,1]
	v_pk_fma_f32 v[42:43], v[88:89], v[56:57], v[42:43] op_sel_hi:[1,0,1]
	v_mov_b32_e32 v45, v47
	v_pk_fma_f32 v[46:47], v[92:93], v[60:61], v[48:49] neg_lo:[0,0,1] neg_hi:[0,0,1]
	v_pk_fma_f32 v[48:49], v[92:93], v[60:61], v[48:49] op_sel_hi:[1,0,1]
	v_add_f32_e32 v42, v58, v111
	v_add_f32_e32 v48, v59, v67
	v_mov_b32_e32 v41, v43
	v_add_f32_e32 v42, v42, v115
	v_add_f32_e32 v43, v48, v68
	;; [unrolled: 1-line block ×4, first 2 shown]
	v_mul_f32_e32 v37, v78, v51
	v_add_f32_e32 v42, v42, v117
	v_add_f32_e32 v48, v43, v70
	v_mul_f32_e32 v103, v80, v53
	v_mul_f32_e32 v51, v81, v53
	v_fmac_f32_e32 v37, v79, v50
	v_add_f32_e32 v43, v42, v118
	v_add_f32_e32 v42, v48, v71
	v_fmac_f32_e32 v103, v81, v52
	v_fma_f32 v102, v80, v52, -v51
	v_pk_add_f32 v[36:37], v[42:43], v[36:37]
	s_waitcnt vmcnt(2) lgkmcnt(1)
	v_pk_mul_f32 v[112:113], v[94:95], v[62:63] op_sel:[1,1] op_sel_hi:[0,1]
	v_mov_b32_e32 v114, v65
	v_pk_add_f32 v[36:37], v[36:37], v[102:103]
	v_pk_fma_f32 v[50:51], v[94:95], v[62:63], v[112:113] neg_lo:[0,0,1] neg_hi:[0,0,1]
	v_pk_fma_f32 v[52:53], v[94:95], v[62:63], v[112:113] op_sel_hi:[1,0,1]
	v_pk_mul_f32 v[54:55], v[96:97], v[114:115] op_sel:[1,0] op_sel_hi:[0,0]
	v_pk_add_f32 v[36:37], v[36:37], v[38:39]
	v_mov_b32_e32 v51, v53
	v_pk_fma_f32 v[52:53], v[96:97], v[64:65], v[54:55] neg_lo:[0,0,1] neg_hi:[0,0,1]
	v_pk_add_f32 v[36:37], v[36:37], v[40:41]
	v_pk_fma_f32 v[38:39], v[96:97], v[64:65], v[54:55] op_sel_hi:[1,0,1]
	v_mov_b32_e32 v47, v49
	v_pk_add_f32 v[36:37], v[36:37], v[44:45]
	v_mov_b32_e32 v53, v39
	s_waitcnt vmcnt(1) lgkmcnt(0)
	v_pk_mul_f32 v[38:39], v[98:99], v[82:83] op_sel:[1,1] op_sel_hi:[0,1]
	v_pk_add_f32 v[36:37], v[36:37], v[46:47]
	v_pk_fma_f32 v[40:41], v[98:99], v[82:83], v[38:39] neg_lo:[0,0,1] neg_hi:[0,0,1]
	v_pk_fma_f32 v[38:39], v[98:99], v[82:83], v[38:39] op_sel_hi:[1,0,1]
	v_pk_add_f32 v[36:37], v[36:37], v[50:51]
	v_mov_b32_e32 v38, v85
	v_pk_add_f32 v[36:37], v[36:37], v[52:53]
	v_mov_b32_e32 v41, v39
	v_pk_mul_f32 v[38:39], v[100:101], v[38:39] op_sel:[1,0] op_sel_hi:[0,0]
	v_pk_add_f32 v[36:37], v[36:37], v[40:41]
	v_pk_fma_f32 v[40:41], v[100:101], v[84:85], v[38:39] neg_lo:[0,0,1] neg_hi:[0,0,1]
	v_pk_fma_f32 v[38:39], v[100:101], v[84:85], v[38:39] op_sel_hi:[1,0,1]
	s_nop 0
	v_mov_b32_e32 v41, v39
	v_pk_add_f32 v[36:37], v[36:37], v[40:41]
	s_waitcnt vmcnt(0)
	v_pk_add_f32 v[0:1], v[0:1], v[36:37] neg_lo:[0,1] neg_hi:[0,1]
	scratch_store_dwordx2 off, v[0:1], off
	s_cbranch_vccz .LBB16_148
; %bb.116:
	v_mov_b32_e32 v0, 0
	global_load_dword v1, v0, s[16:17] offset:60
	s_waitcnt vmcnt(0)
	v_readfirstlane_b32 s0, v1
	s_add_i32 s0, s0, -1
	s_cmp_lg_u32 s0, 15
	s_cbranch_scc0 .LBB16_118
; %bb.117:
	s_lshl_b32 s0, s0, 3
	s_nop 0
	scratch_load_dwordx2 v[36:37], off, s0
	scratch_load_dwordx2 v[38:39], off, off offset:120
	s_waitcnt vmcnt(1)
	scratch_store_dwordx2 off, v[36:37], off offset:120
	s_waitcnt vmcnt(1)
	scratch_store_dwordx2 off, v[38:39], s0
.LBB16_118:
	global_load_dword v0, v0, s[16:17] offset:56
	s_waitcnt vmcnt(0)
	v_readfirstlane_b32 s0, v0
	s_add_i32 s0, s0, -1
	s_cmp_eq_u32 s0, 14
	s_cbranch_scc1 .LBB16_120
; %bb.119:
	s_lshl_b32 s0, s0, 3
	s_nop 0
	scratch_load_dwordx2 v[0:1], off, s0
	scratch_load_dwordx2 v[36:37], off, off offset:112
	s_waitcnt vmcnt(1)
	scratch_store_dwordx2 off, v[0:1], off offset:112
	s_waitcnt vmcnt(1)
	scratch_store_dwordx2 off, v[36:37], s0
.LBB16_120:
	v_mov_b32_e32 v0, 0
	global_load_dword v1, v0, s[16:17] offset:52
	s_waitcnt vmcnt(0)
	v_readfirstlane_b32 s0, v1
	s_add_i32 s0, s0, -1
	s_cmp_eq_u32 s0, 13
	s_cbranch_scc1 .LBB16_122
; %bb.121:
	s_lshl_b32 s0, s0, 3
	s_nop 0
	scratch_load_dwordx2 v[36:37], off, s0
	scratch_load_dwordx2 v[38:39], off, off offset:104
	s_waitcnt vmcnt(1)
	scratch_store_dwordx2 off, v[36:37], off offset:104
	s_waitcnt vmcnt(1)
	scratch_store_dwordx2 off, v[38:39], s0
.LBB16_122:
	global_load_dword v0, v0, s[16:17] offset:48
	s_waitcnt vmcnt(0)
	v_readfirstlane_b32 s0, v0
	s_add_i32 s0, s0, -1
	s_cmp_eq_u32 s0, 12
	s_cbranch_scc1 .LBB16_124
; %bb.123:
	s_lshl_b32 s0, s0, 3
	s_nop 0
	scratch_load_dwordx2 v[0:1], off, s0
	scratch_load_dwordx2 v[36:37], off, off offset:96
	s_waitcnt vmcnt(1)
	scratch_store_dwordx2 off, v[0:1], off offset:96
	s_waitcnt vmcnt(1)
	scratch_store_dwordx2 off, v[36:37], s0
.LBB16_124:
	v_mov_b32_e32 v0, 0
	global_load_dword v1, v0, s[16:17] offset:44
	s_waitcnt vmcnt(0)
	v_readfirstlane_b32 s0, v1
	s_add_i32 s0, s0, -1
	s_cmp_eq_u32 s0, 11
	s_cbranch_scc1 .LBB16_126
; %bb.125:
	s_lshl_b32 s0, s0, 3
	s_nop 0
	scratch_load_dwordx2 v[36:37], off, s0
	scratch_load_dwordx2 v[38:39], off, off offset:88
	s_waitcnt vmcnt(1)
	scratch_store_dwordx2 off, v[36:37], off offset:88
	s_waitcnt vmcnt(1)
	scratch_store_dwordx2 off, v[38:39], s0
.LBB16_126:
	;; [unrolled: 33-line block ×7, first 2 shown]
	global_load_dword v36, v0, s[16:17]
	s_nop 0
	scratch_load_dwordx2 v[0:1], off, off
	s_waitcnt vmcnt(1)
	v_readfirstlane_b32 s0, v36
	s_add_i32 s0, s0, -1
	s_cmp_eq_u32 s0, 0
	s_cbranch_scc1 .LBB16_148
; %bb.147:
	s_lshl_b32 s0, s0, 3
	s_nop 0
	scratch_load_dwordx2 v[36:37], off, s0
	s_waitcnt vmcnt(0)
	scratch_store_dwordx2 off, v[36:37], off
	scratch_store_dwordx2 off, v[0:1], s0
	scratch_load_dwordx2 v[0:1], off, off
.LBB16_148:
	s_nop 0
	scratch_load_dwordx4 v[36:39], off, off offset:8
	scratch_load_dwordx4 v[40:43], off, off offset:24
	;; [unrolled: 1-line block ×8, first 2 shown]
	s_waitcnt vmcnt(8)
	global_store_dwordx2 v[2:3], v[0:1], off
	s_waitcnt vmcnt(8)
	global_store_dwordx2 v[4:5], v[36:37], off
	global_store_dwordx2 v[6:7], v[38:39], off
	s_waitcnt vmcnt(9)
	global_store_dwordx2 v[8:9], v[40:41], off
	;; [unrolled: 3-line block ×8, first 2 shown]
	global_store_dwordx2 v[34:35], v[66:67], off
	s_endpgm
	.section	.rodata,"a",@progbits
	.p2align	6, 0x0
	.amdhsa_kernel _ZN9rocsolver6v33100L18getri_kernel_smallILi17E19rocblas_complex_numIfEPS3_EEvT1_iilPiilS6_bb
		.amdhsa_group_segment_fixed_size 280
		.amdhsa_private_segment_fixed_size 144
		.amdhsa_kernarg_size 60
		.amdhsa_user_sgpr_count 2
		.amdhsa_user_sgpr_dispatch_ptr 0
		.amdhsa_user_sgpr_queue_ptr 0
		.amdhsa_user_sgpr_kernarg_segment_ptr 1
		.amdhsa_user_sgpr_dispatch_id 0
		.amdhsa_user_sgpr_kernarg_preload_length 0
		.amdhsa_user_sgpr_kernarg_preload_offset 0
		.amdhsa_user_sgpr_private_segment_size 0
		.amdhsa_uses_dynamic_stack 0
		.amdhsa_enable_private_segment 1
		.amdhsa_system_sgpr_workgroup_id_x 1
		.amdhsa_system_sgpr_workgroup_id_y 0
		.amdhsa_system_sgpr_workgroup_id_z 0
		.amdhsa_system_sgpr_workgroup_info 0
		.amdhsa_system_vgpr_workitem_id 0
		.amdhsa_next_free_vgpr 119
		.amdhsa_next_free_sgpr 20
		.amdhsa_accum_offset 120
		.amdhsa_reserve_vcc 1
		.amdhsa_float_round_mode_32 0
		.amdhsa_float_round_mode_16_64 0
		.amdhsa_float_denorm_mode_32 3
		.amdhsa_float_denorm_mode_16_64 3
		.amdhsa_dx10_clamp 1
		.amdhsa_ieee_mode 1
		.amdhsa_fp16_overflow 0
		.amdhsa_tg_split 0
		.amdhsa_exception_fp_ieee_invalid_op 0
		.amdhsa_exception_fp_denorm_src 0
		.amdhsa_exception_fp_ieee_div_zero 0
		.amdhsa_exception_fp_ieee_overflow 0
		.amdhsa_exception_fp_ieee_underflow 0
		.amdhsa_exception_fp_ieee_inexact 0
		.amdhsa_exception_int_div_zero 0
	.end_amdhsa_kernel
	.section	.text._ZN9rocsolver6v33100L18getri_kernel_smallILi17E19rocblas_complex_numIfEPS3_EEvT1_iilPiilS6_bb,"axG",@progbits,_ZN9rocsolver6v33100L18getri_kernel_smallILi17E19rocblas_complex_numIfEPS3_EEvT1_iilPiilS6_bb,comdat
.Lfunc_end16:
	.size	_ZN9rocsolver6v33100L18getri_kernel_smallILi17E19rocblas_complex_numIfEPS3_EEvT1_iilPiilS6_bb, .Lfunc_end16-_ZN9rocsolver6v33100L18getri_kernel_smallILi17E19rocblas_complex_numIfEPS3_EEvT1_iilPiilS6_bb
                                        ; -- End function
	.set _ZN9rocsolver6v33100L18getri_kernel_smallILi17E19rocblas_complex_numIfEPS3_EEvT1_iilPiilS6_bb.num_vgpr, 119
	.set _ZN9rocsolver6v33100L18getri_kernel_smallILi17E19rocblas_complex_numIfEPS3_EEvT1_iilPiilS6_bb.num_agpr, 0
	.set _ZN9rocsolver6v33100L18getri_kernel_smallILi17E19rocblas_complex_numIfEPS3_EEvT1_iilPiilS6_bb.numbered_sgpr, 20
	.set _ZN9rocsolver6v33100L18getri_kernel_smallILi17E19rocblas_complex_numIfEPS3_EEvT1_iilPiilS6_bb.num_named_barrier, 0
	.set _ZN9rocsolver6v33100L18getri_kernel_smallILi17E19rocblas_complex_numIfEPS3_EEvT1_iilPiilS6_bb.private_seg_size, 144
	.set _ZN9rocsolver6v33100L18getri_kernel_smallILi17E19rocblas_complex_numIfEPS3_EEvT1_iilPiilS6_bb.uses_vcc, 1
	.set _ZN9rocsolver6v33100L18getri_kernel_smallILi17E19rocblas_complex_numIfEPS3_EEvT1_iilPiilS6_bb.uses_flat_scratch, 0
	.set _ZN9rocsolver6v33100L18getri_kernel_smallILi17E19rocblas_complex_numIfEPS3_EEvT1_iilPiilS6_bb.has_dyn_sized_stack, 0
	.set _ZN9rocsolver6v33100L18getri_kernel_smallILi17E19rocblas_complex_numIfEPS3_EEvT1_iilPiilS6_bb.has_recursion, 0
	.set _ZN9rocsolver6v33100L18getri_kernel_smallILi17E19rocblas_complex_numIfEPS3_EEvT1_iilPiilS6_bb.has_indirect_call, 0
	.section	.AMDGPU.csdata,"",@progbits
; Kernel info:
; codeLenInByte = 13976
; TotalNumSgprs: 26
; NumVgprs: 119
; NumAgprs: 0
; TotalNumVgprs: 119
; ScratchSize: 144
; MemoryBound: 0
; FloatMode: 240
; IeeeMode: 1
; LDSByteSize: 280 bytes/workgroup (compile time only)
; SGPRBlocks: 3
; VGPRBlocks: 14
; NumSGPRsForWavesPerEU: 26
; NumVGPRsForWavesPerEU: 119
; AccumOffset: 120
; Occupancy: 4
; WaveLimiterHint : 1
; COMPUTE_PGM_RSRC2:SCRATCH_EN: 1
; COMPUTE_PGM_RSRC2:USER_SGPR: 2
; COMPUTE_PGM_RSRC2:TRAP_HANDLER: 0
; COMPUTE_PGM_RSRC2:TGID_X_EN: 1
; COMPUTE_PGM_RSRC2:TGID_Y_EN: 0
; COMPUTE_PGM_RSRC2:TGID_Z_EN: 0
; COMPUTE_PGM_RSRC2:TIDIG_COMP_CNT: 0
; COMPUTE_PGM_RSRC3_GFX90A:ACCUM_OFFSET: 29
; COMPUTE_PGM_RSRC3_GFX90A:TG_SPLIT: 0
	.section	.text._ZN9rocsolver6v33100L18getri_kernel_smallILi18E19rocblas_complex_numIfEPS3_EEvT1_iilPiilS6_bb,"axG",@progbits,_ZN9rocsolver6v33100L18getri_kernel_smallILi18E19rocblas_complex_numIfEPS3_EEvT1_iilPiilS6_bb,comdat
	.globl	_ZN9rocsolver6v33100L18getri_kernel_smallILi18E19rocblas_complex_numIfEPS3_EEvT1_iilPiilS6_bb ; -- Begin function _ZN9rocsolver6v33100L18getri_kernel_smallILi18E19rocblas_complex_numIfEPS3_EEvT1_iilPiilS6_bb
	.p2align	8
	.type	_ZN9rocsolver6v33100L18getri_kernel_smallILi18E19rocblas_complex_numIfEPS3_EEvT1_iilPiilS6_bb,@function
_ZN9rocsolver6v33100L18getri_kernel_smallILi18E19rocblas_complex_numIfEPS3_EEvT1_iilPiilS6_bb: ; @_ZN9rocsolver6v33100L18getri_kernel_smallILi18E19rocblas_complex_numIfEPS3_EEvT1_iilPiilS6_bb
; %bb.0:
	v_cmp_gt_u32_e32 vcc, 18, v0
	s_and_saveexec_b64 s[4:5], vcc
	s_cbranch_execz .LBB17_86
; %bb.1:
	s_load_dword s8, s[0:1], 0x38
	s_load_dwordx4 s[12:15], s[0:1], 0x10
	s_load_dwordx4 s[4:7], s[0:1], 0x28
                                        ; implicit-def: $sgpr16_sgpr17
	s_waitcnt lgkmcnt(0)
	s_bitcmp1_b32 s8, 8
	s_cselect_b64 s[18:19], -1, 0
	s_ashr_i32 s3, s2, 31
	s_bfe_u32 s8, s8, 0x10008
	s_cmp_eq_u32 s8, 0
	s_cbranch_scc1 .LBB17_3
; %bb.2:
	s_load_dword s8, s[0:1], 0x20
	s_mul_i32 s9, s4, s3
	s_mul_hi_u32 s10, s4, s2
	s_mul_i32 s5, s5, s2
	s_add_i32 s10, s10, s9
	s_add_i32 s5, s10, s5
	s_mul_i32 s4, s4, s2
	s_waitcnt lgkmcnt(0)
	s_ashr_i32 s9, s8, 31
	s_lshl_b64 s[4:5], s[4:5], 2
	s_add_u32 s10, s14, s4
	s_addc_u32 s11, s15, s5
	s_lshl_b64 s[4:5], s[8:9], 2
	s_add_u32 s16, s10, s4
	s_addc_u32 s17, s11, s5
.LBB17_3:
	s_load_dwordx4 s[8:11], s[0:1], 0x0
	s_load_dword s14, s[0:1], 0x38
	s_mul_i32 s4, s12, s3
	s_mul_hi_u32 s5, s12, s2
	s_add_i32 s4, s5, s4
	s_mul_i32 s5, s13, s2
	s_add_i32 s5, s4, s5
	s_mul_i32 s4, s12, s2
	s_waitcnt lgkmcnt(0)
	s_ashr_i32 s1, s10, 31
	s_lshl_b64 s[4:5], s[4:5], 3
	s_mov_b32 s0, s10
	s_add_u32 s4, s8, s4
	s_addc_u32 s5, s9, s5
	s_lshl_b64 s[0:1], s[0:1], 3
	s_add_u32 s0, s4, s0
	s_addc_u32 s1, s5, s1
	v_lshlrev_b32_e32 v38, 3, v0
	v_mov_b32_e32 v39, 0
	v_lshl_add_u64 v[2:3], s[0:1], 0, v[38:39]
	s_ashr_i32 s5, s11, 31
	s_mov_b32 s4, s11
	v_lshl_add_u64 v[4:5], s[4:5], 3, v[2:3]
	s_add_i32 s4, s11, s11
	v_add_u32_e32 v8, s4, v0
	v_add_u32_e32 v10, s11, v8
	;; [unrolled: 1-line block ×14, first 2 shown]
	v_ashrrev_i32_e32 v9, 31, v8
	v_ashrrev_i32_e32 v11, 31, v10
	;; [unrolled: 1-line block ×12, first 2 shown]
	v_add_u32_e32 v36, s11, v34
	v_lshl_add_u64 v[6:7], v[8:9], 3, s[0:1]
	v_lshl_add_u64 v[8:9], v[10:11], 3, s[0:1]
	;; [unrolled: 1-line block ×12, first 2 shown]
	v_ashrrev_i32_e32 v33, 31, v32
	v_ashrrev_i32_e32 v35, 31, v34
	;; [unrolled: 1-line block ×3, first 2 shown]
	global_load_dwordx2 v[40:41], v38, s[0:1]
	global_load_dwordx2 v[42:43], v[4:5], off
	global_load_dwordx2 v[44:45], v[6:7], off
	;; [unrolled: 1-line block ×12, first 2 shown]
	v_lshl_add_u64 v[30:31], v[32:33], 3, s[0:1]
	v_lshl_add_u64 v[32:33], v[34:35], 3, s[0:1]
	;; [unrolled: 1-line block ×3, first 2 shown]
	global_load_dwordx2 v[66:67], v[28:29], off
	global_load_dwordx2 v[68:69], v[30:31], off
	global_load_dwordx2 v[70:71], v[32:33], off
	global_load_dwordx2 v[72:73], v[34:35], off
	v_add_u32_e32 v36, s11, v36
	v_ashrrev_i32_e32 v37, 31, v36
	v_lshl_add_u64 v[36:37], v[36:37], 3, s[0:1]
	global_load_dwordx2 v[74:75], v[36:37], off
	s_bitcmp0_b32 s14, 0
	s_mov_b64 s[4:5], -1
	s_waitcnt vmcnt(16)
	scratch_store_dwordx4 off, v[40:43], off
	s_waitcnt vmcnt(15)
	scratch_store_dwordx4 off, v[44:47], off offset:16
	s_waitcnt vmcnt(14)
	scratch_store_dwordx4 off, v[48:51], off offset:32
	;; [unrolled: 2-line block ×8, first 2 shown]
	s_cbranch_scc1 .LBB17_84
; %bb.4:
	v_cmp_eq_u32_e64 s[0:1], 0, v0
	s_and_saveexec_b64 s[4:5], s[0:1]
; %bb.5:
	v_mov_b32_e32 v1, 0
	ds_write_b32 v1, v1 offset:288
; %bb.6:
	s_or_b64 exec, exec, s[4:5]
	s_waitcnt lgkmcnt(0)
	; wave barrier
	scratch_load_dwordx2 v[40:41], v38, off
	s_waitcnt vmcnt(0)
	v_cmp_eq_f32_e32 vcc, 0, v40
	v_cmp_eq_f32_e64 s[4:5], 0, v41
	s_and_b64 s[4:5], vcc, s[4:5]
	s_and_saveexec_b64 s[8:9], s[4:5]
	s_cbranch_execz .LBB17_10
; %bb.7:
	v_mov_b32_e32 v1, 0
	ds_read_b32 v40, v1 offset:288
	v_add_u32_e32 v39, 1, v0
	s_waitcnt lgkmcnt(0)
	v_readfirstlane_b32 s4, v40
	s_cmp_eq_u32 s4, 0
	s_cselect_b64 s[10:11], -1, 0
	v_cmp_gt_i32_e32 vcc, s4, v39
	s_or_b64 s[10:11], s[10:11], vcc
	s_and_b64 exec, exec, s[10:11]
	s_cbranch_execz .LBB17_10
; %bb.8:
	s_mov_b64 s[10:11], 0
	v_mov_b32_e32 v40, s4
.LBB17_9:                               ; =>This Inner Loop Header: Depth=1
	ds_cmpst_rtn_b32 v40, v1, v40, v39 offset:288
	s_waitcnt lgkmcnt(0)
	v_cmp_ne_u32_e32 vcc, 0, v40
	v_cmp_le_i32_e64 s[4:5], v40, v39
	s_and_b64 s[4:5], vcc, s[4:5]
	s_and_b64 s[4:5], exec, s[4:5]
	s_or_b64 s[10:11], s[4:5], s[10:11]
	s_andn2_b64 exec, exec, s[10:11]
	s_cbranch_execnz .LBB17_9
.LBB17_10:
	s_or_b64 exec, exec, s[8:9]
	v_mov_b32_e32 v39, 0
	; wave barrier
	ds_read_b32 v1, v39 offset:288
	s_and_saveexec_b64 s[4:5], s[0:1]
	s_cbranch_execz .LBB17_12
; %bb.11:
	s_lshl_b64 s[8:9], s[2:3], 2
	s_add_u32 s8, s6, s8
	s_addc_u32 s9, s7, s9
	s_waitcnt lgkmcnt(0)
	global_store_dword v39, v1, s[8:9]
.LBB17_12:
	s_or_b64 exec, exec, s[4:5]
	s_waitcnt lgkmcnt(0)
	v_cmp_ne_u32_e32 vcc, 0, v1
	s_mov_b64 s[4:5], 0
	s_cbranch_vccnz .LBB17_84
; %bb.13:
	v_mov_b32_e32 v39, v38
	scratch_load_dwordx2 v[40:41], v39, off
                                        ; implicit-def: $vgpr43
                                        ; implicit-def: $vgpr44
	s_waitcnt vmcnt(0)
	v_cmp_ngt_f32_e64 s[4:5], |v40|, |v41|
	s_and_saveexec_b64 s[8:9], s[4:5]
	s_xor_b64 s[4:5], exec, s[8:9]
	s_cbranch_execz .LBB17_15
; %bb.14:
	v_div_scale_f32 v1, s[8:9], v41, v41, v40
	v_rcp_f32_e32 v42, v1
	v_div_scale_f32 v43, vcc, v40, v41, v40
	v_fma_f32 v44, -v1, v42, 1.0
	v_fmac_f32_e32 v42, v44, v42
	v_mul_f32_e32 v44, v43, v42
	v_fma_f32 v45, -v1, v44, v43
	v_fmac_f32_e32 v44, v45, v42
	v_fma_f32 v1, -v1, v44, v43
	v_div_fmas_f32 v1, v1, v42, v44
	v_div_fixup_f32 v1, v1, v41, v40
	v_fmac_f32_e32 v41, v40, v1
	v_div_scale_f32 v40, s[8:9], v41, v41, -1.0
	v_rcp_f32_e32 v42, v40
	s_nop 0
	v_fma_f32 v43, -v40, v42, 1.0
	v_fmac_f32_e32 v42, v43, v42
	v_div_scale_f32 v43, vcc, -1.0, v41, -1.0
	v_mul_f32_e32 v44, v43, v42
	v_fma_f32 v45, -v40, v44, v43
	v_fmac_f32_e32 v44, v45, v42
	v_fma_f32 v40, -v40, v44, v43
	v_div_fmas_f32 v40, v40, v42, v44
	v_div_fixup_f32 v43, v40, v41, -1.0
	v_mul_f32_e32 v44, v1, v43
	v_xor_b32_e32 v42, 0x80000000, v44
                                        ; implicit-def: $vgpr40_vgpr41
.LBB17_15:
	s_andn2_saveexec_b64 s[4:5], s[4:5]
	s_cbranch_execz .LBB17_17
; %bb.16:
	v_div_scale_f32 v1, s[8:9], v40, v40, v41
	v_rcp_f32_e32 v42, v1
	v_div_scale_f32 v43, vcc, v41, v40, v41
	v_fma_f32 v44, -v1, v42, 1.0
	v_fmac_f32_e32 v42, v44, v42
	v_mul_f32_e32 v44, v43, v42
	v_fma_f32 v45, -v1, v44, v43
	v_fmac_f32_e32 v44, v45, v42
	v_fma_f32 v1, -v1, v44, v43
	v_div_fmas_f32 v1, v1, v42, v44
	v_div_fixup_f32 v1, v1, v40, v41
	v_fmac_f32_e32 v40, v41, v1
	v_div_scale_f32 v41, s[8:9], v40, v40, 1.0
	v_rcp_f32_e32 v42, v41
	s_nop 0
	v_fma_f32 v43, -v41, v42, 1.0
	v_fmac_f32_e32 v42, v43, v42
	v_div_scale_f32 v43, vcc, 1.0, v40, 1.0
	v_mul_f32_e32 v44, v43, v42
	v_fma_f32 v45, -v41, v44, v43
	v_fmac_f32_e32 v44, v45, v42
	v_fma_f32 v41, -v41, v44, v43
	v_div_fmas_f32 v41, v41, v42, v44
	v_div_fixup_f32 v42, v41, v40, 1.0
	v_xor_b32_e32 v44, 0x80000000, v42
	v_mul_f32_e64 v43, v1, -v42
.LBB17_17:
	s_or_b64 exec, exec, s[4:5]
	scratch_store_dwordx2 v39, v[42:43], off
	scratch_load_dwordx2 v[40:41], off, off offset:8
	v_xor_b32_e32 v45, 0x80000000, v43
	v_add_u32_e32 v1, 0x90, v38
	s_waitcnt vmcnt(0)
	ds_write2_b64 v38, v[44:45], v[40:41] offset1:18
	s_waitcnt lgkmcnt(0)
	; wave barrier
	s_and_saveexec_b64 s[4:5], s[0:1]
	s_cbranch_execz .LBB17_19
; %bb.18:
	scratch_load_dwordx2 v[40:41], v39, off
	ds_read_b64 v[42:43], v1
	v_mov_b32_e32 v44, 0
	ds_read_b64 v[44:45], v44 offset:8
	s_waitcnt vmcnt(0) lgkmcnt(1)
	v_pk_mul_f32 v[46:47], v[42:43], v[40:41] op_sel:[1,1] op_sel_hi:[0,1]
	v_pk_fma_f32 v[48:49], v[42:43], v[40:41], v[46:47] neg_lo:[0,0,1] neg_hi:[0,0,1]
	v_pk_fma_f32 v[40:41], v[42:43], v[40:41], v[46:47] op_sel_hi:[1,0,1]
	s_nop 0
	v_mov_b32_e32 v49, v41
	v_pk_add_f32 v[40:41], v[48:49], 0 op_sel_hi:[1,0]
	s_waitcnt lgkmcnt(0)
	v_pk_mul_f32 v[42:43], v[40:41], v[44:45] op_sel:[1,1] op_sel_hi:[0,1]
	v_pk_fma_f32 v[46:47], v[40:41], v[44:45], v[42:43] neg_lo:[0,0,1] neg_hi:[0,0,1]
	v_pk_fma_f32 v[40:41], v[40:41], v[44:45], v[42:43] op_sel_hi:[1,0,1]
	s_nop 0
	v_mov_b32_e32 v47, v41
	scratch_store_dwordx2 off, v[46:47], off offset:8
.LBB17_19:
	s_or_b64 exec, exec, s[4:5]
	; wave barrier
	scratch_load_dwordx2 v[40:41], off, off offset:16
	v_cmp_gt_u32_e32 vcc, 2, v0
	s_waitcnt vmcnt(0)
	ds_write_b64 v1, v[40:41]
	s_waitcnt lgkmcnt(0)
	; wave barrier
	s_and_saveexec_b64 s[4:5], vcc
	s_cbranch_execz .LBB17_23
; %bb.20:
	scratch_load_dwordx2 v[40:41], v39, off
	ds_read_b64 v[42:43], v1
	s_waitcnt vmcnt(0) lgkmcnt(0)
	v_pk_mul_f32 v[44:45], v[42:43], v[40:41] op_sel:[1,1] op_sel_hi:[0,1]
	v_pk_fma_f32 v[46:47], v[42:43], v[40:41], v[44:45] neg_lo:[0,0,1] neg_hi:[0,0,1]
	v_pk_fma_f32 v[40:41], v[42:43], v[40:41], v[44:45] op_sel_hi:[1,0,1]
	s_nop 0
	v_mov_b32_e32 v47, v41
	v_pk_add_f32 v[40:41], v[46:47], 0 op_sel_hi:[1,0]
	s_and_saveexec_b64 s[8:9], s[0:1]
	s_cbranch_execz .LBB17_22
; %bb.21:
	scratch_load_dwordx2 v[42:43], off, off offset:8
	v_mov_b32_e32 v39, 0
	ds_read_b64 v[44:45], v39 offset:152
	s_waitcnt vmcnt(0) lgkmcnt(0)
	v_pk_mul_f32 v[46:47], v[44:45], v[42:43] op_sel:[1,1] op_sel_hi:[0,1]
	v_pk_fma_f32 v[48:49], v[44:45], v[42:43], v[46:47] neg_lo:[0,0,1] neg_hi:[0,0,1]
	v_pk_fma_f32 v[42:43], v[44:45], v[42:43], v[46:47] op_sel_hi:[1,0,1]
	s_nop 0
	v_mov_b32_e32 v49, v43
	v_pk_add_f32 v[40:41], v[40:41], v[48:49]
.LBB17_22:
	s_or_b64 exec, exec, s[8:9]
	v_mov_b32_e32 v39, 0
	ds_read_b64 v[42:43], v39 offset:16
	s_waitcnt lgkmcnt(0)
	v_pk_mul_f32 v[44:45], v[40:41], v[42:43] op_sel:[1,1] op_sel_hi:[0,1]
	v_pk_fma_f32 v[46:47], v[40:41], v[42:43], v[44:45] neg_lo:[0,0,1] neg_hi:[0,0,1]
	v_pk_fma_f32 v[40:41], v[40:41], v[42:43], v[44:45] op_sel_hi:[1,0,1]
	s_nop 0
	v_mov_b32_e32 v47, v41
	scratch_store_dwordx2 off, v[46:47], off offset:16
.LBB17_23:
	s_or_b64 exec, exec, s[4:5]
	; wave barrier
	scratch_load_dwordx2 v[40:41], off, off offset:24
	v_cmp_gt_u32_e32 vcc, 3, v0
	v_add_u32_e32 v42, -1, v0
	s_waitcnt vmcnt(0)
	ds_write_b64 v1, v[40:41]
	s_waitcnt lgkmcnt(0)
	; wave barrier
	s_and_saveexec_b64 s[0:1], vcc
	s_cbranch_execz .LBB17_27
; %bb.24:
	v_mov_b32_e32 v40, 0
	v_add_u32_e32 v39, -1, v0
	v_add_u32_e32 v43, 0x90, v38
	v_mov_b32_e32 v44, v38
	s_mov_b64 s[4:5], 0
	v_mov_b32_e32 v41, v40
.LBB17_25:                              ; =>This Inner Loop Header: Depth=1
	scratch_load_dwordx2 v[46:47], v44, off
	ds_read_b64 v[48:49], v43
	v_add_u32_e32 v39, 1, v39
	v_cmp_lt_u32_e32 vcc, 1, v39
	v_add_u32_e32 v43, 8, v43
	v_add_u32_e32 v44, 8, v44
	s_or_b64 s[4:5], vcc, s[4:5]
	s_waitcnt vmcnt(0) lgkmcnt(0)
	v_pk_mul_f32 v[50:51], v[48:49], v[46:47] op_sel:[1,1] op_sel_hi:[0,1]
	v_pk_fma_f32 v[52:53], v[48:49], v[46:47], v[50:51] neg_lo:[0,0,1] neg_hi:[0,0,1]
	v_pk_fma_f32 v[46:47], v[48:49], v[46:47], v[50:51] op_sel_hi:[1,0,1]
	s_nop 0
	v_mov_b32_e32 v53, v47
	v_pk_add_f32 v[40:41], v[40:41], v[52:53]
	s_andn2_b64 exec, exec, s[4:5]
	s_cbranch_execnz .LBB17_25
; %bb.26:
	s_or_b64 exec, exec, s[4:5]
	v_mov_b32_e32 v39, 0
	ds_read_b64 v[44:45], v39 offset:24
	s_waitcnt lgkmcnt(0)
	v_pk_mul_f32 v[46:47], v[40:41], v[44:45] op_sel:[1,1] op_sel_hi:[0,1]
	v_pk_fma_f32 v[48:49], v[40:41], v[44:45], v[46:47] neg_lo:[0,0,1] neg_hi:[0,0,1]
	v_pk_fma_f32 v[40:41], v[40:41], v[44:45], v[46:47] op_sel_hi:[1,0,1]
	s_nop 0
	v_mov_b32_e32 v49, v41
	scratch_store_dwordx2 off, v[48:49], off offset:24
.LBB17_27:
	s_or_b64 exec, exec, s[0:1]
	; wave barrier
	scratch_load_dwordx2 v[40:41], off, off offset:32
	v_cmp_gt_u32_e32 vcc, 4, v0
	s_waitcnt vmcnt(0)
	ds_write_b64 v1, v[40:41]
	s_waitcnt lgkmcnt(0)
	; wave barrier
	s_and_saveexec_b64 s[0:1], vcc
	s_cbranch_execz .LBB17_31
; %bb.28:
	v_mov_b32_e32 v40, 0
	v_add_u32_e32 v39, -1, v0
	v_add_u32_e32 v43, 0x90, v38
	v_mov_b32_e32 v44, v38
	s_mov_b64 s[4:5], 0
	v_mov_b32_e32 v41, v40
.LBB17_29:                              ; =>This Inner Loop Header: Depth=1
	scratch_load_dwordx2 v[46:47], v44, off
	ds_read_b64 v[48:49], v43
	v_add_u32_e32 v39, 1, v39
	v_cmp_lt_u32_e32 vcc, 2, v39
	v_add_u32_e32 v43, 8, v43
	v_add_u32_e32 v44, 8, v44
	s_or_b64 s[4:5], vcc, s[4:5]
	s_waitcnt vmcnt(0) lgkmcnt(0)
	v_pk_mul_f32 v[50:51], v[48:49], v[46:47] op_sel:[1,1] op_sel_hi:[0,1]
	v_pk_fma_f32 v[52:53], v[48:49], v[46:47], v[50:51] neg_lo:[0,0,1] neg_hi:[0,0,1]
	v_pk_fma_f32 v[46:47], v[48:49], v[46:47], v[50:51] op_sel_hi:[1,0,1]
	s_nop 0
	v_mov_b32_e32 v53, v47
	v_pk_add_f32 v[40:41], v[40:41], v[52:53]
	s_andn2_b64 exec, exec, s[4:5]
	s_cbranch_execnz .LBB17_29
; %bb.30:
	s_or_b64 exec, exec, s[4:5]
	v_mov_b32_e32 v39, 0
	ds_read_b64 v[44:45], v39 offset:32
	s_waitcnt lgkmcnt(0)
	v_pk_mul_f32 v[46:47], v[40:41], v[44:45] op_sel:[1,1] op_sel_hi:[0,1]
	v_pk_fma_f32 v[48:49], v[40:41], v[44:45], v[46:47] neg_lo:[0,0,1] neg_hi:[0,0,1]
	v_pk_fma_f32 v[40:41], v[40:41], v[44:45], v[46:47] op_sel_hi:[1,0,1]
	s_nop 0
	v_mov_b32_e32 v49, v41
	scratch_store_dwordx2 off, v[48:49], off offset:32
.LBB17_31:
	s_or_b64 exec, exec, s[0:1]
	; wave barrier
	scratch_load_dwordx2 v[40:41], off, off offset:40
	v_cmp_gt_u32_e32 vcc, 5, v0
	;; [unrolled: 46-line block ×13, first 2 shown]
	s_waitcnt vmcnt(0)
	ds_write_b64 v1, v[40:41]
	s_waitcnt lgkmcnt(0)
	; wave barrier
	s_and_saveexec_b64 s[0:1], vcc
	s_cbranch_execz .LBB17_79
; %bb.76:
	v_mov_b32_e32 v40, 0
	v_add_u32_e32 v39, -1, v0
	v_add_u32_e32 v43, 0x90, v38
	v_mov_b32_e32 v44, v38
	s_mov_b64 s[4:5], 0
	v_mov_b32_e32 v41, v40
.LBB17_77:                              ; =>This Inner Loop Header: Depth=1
	scratch_load_dwordx2 v[46:47], v44, off
	ds_read_b64 v[48:49], v43
	v_add_u32_e32 v39, 1, v39
	v_cmp_lt_u32_e32 vcc, 14, v39
	v_add_u32_e32 v43, 8, v43
	v_add_u32_e32 v44, 8, v44
	s_or_b64 s[4:5], vcc, s[4:5]
	s_waitcnt vmcnt(0) lgkmcnt(0)
	v_pk_mul_f32 v[50:51], v[48:49], v[46:47] op_sel:[1,1] op_sel_hi:[0,1]
	v_pk_fma_f32 v[52:53], v[48:49], v[46:47], v[50:51] neg_lo:[0,0,1] neg_hi:[0,0,1]
	v_pk_fma_f32 v[46:47], v[48:49], v[46:47], v[50:51] op_sel_hi:[1,0,1]
	s_nop 0
	v_mov_b32_e32 v53, v47
	v_pk_add_f32 v[40:41], v[40:41], v[52:53]
	s_andn2_b64 exec, exec, s[4:5]
	s_cbranch_execnz .LBB17_77
; %bb.78:
	s_or_b64 exec, exec, s[4:5]
	v_mov_b32_e32 v39, 0
	ds_read_b64 v[44:45], v39 offset:128
	s_waitcnt lgkmcnt(0)
	v_pk_mul_f32 v[46:47], v[40:41], v[44:45] op_sel:[1,1] op_sel_hi:[0,1]
	v_pk_fma_f32 v[48:49], v[40:41], v[44:45], v[46:47] neg_lo:[0,0,1] neg_hi:[0,0,1]
	v_pk_fma_f32 v[40:41], v[40:41], v[44:45], v[46:47] op_sel_hi:[1,0,1]
	s_nop 0
	v_mov_b32_e32 v49, v41
	scratch_store_dwordx2 off, v[48:49], off offset:128
.LBB17_79:
	s_or_b64 exec, exec, s[0:1]
	; wave barrier
	scratch_load_dwordx2 v[40:41], off, off offset:136
	v_cmp_ne_u32_e32 vcc, 17, v0
	s_waitcnt vmcnt(0)
	ds_write_b64 v1, v[40:41]
	s_waitcnt lgkmcnt(0)
	; wave barrier
	s_and_saveexec_b64 s[0:1], vcc
	s_cbranch_execz .LBB17_83
; %bb.80:
	v_add_u32_e32 v1, 0x90, v38
	v_mov_b32_e32 v40, v38
	v_mov_b32_e32 v38, 0
	s_mov_b64 s[4:5], 0
	v_mov_b32_e32 v39, v38
.LBB17_81:                              ; =>This Inner Loop Header: Depth=1
	scratch_load_dwordx2 v[44:45], v40, off
	ds_read_b64 v[46:47], v1
	v_add_u32_e32 v42, 1, v42
	v_cmp_lt_u32_e32 vcc, 15, v42
	v_add_u32_e32 v1, 8, v1
	v_add_u32_e32 v40, 8, v40
	s_or_b64 s[4:5], vcc, s[4:5]
	s_waitcnt vmcnt(0) lgkmcnt(0)
	v_pk_mul_f32 v[48:49], v[46:47], v[44:45] op_sel:[1,1] op_sel_hi:[0,1]
	v_pk_fma_f32 v[50:51], v[46:47], v[44:45], v[48:49] neg_lo:[0,0,1] neg_hi:[0,0,1]
	v_pk_fma_f32 v[44:45], v[46:47], v[44:45], v[48:49] op_sel_hi:[1,0,1]
	s_nop 0
	v_mov_b32_e32 v51, v45
	v_pk_add_f32 v[38:39], v[38:39], v[50:51]
	s_andn2_b64 exec, exec, s[4:5]
	s_cbranch_execnz .LBB17_81
; %bb.82:
	s_or_b64 exec, exec, s[4:5]
	v_mov_b32_e32 v1, 0
	ds_read_b64 v[40:41], v1 offset:136
	s_waitcnt lgkmcnt(0)
	v_pk_mul_f32 v[42:43], v[38:39], v[40:41] op_sel:[1,1] op_sel_hi:[0,1]
	v_pk_fma_f32 v[44:45], v[38:39], v[40:41], v[42:43] neg_lo:[0,0,1] neg_hi:[0,0,1]
	v_pk_fma_f32 v[38:39], v[38:39], v[40:41], v[42:43] op_sel_hi:[1,0,1]
	s_nop 0
	v_mov_b32_e32 v45, v39
	scratch_store_dwordx2 off, v[44:45], off offset:136
.LBB17_83:
	s_or_b64 exec, exec, s[0:1]
	s_mov_b64 s[4:5], -1
	; wave barrier
.LBB17_84:
	s_and_b64 vcc, exec, s[4:5]
	s_cbranch_vccz .LBB17_86
; %bb.85:
	s_lshl_b64 s[0:1], s[2:3], 2
	s_add_u32 s0, s6, s0
	s_addc_u32 s1, s7, s1
	v_mov_b32_e32 v1, 0
	global_load_dword v1, v1, s[0:1]
	s_waitcnt vmcnt(0)
	v_cmp_ne_u32_e32 vcc, 0, v1
	s_cbranch_vccz .LBB17_87
.LBB17_86:
	s_endpgm
.LBB17_87:
	v_mov_b32_e32 v1, 0x90
	v_lshl_add_u32 v1, v0, 3, v1
	v_cmp_eq_u32_e32 vcc, 17, v0
	s_and_saveexec_b64 s[0:1], vcc
	s_cbranch_execz .LBB17_89
; %bb.88:
	scratch_load_dwordx2 v[38:39], off, off offset:128
	v_mov_b32_e32 v40, 0
	v_mov_b32_e32 v41, v40
	scratch_store_dwordx2 off, v[40:41], off offset:128
	s_waitcnt vmcnt(1)
	ds_write_b64 v1, v[38:39]
.LBB17_89:
	s_or_b64 exec, exec, s[0:1]
	s_waitcnt lgkmcnt(0)
	; wave barrier
	scratch_load_dwordx2 v[40:41], off, off offset:136
	scratch_load_dwordx2 v[42:43], off, off offset:128
	v_mov_b32_e32 v38, 0
	ds_read_b64 v[44:45], v38 offset:280
	v_cmp_lt_u32_e32 vcc, 15, v0
	s_waitcnt vmcnt(1) lgkmcnt(0)
	v_pk_mul_f32 v[46:47], v[44:45], v[40:41] op_sel:[1,1] op_sel_hi:[0,1]
	v_pk_fma_f32 v[48:49], v[44:45], v[40:41], v[46:47] neg_lo:[0,0,1] neg_hi:[0,0,1]
	v_pk_fma_f32 v[40:41], v[44:45], v[40:41], v[46:47] op_sel_hi:[1,0,1]
	s_nop 0
	v_mov_b32_e32 v49, v41
	v_pk_add_f32 v[40:41], v[48:49], 0 op_sel_hi:[1,0]
	s_waitcnt vmcnt(0)
	v_pk_add_f32 v[40:41], v[42:43], v[40:41] neg_lo:[0,1] neg_hi:[0,1]
	scratch_store_dwordx2 off, v[40:41], off offset:128
	s_and_saveexec_b64 s[0:1], vcc
	s_cbranch_execz .LBB17_91
; %bb.90:
	scratch_load_dwordx2 v[40:41], off, off offset:120
	v_mov_b32_e32 v39, v38
	scratch_store_dwordx2 off, v[38:39], off offset:120
	s_waitcnt vmcnt(1)
	ds_write_b64 v1, v[40:41]
.LBB17_91:
	s_or_b64 exec, exec, s[0:1]
	s_waitcnt lgkmcnt(0)
	; wave barrier
	scratch_load_dwordx4 v[40:43], off, off offset:128
	scratch_load_dwordx2 v[48:49], off, off offset:120
	ds_read_b128 v[44:47], v38 offset:272
	v_cmp_lt_u32_e32 vcc, 14, v0
	s_waitcnt vmcnt(1) lgkmcnt(0)
	v_pk_mul_f32 v[38:39], v[44:45], v[40:41] op_sel:[1,1] op_sel_hi:[0,1]
	v_mov_b32_e32 v50, v43
	v_pk_fma_f32 v[52:53], v[44:45], v[40:41], v[38:39] neg_lo:[0,0,1] neg_hi:[0,0,1]
	v_pk_fma_f32 v[38:39], v[44:45], v[40:41], v[38:39] op_sel_hi:[1,0,1]
	v_pk_mul_f32 v[40:41], v[46:47], v[50:51] op_sel:[1,0] op_sel_hi:[0,0]
	v_mov_b32_e32 v53, v39
	v_pk_fma_f32 v[38:39], v[46:47], v[42:43], v[40:41] neg_lo:[0,0,1] neg_hi:[0,0,1]
	v_pk_fma_f32 v[40:41], v[46:47], v[42:43], v[40:41] op_sel_hi:[1,0,1]
	v_pk_add_f32 v[42:43], v[52:53], 0 op_sel_hi:[1,0]
	v_mov_b32_e32 v39, v41
	v_pk_add_f32 v[38:39], v[42:43], v[38:39]
	s_waitcnt vmcnt(0)
	v_pk_add_f32 v[38:39], v[48:49], v[38:39] neg_lo:[0,1] neg_hi:[0,1]
	scratch_store_dwordx2 off, v[38:39], off offset:120
	s_and_saveexec_b64 s[0:1], vcc
	s_cbranch_execz .LBB17_93
; %bb.92:
	scratch_load_dwordx2 v[38:39], off, off offset:112
	v_mov_b32_e32 v40, 0
	v_mov_b32_e32 v41, v40
	scratch_store_dwordx2 off, v[40:41], off offset:112
	s_waitcnt vmcnt(1)
	ds_write_b64 v1, v[38:39]
.LBB17_93:
	s_or_b64 exec, exec, s[0:1]
	s_waitcnt lgkmcnt(0)
	; wave barrier
	scratch_load_dwordx4 v[40:43], off, off offset:120
	scratch_load_dwordx2 v[48:49], off, off offset:136
	scratch_load_dwordx2 v[50:51], off, off offset:112
	v_mov_b32_e32 v38, 0
	ds_read2_b64 v[44:47], v38 offset0:33 offset1:34
	ds_read_b64 v[52:53], v38 offset:280
	v_cmp_lt_u32_e32 vcc, 13, v0
	s_waitcnt vmcnt(2) lgkmcnt(1)
	v_pk_mul_f32 v[54:55], v[44:45], v[40:41] op_sel:[1,1] op_sel_hi:[0,1]
	v_mov_b32_e32 v56, v43
	v_pk_fma_f32 v[60:61], v[44:45], v[40:41], v[54:55] neg_lo:[0,0,1] neg_hi:[0,0,1]
	v_pk_fma_f32 v[40:41], v[44:45], v[40:41], v[54:55] op_sel_hi:[1,0,1]
	v_pk_mul_f32 v[44:45], v[46:47], v[56:57] op_sel:[1,0] op_sel_hi:[0,0]
	s_waitcnt vmcnt(1) lgkmcnt(0)
	v_pk_mul_f32 v[58:59], v[52:53], v[48:49] op_sel:[1,1] op_sel_hi:[0,1]
	v_mov_b32_e32 v61, v41
	v_pk_fma_f32 v[40:41], v[46:47], v[42:43], v[44:45] neg_lo:[0,0,1] neg_hi:[0,0,1]
	v_pk_fma_f32 v[42:43], v[46:47], v[42:43], v[44:45] op_sel_hi:[1,0,1]
	v_pk_fma_f32 v[54:55], v[52:53], v[48:49], v[58:59] neg_lo:[0,0,1] neg_hi:[0,0,1]
	v_pk_fma_f32 v[48:49], v[52:53], v[48:49], v[58:59] op_sel_hi:[1,0,1]
	v_pk_add_f32 v[44:45], v[60:61], 0 op_sel_hi:[1,0]
	v_mov_b32_e32 v41, v43
	v_mov_b32_e32 v55, v49
	v_pk_add_f32 v[40:41], v[44:45], v[40:41]
	s_nop 0
	v_pk_add_f32 v[40:41], v[40:41], v[54:55]
	s_waitcnt vmcnt(0)
	v_pk_add_f32 v[40:41], v[50:51], v[40:41] neg_lo:[0,1] neg_hi:[0,1]
	scratch_store_dwordx2 off, v[40:41], off offset:112
	s_and_saveexec_b64 s[0:1], vcc
	s_cbranch_execz .LBB17_95
; %bb.94:
	scratch_load_dwordx2 v[40:41], off, off offset:104
	v_mov_b32_e32 v39, v38
	scratch_store_dwordx2 off, v[38:39], off offset:104
	s_waitcnt vmcnt(1)
	ds_write_b64 v1, v[40:41]
.LBB17_95:
	s_or_b64 exec, exec, s[0:1]
	s_waitcnt lgkmcnt(0)
	; wave barrier
	scratch_load_dwordx4 v[40:43], off, off offset:112
	scratch_load_dwordx4 v[44:47], off, off offset:128
	scratch_load_dwordx2 v[56:57], off, off offset:104
	ds_read_b128 v[48:51], v38 offset:256
	ds_read_b128 v[52:55], v38 offset:272
	v_cmp_lt_u32_e32 vcc, 12, v0
	s_waitcnt vmcnt(2) lgkmcnt(1)
	v_pk_mul_f32 v[38:39], v[48:49], v[40:41] op_sel:[1,1] op_sel_hi:[0,1]
	v_mov_b32_e32 v58, v43
	s_waitcnt vmcnt(1) lgkmcnt(0)
	v_pk_mul_f32 v[60:61], v[52:53], v[44:45] op_sel:[1,1] op_sel_hi:[0,1]
	v_mov_b32_e32 v62, v47
	v_pk_fma_f32 v[64:65], v[48:49], v[40:41], v[38:39] neg_lo:[0,0,1] neg_hi:[0,0,1]
	v_pk_fma_f32 v[38:39], v[48:49], v[40:41], v[38:39] op_sel_hi:[1,0,1]
	v_pk_mul_f32 v[40:41], v[50:51], v[58:59] op_sel:[1,0] op_sel_hi:[0,0]
	v_pk_fma_f32 v[48:49], v[52:53], v[44:45], v[60:61] neg_lo:[0,0,1] neg_hi:[0,0,1]
	v_pk_fma_f32 v[44:45], v[52:53], v[44:45], v[60:61] op_sel_hi:[1,0,1]
	v_pk_mul_f32 v[52:53], v[54:55], v[62:63] op_sel:[1,0] op_sel_hi:[0,0]
	v_mov_b32_e32 v65, v39
	v_pk_fma_f32 v[38:39], v[50:51], v[42:43], v[40:41] neg_lo:[0,0,1] neg_hi:[0,0,1]
	v_pk_fma_f32 v[40:41], v[50:51], v[42:43], v[40:41] op_sel_hi:[1,0,1]
	v_mov_b32_e32 v49, v45
	v_pk_fma_f32 v[42:43], v[54:55], v[46:47], v[52:53] neg_lo:[0,0,1] neg_hi:[0,0,1]
	v_pk_fma_f32 v[44:45], v[54:55], v[46:47], v[52:53] op_sel_hi:[1,0,1]
	v_pk_add_f32 v[46:47], v[64:65], 0 op_sel_hi:[1,0]
	v_mov_b32_e32 v39, v41
	v_pk_add_f32 v[38:39], v[46:47], v[38:39]
	v_mov_b32_e32 v43, v45
	v_pk_add_f32 v[38:39], v[38:39], v[48:49]
	s_nop 0
	v_pk_add_f32 v[38:39], v[38:39], v[42:43]
	s_waitcnt vmcnt(0)
	v_pk_add_f32 v[38:39], v[56:57], v[38:39] neg_lo:[0,1] neg_hi:[0,1]
	scratch_store_dwordx2 off, v[38:39], off offset:104
	s_and_saveexec_b64 s[0:1], vcc
	s_cbranch_execz .LBB17_97
; %bb.96:
	scratch_load_dwordx2 v[38:39], off, off offset:96
	v_mov_b32_e32 v40, 0
	v_mov_b32_e32 v41, v40
	scratch_store_dwordx2 off, v[40:41], off offset:96
	s_waitcnt vmcnt(1)
	ds_write_b64 v1, v[38:39]
.LBB17_97:
	s_or_b64 exec, exec, s[0:1]
	s_waitcnt lgkmcnt(0)
	; wave barrier
	scratch_load_dwordx4 v[40:43], off, off offset:104
	scratch_load_dwordx4 v[44:47], off, off offset:120
	scratch_load_dwordx2 v[56:57], off, off offset:136
	scratch_load_dwordx2 v[58:59], off, off offset:96
	v_mov_b32_e32 v38, 0
	ds_read2_b64 v[48:51], v38 offset0:31 offset1:32
	ds_read2_b64 v[52:55], v38 offset0:33 offset1:34
	ds_read_b64 v[60:61], v38 offset:280
	v_cmp_lt_u32_e32 vcc, 11, v0
	s_waitcnt vmcnt(3) lgkmcnt(2)
	v_pk_mul_f32 v[62:63], v[48:49], v[40:41] op_sel:[1,1] op_sel_hi:[0,1]
	v_mov_b32_e32 v64, v43
	v_pk_fma_f32 v[72:73], v[48:49], v[40:41], v[62:63] neg_lo:[0,0,1] neg_hi:[0,0,1]
	v_pk_fma_f32 v[40:41], v[48:49], v[40:41], v[62:63] op_sel_hi:[1,0,1]
	v_pk_mul_f32 v[48:49], v[50:51], v[64:65] op_sel:[1,0] op_sel_hi:[0,0]
	s_waitcnt vmcnt(2) lgkmcnt(1)
	v_pk_mul_f32 v[66:67], v[52:53], v[44:45] op_sel:[1,1] op_sel_hi:[0,1]
	v_mov_b32_e32 v68, v47
	v_mov_b32_e32 v73, v41
	v_pk_fma_f32 v[40:41], v[50:51], v[42:43], v[48:49] neg_lo:[0,0,1] neg_hi:[0,0,1]
	v_pk_fma_f32 v[42:43], v[50:51], v[42:43], v[48:49] op_sel_hi:[1,0,1]
	v_pk_fma_f32 v[62:63], v[52:53], v[44:45], v[66:67] neg_lo:[0,0,1] neg_hi:[0,0,1]
	v_pk_fma_f32 v[44:45], v[52:53], v[44:45], v[66:67] op_sel_hi:[1,0,1]
	v_pk_mul_f32 v[52:53], v[54:55], v[68:69] op_sel:[1,0] op_sel_hi:[0,0]
	v_pk_add_f32 v[48:49], v[72:73], 0 op_sel_hi:[1,0]
	v_mov_b32_e32 v41, v43
	s_waitcnt vmcnt(1) lgkmcnt(0)
	v_pk_mul_f32 v[70:71], v[60:61], v[56:57] op_sel:[1,1] op_sel_hi:[0,1]
	v_mov_b32_e32 v63, v45
	v_pk_fma_f32 v[44:45], v[54:55], v[46:47], v[52:53] neg_lo:[0,0,1] neg_hi:[0,0,1]
	v_pk_fma_f32 v[46:47], v[54:55], v[46:47], v[52:53] op_sel_hi:[1,0,1]
	v_pk_add_f32 v[40:41], v[48:49], v[40:41]
	v_pk_fma_f32 v[64:65], v[60:61], v[56:57], v[70:71] neg_lo:[0,0,1] neg_hi:[0,0,1]
	v_pk_fma_f32 v[56:57], v[60:61], v[56:57], v[70:71] op_sel_hi:[1,0,1]
	v_mov_b32_e32 v45, v47
	v_pk_add_f32 v[40:41], v[40:41], v[62:63]
	v_mov_b32_e32 v65, v57
	v_pk_add_f32 v[40:41], v[40:41], v[44:45]
	s_nop 0
	v_pk_add_f32 v[40:41], v[40:41], v[64:65]
	s_waitcnt vmcnt(0)
	v_pk_add_f32 v[40:41], v[58:59], v[40:41] neg_lo:[0,1] neg_hi:[0,1]
	scratch_store_dwordx2 off, v[40:41], off offset:96
	s_and_saveexec_b64 s[0:1], vcc
	s_cbranch_execz .LBB17_99
; %bb.98:
	scratch_load_dwordx2 v[40:41], off, off offset:88
	v_mov_b32_e32 v39, v38
	scratch_store_dwordx2 off, v[38:39], off offset:88
	s_waitcnt vmcnt(1)
	ds_write_b64 v1, v[40:41]
.LBB17_99:
	s_or_b64 exec, exec, s[0:1]
	s_waitcnt lgkmcnt(0)
	; wave barrier
	scratch_load_dwordx4 v[40:43], off, off offset:96
	scratch_load_dwordx4 v[44:47], off, off offset:112
	;; [unrolled: 1-line block ×3, first 2 shown]
	scratch_load_dwordx2 v[64:65], off, off offset:88
	ds_read_b128 v[52:55], v38 offset:240
	ds_read_b128 v[56:59], v38 offset:256
	;; [unrolled: 1-line block ×3, first 2 shown]
	v_cmp_lt_u32_e32 vcc, 10, v0
	s_waitcnt vmcnt(3) lgkmcnt(2)
	v_pk_mul_f32 v[38:39], v[52:53], v[40:41] op_sel:[1,1] op_sel_hi:[0,1]
	v_mov_b32_e32 v66, v43
	s_waitcnt vmcnt(2) lgkmcnt(1)
	v_pk_mul_f32 v[68:69], v[56:57], v[44:45] op_sel:[1,1] op_sel_hi:[0,1]
	v_mov_b32_e32 v70, v47
	s_waitcnt vmcnt(1) lgkmcnt(0)
	v_pk_mul_f32 v[72:73], v[60:61], v[48:49] op_sel:[1,1] op_sel_hi:[0,1]
	v_mov_b32_e32 v74, v51
	v_pk_fma_f32 v[76:77], v[52:53], v[40:41], v[38:39] neg_lo:[0,0,1] neg_hi:[0,0,1]
	v_pk_fma_f32 v[38:39], v[52:53], v[40:41], v[38:39] op_sel_hi:[1,0,1]
	v_pk_mul_f32 v[40:41], v[54:55], v[66:67] op_sel:[1,0] op_sel_hi:[0,0]
	v_pk_fma_f32 v[52:53], v[56:57], v[44:45], v[68:69] neg_lo:[0,0,1] neg_hi:[0,0,1]
	v_pk_fma_f32 v[44:45], v[56:57], v[44:45], v[68:69] op_sel_hi:[1,0,1]
	v_pk_mul_f32 v[56:57], v[58:59], v[70:71] op_sel:[1,0] op_sel_hi:[0,0]
	;; [unrolled: 3-line block ×3, first 2 shown]
	v_mov_b32_e32 v77, v39
	v_pk_fma_f32 v[38:39], v[54:55], v[42:43], v[40:41] neg_lo:[0,0,1] neg_hi:[0,0,1]
	v_pk_fma_f32 v[40:41], v[54:55], v[42:43], v[40:41] op_sel_hi:[1,0,1]
	v_mov_b32_e32 v53, v45
	v_pk_fma_f32 v[42:43], v[58:59], v[46:47], v[56:57] neg_lo:[0,0,1] neg_hi:[0,0,1]
	v_pk_fma_f32 v[44:45], v[58:59], v[46:47], v[56:57] op_sel_hi:[1,0,1]
	;; [unrolled: 3-line block ×3, first 2 shown]
	v_pk_add_f32 v[50:51], v[76:77], 0 op_sel_hi:[1,0]
	v_mov_b32_e32 v39, v41
	v_pk_add_f32 v[38:39], v[50:51], v[38:39]
	v_mov_b32_e32 v43, v45
	v_pk_add_f32 v[38:39], v[38:39], v[52:53]
	;; [unrolled: 2-line block ×3, first 2 shown]
	s_nop 0
	v_pk_add_f32 v[38:39], v[38:39], v[66:67]
	s_nop 0
	v_pk_add_f32 v[38:39], v[38:39], v[46:47]
	s_waitcnt vmcnt(0)
	v_pk_add_f32 v[38:39], v[64:65], v[38:39] neg_lo:[0,1] neg_hi:[0,1]
	scratch_store_dwordx2 off, v[38:39], off offset:88
	s_and_saveexec_b64 s[0:1], vcc
	s_cbranch_execz .LBB17_101
; %bb.100:
	scratch_load_dwordx2 v[38:39], off, off offset:80
	v_mov_b32_e32 v40, 0
	v_mov_b32_e32 v41, v40
	scratch_store_dwordx2 off, v[40:41], off offset:80
	s_waitcnt vmcnt(1)
	ds_write_b64 v1, v[38:39]
.LBB17_101:
	s_or_b64 exec, exec, s[0:1]
	s_waitcnt lgkmcnt(0)
	; wave barrier
	scratch_load_dwordx4 v[40:43], off, off offset:88
	scratch_load_dwordx4 v[44:47], off, off offset:104
	;; [unrolled: 1-line block ×3, first 2 shown]
	scratch_load_dwordx2 v[64:65], off, off offset:136
	scratch_load_dwordx2 v[66:67], off, off offset:80
	v_mov_b32_e32 v38, 0
	ds_read2_b64 v[52:55], v38 offset0:29 offset1:30
	ds_read2_b64 v[56:59], v38 offset0:31 offset1:32
	;; [unrolled: 1-line block ×3, first 2 shown]
	ds_read_b64 v[68:69], v38 offset:280
	v_cmp_lt_u32_e32 vcc, 9, v0
	s_waitcnt vmcnt(4) lgkmcnt(3)
	v_pk_mul_f32 v[70:71], v[52:53], v[40:41] op_sel:[1,1] op_sel_hi:[0,1]
	v_mov_b32_e32 v72, v43
	v_pk_fma_f32 v[84:85], v[52:53], v[40:41], v[70:71] neg_lo:[0,0,1] neg_hi:[0,0,1]
	v_pk_fma_f32 v[40:41], v[52:53], v[40:41], v[70:71] op_sel_hi:[1,0,1]
	v_pk_mul_f32 v[52:53], v[54:55], v[72:73] op_sel:[1,0] op_sel_hi:[0,0]
	s_waitcnt vmcnt(3) lgkmcnt(2)
	v_pk_mul_f32 v[74:75], v[56:57], v[44:45] op_sel:[1,1] op_sel_hi:[0,1]
	v_mov_b32_e32 v76, v47
	v_mov_b32_e32 v85, v41
	v_pk_fma_f32 v[40:41], v[54:55], v[42:43], v[52:53] neg_lo:[0,0,1] neg_hi:[0,0,1]
	v_pk_fma_f32 v[42:43], v[54:55], v[42:43], v[52:53] op_sel_hi:[1,0,1]
	v_pk_fma_f32 v[70:71], v[56:57], v[44:45], v[74:75] neg_lo:[0,0,1] neg_hi:[0,0,1]
	v_pk_fma_f32 v[44:45], v[56:57], v[44:45], v[74:75] op_sel_hi:[1,0,1]
	v_pk_mul_f32 v[56:57], v[58:59], v[76:77] op_sel:[1,0] op_sel_hi:[0,0]
	v_pk_add_f32 v[52:53], v[84:85], 0 op_sel_hi:[1,0]
	v_mov_b32_e32 v41, v43
	s_waitcnt vmcnt(2) lgkmcnt(1)
	v_pk_mul_f32 v[78:79], v[60:61], v[48:49] op_sel:[1,1] op_sel_hi:[0,1]
	v_mov_b32_e32 v80, v51
	v_mov_b32_e32 v71, v45
	v_pk_fma_f32 v[44:45], v[58:59], v[46:47], v[56:57] neg_lo:[0,0,1] neg_hi:[0,0,1]
	v_pk_fma_f32 v[46:47], v[58:59], v[46:47], v[56:57] op_sel_hi:[1,0,1]
	v_pk_add_f32 v[40:41], v[52:53], v[40:41]
	v_pk_fma_f32 v[72:73], v[60:61], v[48:49], v[78:79] neg_lo:[0,0,1] neg_hi:[0,0,1]
	v_pk_fma_f32 v[48:49], v[60:61], v[48:49], v[78:79] op_sel_hi:[1,0,1]
	v_pk_mul_f32 v[60:61], v[62:63], v[80:81] op_sel:[1,0] op_sel_hi:[0,0]
	v_mov_b32_e32 v45, v47
	v_pk_add_f32 v[40:41], v[40:41], v[70:71]
	s_waitcnt vmcnt(1) lgkmcnt(0)
	v_pk_mul_f32 v[82:83], v[68:69], v[64:65] op_sel:[1,1] op_sel_hi:[0,1]
	v_mov_b32_e32 v73, v49
	v_pk_fma_f32 v[48:49], v[62:63], v[50:51], v[60:61] neg_lo:[0,0,1] neg_hi:[0,0,1]
	v_pk_fma_f32 v[50:51], v[62:63], v[50:51], v[60:61] op_sel_hi:[1,0,1]
	v_pk_add_f32 v[40:41], v[40:41], v[44:45]
	v_pk_fma_f32 v[74:75], v[68:69], v[64:65], v[82:83] neg_lo:[0,0,1] neg_hi:[0,0,1]
	v_pk_fma_f32 v[64:65], v[68:69], v[64:65], v[82:83] op_sel_hi:[1,0,1]
	v_mov_b32_e32 v49, v51
	v_pk_add_f32 v[40:41], v[40:41], v[72:73]
	v_mov_b32_e32 v75, v65
	v_pk_add_f32 v[40:41], v[40:41], v[48:49]
	s_nop 0
	v_pk_add_f32 v[40:41], v[40:41], v[74:75]
	s_waitcnt vmcnt(0)
	v_pk_add_f32 v[40:41], v[66:67], v[40:41] neg_lo:[0,1] neg_hi:[0,1]
	scratch_store_dwordx2 off, v[40:41], off offset:80
	s_and_saveexec_b64 s[0:1], vcc
	s_cbranch_execz .LBB17_103
; %bb.102:
	scratch_load_dwordx2 v[40:41], off, off offset:72
	v_mov_b32_e32 v39, v38
	scratch_store_dwordx2 off, v[38:39], off offset:72
	s_waitcnt vmcnt(1)
	ds_write_b64 v1, v[40:41]
.LBB17_103:
	s_or_b64 exec, exec, s[0:1]
	s_waitcnt lgkmcnt(0)
	; wave barrier
	scratch_load_dwordx4 v[40:43], off, off offset:80
	scratch_load_dwordx4 v[44:47], off, off offset:96
	;; [unrolled: 1-line block ×4, first 2 shown]
	scratch_load_dwordx2 v[72:73], off, off offset:72
	ds_read_b128 v[56:59], v38 offset:224
	ds_read_b128 v[60:63], v38 offset:240
	;; [unrolled: 1-line block ×4, first 2 shown]
	v_cmp_lt_u32_e32 vcc, 8, v0
	s_waitcnt vmcnt(4) lgkmcnt(3)
	v_pk_mul_f32 v[38:39], v[56:57], v[40:41] op_sel:[1,1] op_sel_hi:[0,1]
	v_mov_b32_e32 v74, v43
	s_waitcnt vmcnt(3) lgkmcnt(2)
	v_pk_mul_f32 v[76:77], v[60:61], v[44:45] op_sel:[1,1] op_sel_hi:[0,1]
	v_mov_b32_e32 v78, v47
	;; [unrolled: 3-line block ×4, first 2 shown]
	v_pk_fma_f32 v[88:89], v[56:57], v[40:41], v[38:39] neg_lo:[0,0,1] neg_hi:[0,0,1]
	v_pk_fma_f32 v[38:39], v[56:57], v[40:41], v[38:39] op_sel_hi:[1,0,1]
	v_pk_mul_f32 v[40:41], v[58:59], v[74:75] op_sel:[1,0] op_sel_hi:[0,0]
	v_pk_fma_f32 v[56:57], v[60:61], v[44:45], v[76:77] neg_lo:[0,0,1] neg_hi:[0,0,1]
	v_pk_fma_f32 v[44:45], v[60:61], v[44:45], v[76:77] op_sel_hi:[1,0,1]
	v_pk_mul_f32 v[60:61], v[62:63], v[78:79] op_sel:[1,0] op_sel_hi:[0,0]
	;; [unrolled: 3-line block ×4, first 2 shown]
	v_mov_b32_e32 v89, v39
	v_pk_fma_f32 v[38:39], v[58:59], v[42:43], v[40:41] neg_lo:[0,0,1] neg_hi:[0,0,1]
	v_pk_fma_f32 v[40:41], v[58:59], v[42:43], v[40:41] op_sel_hi:[1,0,1]
	v_mov_b32_e32 v57, v45
	v_pk_fma_f32 v[42:43], v[62:63], v[46:47], v[60:61] neg_lo:[0,0,1] neg_hi:[0,0,1]
	v_pk_fma_f32 v[44:45], v[62:63], v[46:47], v[60:61] op_sel_hi:[1,0,1]
	;; [unrolled: 3-line block ×4, first 2 shown]
	v_pk_add_f32 v[54:55], v[88:89], 0 op_sel_hi:[1,0]
	v_mov_b32_e32 v39, v41
	v_pk_add_f32 v[38:39], v[54:55], v[38:39]
	v_mov_b32_e32 v43, v45
	v_pk_add_f32 v[38:39], v[38:39], v[56:57]
	;; [unrolled: 2-line block ×4, first 2 shown]
	s_nop 0
	v_pk_add_f32 v[38:39], v[38:39], v[46:47]
	s_nop 0
	v_pk_add_f32 v[38:39], v[38:39], v[76:77]
	;; [unrolled: 2-line block ×3, first 2 shown]
	s_waitcnt vmcnt(0)
	v_pk_add_f32 v[38:39], v[72:73], v[38:39] neg_lo:[0,1] neg_hi:[0,1]
	scratch_store_dwordx2 off, v[38:39], off offset:72
	s_and_saveexec_b64 s[0:1], vcc
	s_cbranch_execz .LBB17_105
; %bb.104:
	scratch_load_dwordx2 v[38:39], off, off offset:64
	v_mov_b32_e32 v40, 0
	v_mov_b32_e32 v41, v40
	scratch_store_dwordx2 off, v[40:41], off offset:64
	s_waitcnt vmcnt(1)
	ds_write_b64 v1, v[38:39]
.LBB17_105:
	s_or_b64 exec, exec, s[0:1]
	s_waitcnt lgkmcnt(0)
	; wave barrier
	scratch_load_dwordx4 v[40:43], off, off offset:72
	scratch_load_dwordx4 v[44:47], off, off offset:88
	;; [unrolled: 1-line block ×4, first 2 shown]
	scratch_load_dwordx2 v[72:73], off, off offset:136
	scratch_load_dwordx2 v[74:75], off, off offset:64
	v_mov_b32_e32 v38, 0
	ds_read2_b64 v[56:59], v38 offset0:27 offset1:28
	ds_read2_b64 v[60:63], v38 offset0:29 offset1:30
	ds_read2_b64 v[64:67], v38 offset0:31 offset1:32
	ds_read2_b64 v[68:71], v38 offset0:33 offset1:34
	ds_read_b64 v[76:77], v38 offset:280
	v_cmp_lt_u32_e32 vcc, 7, v0
	s_waitcnt vmcnt(5) lgkmcnt(4)
	v_mul_f32_e32 v79, v56, v41
	v_mul_f32_e32 v39, v57, v41
	v_mov_b32_e32 v80, v43
	s_waitcnt vmcnt(4) lgkmcnt(3)
	v_pk_mul_f32 v[82:83], v[60:61], v[44:45] op_sel:[1,1] op_sel_hi:[0,1]
	v_mov_b32_e32 v84, v47
	s_waitcnt vmcnt(1) lgkmcnt(0)
	v_pk_mul_f32 v[94:95], v[76:77], v[72:73] op_sel:[1,1] op_sel_hi:[0,1]
	v_fmac_f32_e32 v79, v57, v40
	v_fma_f32 v78, v56, v40, -v39
	v_pk_mul_f32 v[40:41], v[58:59], v[80:81] op_sel:[1,0] op_sel_hi:[0,0]
	v_pk_fma_f32 v[56:57], v[60:61], v[44:45], v[82:83] neg_lo:[0,0,1] neg_hi:[0,0,1]
	v_pk_fma_f32 v[44:45], v[60:61], v[44:45], v[82:83] op_sel_hi:[1,0,1]
	v_pk_mul_f32 v[60:61], v[62:63], v[84:85] op_sel:[1,0] op_sel_hi:[0,0]
	v_pk_fma_f32 v[84:85], v[76:77], v[72:73], v[94:95] neg_lo:[0,0,1] neg_hi:[0,0,1]
	v_pk_fma_f32 v[72:73], v[76:77], v[72:73], v[94:95] op_sel_hi:[1,0,1]
	v_pk_add_f32 v[76:77], v[78:79], 0 op_sel_hi:[1,0]
	v_pk_fma_f32 v[78:79], v[58:59], v[42:43], v[40:41] neg_lo:[0,0,1] neg_hi:[0,0,1]
	v_pk_fma_f32 v[40:41], v[58:59], v[42:43], v[40:41] op_sel_hi:[1,0,1]
	v_pk_mul_f32 v[86:87], v[64:65], v[48:49] op_sel:[1,1] op_sel_hi:[0,1]
	v_mov_b32_e32 v79, v41
	v_mov_b32_e32 v88, v51
	;; [unrolled: 1-line block ×3, first 2 shown]
	v_pk_fma_f32 v[42:43], v[62:63], v[46:47], v[60:61] neg_lo:[0,0,1] neg_hi:[0,0,1]
	v_pk_fma_f32 v[44:45], v[62:63], v[46:47], v[60:61] op_sel_hi:[1,0,1]
	v_pk_add_f32 v[40:41], v[76:77], v[78:79]
	v_pk_fma_f32 v[80:81], v[64:65], v[48:49], v[86:87] neg_lo:[0,0,1] neg_hi:[0,0,1]
	v_pk_fma_f32 v[48:49], v[64:65], v[48:49], v[86:87] op_sel_hi:[1,0,1]
	v_pk_mul_f32 v[64:65], v[66:67], v[88:89] op_sel:[1,0] op_sel_hi:[0,0]
	v_mov_b32_e32 v43, v45
	v_pk_add_f32 v[40:41], v[40:41], v[56:57]
	v_pk_mul_f32 v[90:91], v[68:69], v[52:53] op_sel:[1,1] op_sel_hi:[0,1]
	v_mov_b32_e32 v92, v55
	v_mov_b32_e32 v81, v49
	v_pk_fma_f32 v[46:47], v[66:67], v[50:51], v[64:65] neg_lo:[0,0,1] neg_hi:[0,0,1]
	v_pk_fma_f32 v[48:49], v[66:67], v[50:51], v[64:65] op_sel_hi:[1,0,1]
	v_pk_add_f32 v[40:41], v[40:41], v[42:43]
	v_pk_fma_f32 v[82:83], v[68:69], v[52:53], v[90:91] neg_lo:[0,0,1] neg_hi:[0,0,1]
	v_pk_fma_f32 v[52:53], v[68:69], v[52:53], v[90:91] op_sel_hi:[1,0,1]
	v_pk_mul_f32 v[68:69], v[70:71], v[92:93] op_sel:[1,0] op_sel_hi:[0,0]
	v_mov_b32_e32 v47, v49
	v_pk_add_f32 v[40:41], v[40:41], v[80:81]
	v_mov_b32_e32 v83, v53
	v_pk_fma_f32 v[50:51], v[70:71], v[54:55], v[68:69] neg_lo:[0,0,1] neg_hi:[0,0,1]
	v_pk_fma_f32 v[52:53], v[70:71], v[54:55], v[68:69] op_sel_hi:[1,0,1]
	v_pk_add_f32 v[40:41], v[40:41], v[46:47]
	v_mov_b32_e32 v51, v53
	v_pk_add_f32 v[40:41], v[40:41], v[82:83]
	v_mov_b32_e32 v85, v73
	v_pk_add_f32 v[40:41], v[40:41], v[50:51]
	s_nop 0
	v_pk_add_f32 v[40:41], v[40:41], v[84:85]
	s_waitcnt vmcnt(0)
	v_pk_add_f32 v[40:41], v[74:75], v[40:41] neg_lo:[0,1] neg_hi:[0,1]
	scratch_store_dwordx2 off, v[40:41], off offset:64
	s_and_saveexec_b64 s[0:1], vcc
	s_cbranch_execz .LBB17_107
; %bb.106:
	scratch_load_dwordx2 v[40:41], off, off offset:56
	v_mov_b32_e32 v39, v38
	scratch_store_dwordx2 off, v[38:39], off offset:56
	s_waitcnt vmcnt(1)
	ds_write_b64 v1, v[40:41]
.LBB17_107:
	s_or_b64 exec, exec, s[0:1]
	s_waitcnt lgkmcnt(0)
	; wave barrier
	scratch_load_dwordx4 v[40:43], off, off offset:64
	scratch_load_dwordx4 v[44:47], off, off offset:80
	;; [unrolled: 1-line block ×5, first 2 shown]
	scratch_load_dwordx2 v[80:81], off, off offset:56
	ds_read_b128 v[60:63], v38 offset:208
	ds_read_b128 v[64:67], v38 offset:224
	;; [unrolled: 1-line block ×5, first 2 shown]
	v_cmp_lt_u32_e32 vcc, 6, v0
	s_waitcnt vmcnt(5) lgkmcnt(4)
	v_mul_f32_e32 v39, v60, v41
	v_mul_f32_e32 v38, v61, v41
	;; [unrolled: 1-line block ×4, first 2 shown]
	s_waitcnt vmcnt(4) lgkmcnt(3)
	v_pk_mul_f32 v[84:85], v[64:65], v[44:45] op_sel:[1,1] op_sel_hi:[0,1]
	v_mov_b32_e32 v86, v47
	v_fmac_f32_e32 v39, v61, v40
	v_fma_f32 v38, v60, v40, -v38
	v_fmac_f32_e32 v83, v63, v42
	v_fma_f32 v82, v62, v42, -v41
	v_pk_fma_f32 v[40:41], v[64:65], v[44:45], v[84:85] neg_lo:[0,0,1] neg_hi:[0,0,1]
	v_pk_fma_f32 v[42:43], v[64:65], v[44:45], v[84:85] op_sel_hi:[1,0,1]
	v_pk_mul_f32 v[44:45], v[66:67], v[86:87] op_sel:[1,0] op_sel_hi:[0,0]
	v_pk_add_f32 v[38:39], v[38:39], 0 op_sel_hi:[1,0]
	s_waitcnt vmcnt(3) lgkmcnt(2)
	v_pk_mul_f32 v[88:89], v[68:69], v[48:49] op_sel:[1,1] op_sel_hi:[0,1]
	v_mov_b32_e32 v90, v51
	v_mov_b32_e32 v41, v43
	v_pk_fma_f32 v[42:43], v[66:67], v[46:47], v[44:45] neg_lo:[0,0,1] neg_hi:[0,0,1]
	v_pk_fma_f32 v[44:45], v[66:67], v[46:47], v[44:45] op_sel_hi:[1,0,1]
	v_pk_add_f32 v[38:39], v[38:39], v[82:83]
	v_pk_fma_f32 v[60:61], v[68:69], v[48:49], v[88:89] neg_lo:[0,0,1] neg_hi:[0,0,1]
	v_pk_fma_f32 v[48:49], v[68:69], v[48:49], v[88:89] op_sel_hi:[1,0,1]
	v_pk_mul_f32 v[62:63], v[70:71], v[90:91] op_sel:[1,0] op_sel_hi:[0,0]
	v_mov_b32_e32 v43, v45
	v_pk_add_f32 v[38:39], v[38:39], v[40:41]
	s_waitcnt vmcnt(2) lgkmcnt(1)
	v_pk_mul_f32 v[92:93], v[72:73], v[52:53] op_sel:[1,1] op_sel_hi:[0,1]
	v_mov_b32_e32 v94, v55
	v_mov_b32_e32 v61, v49
	v_pk_fma_f32 v[46:47], v[70:71], v[50:51], v[62:63] neg_lo:[0,0,1] neg_hi:[0,0,1]
	v_pk_fma_f32 v[48:49], v[70:71], v[50:51], v[62:63] op_sel_hi:[1,0,1]
	v_pk_add_f32 v[38:39], v[38:39], v[42:43]
	v_pk_fma_f32 v[64:65], v[72:73], v[52:53], v[92:93] neg_lo:[0,0,1] neg_hi:[0,0,1]
	v_pk_fma_f32 v[52:53], v[72:73], v[52:53], v[92:93] op_sel_hi:[1,0,1]
	v_pk_mul_f32 v[68:69], v[74:75], v[94:95] op_sel:[1,0] op_sel_hi:[0,0]
	v_mov_b32_e32 v47, v49
	v_pk_add_f32 v[38:39], v[38:39], v[60:61]
	;; [unrolled: 12-line block ×3, first 2 shown]
	v_mov_b32_e32 v73, v57
	v_pk_fma_f32 v[54:55], v[78:79], v[58:59], v[76:77] neg_lo:[0,0,1] neg_hi:[0,0,1]
	v_pk_fma_f32 v[56:57], v[78:79], v[58:59], v[76:77] op_sel_hi:[1,0,1]
	v_pk_add_f32 v[38:39], v[38:39], v[50:51]
	v_mov_b32_e32 v55, v57
	v_pk_add_f32 v[38:39], v[38:39], v[72:73]
	s_nop 0
	v_pk_add_f32 v[38:39], v[38:39], v[54:55]
	s_waitcnt vmcnt(0)
	v_pk_add_f32 v[38:39], v[80:81], v[38:39] neg_lo:[0,1] neg_hi:[0,1]
	scratch_store_dwordx2 off, v[38:39], off offset:56
	s_and_saveexec_b64 s[0:1], vcc
	s_cbranch_execz .LBB17_109
; %bb.108:
	scratch_load_dwordx2 v[38:39], off, off offset:48
	v_mov_b32_e32 v40, 0
	v_mov_b32_e32 v41, v40
	scratch_store_dwordx2 off, v[40:41], off offset:48
	s_waitcnt vmcnt(1)
	ds_write_b64 v1, v[38:39]
.LBB17_109:
	s_or_b64 exec, exec, s[0:1]
	s_waitcnt lgkmcnt(0)
	; wave barrier
	scratch_load_dwordx4 v[40:43], off, off offset:56
	scratch_load_dwordx4 v[44:47], off, off offset:72
	;; [unrolled: 1-line block ×5, first 2 shown]
	scratch_load_dwordx2 v[80:81], off, off offset:136
	scratch_load_dwordx2 v[82:83], off, off offset:48
	v_mov_b32_e32 v38, 0
	ds_read2_b64 v[60:63], v38 offset0:25 offset1:26
	ds_read2_b64 v[64:67], v38 offset0:27 offset1:28
	ds_read2_b64 v[68:71], v38 offset0:29 offset1:30
	ds_read2_b64 v[72:75], v38 offset0:31 offset1:32
	ds_read2_b64 v[76:79], v38 offset0:33 offset1:34
	ds_read_b64 v[84:85], v38 offset:280
	v_cmp_lt_u32_e32 vcc, 5, v0
	s_waitcnt vmcnt(6) lgkmcnt(5)
	v_mul_f32_e32 v39, v60, v41
	v_mul_f32_e32 v41, v61, v41
	;; [unrolled: 1-line block ×3, first 2 shown]
	s_waitcnt vmcnt(5) lgkmcnt(4)
	v_mul_f32_e32 v89, v64, v45
	v_mul_f32_e32 v43, v63, v43
	;; [unrolled: 1-line block ×3, first 2 shown]
	v_mov_b32_e32 v90, v47
	s_waitcnt vmcnt(3) lgkmcnt(2)
	v_pk_mul_f32 v[96:97], v[72:73], v[52:53] op_sel:[1,1] op_sel_hi:[0,1]
	s_waitcnt vmcnt(2) lgkmcnt(1)
	v_pk_mul_f32 v[100:101], v[76:77], v[56:57] op_sel:[1,1] op_sel_hi:[0,1]
	;; [unrolled: 2-line block ×3, first 2 shown]
	v_fmac_f32_e32 v39, v61, v40
	v_fma_f32 v91, v60, v40, -v41
	v_fmac_f32_e32 v87, v63, v42
	v_fmac_f32_e32 v89, v65, v44
	v_fma_f32 v86, v62, v42, -v43
	v_fma_f32 v88, v64, v44, -v45
	v_pk_mul_f32 v[40:41], v[66:67], v[90:91] op_sel:[1,0] op_sel_hi:[0,0]
	v_pk_fma_f32 v[60:61], v[72:73], v[52:53], v[96:97] neg_lo:[0,0,1] neg_hi:[0,0,1]
	v_pk_fma_f32 v[52:53], v[72:73], v[52:53], v[96:97] op_sel_hi:[1,0,1]
	v_pk_fma_f32 v[64:65], v[76:77], v[56:57], v[100:101] neg_lo:[0,0,1] neg_hi:[0,0,1]
	v_pk_fma_f32 v[56:57], v[76:77], v[56:57], v[100:101] op_sel_hi:[1,0,1]
	;; [unrolled: 2-line block ×3, first 2 shown]
	v_add_f32_e32 v81, 0, v39
	v_add_f32_e32 v80, 0, v91
	v_pk_mul_f32 v[92:93], v[68:69], v[48:49] op_sel:[1,1] op_sel_hi:[0,1]
	v_mov_b32_e32 v94, v51
	v_pk_fma_f32 v[84:85], v[66:67], v[46:47], v[40:41] neg_lo:[0,0,1] neg_hi:[0,0,1]
	v_pk_fma_f32 v[40:41], v[66:67], v[46:47], v[40:41] op_sel_hi:[1,0,1]
	v_mov_b32_e32 v65, v57
	v_pk_add_f32 v[56:57], v[80:81], v[86:87]
	v_pk_fma_f32 v[42:43], v[68:69], v[48:49], v[92:93] neg_lo:[0,0,1] neg_hi:[0,0,1]
	v_pk_fma_f32 v[44:45], v[68:69], v[48:49], v[92:93] op_sel_hi:[1,0,1]
	v_pk_mul_f32 v[48:49], v[70:71], v[94:95] op_sel:[1,0] op_sel_hi:[0,0]
	v_mov_b32_e32 v85, v41
	v_pk_add_f32 v[40:41], v[56:57], v[88:89]
	v_mov_b32_e32 v98, v55
	v_mov_b32_e32 v43, v45
	v_pk_fma_f32 v[44:45], v[70:71], v[50:51], v[48:49] neg_lo:[0,0,1] neg_hi:[0,0,1]
	v_pk_fma_f32 v[46:47], v[70:71], v[50:51], v[48:49] op_sel_hi:[1,0,1]
	v_pk_add_f32 v[40:41], v[40:41], v[84:85]
	v_pk_mul_f32 v[62:63], v[74:75], v[98:99] op_sel:[1,0] op_sel_hi:[0,0]
	v_mov_b32_e32 v45, v47
	v_pk_add_f32 v[40:41], v[40:41], v[42:43]
	v_mov_b32_e32 v102, v59
	v_mov_b32_e32 v61, v53
	v_pk_fma_f32 v[48:49], v[74:75], v[54:55], v[62:63] neg_lo:[0,0,1] neg_hi:[0,0,1]
	v_pk_fma_f32 v[50:51], v[74:75], v[54:55], v[62:63] op_sel_hi:[1,0,1]
	v_pk_add_f32 v[40:41], v[40:41], v[44:45]
	v_pk_mul_f32 v[68:69], v[78:79], v[102:103] op_sel:[1,0] op_sel_hi:[0,0]
	v_mov_b32_e32 v49, v51
	v_pk_add_f32 v[40:41], v[40:41], v[60:61]
	v_pk_fma_f32 v[52:53], v[78:79], v[58:59], v[68:69] neg_lo:[0,0,1] neg_hi:[0,0,1]
	v_pk_fma_f32 v[54:55], v[78:79], v[58:59], v[68:69] op_sel_hi:[1,0,1]
	v_pk_add_f32 v[40:41], v[40:41], v[48:49]
	v_mov_b32_e32 v53, v55
	v_pk_add_f32 v[40:41], v[40:41], v[64:65]
	v_mov_b32_e32 v73, v77
	v_pk_add_f32 v[40:41], v[40:41], v[52:53]
	s_nop 0
	v_pk_add_f32 v[40:41], v[40:41], v[72:73]
	s_waitcnt vmcnt(0)
	v_pk_add_f32 v[40:41], v[82:83], v[40:41] neg_lo:[0,1] neg_hi:[0,1]
	scratch_store_dwordx2 off, v[40:41], off offset:48
	s_and_saveexec_b64 s[0:1], vcc
	s_cbranch_execz .LBB17_111
; %bb.110:
	scratch_load_dwordx2 v[40:41], off, off offset:40
	v_mov_b32_e32 v39, v38
	scratch_store_dwordx2 off, v[38:39], off offset:40
	s_waitcnt vmcnt(1)
	ds_write_b64 v1, v[40:41]
.LBB17_111:
	s_or_b64 exec, exec, s[0:1]
	s_waitcnt lgkmcnt(0)
	; wave barrier
	scratch_load_dwordx4 v[40:43], off, off offset:48
	scratch_load_dwordx4 v[44:47], off, off offset:64
	scratch_load_dwordx4 v[48:51], off, off offset:80
	scratch_load_dwordx4 v[52:55], off, off offset:96
	scratch_load_dwordx4 v[56:59], off, off offset:112
	scratch_load_dwordx4 v[60:63], off, off offset:128
	scratch_load_dwordx2 v[88:89], off, off offset:40
	ds_read_b128 v[64:67], v38 offset:192
	ds_read_b128 v[68:71], v38 offset:208
	;; [unrolled: 1-line block ×6, first 2 shown]
	v_cmp_lt_u32_e32 vcc, 4, v0
	s_waitcnt vmcnt(6) lgkmcnt(5)
	v_mul_f32_e32 v95, v64, v41
	v_mul_f32_e32 v99, v66, v43
	s_waitcnt vmcnt(5) lgkmcnt(4)
	v_mul_f32_e32 v39, v68, v45
	v_mul_f32_e32 v38, v65, v41
	;; [unrolled: 1-line block ×4, first 2 shown]
	s_waitcnt vmcnt(1) lgkmcnt(0)
	v_pk_mul_f32 v[104:105], v[84:85], v[60:61] op_sel:[1,1] op_sel_hi:[0,1]
	v_pk_mul_f32 v[92:93], v[72:73], v[48:49] op_sel:[1,1] op_sel_hi:[0,1]
	v_fmac_f32_e32 v95, v65, v40
	v_fmac_f32_e32 v39, v69, v44
	v_fma_f32 v103, v64, v40, -v38
	v_fma_f32 v38, v68, v44, -v43
	v_pk_fma_f32 v[68:69], v[84:85], v[60:61], v[104:105] neg_lo:[0,0,1] neg_hi:[0,0,1]
	v_pk_fma_f32 v[60:61], v[84:85], v[60:61], v[104:105] op_sel_hi:[1,0,1]
	v_fmac_f32_e32 v99, v67, v42
	v_fma_f32 v107, v66, v42, -v41
	v_pk_fma_f32 v[40:41], v[72:73], v[48:49], v[92:93] neg_lo:[0,0,1] neg_hi:[0,0,1]
	v_pk_fma_f32 v[42:43], v[72:73], v[48:49], v[92:93] op_sel_hi:[1,0,1]
	v_add_f32_e32 v60, 0, v95
	v_add_f32_e32 v72, 0, v103
	v_mul_f32_e32 v91, v70, v47
	v_mul_f32_e32 v45, v71, v47
	v_mov_b32_e32 v94, v51
	v_mov_b32_e32 v69, v61
	v_add_f32_e32 v61, v60, v99
	v_add_f32_e32 v60, v72, v107
	v_fmac_f32_e32 v91, v71, v46
	v_fma_f32 v90, v70, v46, -v45
	v_pk_mul_f32 v[44:45], v[74:75], v[94:95] op_sel:[1,0] op_sel_hi:[0,0]
	v_pk_add_f32 v[38:39], v[60:61], v[38:39]
	v_pk_mul_f32 v[96:97], v[76:77], v[52:53] op_sel:[1,1] op_sel_hi:[0,1]
	v_mov_b32_e32 v98, v55
	v_mov_b32_e32 v41, v43
	v_pk_fma_f32 v[42:43], v[74:75], v[50:51], v[44:45] neg_lo:[0,0,1] neg_hi:[0,0,1]
	v_pk_fma_f32 v[44:45], v[74:75], v[50:51], v[44:45] op_sel_hi:[1,0,1]
	v_pk_add_f32 v[38:39], v[38:39], v[90:91]
	v_pk_fma_f32 v[46:47], v[76:77], v[52:53], v[96:97] neg_lo:[0,0,1] neg_hi:[0,0,1]
	v_pk_fma_f32 v[48:49], v[76:77], v[52:53], v[96:97] op_sel_hi:[1,0,1]
	v_pk_mul_f32 v[52:53], v[78:79], v[98:99] op_sel:[1,0] op_sel_hi:[0,0]
	v_mov_b32_e32 v43, v45
	v_pk_add_f32 v[38:39], v[38:39], v[40:41]
	v_pk_mul_f32 v[100:101], v[80:81], v[56:57] op_sel:[1,1] op_sel_hi:[0,1]
	v_mov_b32_e32 v102, v59
	v_mov_b32_e32 v47, v49
	v_pk_fma_f32 v[48:49], v[78:79], v[54:55], v[52:53] neg_lo:[0,0,1] neg_hi:[0,0,1]
	v_pk_fma_f32 v[50:51], v[78:79], v[54:55], v[52:53] op_sel_hi:[1,0,1]
	v_pk_add_f32 v[38:39], v[38:39], v[42:43]
	v_pk_fma_f32 v[64:65], v[80:81], v[56:57], v[100:101] neg_lo:[0,0,1] neg_hi:[0,0,1]
	v_pk_fma_f32 v[56:57], v[80:81], v[56:57], v[100:101] op_sel_hi:[1,0,1]
	v_pk_mul_f32 v[66:67], v[82:83], v[102:103] op_sel:[1,0] op_sel_hi:[0,0]
	v_mov_b32_e32 v49, v51
	v_pk_add_f32 v[38:39], v[38:39], v[46:47]
	v_mov_b32_e32 v106, v63
	v_mov_b32_e32 v65, v57
	v_pk_fma_f32 v[52:53], v[82:83], v[58:59], v[66:67] neg_lo:[0,0,1] neg_hi:[0,0,1]
	v_pk_fma_f32 v[54:55], v[82:83], v[58:59], v[66:67] op_sel_hi:[1,0,1]
	v_pk_add_f32 v[38:39], v[38:39], v[48:49]
	v_pk_mul_f32 v[70:71], v[86:87], v[106:107] op_sel:[1,0] op_sel_hi:[0,0]
	v_mov_b32_e32 v53, v55
	v_pk_add_f32 v[38:39], v[38:39], v[64:65]
	v_pk_fma_f32 v[56:57], v[86:87], v[62:63], v[70:71] neg_lo:[0,0,1] neg_hi:[0,0,1]
	v_pk_fma_f32 v[58:59], v[86:87], v[62:63], v[70:71] op_sel_hi:[1,0,1]
	v_pk_add_f32 v[38:39], v[38:39], v[52:53]
	v_mov_b32_e32 v57, v59
	v_pk_add_f32 v[38:39], v[38:39], v[68:69]
	s_nop 0
	v_pk_add_f32 v[38:39], v[38:39], v[56:57]
	s_waitcnt vmcnt(0)
	v_pk_add_f32 v[38:39], v[88:89], v[38:39] neg_lo:[0,1] neg_hi:[0,1]
	scratch_store_dwordx2 off, v[38:39], off offset:40
	s_and_saveexec_b64 s[0:1], vcc
	s_cbranch_execz .LBB17_113
; %bb.112:
	scratch_load_dwordx2 v[38:39], off, off offset:32
	v_mov_b32_e32 v40, 0
	v_mov_b32_e32 v41, v40
	scratch_store_dwordx2 off, v[40:41], off offset:32
	s_waitcnt vmcnt(1)
	ds_write_b64 v1, v[38:39]
.LBB17_113:
	s_or_b64 exec, exec, s[0:1]
	s_waitcnt lgkmcnt(0)
	; wave barrier
	scratch_load_dwordx4 v[40:43], off, off offset:40
	scratch_load_dwordx4 v[44:47], off, off offset:56
	;; [unrolled: 1-line block ×6, first 2 shown]
	scratch_load_dwordx2 v[88:89], off, off offset:136
	scratch_load_dwordx2 v[90:91], off, off offset:32
	v_mov_b32_e32 v38, 0
	ds_read2_b64 v[64:67], v38 offset0:23 offset1:24
	ds_read2_b64 v[68:71], v38 offset0:25 offset1:26
	ds_read2_b64 v[72:75], v38 offset0:27 offset1:28
	ds_read2_b64 v[76:79], v38 offset0:29 offset1:30
	ds_read2_b64 v[80:83], v38 offset0:31 offset1:32
	ds_read2_b64 v[84:87], v38 offset0:33 offset1:34
	ds_read_b64 v[92:93], v38 offset:280
	v_cmp_lt_u32_e32 vcc, 3, v0
	s_waitcnt vmcnt(7) lgkmcnt(6)
	v_mul_f32_e32 v99, v66, v43
	v_mul_f32_e32 v39, v64, v41
	s_waitcnt vmcnt(5) lgkmcnt(4)
	v_mul_f32_e32 v97, v72, v49
	v_mul_f32_e32 v41, v65, v41
	v_mov_b32_e32 v98, v51
	s_waitcnt vmcnt(2) lgkmcnt(1)
	v_pk_mul_f32 v[108:109], v[84:85], v[60:61] op_sel:[1,1] op_sel_hi:[0,1]
	v_fmac_f32_e32 v99, v67, v42
	v_mul_f32_e32 v43, v67, v43
	v_mul_f32_e32 v49, v73, v49
	v_fmac_f32_e32 v39, v65, v40
	v_fmac_f32_e32 v97, v73, v48
	v_fma_f32 v73, v64, v40, -v41
	v_pk_mul_f32 v[40:41], v[74:75], v[98:99] op_sel:[1,0] op_sel_hi:[0,0]
	v_pk_fma_f32 v[64:65], v[84:85], v[60:61], v[108:109] neg_lo:[0,0,1] neg_hi:[0,0,1]
	v_pk_fma_f32 v[60:61], v[84:85], v[60:61], v[108:109] op_sel_hi:[1,0,1]
	v_mul_f32_e32 v103, v68, v45
	v_mul_f32_e32 v45, v69, v45
	v_fma_f32 v107, v66, v42, -v43
	v_fma_f32 v96, v72, v48, -v49
	v_add_f32_e32 v39, 0, v39
	v_add_f32_e32 v60, 0, v73
	v_pk_fma_f32 v[72:73], v[74:75], v[50:51], v[40:41] neg_lo:[0,0,1] neg_hi:[0,0,1]
	v_pk_fma_f32 v[40:41], v[74:75], v[50:51], v[40:41] op_sel_hi:[1,0,1]
	v_mul_f32_e32 v95, v70, v47
	v_mul_f32_e32 v47, v71, v47
	v_fmac_f32_e32 v103, v69, v44
	v_fma_f32 v111, v68, v44, -v45
	v_add_f32_e32 v39, v39, v99
	v_add_f32_e32 v40, v60, v107
	v_fmac_f32_e32 v95, v71, v46
	v_fma_f32 v94, v70, v46, -v47
	v_mov_b32_e32 v73, v41
	v_add_f32_e32 v41, v39, v103
	v_add_f32_e32 v40, v40, v111
	v_pk_mul_f32 v[100:101], v[76:77], v[52:53] op_sel:[1,1] op_sel_hi:[0,1]
	v_mov_b32_e32 v102, v55
	v_pk_add_f32 v[40:41], v[40:41], v[94:95]
	v_pk_fma_f32 v[42:43], v[76:77], v[52:53], v[100:101] neg_lo:[0,0,1] neg_hi:[0,0,1]
	v_pk_fma_f32 v[44:45], v[76:77], v[52:53], v[100:101] op_sel_hi:[1,0,1]
	v_pk_mul_f32 v[46:47], v[78:79], v[102:103] op_sel:[1,0] op_sel_hi:[0,0]
	v_pk_add_f32 v[40:41], v[40:41], v[96:97]
	v_pk_mul_f32 v[104:105], v[80:81], v[56:57] op_sel:[1,1] op_sel_hi:[0,1]
	v_mov_b32_e32 v106, v59
	v_mov_b32_e32 v43, v45
	v_pk_fma_f32 v[44:45], v[78:79], v[54:55], v[46:47] neg_lo:[0,0,1] neg_hi:[0,0,1]
	v_pk_fma_f32 v[46:47], v[78:79], v[54:55], v[46:47] op_sel_hi:[1,0,1]
	v_pk_add_f32 v[40:41], v[40:41], v[72:73]
	v_pk_fma_f32 v[48:49], v[80:81], v[56:57], v[104:105] neg_lo:[0,0,1] neg_hi:[0,0,1]
	v_pk_fma_f32 v[52:53], v[80:81], v[56:57], v[104:105] op_sel_hi:[1,0,1]
	v_pk_mul_f32 v[56:57], v[82:83], v[106:107] op_sel:[1,0] op_sel_hi:[0,0]
	v_mov_b32_e32 v45, v47
	v_pk_add_f32 v[40:41], v[40:41], v[42:43]
	v_mov_b32_e32 v110, v63
	v_mov_b32_e32 v49, v53
	v_pk_fma_f32 v[50:51], v[82:83], v[58:59], v[56:57] neg_lo:[0,0,1] neg_hi:[0,0,1]
	v_pk_fma_f32 v[52:53], v[82:83], v[58:59], v[56:57] op_sel_hi:[1,0,1]
	v_pk_add_f32 v[40:41], v[40:41], v[44:45]
	v_pk_mul_f32 v[66:67], v[86:87], v[110:111] op_sel:[1,0] op_sel_hi:[0,0]
	v_mov_b32_e32 v51, v53
	v_pk_add_f32 v[40:41], v[40:41], v[48:49]
	s_waitcnt vmcnt(1) lgkmcnt(0)
	v_pk_mul_f32 v[112:113], v[92:93], v[88:89] op_sel:[1,1] op_sel_hi:[0,1]
	v_mov_b32_e32 v65, v61
	v_pk_fma_f32 v[54:55], v[86:87], v[62:63], v[66:67] neg_lo:[0,0,1] neg_hi:[0,0,1]
	v_pk_fma_f32 v[56:57], v[86:87], v[62:63], v[66:67] op_sel_hi:[1,0,1]
	v_pk_add_f32 v[40:41], v[40:41], v[50:51]
	v_pk_fma_f32 v[68:69], v[92:93], v[88:89], v[112:113] neg_lo:[0,0,1] neg_hi:[0,0,1]
	v_pk_fma_f32 v[70:71], v[92:93], v[88:89], v[112:113] op_sel_hi:[1,0,1]
	v_mov_b32_e32 v55, v57
	v_pk_add_f32 v[40:41], v[40:41], v[64:65]
	v_mov_b32_e32 v69, v71
	v_pk_add_f32 v[40:41], v[40:41], v[54:55]
	s_nop 0
	v_pk_add_f32 v[40:41], v[40:41], v[68:69]
	s_waitcnt vmcnt(0)
	v_pk_add_f32 v[40:41], v[90:91], v[40:41] neg_lo:[0,1] neg_hi:[0,1]
	scratch_store_dwordx2 off, v[40:41], off offset:32
	s_and_saveexec_b64 s[0:1], vcc
	s_cbranch_execz .LBB17_115
; %bb.114:
	scratch_load_dwordx2 v[40:41], off, off offset:24
	v_mov_b32_e32 v39, v38
	scratch_store_dwordx2 off, v[38:39], off offset:24
	s_waitcnt vmcnt(1)
	ds_write_b64 v1, v[40:41]
.LBB17_115:
	s_or_b64 exec, exec, s[0:1]
	s_waitcnt lgkmcnt(0)
	; wave barrier
	scratch_load_dwordx4 v[40:43], off, off offset:32
	scratch_load_dwordx4 v[44:47], off, off offset:48
	;; [unrolled: 1-line block ×7, first 2 shown]
	ds_read_b128 v[68:71], v38 offset:176
	ds_read_b128 v[72:75], v38 offset:192
	;; [unrolled: 1-line block ×6, first 2 shown]
	scratch_load_dwordx2 v[96:97], off, off offset:24
	ds_read_b128 v[92:95], v38 offset:272
	v_cmp_lt_u32_e32 vcc, 2, v0
	s_waitcnt vmcnt(7) lgkmcnt(6)
	v_mul_f32_e32 v103, v68, v41
	v_mul_f32_e32 v107, v70, v43
	s_waitcnt vmcnt(6) lgkmcnt(5)
	v_mul_f32_e32 v111, v72, v45
	v_mul_f32_e32 v115, v74, v47
	;; [unrolled: 3-line block ×3, first 2 shown]
	v_mul_f32_e32 v38, v69, v41
	v_mul_f32_e32 v41, v71, v43
	;; [unrolled: 1-line block ×6, first 2 shown]
	s_waitcnt vmcnt(4) lgkmcnt(3)
	v_pk_mul_f32 v[100:101], v[80:81], v[52:53] op_sel:[1,1] op_sel_hi:[0,1]
	v_mov_b32_e32 v102, v55
	s_waitcnt vmcnt(3) lgkmcnt(2)
	v_pk_mul_f32 v[104:105], v[84:85], v[56:57] op_sel:[1,1] op_sel_hi:[0,1]
	v_mov_b32_e32 v106, v59
	s_waitcnt vmcnt(1) lgkmcnt(0)
	v_pk_mul_f32 v[112:113], v[92:93], v[64:65] op_sel:[1,1] op_sel_hi:[0,1]
	v_fmac_f32_e32 v103, v69, v40
	v_fmac_f32_e32 v107, v71, v42
	;; [unrolled: 1-line block ×6, first 2 shown]
	v_fma_f32 v73, v68, v40, -v38
	v_fma_f32 v75, v70, v42, -v41
	;; [unrolled: 1-line block ×6, first 2 shown]
	v_pk_fma_f32 v[40:41], v[80:81], v[52:53], v[100:101] neg_lo:[0,0,1] neg_hi:[0,0,1]
	v_pk_fma_f32 v[42:43], v[80:81], v[52:53], v[100:101] op_sel_hi:[1,0,1]
	v_pk_mul_f32 v[44:45], v[82:83], v[102:103] op_sel:[1,0] op_sel_hi:[0,0]
	v_pk_fma_f32 v[46:47], v[84:85], v[56:57], v[104:105] neg_lo:[0,0,1] neg_hi:[0,0,1]
	v_pk_fma_f32 v[48:49], v[84:85], v[56:57], v[104:105] op_sel_hi:[1,0,1]
	v_pk_mul_f32 v[50:51], v[86:87], v[106:107] op_sel:[1,0] op_sel_hi:[0,0]
	v_pk_fma_f32 v[68:69], v[92:93], v[64:65], v[112:113] neg_lo:[0,0,1] neg_hi:[0,0,1]
	v_pk_fma_f32 v[64:65], v[92:93], v[64:65], v[112:113] op_sel_hi:[1,0,1]
	v_add_f32_e32 v73, 0, v73
	v_add_f32_e32 v64, 0, v103
	v_mov_b32_e32 v41, v43
	v_pk_fma_f32 v[42:43], v[82:83], v[54:55], v[44:45] neg_lo:[0,0,1] neg_hi:[0,0,1]
	v_pk_fma_f32 v[44:45], v[82:83], v[54:55], v[44:45] op_sel_hi:[1,0,1]
	v_mov_b32_e32 v47, v49
	v_pk_fma_f32 v[48:49], v[86:87], v[58:59], v[50:51] neg_lo:[0,0,1] neg_hi:[0,0,1]
	v_pk_fma_f32 v[50:51], v[86:87], v[58:59], v[50:51] op_sel_hi:[1,0,1]
	v_add_f32_e32 v44, v64, v107
	v_add_f32_e32 v50, v73, v75
	;; [unrolled: 1-line block ×4, first 2 shown]
	v_mov_b32_e32 v43, v45
	v_add_f32_e32 v45, v44, v115
	v_add_f32_e32 v44, v50, v74
	v_pk_add_f32 v[38:39], v[44:45], v[38:39]
	v_pk_mul_f32 v[108:109], v[88:89], v[60:61] op_sel:[1,1] op_sel_hi:[0,1]
	v_pk_add_f32 v[38:39], v[38:39], v[98:99]
	v_mov_b32_e32 v110, v63
	v_pk_add_f32 v[38:39], v[38:39], v[40:41]
	v_pk_fma_f32 v[52:53], v[88:89], v[60:61], v[108:109] neg_lo:[0,0,1] neg_hi:[0,0,1]
	v_pk_add_f32 v[38:39], v[38:39], v[42:43]
	v_pk_fma_f32 v[56:57], v[88:89], v[60:61], v[108:109] op_sel_hi:[1,0,1]
	v_pk_mul_f32 v[60:61], v[90:91], v[110:111] op_sel:[1,0] op_sel_hi:[0,0]
	v_mov_b32_e32 v49, v51
	v_pk_add_f32 v[38:39], v[38:39], v[46:47]
	v_mov_b32_e32 v114, v67
	v_mov_b32_e32 v53, v57
	v_pk_fma_f32 v[54:55], v[90:91], v[62:63], v[60:61] neg_lo:[0,0,1] neg_hi:[0,0,1]
	v_pk_fma_f32 v[56:57], v[90:91], v[62:63], v[60:61] op_sel_hi:[1,0,1]
	v_pk_add_f32 v[38:39], v[38:39], v[48:49]
	v_pk_mul_f32 v[70:71], v[94:95], v[114:115] op_sel:[1,0] op_sel_hi:[0,0]
	v_mov_b32_e32 v55, v57
	v_pk_add_f32 v[38:39], v[38:39], v[52:53]
	v_mov_b32_e32 v69, v65
	v_pk_fma_f32 v[58:59], v[94:95], v[66:67], v[70:71] neg_lo:[0,0,1] neg_hi:[0,0,1]
	v_pk_fma_f32 v[60:61], v[94:95], v[66:67], v[70:71] op_sel_hi:[1,0,1]
	v_pk_add_f32 v[38:39], v[38:39], v[54:55]
	v_mov_b32_e32 v59, v61
	v_pk_add_f32 v[38:39], v[38:39], v[68:69]
	s_nop 0
	v_pk_add_f32 v[38:39], v[38:39], v[58:59]
	s_waitcnt vmcnt(0)
	v_pk_add_f32 v[38:39], v[96:97], v[38:39] neg_lo:[0,1] neg_hi:[0,1]
	scratch_store_dwordx2 off, v[38:39], off offset:24
	s_and_saveexec_b64 s[0:1], vcc
	s_cbranch_execz .LBB17_117
; %bb.116:
	scratch_load_dwordx2 v[38:39], off, off offset:16
	v_mov_b32_e32 v40, 0
	v_mov_b32_e32 v41, v40
	scratch_store_dwordx2 off, v[40:41], off offset:16
	s_waitcnt vmcnt(1)
	ds_write_b64 v1, v[38:39]
.LBB17_117:
	s_or_b64 exec, exec, s[0:1]
	s_waitcnt lgkmcnt(0)
	; wave barrier
	scratch_load_dwordx4 v[40:43], off, off offset:24
	scratch_load_dwordx4 v[44:47], off, off offset:40
	;; [unrolled: 1-line block ×7, first 2 shown]
	scratch_load_dwordx2 v[96:97], off, off offset:136
	scratch_load_dwordx2 v[98:99], off, off offset:16
	v_mov_b32_e32 v38, 0
	ds_read2_b64 v[68:71], v38 offset0:21 offset1:22
	ds_read2_b64 v[72:75], v38 offset0:23 offset1:24
	;; [unrolled: 1-line block ×7, first 2 shown]
	ds_read_b64 v[100:101], v38 offset:280
	v_cmp_lt_u32_e32 vcc, 1, v0
	s_waitcnt vmcnt(8) lgkmcnt(7)
	v_mul_f32_e32 v107, v70, v43
	v_mul_f32_e32 v39, v68, v41
	s_waitcnt vmcnt(7) lgkmcnt(6)
	v_mul_f32_e32 v111, v72, v45
	s_waitcnt vmcnt(6) lgkmcnt(5)
	v_mul_f32_e32 v119, v76, v49
	v_mul_f32_e32 v103, v78, v51
	;; [unrolled: 1-line block ×5, first 2 shown]
	s_waitcnt vmcnt(5)
	v_mov_b32_e32 v106, v55
	s_waitcnt vmcnt(3) lgkmcnt(2)
	v_pk_mul_f32 v[112:113], v[88:89], v[60:61] op_sel:[1,1] op_sel_hi:[0,1]
	s_waitcnt vmcnt(2) lgkmcnt(1)
	v_pk_mul_f32 v[116:117], v[92:93], v[64:65] op_sel:[1,1] op_sel_hi:[0,1]
	v_fmac_f32_e32 v107, v71, v42
	v_mul_f32_e32 v43, v71, v43
	v_mul_f32_e32 v45, v73, v45
	v_fmac_f32_e32 v39, v69, v40
	v_fmac_f32_e32 v111, v73, v44
	;; [unrolled: 1-line block ×4, first 2 shown]
	v_fma_f32 v68, v68, v40, -v41
	v_fma_f32 v73, v76, v48, -v49
	;; [unrolled: 1-line block ×3, first 2 shown]
	v_pk_mul_f32 v[40:41], v[82:83], v[106:107] op_sel:[1,0] op_sel_hi:[0,0]
	v_pk_fma_f32 v[48:49], v[88:89], v[60:61], v[112:113] neg_lo:[0,0,1] neg_hi:[0,0,1]
	v_pk_fma_f32 v[50:51], v[88:89], v[60:61], v[112:113] op_sel_hi:[1,0,1]
	v_pk_fma_f32 v[60:61], v[92:93], v[64:65], v[116:117] op_sel_hi:[1,0,1]
	v_fma_f32 v70, v70, v42, -v43
	v_add_f32_e32 v39, 0, v39
	v_add_f32_e32 v60, 0, v68
	v_pk_fma_f32 v[68:69], v[82:83], v[54:55], v[40:41] neg_lo:[0,0,1] neg_hi:[0,0,1]
	v_pk_fma_f32 v[40:41], v[82:83], v[54:55], v[40:41] op_sel_hi:[1,0,1]
	v_mul_f32_e32 v115, v74, v47
	v_mul_f32_e32 v47, v75, v47
	v_fma_f32 v71, v72, v44, -v45
	v_add_f32_e32 v39, v39, v107
	v_add_f32_e32 v40, v60, v70
	v_fmac_f32_e32 v115, v75, v46
	v_fma_f32 v72, v74, v46, -v47
	v_add_f32_e32 v39, v39, v111
	v_add_f32_e32 v40, v40, v71
	;; [unrolled: 1-line block ×4, first 2 shown]
	v_mul_f32_e32 v105, v80, v53
	v_mul_f32_e32 v53, v81, v53
	v_mov_b32_e32 v69, v41
	v_add_f32_e32 v41, v39, v119
	v_add_f32_e32 v40, v40, v73
	v_pk_mul_f32 v[108:109], v[84:85], v[56:57] op_sel:[1,1] op_sel_hi:[0,1]
	v_mov_b32_e32 v110, v59
	v_fmac_f32_e32 v105, v81, v52
	v_fma_f32 v104, v80, v52, -v53
	v_pk_add_f32 v[40:41], v[40:41], v[102:103]
	v_pk_fma_f32 v[42:43], v[84:85], v[56:57], v[108:109] neg_lo:[0,0,1] neg_hi:[0,0,1]
	v_pk_fma_f32 v[44:45], v[84:85], v[56:57], v[108:109] op_sel_hi:[1,0,1]
	v_pk_mul_f32 v[46:47], v[86:87], v[110:111] op_sel:[1,0] op_sel_hi:[0,0]
	v_pk_add_f32 v[40:41], v[40:41], v[104:105]
	v_mov_b32_e32 v114, v63
	v_mov_b32_e32 v43, v45
	v_pk_fma_f32 v[44:45], v[86:87], v[58:59], v[46:47] neg_lo:[0,0,1] neg_hi:[0,0,1]
	v_pk_fma_f32 v[46:47], v[86:87], v[58:59], v[46:47] op_sel_hi:[1,0,1]
	v_pk_add_f32 v[40:41], v[40:41], v[68:69]
	v_pk_mul_f32 v[52:53], v[90:91], v[114:115] op_sel:[1,0] op_sel_hi:[0,0]
	v_mov_b32_e32 v45, v47
	v_pk_add_f32 v[40:41], v[40:41], v[42:43]
	v_mov_b32_e32 v118, v67
	v_mov_b32_e32 v49, v51
	v_pk_fma_f32 v[50:51], v[90:91], v[62:63], v[52:53] neg_lo:[0,0,1] neg_hi:[0,0,1]
	v_pk_fma_f32 v[52:53], v[90:91], v[62:63], v[52:53] op_sel_hi:[1,0,1]
	v_pk_add_f32 v[40:41], v[40:41], v[44:45]
	v_pk_fma_f32 v[56:57], v[92:93], v[64:65], v[116:117] neg_lo:[0,0,1] neg_hi:[0,0,1]
	v_pk_mul_f32 v[64:65], v[94:95], v[118:119] op_sel:[1,0] op_sel_hi:[0,0]
	v_mov_b32_e32 v51, v53
	v_pk_add_f32 v[40:41], v[40:41], v[48:49]
	v_mov_b32_e32 v57, v61
	v_pk_add_f32 v[40:41], v[40:41], v[50:51]
	v_pk_fma_f32 v[42:43], v[94:95], v[66:67], v[64:65] neg_lo:[0,0,1] neg_hi:[0,0,1]
	v_pk_fma_f32 v[44:45], v[94:95], v[66:67], v[64:65] op_sel_hi:[1,0,1]
	v_pk_add_f32 v[40:41], v[40:41], v[56:57]
	v_mov_b32_e32 v43, v45
	v_pk_add_f32 v[40:41], v[40:41], v[42:43]
	s_waitcnt vmcnt(1) lgkmcnt(0)
	v_pk_mul_f32 v[42:43], v[100:101], v[96:97] op_sel:[1,1] op_sel_hi:[0,1]
	v_pk_fma_f32 v[44:45], v[100:101], v[96:97], v[42:43] neg_lo:[0,0,1] neg_hi:[0,0,1]
	v_pk_fma_f32 v[42:43], v[100:101], v[96:97], v[42:43] op_sel_hi:[1,0,1]
	s_nop 0
	v_mov_b32_e32 v45, v43
	v_pk_add_f32 v[40:41], v[40:41], v[44:45]
	s_waitcnt vmcnt(0)
	v_pk_add_f32 v[40:41], v[98:99], v[40:41] neg_lo:[0,1] neg_hi:[0,1]
	scratch_store_dwordx2 off, v[40:41], off offset:16
	s_and_saveexec_b64 s[0:1], vcc
	s_cbranch_execz .LBB17_119
; %bb.118:
	scratch_load_dwordx2 v[40:41], off, off offset:8
	v_mov_b32_e32 v39, v38
	scratch_store_dwordx2 off, v[38:39], off offset:8
	s_waitcnt vmcnt(1)
	ds_write_b64 v1, v[40:41]
.LBB17_119:
	s_or_b64 exec, exec, s[0:1]
	s_waitcnt lgkmcnt(0)
	; wave barrier
	scratch_load_dwordx4 v[40:43], off, off offset:16
	scratch_load_dwordx4 v[44:47], off, off offset:32
	scratch_load_dwordx4 v[48:51], off, off offset:48
	scratch_load_dwordx4 v[52:55], off, off offset:64
	scratch_load_dwordx4 v[56:59], off, off offset:80
	scratch_load_dwordx4 v[60:63], off, off offset:96
	scratch_load_dwordx4 v[64:67], off, off offset:112
	ds_read_b128 v[68:71], v38 offset:160
	ds_read_b128 v[72:75], v38 offset:176
	;; [unrolled: 1-line block ×4, first 2 shown]
	scratch_load_dwordx4 v[84:87], off, off offset:128
	ds_read_b128 v[88:91], v38 offset:224
	ds_read_b128 v[92:95], v38 offset:240
	;; [unrolled: 1-line block ×4, first 2 shown]
	scratch_load_dwordx2 v[38:39], off, off offset:8
	v_cmp_ne_u32_e32 vcc, 0, v0
	s_waitcnt vmcnt(8) lgkmcnt(7)
	v_mul_f32_e32 v111, v68, v41
	v_mul_f32_e32 v115, v70, v43
	s_waitcnt vmcnt(7) lgkmcnt(6)
	v_mul_f32_e32 v119, v72, v45
	v_mul_f32_e32 v120, v74, v47
	;; [unrolled: 3-line block ×3, first 2 shown]
	v_mul_f32_e32 v41, v69, v41
	v_mul_f32_e32 v43, v71, v43
	;; [unrolled: 1-line block ×6, first 2 shown]
	s_waitcnt vmcnt(4) lgkmcnt(3)
	v_pk_mul_f32 v[108:109], v[88:89], v[56:57] op_sel:[1,1] op_sel_hi:[0,1]
	v_mov_b32_e32 v110, v59
	s_waitcnt vmcnt(3) lgkmcnt(2)
	v_pk_mul_f32 v[112:113], v[92:93], v[60:61] op_sel:[1,1] op_sel_hi:[0,1]
	v_mov_b32_e32 v114, v63
	v_fmac_f32_e32 v111, v69, v40
	v_fmac_f32_e32 v115, v71, v42
	;; [unrolled: 1-line block ×6, first 2 shown]
	v_fma_f32 v68, v68, v40, -v41
	v_fma_f32 v69, v70, v42, -v43
	;; [unrolled: 1-line block ×6, first 2 shown]
	v_pk_fma_f32 v[40:41], v[88:89], v[56:57], v[108:109] neg_lo:[0,0,1] neg_hi:[0,0,1]
	v_pk_fma_f32 v[42:43], v[88:89], v[56:57], v[108:109] op_sel_hi:[1,0,1]
	v_pk_mul_f32 v[44:45], v[90:91], v[110:111] op_sel:[1,0] op_sel_hi:[0,0]
	v_pk_fma_f32 v[46:47], v[92:93], v[60:61], v[112:113] neg_lo:[0,0,1] neg_hi:[0,0,1]
	v_pk_fma_f32 v[48:49], v[92:93], v[60:61], v[112:113] op_sel_hi:[1,0,1]
	v_pk_mul_f32 v[50:51], v[94:95], v[114:115] op_sel:[1,0] op_sel_hi:[0,0]
	v_add_f32_e32 v60, 0, v111
	v_add_f32_e32 v61, 0, v68
	v_mov_b32_e32 v41, v43
	v_pk_fma_f32 v[42:43], v[90:91], v[58:59], v[44:45] neg_lo:[0,0,1] neg_hi:[0,0,1]
	v_pk_fma_f32 v[44:45], v[90:91], v[58:59], v[44:45] op_sel_hi:[1,0,1]
	v_mov_b32_e32 v47, v49
	v_pk_fma_f32 v[48:49], v[94:95], v[62:63], v[50:51] neg_lo:[0,0,1] neg_hi:[0,0,1]
	v_pk_fma_f32 v[50:51], v[94:95], v[62:63], v[50:51] op_sel_hi:[1,0,1]
	v_add_f32_e32 v44, v60, v115
	v_add_f32_e32 v50, v61, v69
	v_mov_b32_e32 v43, v45
	v_add_f32_e32 v44, v44, v119
	v_add_f32_e32 v45, v50, v70
	v_add_f32_e32 v44, v44, v120
	v_add_f32_e32 v45, v45, v71
	v_mul_f32_e32 v105, v80, v53
	v_mul_f32_e32 v53, v81, v53
	v_add_f32_e32 v44, v44, v121
	v_add_f32_e32 v50, v45, v72
	v_mul_f32_e32 v107, v82, v55
	v_mul_f32_e32 v55, v83, v55
	v_fmac_f32_e32 v105, v81, v52
	v_fma_f32 v104, v80, v52, -v53
	v_add_f32_e32 v45, v44, v122
	v_add_f32_e32 v44, v50, v73
	v_fmac_f32_e32 v107, v83, v54
	v_fma_f32 v106, v82, v54, -v55
	v_pk_add_f32 v[44:45], v[44:45], v[104:105]
	s_waitcnt vmcnt(2) lgkmcnt(1)
	v_pk_mul_f32 v[116:117], v[96:97], v[64:65] op_sel:[1,1] op_sel_hi:[0,1]
	v_mov_b32_e32 v118, v67
	v_pk_add_f32 v[44:45], v[44:45], v[106:107]
	v_pk_fma_f32 v[52:53], v[96:97], v[64:65], v[116:117] neg_lo:[0,0,1] neg_hi:[0,0,1]
	v_pk_fma_f32 v[54:55], v[96:97], v[64:65], v[116:117] op_sel_hi:[1,0,1]
	v_pk_mul_f32 v[56:57], v[98:99], v[118:119] op_sel:[1,0] op_sel_hi:[0,0]
	v_pk_add_f32 v[40:41], v[44:45], v[40:41]
	v_mov_b32_e32 v53, v55
	v_pk_fma_f32 v[54:55], v[98:99], v[66:67], v[56:57] neg_lo:[0,0,1] neg_hi:[0,0,1]
	v_pk_add_f32 v[40:41], v[40:41], v[42:43]
	v_pk_fma_f32 v[42:43], v[98:99], v[66:67], v[56:57] op_sel_hi:[1,0,1]
	v_mov_b32_e32 v49, v51
	v_pk_add_f32 v[40:41], v[40:41], v[46:47]
	v_mov_b32_e32 v55, v43
	s_waitcnt vmcnt(1) lgkmcnt(0)
	v_pk_mul_f32 v[42:43], v[100:101], v[84:85] op_sel:[1,1] op_sel_hi:[0,1]
	v_pk_add_f32 v[40:41], v[40:41], v[48:49]
	v_pk_fma_f32 v[44:45], v[100:101], v[84:85], v[42:43] neg_lo:[0,0,1] neg_hi:[0,0,1]
	v_pk_fma_f32 v[42:43], v[100:101], v[84:85], v[42:43] op_sel_hi:[1,0,1]
	v_pk_add_f32 v[40:41], v[40:41], v[52:53]
	v_mov_b32_e32 v42, v87
	v_pk_add_f32 v[40:41], v[40:41], v[54:55]
	v_mov_b32_e32 v45, v43
	v_pk_mul_f32 v[42:43], v[102:103], v[42:43] op_sel:[1,0] op_sel_hi:[0,0]
	v_pk_add_f32 v[40:41], v[40:41], v[44:45]
	v_pk_fma_f32 v[44:45], v[102:103], v[86:87], v[42:43] neg_lo:[0,0,1] neg_hi:[0,0,1]
	v_pk_fma_f32 v[42:43], v[102:103], v[86:87], v[42:43] op_sel_hi:[1,0,1]
	s_nop 0
	v_mov_b32_e32 v45, v43
	v_pk_add_f32 v[40:41], v[40:41], v[44:45]
	s_waitcnt vmcnt(0)
	v_pk_add_f32 v[38:39], v[38:39], v[40:41] neg_lo:[0,1] neg_hi:[0,1]
	scratch_store_dwordx2 off, v[38:39], off offset:8
	s_and_saveexec_b64 s[0:1], vcc
	s_cbranch_execz .LBB17_121
; %bb.120:
	scratch_load_dwordx2 v[38:39], off, off
	v_mov_b32_e32 v40, 0
	v_mov_b32_e32 v41, v40
	scratch_store_dwordx2 off, v[40:41], off
	s_waitcnt vmcnt(1)
	ds_write_b64 v1, v[38:39]
.LBB17_121:
	s_or_b64 exec, exec, s[0:1]
	s_waitcnt lgkmcnt(0)
	; wave barrier
	scratch_load_dwordx4 v[40:43], off, off offset:8
	scratch_load_dwordx4 v[44:47], off, off offset:24
	;; [unrolled: 1-line block ×8, first 2 shown]
	scratch_load_dwordx2 v[0:1], off, off offset:136
	scratch_load_dwordx2 v[104:105], off, off
	v_mov_b32_e32 v38, 0
	ds_read2_b64 v[72:75], v38 offset0:19 offset1:20
	ds_read2_b64 v[76:79], v38 offset0:21 offset1:22
	;; [unrolled: 1-line block ×8, first 2 shown]
	ds_read_b64 v[106:107], v38 offset:280
	s_and_b64 vcc, exec, s[18:19]
	s_waitcnt vmcnt(9) lgkmcnt(8)
	v_mul_f32_e32 v113, v74, v43
	v_mul_f32_e32 v39, v72, v41
	s_waitcnt vmcnt(8) lgkmcnt(7)
	v_mul_f32_e32 v117, v76, v45
	s_waitcnt vmcnt(7) lgkmcnt(6)
	v_mul_f32_e32 v121, v80, v49
	v_mul_f32_e32 v41, v73, v41
	;; [unrolled: 1-line block ×5, first 2 shown]
	s_waitcnt vmcnt(5)
	v_mov_b32_e32 v112, v59
	s_waitcnt vmcnt(3) lgkmcnt(2)
	v_pk_mul_f32 v[118:119], v[96:97], v[64:65] op_sel:[1,1] op_sel_hi:[0,1]
	v_fmac_f32_e32 v113, v75, v42
	v_mul_f32_e32 v120, v78, v47
	v_mul_f32_e32 v123, v84, v53
	;; [unrolled: 1-line block ×4, first 2 shown]
	v_fmac_f32_e32 v39, v73, v40
	v_fmac_f32_e32 v121, v81, v48
	v_fma_f32 v72, v72, v40, -v41
	v_fma_f32 v73, v74, v42, -v43
	v_fma_f32 v74, v76, v44, -v45
	v_fma_f32 v76, v80, v48, -v49
	v_pk_mul_f32 v[40:41], v[90:91], v[112:113] op_sel:[1,0] op_sel_hi:[0,0]
	v_pk_fma_f32 v[48:49], v[96:97], v[64:65], v[118:119] neg_lo:[0,0,1] neg_hi:[0,0,1]
	v_fmac_f32_e32 v123, v85, v52
	v_fma_f32 v75, v78, v46, -v47
	v_fma_f32 v78, v84, v52, -v53
	v_add_f32_e32 v39, 0, v39
	v_add_f32_e32 v49, 0, v72
	v_pk_fma_f32 v[52:53], v[90:91], v[58:59], v[40:41] neg_lo:[0,0,1] neg_hi:[0,0,1]
	v_pk_fma_f32 v[40:41], v[90:91], v[58:59], v[40:41] op_sel_hi:[1,0,1]
	v_fmac_f32_e32 v117, v77, v44
	v_add_f32_e32 v39, v39, v113
	v_add_f32_e32 v40, v49, v73
	v_fmac_f32_e32 v120, v79, v46
	v_add_f32_e32 v39, v39, v117
	v_add_f32_e32 v40, v40, v74
	v_mul_f32_e32 v122, v82, v51
	v_mul_f32_e32 v51, v83, v51
	v_add_f32_e32 v39, v39, v120
	v_add_f32_e32 v40, v40, v75
	v_fmac_f32_e32 v122, v83, v50
	v_fma_f32 v77, v82, v50, -v51
	v_add_f32_e32 v39, v39, v121
	v_add_f32_e32 v40, v40, v76
	v_mul_f32_e32 v109, v86, v55
	v_mul_f32_e32 v55, v87, v55
	v_add_f32_e32 v39, v39, v122
	v_add_f32_e32 v40, v40, v77
	v_mul_f32_e32 v111, v88, v57
	v_mul_f32_e32 v57, v89, v57
	v_fmac_f32_e32 v109, v87, v54
	v_fma_f32 v108, v86, v54, -v55
	v_mov_b32_e32 v53, v41
	v_add_f32_e32 v41, v39, v123
	v_add_f32_e32 v40, v40, v78
	v_pk_mul_f32 v[114:115], v[92:93], v[60:61] op_sel:[1,1] op_sel_hi:[0,1]
	v_fmac_f32_e32 v111, v89, v56
	v_fma_f32 v110, v88, v56, -v57
	v_pk_add_f32 v[40:41], v[40:41], v[108:109]
	v_mov_b32_e32 v116, v63
	v_pk_fma_f32 v[42:43], v[92:93], v[60:61], v[114:115] neg_lo:[0,0,1] neg_hi:[0,0,1]
	v_pk_fma_f32 v[44:45], v[92:93], v[60:61], v[114:115] op_sel_hi:[1,0,1]
	v_pk_add_f32 v[40:41], v[40:41], v[110:111]
	v_pk_mul_f32 v[46:47], v[94:95], v[116:117] op_sel:[1,0] op_sel_hi:[0,0]
	v_mov_b32_e32 v43, v45
	v_pk_add_f32 v[40:41], v[40:41], v[52:53]
	v_pk_fma_f32 v[44:45], v[94:95], v[62:63], v[46:47] neg_lo:[0,0,1] neg_hi:[0,0,1]
	v_pk_fma_f32 v[46:47], v[94:95], v[62:63], v[46:47] op_sel_hi:[1,0,1]
	v_pk_add_f32 v[40:41], v[40:41], v[42:43]
	v_mov_b32_e32 v42, v67
	v_pk_fma_f32 v[50:51], v[96:97], v[64:65], v[118:119] op_sel_hi:[1,0,1]
	v_mov_b32_e32 v45, v47
	v_pk_mul_f32 v[42:43], v[98:99], v[42:43] op_sel:[1,0] op_sel_hi:[0,0]
	v_pk_add_f32 v[40:41], v[40:41], v[44:45]
	v_mov_b32_e32 v49, v51
	v_pk_fma_f32 v[44:45], v[98:99], v[66:67], v[42:43] neg_lo:[0,0,1] neg_hi:[0,0,1]
	v_pk_fma_f32 v[42:43], v[98:99], v[66:67], v[42:43] op_sel_hi:[1,0,1]
	v_pk_add_f32 v[40:41], v[40:41], v[48:49]
	v_mov_b32_e32 v45, v43
	s_waitcnt vmcnt(2) lgkmcnt(1)
	v_pk_mul_f32 v[42:43], v[100:101], v[68:69] op_sel:[1,1] op_sel_hi:[0,1]
	v_pk_add_f32 v[40:41], v[40:41], v[44:45]
	v_pk_fma_f32 v[44:45], v[100:101], v[68:69], v[42:43] neg_lo:[0,0,1] neg_hi:[0,0,1]
	v_pk_fma_f32 v[42:43], v[100:101], v[68:69], v[42:43] op_sel_hi:[1,0,1]
	s_nop 0
	v_mov_b32_e32 v42, v71
	v_mov_b32_e32 v45, v43
	v_pk_mul_f32 v[42:43], v[102:103], v[42:43] op_sel:[1,0] op_sel_hi:[0,0]
	v_pk_add_f32 v[40:41], v[40:41], v[44:45]
	v_pk_fma_f32 v[44:45], v[102:103], v[70:71], v[42:43] neg_lo:[0,0,1] neg_hi:[0,0,1]
	v_pk_fma_f32 v[42:43], v[102:103], v[70:71], v[42:43] op_sel_hi:[1,0,1]
	s_nop 0
	v_mov_b32_e32 v45, v43
	s_waitcnt vmcnt(1) lgkmcnt(0)
	v_pk_mul_f32 v[42:43], v[106:107], v[0:1] op_sel:[1,1] op_sel_hi:[0,1]
	v_pk_add_f32 v[40:41], v[40:41], v[44:45]
	v_pk_fma_f32 v[44:45], v[106:107], v[0:1], v[42:43] neg_lo:[0,0,1] neg_hi:[0,0,1]
	v_pk_fma_f32 v[0:1], v[106:107], v[0:1], v[42:43] op_sel_hi:[1,0,1]
	s_nop 0
	v_mov_b32_e32 v45, v1
	v_pk_add_f32 v[0:1], v[40:41], v[44:45]
	s_waitcnt vmcnt(0)
	v_pk_add_f32 v[0:1], v[104:105], v[0:1] neg_lo:[0,1] neg_hi:[0,1]
	scratch_store_dwordx2 off, v[0:1], off
	s_cbranch_vccz .LBB17_156
; %bb.122:
	global_load_dword v0, v38, s[16:17] offset:64
	s_waitcnt vmcnt(0)
	v_readfirstlane_b32 s0, v0
	s_add_i32 s0, s0, -1
	s_cmp_lg_u32 s0, 16
	s_cbranch_scc0 .LBB17_124
; %bb.123:
	s_lshl_b32 s0, s0, 3
	s_nop 0
	scratch_load_dwordx2 v[0:1], off, s0
	scratch_load_dwordx2 v[38:39], off, off offset:128
	s_waitcnt vmcnt(1)
	scratch_store_dwordx2 off, v[0:1], off offset:128
	s_waitcnt vmcnt(1)
	scratch_store_dwordx2 off, v[38:39], s0
.LBB17_124:
	v_mov_b32_e32 v0, 0
	global_load_dword v1, v0, s[16:17] offset:60
	s_waitcnt vmcnt(0)
	v_readfirstlane_b32 s0, v1
	s_add_i32 s0, s0, -1
	s_cmp_eq_u32 s0, 15
	s_cbranch_scc1 .LBB17_126
; %bb.125:
	s_lshl_b32 s0, s0, 3
	s_nop 0
	scratch_load_dwordx2 v[38:39], off, s0
	scratch_load_dwordx2 v[40:41], off, off offset:120
	s_waitcnt vmcnt(1)
	scratch_store_dwordx2 off, v[38:39], off offset:120
	s_waitcnt vmcnt(1)
	scratch_store_dwordx2 off, v[40:41], s0
.LBB17_126:
	global_load_dword v0, v0, s[16:17] offset:56
	s_waitcnt vmcnt(0)
	v_readfirstlane_b32 s0, v0
	s_add_i32 s0, s0, -1
	s_cmp_eq_u32 s0, 14
	s_cbranch_scc1 .LBB17_128
; %bb.127:
	s_lshl_b32 s0, s0, 3
	s_nop 0
	scratch_load_dwordx2 v[0:1], off, s0
	scratch_load_dwordx2 v[38:39], off, off offset:112
	s_waitcnt vmcnt(1)
	scratch_store_dwordx2 off, v[0:1], off offset:112
	s_waitcnt vmcnt(1)
	scratch_store_dwordx2 off, v[38:39], s0
.LBB17_128:
	v_mov_b32_e32 v0, 0
	global_load_dword v1, v0, s[16:17] offset:52
	s_waitcnt vmcnt(0)
	v_readfirstlane_b32 s0, v1
	s_add_i32 s0, s0, -1
	s_cmp_eq_u32 s0, 13
	s_cbranch_scc1 .LBB17_130
; %bb.129:
	s_lshl_b32 s0, s0, 3
	s_nop 0
	scratch_load_dwordx2 v[38:39], off, s0
	scratch_load_dwordx2 v[40:41], off, off offset:104
	s_waitcnt vmcnt(1)
	scratch_store_dwordx2 off, v[38:39], off offset:104
	s_waitcnt vmcnt(1)
	scratch_store_dwordx2 off, v[40:41], s0
.LBB17_130:
	global_load_dword v0, v0, s[16:17] offset:48
	s_waitcnt vmcnt(0)
	v_readfirstlane_b32 s0, v0
	s_add_i32 s0, s0, -1
	s_cmp_eq_u32 s0, 12
	s_cbranch_scc1 .LBB17_132
; %bb.131:
	s_lshl_b32 s0, s0, 3
	s_nop 0
	scratch_load_dwordx2 v[0:1], off, s0
	scratch_load_dwordx2 v[38:39], off, off offset:96
	s_waitcnt vmcnt(1)
	scratch_store_dwordx2 off, v[0:1], off offset:96
	s_waitcnt vmcnt(1)
	scratch_store_dwordx2 off, v[38:39], s0
.LBB17_132:
	;; [unrolled: 33-line block ×7, first 2 shown]
	v_mov_b32_e32 v0, 0
	global_load_dword v1, v0, s[16:17] offset:4
	s_waitcnt vmcnt(0)
	v_readfirstlane_b32 s0, v1
	s_add_i32 s0, s0, -1
	s_cmp_eq_u32 s0, 1
	s_cbranch_scc1 .LBB17_154
; %bb.153:
	s_lshl_b32 s0, s0, 3
	s_nop 0
	scratch_load_dwordx2 v[38:39], off, s0
	scratch_load_dwordx2 v[40:41], off, off offset:8
	s_waitcnt vmcnt(1)
	scratch_store_dwordx2 off, v[38:39], off offset:8
	s_waitcnt vmcnt(1)
	scratch_store_dwordx2 off, v[40:41], s0
.LBB17_154:
	global_load_dword v38, v0, s[16:17]
	s_nop 0
	scratch_load_dwordx2 v[0:1], off, off
	s_waitcnt vmcnt(1)
	v_readfirstlane_b32 s0, v38
	s_add_i32 s0, s0, -1
	s_cmp_eq_u32 s0, 0
	s_cbranch_scc1 .LBB17_156
; %bb.155:
	s_lshl_b32 s0, s0, 3
	s_nop 0
	scratch_load_dwordx2 v[38:39], off, s0
	s_waitcnt vmcnt(0)
	scratch_store_dwordx2 off, v[38:39], off
	scratch_store_dwordx2 off, v[0:1], s0
	scratch_load_dwordx2 v[0:1], off, off
.LBB17_156:
	s_nop 0
	scratch_load_dwordx4 v[40:43], off, off offset:8
	scratch_load_dwordx4 v[44:47], off, off offset:24
	scratch_load_dwordx4 v[48:51], off, off offset:40
	scratch_load_dwordx4 v[52:55], off, off offset:56
	scratch_load_dwordx4 v[56:59], off, off offset:72
	scratch_load_dwordx4 v[60:63], off, off offset:88
	scratch_load_dwordx4 v[64:67], off, off offset:104
	scratch_load_dwordx4 v[68:71], off, off offset:120
	scratch_load_dwordx2 v[38:39], off, off offset:136
	s_waitcnt vmcnt(9)
	global_store_dwordx2 v[2:3], v[0:1], off
	s_waitcnt vmcnt(9)
	global_store_dwordx2 v[4:5], v[40:41], off
	global_store_dwordx2 v[6:7], v[42:43], off
	s_waitcnt vmcnt(10)
	global_store_dwordx2 v[8:9], v[44:45], off
	;; [unrolled: 3-line block ×9, first 2 shown]
	s_endpgm
	.section	.rodata,"a",@progbits
	.p2align	6, 0x0
	.amdhsa_kernel _ZN9rocsolver6v33100L18getri_kernel_smallILi18E19rocblas_complex_numIfEPS3_EEvT1_iilPiilS6_bb
		.amdhsa_group_segment_fixed_size 292
		.amdhsa_private_segment_fixed_size 160
		.amdhsa_kernarg_size 60
		.amdhsa_user_sgpr_count 2
		.amdhsa_user_sgpr_dispatch_ptr 0
		.amdhsa_user_sgpr_queue_ptr 0
		.amdhsa_user_sgpr_kernarg_segment_ptr 1
		.amdhsa_user_sgpr_dispatch_id 0
		.amdhsa_user_sgpr_kernarg_preload_length 0
		.amdhsa_user_sgpr_kernarg_preload_offset 0
		.amdhsa_user_sgpr_private_segment_size 0
		.amdhsa_uses_dynamic_stack 0
		.amdhsa_enable_private_segment 1
		.amdhsa_system_sgpr_workgroup_id_x 1
		.amdhsa_system_sgpr_workgroup_id_y 0
		.amdhsa_system_sgpr_workgroup_id_z 0
		.amdhsa_system_sgpr_workgroup_info 0
		.amdhsa_system_vgpr_workitem_id 0
		.amdhsa_next_free_vgpr 124
		.amdhsa_next_free_sgpr 20
		.amdhsa_accum_offset 124
		.amdhsa_reserve_vcc 1
		.amdhsa_float_round_mode_32 0
		.amdhsa_float_round_mode_16_64 0
		.amdhsa_float_denorm_mode_32 3
		.amdhsa_float_denorm_mode_16_64 3
		.amdhsa_dx10_clamp 1
		.amdhsa_ieee_mode 1
		.amdhsa_fp16_overflow 0
		.amdhsa_tg_split 0
		.amdhsa_exception_fp_ieee_invalid_op 0
		.amdhsa_exception_fp_denorm_src 0
		.amdhsa_exception_fp_ieee_div_zero 0
		.amdhsa_exception_fp_ieee_overflow 0
		.amdhsa_exception_fp_ieee_underflow 0
		.amdhsa_exception_fp_ieee_inexact 0
		.amdhsa_exception_int_div_zero 0
	.end_amdhsa_kernel
	.section	.text._ZN9rocsolver6v33100L18getri_kernel_smallILi18E19rocblas_complex_numIfEPS3_EEvT1_iilPiilS6_bb,"axG",@progbits,_ZN9rocsolver6v33100L18getri_kernel_smallILi18E19rocblas_complex_numIfEPS3_EEvT1_iilPiilS6_bb,comdat
.Lfunc_end17:
	.size	_ZN9rocsolver6v33100L18getri_kernel_smallILi18E19rocblas_complex_numIfEPS3_EEvT1_iilPiilS6_bb, .Lfunc_end17-_ZN9rocsolver6v33100L18getri_kernel_smallILi18E19rocblas_complex_numIfEPS3_EEvT1_iilPiilS6_bb
                                        ; -- End function
	.set _ZN9rocsolver6v33100L18getri_kernel_smallILi18E19rocblas_complex_numIfEPS3_EEvT1_iilPiilS6_bb.num_vgpr, 124
	.set _ZN9rocsolver6v33100L18getri_kernel_smallILi18E19rocblas_complex_numIfEPS3_EEvT1_iilPiilS6_bb.num_agpr, 0
	.set _ZN9rocsolver6v33100L18getri_kernel_smallILi18E19rocblas_complex_numIfEPS3_EEvT1_iilPiilS6_bb.numbered_sgpr, 20
	.set _ZN9rocsolver6v33100L18getri_kernel_smallILi18E19rocblas_complex_numIfEPS3_EEvT1_iilPiilS6_bb.num_named_barrier, 0
	.set _ZN9rocsolver6v33100L18getri_kernel_smallILi18E19rocblas_complex_numIfEPS3_EEvT1_iilPiilS6_bb.private_seg_size, 160
	.set _ZN9rocsolver6v33100L18getri_kernel_smallILi18E19rocblas_complex_numIfEPS3_EEvT1_iilPiilS6_bb.uses_vcc, 1
	.set _ZN9rocsolver6v33100L18getri_kernel_smallILi18E19rocblas_complex_numIfEPS3_EEvT1_iilPiilS6_bb.uses_flat_scratch, 0
	.set _ZN9rocsolver6v33100L18getri_kernel_smallILi18E19rocblas_complex_numIfEPS3_EEvT1_iilPiilS6_bb.has_dyn_sized_stack, 0
	.set _ZN9rocsolver6v33100L18getri_kernel_smallILi18E19rocblas_complex_numIfEPS3_EEvT1_iilPiilS6_bb.has_recursion, 0
	.set _ZN9rocsolver6v33100L18getri_kernel_smallILi18E19rocblas_complex_numIfEPS3_EEvT1_iilPiilS6_bb.has_indirect_call, 0
	.section	.AMDGPU.csdata,"",@progbits
; Kernel info:
; codeLenInByte = 15136
; TotalNumSgprs: 26
; NumVgprs: 124
; NumAgprs: 0
; TotalNumVgprs: 124
; ScratchSize: 160
; MemoryBound: 0
; FloatMode: 240
; IeeeMode: 1
; LDSByteSize: 292 bytes/workgroup (compile time only)
; SGPRBlocks: 3
; VGPRBlocks: 15
; NumSGPRsForWavesPerEU: 26
; NumVGPRsForWavesPerEU: 124
; AccumOffset: 124
; Occupancy: 4
; WaveLimiterHint : 1
; COMPUTE_PGM_RSRC2:SCRATCH_EN: 1
; COMPUTE_PGM_RSRC2:USER_SGPR: 2
; COMPUTE_PGM_RSRC2:TRAP_HANDLER: 0
; COMPUTE_PGM_RSRC2:TGID_X_EN: 1
; COMPUTE_PGM_RSRC2:TGID_Y_EN: 0
; COMPUTE_PGM_RSRC2:TGID_Z_EN: 0
; COMPUTE_PGM_RSRC2:TIDIG_COMP_CNT: 0
; COMPUTE_PGM_RSRC3_GFX90A:ACCUM_OFFSET: 30
; COMPUTE_PGM_RSRC3_GFX90A:TG_SPLIT: 0
	.section	.text._ZN9rocsolver6v33100L18getri_kernel_smallILi19E19rocblas_complex_numIfEPS3_EEvT1_iilPiilS6_bb,"axG",@progbits,_ZN9rocsolver6v33100L18getri_kernel_smallILi19E19rocblas_complex_numIfEPS3_EEvT1_iilPiilS6_bb,comdat
	.globl	_ZN9rocsolver6v33100L18getri_kernel_smallILi19E19rocblas_complex_numIfEPS3_EEvT1_iilPiilS6_bb ; -- Begin function _ZN9rocsolver6v33100L18getri_kernel_smallILi19E19rocblas_complex_numIfEPS3_EEvT1_iilPiilS6_bb
	.p2align	8
	.type	_ZN9rocsolver6v33100L18getri_kernel_smallILi19E19rocblas_complex_numIfEPS3_EEvT1_iilPiilS6_bb,@function
_ZN9rocsolver6v33100L18getri_kernel_smallILi19E19rocblas_complex_numIfEPS3_EEvT1_iilPiilS6_bb: ; @_ZN9rocsolver6v33100L18getri_kernel_smallILi19E19rocblas_complex_numIfEPS3_EEvT1_iilPiilS6_bb
; %bb.0:
	v_cmp_gt_u32_e32 vcc, 19, v0
	s_and_saveexec_b64 s[4:5], vcc
	s_cbranch_execz .LBB18_90
; %bb.1:
	s_load_dword s8, s[0:1], 0x38
	s_load_dwordx4 s[12:15], s[0:1], 0x10
	s_load_dwordx4 s[4:7], s[0:1], 0x28
                                        ; implicit-def: $sgpr16_sgpr17
	s_waitcnt lgkmcnt(0)
	s_bitcmp1_b32 s8, 8
	s_cselect_b64 s[18:19], -1, 0
	s_ashr_i32 s3, s2, 31
	s_bfe_u32 s8, s8, 0x10008
	s_cmp_eq_u32 s8, 0
	s_cbranch_scc1 .LBB18_3
; %bb.2:
	s_load_dword s8, s[0:1], 0x20
	s_mul_i32 s9, s4, s3
	s_mul_hi_u32 s10, s4, s2
	s_mul_i32 s5, s5, s2
	s_add_i32 s10, s10, s9
	s_add_i32 s5, s10, s5
	s_mul_i32 s4, s4, s2
	s_waitcnt lgkmcnt(0)
	s_ashr_i32 s9, s8, 31
	s_lshl_b64 s[4:5], s[4:5], 2
	s_add_u32 s10, s14, s4
	s_addc_u32 s11, s15, s5
	s_lshl_b64 s[4:5], s[8:9], 2
	s_add_u32 s16, s10, s4
	s_addc_u32 s17, s11, s5
.LBB18_3:
	s_load_dwordx4 s[8:11], s[0:1], 0x0
	s_load_dword s14, s[0:1], 0x38
	s_mul_i32 s4, s12, s3
	s_mul_hi_u32 s5, s12, s2
	s_add_i32 s4, s5, s4
	s_mul_i32 s5, s13, s2
	s_add_i32 s5, s4, s5
	s_mul_i32 s4, s12, s2
	s_waitcnt lgkmcnt(0)
	s_ashr_i32 s1, s10, 31
	s_lshl_b64 s[4:5], s[4:5], 3
	s_mov_b32 s0, s10
	s_add_u32 s4, s8, s4
	s_addc_u32 s5, s9, s5
	s_lshl_b64 s[0:1], s[0:1], 3
	s_add_u32 s0, s4, s0
	s_addc_u32 s1, s5, s1
	v_lshlrev_b32_e32 v40, 3, v0
	v_mov_b32_e32 v41, 0
	v_lshl_add_u64 v[2:3], s[0:1], 0, v[40:41]
	s_ashr_i32 s5, s11, 31
	s_mov_b32 s4, s11
	v_lshl_add_u64 v[4:5], s[4:5], 3, v[2:3]
	s_add_i32 s4, s11, s11
	v_add_u32_e32 v8, s4, v0
	v_add_u32_e32 v10, s11, v8
	;; [unrolled: 1-line block ×16, first 2 shown]
	v_ashrrev_i32_e32 v9, 31, v8
	v_ashrrev_i32_e32 v11, 31, v10
	v_ashrrev_i32_e32 v13, 31, v12
	v_ashrrev_i32_e32 v15, 31, v14
	v_ashrrev_i32_e32 v17, 31, v16
	v_ashrrev_i32_e32 v19, 31, v18
	v_ashrrev_i32_e32 v21, 31, v20
	v_ashrrev_i32_e32 v23, 31, v22
	v_ashrrev_i32_e32 v25, 31, v24
	v_ashrrev_i32_e32 v27, 31, v26
	v_ashrrev_i32_e32 v29, 31, v28
	v_ashrrev_i32_e32 v31, 31, v30
	v_ashrrev_i32_e32 v33, 31, v32
	v_ashrrev_i32_e32 v35, 31, v34
	v_ashrrev_i32_e32 v37, 31, v36
	v_ashrrev_i32_e32 v39, 31, v38
	v_lshl_add_u64 v[6:7], v[8:9], 3, s[0:1]
	v_lshl_add_u64 v[8:9], v[10:11], 3, s[0:1]
	;; [unrolled: 1-line block ×16, first 2 shown]
	v_add_u32_e32 v38, s11, v38
	v_ashrrev_i32_e32 v39, 31, v38
	global_load_dwordx2 v[44:45], v40, s[0:1]
	global_load_dwordx2 v[46:47], v[4:5], off
	global_load_dwordx2 v[48:49], v[6:7], off
	;; [unrolled: 1-line block ×16, first 2 shown]
	v_lshl_add_u64 v[38:39], v[38:39], 3, s[0:1]
	global_load_dwordx2 v[78:79], v[36:37], off
	global_load_dwordx2 v[42:43], v[38:39], off
	s_bitcmp0_b32 s14, 0
	s_mov_b64 s[4:5], -1
	s_waitcnt vmcnt(17)
	scratch_store_dwordx4 off, v[44:47], off
	s_waitcnt vmcnt(16)
	scratch_store_dwordx4 off, v[48:51], off offset:16
	s_waitcnt vmcnt(15)
	scratch_store_dwordx4 off, v[52:55], off offset:32
	;; [unrolled: 2-line block ×8, first 2 shown]
	s_waitcnt vmcnt(9)
	scratch_store_dwordx2 off, v[42:43], off offset:144
	s_cbranch_scc1 .LBB18_88
; %bb.4:
	v_cmp_eq_u32_e64 s[0:1], 0, v0
	s_and_saveexec_b64 s[4:5], s[0:1]
; %bb.5:
	v_mov_b32_e32 v1, 0
	ds_write_b32 v1, v1 offset:152
; %bb.6:
	s_or_b64 exec, exec, s[4:5]
	s_waitcnt lgkmcnt(0)
	; wave barrier
	scratch_load_dwordx2 v[42:43], v40, off
	s_waitcnt vmcnt(0)
	v_cmp_eq_f32_e32 vcc, 0, v42
	v_cmp_eq_f32_e64 s[4:5], 0, v43
	s_and_b64 s[4:5], vcc, s[4:5]
	s_and_saveexec_b64 s[8:9], s[4:5]
	s_cbranch_execz .LBB18_10
; %bb.7:
	v_mov_b32_e32 v1, 0
	ds_read_b32 v42, v1 offset:152
	v_add_u32_e32 v41, 1, v0
	s_waitcnt lgkmcnt(0)
	v_readfirstlane_b32 s4, v42
	s_cmp_eq_u32 s4, 0
	s_cselect_b64 s[10:11], -1, 0
	v_cmp_gt_i32_e32 vcc, s4, v41
	s_or_b64 s[10:11], s[10:11], vcc
	s_and_b64 exec, exec, s[10:11]
	s_cbranch_execz .LBB18_10
; %bb.8:
	s_mov_b64 s[10:11], 0
	v_mov_b32_e32 v42, s4
.LBB18_9:                               ; =>This Inner Loop Header: Depth=1
	ds_cmpst_rtn_b32 v42, v1, v42, v41 offset:152
	s_waitcnt lgkmcnt(0)
	v_cmp_ne_u32_e32 vcc, 0, v42
	v_cmp_le_i32_e64 s[4:5], v42, v41
	s_and_b64 s[4:5], vcc, s[4:5]
	s_and_b64 s[4:5], exec, s[4:5]
	s_or_b64 s[10:11], s[4:5], s[10:11]
	s_andn2_b64 exec, exec, s[10:11]
	s_cbranch_execnz .LBB18_9
.LBB18_10:
	s_or_b64 exec, exec, s[8:9]
	v_mov_b32_e32 v41, 0
	; wave barrier
	ds_read_b32 v1, v41 offset:152
	s_and_saveexec_b64 s[4:5], s[0:1]
	s_cbranch_execz .LBB18_12
; %bb.11:
	s_lshl_b64 s[8:9], s[2:3], 2
	s_add_u32 s8, s6, s8
	s_addc_u32 s9, s7, s9
	s_waitcnt lgkmcnt(0)
	global_store_dword v41, v1, s[8:9]
.LBB18_12:
	s_or_b64 exec, exec, s[4:5]
	s_waitcnt lgkmcnt(0)
	v_cmp_ne_u32_e32 vcc, 0, v1
	s_mov_b64 s[4:5], 0
	s_cbranch_vccnz .LBB18_88
; %bb.13:
	v_mov_b32_e32 v41, v40
	scratch_load_dwordx2 v[42:43], v41, off
                                        ; implicit-def: $vgpr45
                                        ; implicit-def: $vgpr46
	s_waitcnt vmcnt(0)
	v_cmp_ngt_f32_e64 s[4:5], |v42|, |v43|
	s_and_saveexec_b64 s[8:9], s[4:5]
	s_xor_b64 s[4:5], exec, s[8:9]
	s_cbranch_execz .LBB18_15
; %bb.14:
	v_div_scale_f32 v1, s[8:9], v43, v43, v42
	v_rcp_f32_e32 v44, v1
	v_div_scale_f32 v45, vcc, v42, v43, v42
	v_fma_f32 v46, -v1, v44, 1.0
	v_fmac_f32_e32 v44, v46, v44
	v_mul_f32_e32 v46, v45, v44
	v_fma_f32 v47, -v1, v46, v45
	v_fmac_f32_e32 v46, v47, v44
	v_fma_f32 v1, -v1, v46, v45
	v_div_fmas_f32 v1, v1, v44, v46
	v_div_fixup_f32 v1, v1, v43, v42
	v_fmac_f32_e32 v43, v42, v1
	v_div_scale_f32 v42, s[8:9], v43, v43, -1.0
	v_rcp_f32_e32 v44, v42
	s_nop 0
	v_fma_f32 v45, -v42, v44, 1.0
	v_fmac_f32_e32 v44, v45, v44
	v_div_scale_f32 v45, vcc, -1.0, v43, -1.0
	v_mul_f32_e32 v46, v45, v44
	v_fma_f32 v47, -v42, v46, v45
	v_fmac_f32_e32 v46, v47, v44
	v_fma_f32 v42, -v42, v46, v45
	v_div_fmas_f32 v42, v42, v44, v46
	v_div_fixup_f32 v45, v42, v43, -1.0
	v_mul_f32_e32 v46, v1, v45
	v_xor_b32_e32 v44, 0x80000000, v46
                                        ; implicit-def: $vgpr42_vgpr43
.LBB18_15:
	s_andn2_saveexec_b64 s[4:5], s[4:5]
	s_cbranch_execz .LBB18_17
; %bb.16:
	v_div_scale_f32 v1, s[8:9], v42, v42, v43
	v_rcp_f32_e32 v44, v1
	v_div_scale_f32 v45, vcc, v43, v42, v43
	v_fma_f32 v46, -v1, v44, 1.0
	v_fmac_f32_e32 v44, v46, v44
	v_mul_f32_e32 v46, v45, v44
	v_fma_f32 v47, -v1, v46, v45
	v_fmac_f32_e32 v46, v47, v44
	v_fma_f32 v1, -v1, v46, v45
	v_div_fmas_f32 v1, v1, v44, v46
	v_div_fixup_f32 v1, v1, v42, v43
	v_fmac_f32_e32 v42, v43, v1
	v_div_scale_f32 v43, s[8:9], v42, v42, 1.0
	v_rcp_f32_e32 v44, v43
	s_nop 0
	v_fma_f32 v45, -v43, v44, 1.0
	v_fmac_f32_e32 v44, v45, v44
	v_div_scale_f32 v45, vcc, 1.0, v42, 1.0
	v_mul_f32_e32 v46, v45, v44
	v_fma_f32 v47, -v43, v46, v45
	v_fmac_f32_e32 v46, v47, v44
	v_fma_f32 v43, -v43, v46, v45
	v_div_fmas_f32 v43, v43, v44, v46
	v_div_fixup_f32 v44, v43, v42, 1.0
	v_xor_b32_e32 v46, 0x80000000, v44
	v_mul_f32_e64 v45, v1, -v44
.LBB18_17:
	s_or_b64 exec, exec, s[4:5]
	scratch_store_dwordx2 v41, v[44:45], off
	scratch_load_dwordx2 v[42:43], off, off offset:8
	v_xor_b32_e32 v47, 0x80000000, v45
	v_add_u32_e32 v1, 0xa0, v40
	s_waitcnt vmcnt(0)
	ds_write2_b64 v40, v[46:47], v[42:43] offset1:20
	s_waitcnt lgkmcnt(0)
	; wave barrier
	s_and_saveexec_b64 s[4:5], s[0:1]
	s_cbranch_execz .LBB18_19
; %bb.18:
	scratch_load_dwordx2 v[42:43], v41, off
	ds_read_b64 v[44:45], v1
	v_mov_b32_e32 v46, 0
	ds_read_b64 v[46:47], v46 offset:8
	s_waitcnt vmcnt(0) lgkmcnt(1)
	v_pk_mul_f32 v[48:49], v[44:45], v[42:43] op_sel:[1,1] op_sel_hi:[0,1]
	v_pk_fma_f32 v[50:51], v[44:45], v[42:43], v[48:49] neg_lo:[0,0,1] neg_hi:[0,0,1]
	v_pk_fma_f32 v[42:43], v[44:45], v[42:43], v[48:49] op_sel_hi:[1,0,1]
	s_nop 0
	v_mov_b32_e32 v51, v43
	v_pk_add_f32 v[42:43], v[50:51], 0 op_sel_hi:[1,0]
	s_waitcnt lgkmcnt(0)
	v_pk_mul_f32 v[44:45], v[42:43], v[46:47] op_sel:[1,1] op_sel_hi:[0,1]
	v_pk_fma_f32 v[48:49], v[42:43], v[46:47], v[44:45] neg_lo:[0,0,1] neg_hi:[0,0,1]
	v_pk_fma_f32 v[42:43], v[42:43], v[46:47], v[44:45] op_sel_hi:[1,0,1]
	s_nop 0
	v_mov_b32_e32 v49, v43
	scratch_store_dwordx2 off, v[48:49], off offset:8
.LBB18_19:
	s_or_b64 exec, exec, s[4:5]
	; wave barrier
	scratch_load_dwordx2 v[42:43], off, off offset:16
	v_cmp_gt_u32_e32 vcc, 2, v0
	s_waitcnt vmcnt(0)
	ds_write_b64 v1, v[42:43]
	s_waitcnt lgkmcnt(0)
	; wave barrier
	s_and_saveexec_b64 s[4:5], vcc
	s_cbranch_execz .LBB18_23
; %bb.20:
	scratch_load_dwordx2 v[42:43], v41, off
	ds_read_b64 v[44:45], v1
	s_waitcnt vmcnt(0) lgkmcnt(0)
	v_pk_mul_f32 v[46:47], v[44:45], v[42:43] op_sel:[1,1] op_sel_hi:[0,1]
	v_pk_fma_f32 v[48:49], v[44:45], v[42:43], v[46:47] neg_lo:[0,0,1] neg_hi:[0,0,1]
	v_pk_fma_f32 v[42:43], v[44:45], v[42:43], v[46:47] op_sel_hi:[1,0,1]
	s_nop 0
	v_mov_b32_e32 v49, v43
	v_pk_add_f32 v[42:43], v[48:49], 0 op_sel_hi:[1,0]
	s_and_saveexec_b64 s[8:9], s[0:1]
	s_cbranch_execz .LBB18_22
; %bb.21:
	scratch_load_dwordx2 v[44:45], off, off offset:8
	v_mov_b32_e32 v41, 0
	ds_read_b64 v[46:47], v41 offset:168
	s_waitcnt vmcnt(0) lgkmcnt(0)
	v_pk_mul_f32 v[48:49], v[46:47], v[44:45] op_sel:[1,1] op_sel_hi:[0,1]
	v_pk_fma_f32 v[50:51], v[46:47], v[44:45], v[48:49] neg_lo:[0,0,1] neg_hi:[0,0,1]
	v_pk_fma_f32 v[44:45], v[46:47], v[44:45], v[48:49] op_sel_hi:[1,0,1]
	s_nop 0
	v_mov_b32_e32 v51, v45
	v_pk_add_f32 v[42:43], v[42:43], v[50:51]
.LBB18_22:
	s_or_b64 exec, exec, s[8:9]
	v_mov_b32_e32 v41, 0
	ds_read_b64 v[44:45], v41 offset:16
	s_waitcnt lgkmcnt(0)
	v_pk_mul_f32 v[46:47], v[42:43], v[44:45] op_sel:[1,1] op_sel_hi:[0,1]
	v_pk_fma_f32 v[48:49], v[42:43], v[44:45], v[46:47] neg_lo:[0,0,1] neg_hi:[0,0,1]
	v_pk_fma_f32 v[42:43], v[42:43], v[44:45], v[46:47] op_sel_hi:[1,0,1]
	s_nop 0
	v_mov_b32_e32 v49, v43
	scratch_store_dwordx2 off, v[48:49], off offset:16
.LBB18_23:
	s_or_b64 exec, exec, s[4:5]
	; wave barrier
	scratch_load_dwordx2 v[42:43], off, off offset:24
	v_cmp_gt_u32_e32 vcc, 3, v0
	v_add_u32_e32 v44, -1, v0
	s_waitcnt vmcnt(0)
	ds_write_b64 v1, v[42:43]
	s_waitcnt lgkmcnt(0)
	; wave barrier
	s_and_saveexec_b64 s[0:1], vcc
	s_cbranch_execz .LBB18_27
; %bb.24:
	v_mov_b32_e32 v42, 0
	v_add_u32_e32 v41, -1, v0
	v_add_u32_e32 v45, 0xa0, v40
	v_mov_b32_e32 v46, v40
	s_mov_b64 s[4:5], 0
	v_mov_b32_e32 v43, v42
.LBB18_25:                              ; =>This Inner Loop Header: Depth=1
	scratch_load_dwordx2 v[48:49], v46, off
	ds_read_b64 v[50:51], v45
	v_add_u32_e32 v41, 1, v41
	v_cmp_lt_u32_e32 vcc, 1, v41
	v_add_u32_e32 v45, 8, v45
	v_add_u32_e32 v46, 8, v46
	s_or_b64 s[4:5], vcc, s[4:5]
	s_waitcnt vmcnt(0) lgkmcnt(0)
	v_pk_mul_f32 v[52:53], v[50:51], v[48:49] op_sel:[1,1] op_sel_hi:[0,1]
	v_pk_fma_f32 v[54:55], v[50:51], v[48:49], v[52:53] neg_lo:[0,0,1] neg_hi:[0,0,1]
	v_pk_fma_f32 v[48:49], v[50:51], v[48:49], v[52:53] op_sel_hi:[1,0,1]
	s_nop 0
	v_mov_b32_e32 v55, v49
	v_pk_add_f32 v[42:43], v[42:43], v[54:55]
	s_andn2_b64 exec, exec, s[4:5]
	s_cbranch_execnz .LBB18_25
; %bb.26:
	s_or_b64 exec, exec, s[4:5]
	v_mov_b32_e32 v41, 0
	ds_read_b64 v[46:47], v41 offset:24
	s_waitcnt lgkmcnt(0)
	v_pk_mul_f32 v[48:49], v[42:43], v[46:47] op_sel:[1,1] op_sel_hi:[0,1]
	v_pk_fma_f32 v[50:51], v[42:43], v[46:47], v[48:49] neg_lo:[0,0,1] neg_hi:[0,0,1]
	v_pk_fma_f32 v[42:43], v[42:43], v[46:47], v[48:49] op_sel_hi:[1,0,1]
	s_nop 0
	v_mov_b32_e32 v51, v43
	scratch_store_dwordx2 off, v[50:51], off offset:24
.LBB18_27:
	s_or_b64 exec, exec, s[0:1]
	; wave barrier
	scratch_load_dwordx2 v[42:43], off, off offset:32
	v_cmp_gt_u32_e32 vcc, 4, v0
	s_waitcnt vmcnt(0)
	ds_write_b64 v1, v[42:43]
	s_waitcnt lgkmcnt(0)
	; wave barrier
	s_and_saveexec_b64 s[0:1], vcc
	s_cbranch_execz .LBB18_31
; %bb.28:
	v_mov_b32_e32 v42, 0
	v_add_u32_e32 v41, -1, v0
	v_add_u32_e32 v45, 0xa0, v40
	v_mov_b32_e32 v46, v40
	s_mov_b64 s[4:5], 0
	v_mov_b32_e32 v43, v42
.LBB18_29:                              ; =>This Inner Loop Header: Depth=1
	scratch_load_dwordx2 v[48:49], v46, off
	ds_read_b64 v[50:51], v45
	v_add_u32_e32 v41, 1, v41
	v_cmp_lt_u32_e32 vcc, 2, v41
	v_add_u32_e32 v45, 8, v45
	v_add_u32_e32 v46, 8, v46
	s_or_b64 s[4:5], vcc, s[4:5]
	s_waitcnt vmcnt(0) lgkmcnt(0)
	v_pk_mul_f32 v[52:53], v[50:51], v[48:49] op_sel:[1,1] op_sel_hi:[0,1]
	v_pk_fma_f32 v[54:55], v[50:51], v[48:49], v[52:53] neg_lo:[0,0,1] neg_hi:[0,0,1]
	v_pk_fma_f32 v[48:49], v[50:51], v[48:49], v[52:53] op_sel_hi:[1,0,1]
	s_nop 0
	v_mov_b32_e32 v55, v49
	v_pk_add_f32 v[42:43], v[42:43], v[54:55]
	s_andn2_b64 exec, exec, s[4:5]
	s_cbranch_execnz .LBB18_29
; %bb.30:
	s_or_b64 exec, exec, s[4:5]
	v_mov_b32_e32 v41, 0
	ds_read_b64 v[46:47], v41 offset:32
	s_waitcnt lgkmcnt(0)
	v_pk_mul_f32 v[48:49], v[42:43], v[46:47] op_sel:[1,1] op_sel_hi:[0,1]
	v_pk_fma_f32 v[50:51], v[42:43], v[46:47], v[48:49] neg_lo:[0,0,1] neg_hi:[0,0,1]
	v_pk_fma_f32 v[42:43], v[42:43], v[46:47], v[48:49] op_sel_hi:[1,0,1]
	s_nop 0
	v_mov_b32_e32 v51, v43
	scratch_store_dwordx2 off, v[50:51], off offset:32
.LBB18_31:
	s_or_b64 exec, exec, s[0:1]
	; wave barrier
	scratch_load_dwordx2 v[42:43], off, off offset:40
	v_cmp_gt_u32_e32 vcc, 5, v0
	s_waitcnt vmcnt(0)
	ds_write_b64 v1, v[42:43]
	s_waitcnt lgkmcnt(0)
	; wave barrier
	s_and_saveexec_b64 s[0:1], vcc
	s_cbranch_execz .LBB18_35
; %bb.32:
	v_mov_b32_e32 v42, 0
	v_add_u32_e32 v41, -1, v0
	v_add_u32_e32 v45, 0xa0, v40
	v_mov_b32_e32 v46, v40
	s_mov_b64 s[4:5], 0
	v_mov_b32_e32 v43, v42
.LBB18_33:                              ; =>This Inner Loop Header: Depth=1
	scratch_load_dwordx2 v[48:49], v46, off
	ds_read_b64 v[50:51], v45
	v_add_u32_e32 v41, 1, v41
	v_cmp_lt_u32_e32 vcc, 3, v41
	v_add_u32_e32 v45, 8, v45
	v_add_u32_e32 v46, 8, v46
	s_or_b64 s[4:5], vcc, s[4:5]
	s_waitcnt vmcnt(0) lgkmcnt(0)
	v_pk_mul_f32 v[52:53], v[50:51], v[48:49] op_sel:[1,1] op_sel_hi:[0,1]
	v_pk_fma_f32 v[54:55], v[50:51], v[48:49], v[52:53] neg_lo:[0,0,1] neg_hi:[0,0,1]
	v_pk_fma_f32 v[48:49], v[50:51], v[48:49], v[52:53] op_sel_hi:[1,0,1]
	s_nop 0
	v_mov_b32_e32 v55, v49
	v_pk_add_f32 v[42:43], v[42:43], v[54:55]
	s_andn2_b64 exec, exec, s[4:5]
	s_cbranch_execnz .LBB18_33
; %bb.34:
	s_or_b64 exec, exec, s[4:5]
	v_mov_b32_e32 v41, 0
	ds_read_b64 v[46:47], v41 offset:40
	s_waitcnt lgkmcnt(0)
	v_pk_mul_f32 v[48:49], v[42:43], v[46:47] op_sel:[1,1] op_sel_hi:[0,1]
	v_pk_fma_f32 v[50:51], v[42:43], v[46:47], v[48:49] neg_lo:[0,0,1] neg_hi:[0,0,1]
	v_pk_fma_f32 v[42:43], v[42:43], v[46:47], v[48:49] op_sel_hi:[1,0,1]
	s_nop 0
	v_mov_b32_e32 v51, v43
	scratch_store_dwordx2 off, v[50:51], off offset:40
.LBB18_35:
	s_or_b64 exec, exec, s[0:1]
	; wave barrier
	scratch_load_dwordx2 v[42:43], off, off offset:48
	v_cmp_gt_u32_e32 vcc, 6, v0
	s_waitcnt vmcnt(0)
	ds_write_b64 v1, v[42:43]
	s_waitcnt lgkmcnt(0)
	; wave barrier
	s_and_saveexec_b64 s[0:1], vcc
	s_cbranch_execz .LBB18_39
; %bb.36:
	v_mov_b32_e32 v42, 0
	v_add_u32_e32 v41, -1, v0
	v_add_u32_e32 v45, 0xa0, v40
	v_mov_b32_e32 v46, v40
	s_mov_b64 s[4:5], 0
	v_mov_b32_e32 v43, v42
.LBB18_37:                              ; =>This Inner Loop Header: Depth=1
	scratch_load_dwordx2 v[48:49], v46, off
	ds_read_b64 v[50:51], v45
	v_add_u32_e32 v41, 1, v41
	v_cmp_lt_u32_e32 vcc, 4, v41
	v_add_u32_e32 v45, 8, v45
	v_add_u32_e32 v46, 8, v46
	s_or_b64 s[4:5], vcc, s[4:5]
	s_waitcnt vmcnt(0) lgkmcnt(0)
	v_pk_mul_f32 v[52:53], v[50:51], v[48:49] op_sel:[1,1] op_sel_hi:[0,1]
	v_pk_fma_f32 v[54:55], v[50:51], v[48:49], v[52:53] neg_lo:[0,0,1] neg_hi:[0,0,1]
	v_pk_fma_f32 v[48:49], v[50:51], v[48:49], v[52:53] op_sel_hi:[1,0,1]
	s_nop 0
	v_mov_b32_e32 v55, v49
	v_pk_add_f32 v[42:43], v[42:43], v[54:55]
	s_andn2_b64 exec, exec, s[4:5]
	s_cbranch_execnz .LBB18_37
; %bb.38:
	s_or_b64 exec, exec, s[4:5]
	v_mov_b32_e32 v41, 0
	ds_read_b64 v[46:47], v41 offset:48
	s_waitcnt lgkmcnt(0)
	v_pk_mul_f32 v[48:49], v[42:43], v[46:47] op_sel:[1,1] op_sel_hi:[0,1]
	v_pk_fma_f32 v[50:51], v[42:43], v[46:47], v[48:49] neg_lo:[0,0,1] neg_hi:[0,0,1]
	v_pk_fma_f32 v[42:43], v[42:43], v[46:47], v[48:49] op_sel_hi:[1,0,1]
	s_nop 0
	v_mov_b32_e32 v51, v43
	scratch_store_dwordx2 off, v[50:51], off offset:48
.LBB18_39:
	s_or_b64 exec, exec, s[0:1]
	; wave barrier
	scratch_load_dwordx2 v[42:43], off, off offset:56
	v_cmp_gt_u32_e32 vcc, 7, v0
	s_waitcnt vmcnt(0)
	ds_write_b64 v1, v[42:43]
	s_waitcnt lgkmcnt(0)
	; wave barrier
	s_and_saveexec_b64 s[0:1], vcc
	s_cbranch_execz .LBB18_43
; %bb.40:
	v_mov_b32_e32 v42, 0
	v_add_u32_e32 v41, -1, v0
	v_add_u32_e32 v45, 0xa0, v40
	v_mov_b32_e32 v46, v40
	s_mov_b64 s[4:5], 0
	v_mov_b32_e32 v43, v42
.LBB18_41:                              ; =>This Inner Loop Header: Depth=1
	scratch_load_dwordx2 v[48:49], v46, off
	ds_read_b64 v[50:51], v45
	v_add_u32_e32 v41, 1, v41
	v_cmp_lt_u32_e32 vcc, 5, v41
	v_add_u32_e32 v45, 8, v45
	v_add_u32_e32 v46, 8, v46
	s_or_b64 s[4:5], vcc, s[4:5]
	s_waitcnt vmcnt(0) lgkmcnt(0)
	v_pk_mul_f32 v[52:53], v[50:51], v[48:49] op_sel:[1,1] op_sel_hi:[0,1]
	v_pk_fma_f32 v[54:55], v[50:51], v[48:49], v[52:53] neg_lo:[0,0,1] neg_hi:[0,0,1]
	v_pk_fma_f32 v[48:49], v[50:51], v[48:49], v[52:53] op_sel_hi:[1,0,1]
	s_nop 0
	v_mov_b32_e32 v55, v49
	v_pk_add_f32 v[42:43], v[42:43], v[54:55]
	s_andn2_b64 exec, exec, s[4:5]
	s_cbranch_execnz .LBB18_41
; %bb.42:
	s_or_b64 exec, exec, s[4:5]
	v_mov_b32_e32 v41, 0
	ds_read_b64 v[46:47], v41 offset:56
	s_waitcnt lgkmcnt(0)
	v_pk_mul_f32 v[48:49], v[42:43], v[46:47] op_sel:[1,1] op_sel_hi:[0,1]
	v_pk_fma_f32 v[50:51], v[42:43], v[46:47], v[48:49] neg_lo:[0,0,1] neg_hi:[0,0,1]
	v_pk_fma_f32 v[42:43], v[42:43], v[46:47], v[48:49] op_sel_hi:[1,0,1]
	s_nop 0
	v_mov_b32_e32 v51, v43
	scratch_store_dwordx2 off, v[50:51], off offset:56
.LBB18_43:
	s_or_b64 exec, exec, s[0:1]
	; wave barrier
	scratch_load_dwordx2 v[42:43], off, off offset:64
	v_cmp_gt_u32_e32 vcc, 8, v0
	s_waitcnt vmcnt(0)
	ds_write_b64 v1, v[42:43]
	s_waitcnt lgkmcnt(0)
	; wave barrier
	s_and_saveexec_b64 s[0:1], vcc
	s_cbranch_execz .LBB18_47
; %bb.44:
	v_mov_b32_e32 v42, 0
	v_add_u32_e32 v41, -1, v0
	v_add_u32_e32 v45, 0xa0, v40
	v_mov_b32_e32 v46, v40
	s_mov_b64 s[4:5], 0
	v_mov_b32_e32 v43, v42
.LBB18_45:                              ; =>This Inner Loop Header: Depth=1
	scratch_load_dwordx2 v[48:49], v46, off
	ds_read_b64 v[50:51], v45
	v_add_u32_e32 v41, 1, v41
	v_cmp_lt_u32_e32 vcc, 6, v41
	v_add_u32_e32 v45, 8, v45
	v_add_u32_e32 v46, 8, v46
	s_or_b64 s[4:5], vcc, s[4:5]
	s_waitcnt vmcnt(0) lgkmcnt(0)
	v_pk_mul_f32 v[52:53], v[50:51], v[48:49] op_sel:[1,1] op_sel_hi:[0,1]
	v_pk_fma_f32 v[54:55], v[50:51], v[48:49], v[52:53] neg_lo:[0,0,1] neg_hi:[0,0,1]
	v_pk_fma_f32 v[48:49], v[50:51], v[48:49], v[52:53] op_sel_hi:[1,0,1]
	s_nop 0
	v_mov_b32_e32 v55, v49
	v_pk_add_f32 v[42:43], v[42:43], v[54:55]
	s_andn2_b64 exec, exec, s[4:5]
	s_cbranch_execnz .LBB18_45
; %bb.46:
	s_or_b64 exec, exec, s[4:5]
	v_mov_b32_e32 v41, 0
	ds_read_b64 v[46:47], v41 offset:64
	s_waitcnt lgkmcnt(0)
	v_pk_mul_f32 v[48:49], v[42:43], v[46:47] op_sel:[1,1] op_sel_hi:[0,1]
	v_pk_fma_f32 v[50:51], v[42:43], v[46:47], v[48:49] neg_lo:[0,0,1] neg_hi:[0,0,1]
	v_pk_fma_f32 v[42:43], v[42:43], v[46:47], v[48:49] op_sel_hi:[1,0,1]
	s_nop 0
	v_mov_b32_e32 v51, v43
	scratch_store_dwordx2 off, v[50:51], off offset:64
.LBB18_47:
	s_or_b64 exec, exec, s[0:1]
	; wave barrier
	scratch_load_dwordx2 v[42:43], off, off offset:72
	v_cmp_gt_u32_e32 vcc, 9, v0
	s_waitcnt vmcnt(0)
	ds_write_b64 v1, v[42:43]
	s_waitcnt lgkmcnt(0)
	; wave barrier
	s_and_saveexec_b64 s[0:1], vcc
	s_cbranch_execz .LBB18_51
; %bb.48:
	v_mov_b32_e32 v42, 0
	v_add_u32_e32 v41, -1, v0
	v_add_u32_e32 v45, 0xa0, v40
	v_mov_b32_e32 v46, v40
	s_mov_b64 s[4:5], 0
	v_mov_b32_e32 v43, v42
.LBB18_49:                              ; =>This Inner Loop Header: Depth=1
	scratch_load_dwordx2 v[48:49], v46, off
	ds_read_b64 v[50:51], v45
	v_add_u32_e32 v41, 1, v41
	v_cmp_lt_u32_e32 vcc, 7, v41
	v_add_u32_e32 v45, 8, v45
	v_add_u32_e32 v46, 8, v46
	s_or_b64 s[4:5], vcc, s[4:5]
	s_waitcnt vmcnt(0) lgkmcnt(0)
	v_pk_mul_f32 v[52:53], v[50:51], v[48:49] op_sel:[1,1] op_sel_hi:[0,1]
	v_pk_fma_f32 v[54:55], v[50:51], v[48:49], v[52:53] neg_lo:[0,0,1] neg_hi:[0,0,1]
	v_pk_fma_f32 v[48:49], v[50:51], v[48:49], v[52:53] op_sel_hi:[1,0,1]
	s_nop 0
	v_mov_b32_e32 v55, v49
	v_pk_add_f32 v[42:43], v[42:43], v[54:55]
	s_andn2_b64 exec, exec, s[4:5]
	s_cbranch_execnz .LBB18_49
; %bb.50:
	s_or_b64 exec, exec, s[4:5]
	v_mov_b32_e32 v41, 0
	ds_read_b64 v[46:47], v41 offset:72
	s_waitcnt lgkmcnt(0)
	v_pk_mul_f32 v[48:49], v[42:43], v[46:47] op_sel:[1,1] op_sel_hi:[0,1]
	v_pk_fma_f32 v[50:51], v[42:43], v[46:47], v[48:49] neg_lo:[0,0,1] neg_hi:[0,0,1]
	v_pk_fma_f32 v[42:43], v[42:43], v[46:47], v[48:49] op_sel_hi:[1,0,1]
	s_nop 0
	v_mov_b32_e32 v51, v43
	scratch_store_dwordx2 off, v[50:51], off offset:72
.LBB18_51:
	s_or_b64 exec, exec, s[0:1]
	; wave barrier
	scratch_load_dwordx2 v[42:43], off, off offset:80
	v_cmp_gt_u32_e32 vcc, 10, v0
	s_waitcnt vmcnt(0)
	ds_write_b64 v1, v[42:43]
	s_waitcnt lgkmcnt(0)
	; wave barrier
	s_and_saveexec_b64 s[0:1], vcc
	s_cbranch_execz .LBB18_55
; %bb.52:
	v_mov_b32_e32 v42, 0
	v_add_u32_e32 v41, -1, v0
	v_add_u32_e32 v45, 0xa0, v40
	v_mov_b32_e32 v46, v40
	s_mov_b64 s[4:5], 0
	v_mov_b32_e32 v43, v42
.LBB18_53:                              ; =>This Inner Loop Header: Depth=1
	scratch_load_dwordx2 v[48:49], v46, off
	ds_read_b64 v[50:51], v45
	v_add_u32_e32 v41, 1, v41
	v_cmp_lt_u32_e32 vcc, 8, v41
	v_add_u32_e32 v45, 8, v45
	v_add_u32_e32 v46, 8, v46
	s_or_b64 s[4:5], vcc, s[4:5]
	s_waitcnt vmcnt(0) lgkmcnt(0)
	v_pk_mul_f32 v[52:53], v[50:51], v[48:49] op_sel:[1,1] op_sel_hi:[0,1]
	v_pk_fma_f32 v[54:55], v[50:51], v[48:49], v[52:53] neg_lo:[0,0,1] neg_hi:[0,0,1]
	v_pk_fma_f32 v[48:49], v[50:51], v[48:49], v[52:53] op_sel_hi:[1,0,1]
	s_nop 0
	v_mov_b32_e32 v55, v49
	v_pk_add_f32 v[42:43], v[42:43], v[54:55]
	s_andn2_b64 exec, exec, s[4:5]
	s_cbranch_execnz .LBB18_53
; %bb.54:
	s_or_b64 exec, exec, s[4:5]
	v_mov_b32_e32 v41, 0
	ds_read_b64 v[46:47], v41 offset:80
	s_waitcnt lgkmcnt(0)
	v_pk_mul_f32 v[48:49], v[42:43], v[46:47] op_sel:[1,1] op_sel_hi:[0,1]
	v_pk_fma_f32 v[50:51], v[42:43], v[46:47], v[48:49] neg_lo:[0,0,1] neg_hi:[0,0,1]
	v_pk_fma_f32 v[42:43], v[42:43], v[46:47], v[48:49] op_sel_hi:[1,0,1]
	s_nop 0
	v_mov_b32_e32 v51, v43
	scratch_store_dwordx2 off, v[50:51], off offset:80
.LBB18_55:
	s_or_b64 exec, exec, s[0:1]
	; wave barrier
	scratch_load_dwordx2 v[42:43], off, off offset:88
	v_cmp_gt_u32_e32 vcc, 11, v0
	s_waitcnt vmcnt(0)
	ds_write_b64 v1, v[42:43]
	s_waitcnt lgkmcnt(0)
	; wave barrier
	s_and_saveexec_b64 s[0:1], vcc
	s_cbranch_execz .LBB18_59
; %bb.56:
	v_mov_b32_e32 v42, 0
	v_add_u32_e32 v41, -1, v0
	v_add_u32_e32 v45, 0xa0, v40
	v_mov_b32_e32 v46, v40
	s_mov_b64 s[4:5], 0
	v_mov_b32_e32 v43, v42
.LBB18_57:                              ; =>This Inner Loop Header: Depth=1
	scratch_load_dwordx2 v[48:49], v46, off
	ds_read_b64 v[50:51], v45
	v_add_u32_e32 v41, 1, v41
	v_cmp_lt_u32_e32 vcc, 9, v41
	v_add_u32_e32 v45, 8, v45
	v_add_u32_e32 v46, 8, v46
	s_or_b64 s[4:5], vcc, s[4:5]
	s_waitcnt vmcnt(0) lgkmcnt(0)
	v_pk_mul_f32 v[52:53], v[50:51], v[48:49] op_sel:[1,1] op_sel_hi:[0,1]
	v_pk_fma_f32 v[54:55], v[50:51], v[48:49], v[52:53] neg_lo:[0,0,1] neg_hi:[0,0,1]
	v_pk_fma_f32 v[48:49], v[50:51], v[48:49], v[52:53] op_sel_hi:[1,0,1]
	s_nop 0
	v_mov_b32_e32 v55, v49
	v_pk_add_f32 v[42:43], v[42:43], v[54:55]
	s_andn2_b64 exec, exec, s[4:5]
	s_cbranch_execnz .LBB18_57
; %bb.58:
	s_or_b64 exec, exec, s[4:5]
	v_mov_b32_e32 v41, 0
	ds_read_b64 v[46:47], v41 offset:88
	s_waitcnt lgkmcnt(0)
	v_pk_mul_f32 v[48:49], v[42:43], v[46:47] op_sel:[1,1] op_sel_hi:[0,1]
	v_pk_fma_f32 v[50:51], v[42:43], v[46:47], v[48:49] neg_lo:[0,0,1] neg_hi:[0,0,1]
	v_pk_fma_f32 v[42:43], v[42:43], v[46:47], v[48:49] op_sel_hi:[1,0,1]
	s_nop 0
	v_mov_b32_e32 v51, v43
	scratch_store_dwordx2 off, v[50:51], off offset:88
.LBB18_59:
	s_or_b64 exec, exec, s[0:1]
	; wave barrier
	scratch_load_dwordx2 v[42:43], off, off offset:96
	v_cmp_gt_u32_e32 vcc, 12, v0
	s_waitcnt vmcnt(0)
	ds_write_b64 v1, v[42:43]
	s_waitcnt lgkmcnt(0)
	; wave barrier
	s_and_saveexec_b64 s[0:1], vcc
	s_cbranch_execz .LBB18_63
; %bb.60:
	v_mov_b32_e32 v42, 0
	v_add_u32_e32 v41, -1, v0
	v_add_u32_e32 v45, 0xa0, v40
	v_mov_b32_e32 v46, v40
	s_mov_b64 s[4:5], 0
	v_mov_b32_e32 v43, v42
.LBB18_61:                              ; =>This Inner Loop Header: Depth=1
	scratch_load_dwordx2 v[48:49], v46, off
	ds_read_b64 v[50:51], v45
	v_add_u32_e32 v41, 1, v41
	v_cmp_lt_u32_e32 vcc, 10, v41
	v_add_u32_e32 v45, 8, v45
	v_add_u32_e32 v46, 8, v46
	s_or_b64 s[4:5], vcc, s[4:5]
	s_waitcnt vmcnt(0) lgkmcnt(0)
	v_pk_mul_f32 v[52:53], v[50:51], v[48:49] op_sel:[1,1] op_sel_hi:[0,1]
	v_pk_fma_f32 v[54:55], v[50:51], v[48:49], v[52:53] neg_lo:[0,0,1] neg_hi:[0,0,1]
	v_pk_fma_f32 v[48:49], v[50:51], v[48:49], v[52:53] op_sel_hi:[1,0,1]
	s_nop 0
	v_mov_b32_e32 v55, v49
	v_pk_add_f32 v[42:43], v[42:43], v[54:55]
	s_andn2_b64 exec, exec, s[4:5]
	s_cbranch_execnz .LBB18_61
; %bb.62:
	s_or_b64 exec, exec, s[4:5]
	v_mov_b32_e32 v41, 0
	ds_read_b64 v[46:47], v41 offset:96
	s_waitcnt lgkmcnt(0)
	v_pk_mul_f32 v[48:49], v[42:43], v[46:47] op_sel:[1,1] op_sel_hi:[0,1]
	v_pk_fma_f32 v[50:51], v[42:43], v[46:47], v[48:49] neg_lo:[0,0,1] neg_hi:[0,0,1]
	v_pk_fma_f32 v[42:43], v[42:43], v[46:47], v[48:49] op_sel_hi:[1,0,1]
	s_nop 0
	v_mov_b32_e32 v51, v43
	scratch_store_dwordx2 off, v[50:51], off offset:96
.LBB18_63:
	s_or_b64 exec, exec, s[0:1]
	; wave barrier
	scratch_load_dwordx2 v[42:43], off, off offset:104
	v_cmp_gt_u32_e32 vcc, 13, v0
	s_waitcnt vmcnt(0)
	ds_write_b64 v1, v[42:43]
	s_waitcnt lgkmcnt(0)
	; wave barrier
	s_and_saveexec_b64 s[0:1], vcc
	s_cbranch_execz .LBB18_67
; %bb.64:
	v_mov_b32_e32 v42, 0
	v_add_u32_e32 v41, -1, v0
	v_add_u32_e32 v45, 0xa0, v40
	v_mov_b32_e32 v46, v40
	s_mov_b64 s[4:5], 0
	v_mov_b32_e32 v43, v42
.LBB18_65:                              ; =>This Inner Loop Header: Depth=1
	scratch_load_dwordx2 v[48:49], v46, off
	ds_read_b64 v[50:51], v45
	v_add_u32_e32 v41, 1, v41
	v_cmp_lt_u32_e32 vcc, 11, v41
	v_add_u32_e32 v45, 8, v45
	v_add_u32_e32 v46, 8, v46
	s_or_b64 s[4:5], vcc, s[4:5]
	s_waitcnt vmcnt(0) lgkmcnt(0)
	v_pk_mul_f32 v[52:53], v[50:51], v[48:49] op_sel:[1,1] op_sel_hi:[0,1]
	v_pk_fma_f32 v[54:55], v[50:51], v[48:49], v[52:53] neg_lo:[0,0,1] neg_hi:[0,0,1]
	v_pk_fma_f32 v[48:49], v[50:51], v[48:49], v[52:53] op_sel_hi:[1,0,1]
	s_nop 0
	v_mov_b32_e32 v55, v49
	v_pk_add_f32 v[42:43], v[42:43], v[54:55]
	s_andn2_b64 exec, exec, s[4:5]
	s_cbranch_execnz .LBB18_65
; %bb.66:
	s_or_b64 exec, exec, s[4:5]
	v_mov_b32_e32 v41, 0
	ds_read_b64 v[46:47], v41 offset:104
	s_waitcnt lgkmcnt(0)
	v_pk_mul_f32 v[48:49], v[42:43], v[46:47] op_sel:[1,1] op_sel_hi:[0,1]
	v_pk_fma_f32 v[50:51], v[42:43], v[46:47], v[48:49] neg_lo:[0,0,1] neg_hi:[0,0,1]
	v_pk_fma_f32 v[42:43], v[42:43], v[46:47], v[48:49] op_sel_hi:[1,0,1]
	s_nop 0
	v_mov_b32_e32 v51, v43
	scratch_store_dwordx2 off, v[50:51], off offset:104
.LBB18_67:
	s_or_b64 exec, exec, s[0:1]
	; wave barrier
	scratch_load_dwordx2 v[42:43], off, off offset:112
	v_cmp_gt_u32_e32 vcc, 14, v0
	s_waitcnt vmcnt(0)
	ds_write_b64 v1, v[42:43]
	s_waitcnt lgkmcnt(0)
	; wave barrier
	s_and_saveexec_b64 s[0:1], vcc
	s_cbranch_execz .LBB18_71
; %bb.68:
	v_mov_b32_e32 v42, 0
	v_add_u32_e32 v41, -1, v0
	v_add_u32_e32 v45, 0xa0, v40
	v_mov_b32_e32 v46, v40
	s_mov_b64 s[4:5], 0
	v_mov_b32_e32 v43, v42
.LBB18_69:                              ; =>This Inner Loop Header: Depth=1
	scratch_load_dwordx2 v[48:49], v46, off
	ds_read_b64 v[50:51], v45
	v_add_u32_e32 v41, 1, v41
	v_cmp_lt_u32_e32 vcc, 12, v41
	v_add_u32_e32 v45, 8, v45
	v_add_u32_e32 v46, 8, v46
	s_or_b64 s[4:5], vcc, s[4:5]
	s_waitcnt vmcnt(0) lgkmcnt(0)
	v_pk_mul_f32 v[52:53], v[50:51], v[48:49] op_sel:[1,1] op_sel_hi:[0,1]
	v_pk_fma_f32 v[54:55], v[50:51], v[48:49], v[52:53] neg_lo:[0,0,1] neg_hi:[0,0,1]
	v_pk_fma_f32 v[48:49], v[50:51], v[48:49], v[52:53] op_sel_hi:[1,0,1]
	s_nop 0
	v_mov_b32_e32 v55, v49
	v_pk_add_f32 v[42:43], v[42:43], v[54:55]
	s_andn2_b64 exec, exec, s[4:5]
	s_cbranch_execnz .LBB18_69
; %bb.70:
	s_or_b64 exec, exec, s[4:5]
	v_mov_b32_e32 v41, 0
	ds_read_b64 v[46:47], v41 offset:112
	s_waitcnt lgkmcnt(0)
	v_pk_mul_f32 v[48:49], v[42:43], v[46:47] op_sel:[1,1] op_sel_hi:[0,1]
	v_pk_fma_f32 v[50:51], v[42:43], v[46:47], v[48:49] neg_lo:[0,0,1] neg_hi:[0,0,1]
	v_pk_fma_f32 v[42:43], v[42:43], v[46:47], v[48:49] op_sel_hi:[1,0,1]
	s_nop 0
	v_mov_b32_e32 v51, v43
	scratch_store_dwordx2 off, v[50:51], off offset:112
.LBB18_71:
	s_or_b64 exec, exec, s[0:1]
	; wave barrier
	scratch_load_dwordx2 v[42:43], off, off offset:120
	v_cmp_gt_u32_e32 vcc, 15, v0
	s_waitcnt vmcnt(0)
	ds_write_b64 v1, v[42:43]
	s_waitcnt lgkmcnt(0)
	; wave barrier
	s_and_saveexec_b64 s[0:1], vcc
	s_cbranch_execz .LBB18_75
; %bb.72:
	v_mov_b32_e32 v42, 0
	v_add_u32_e32 v41, -1, v0
	v_add_u32_e32 v45, 0xa0, v40
	v_mov_b32_e32 v46, v40
	s_mov_b64 s[4:5], 0
	v_mov_b32_e32 v43, v42
.LBB18_73:                              ; =>This Inner Loop Header: Depth=1
	scratch_load_dwordx2 v[48:49], v46, off
	ds_read_b64 v[50:51], v45
	v_add_u32_e32 v41, 1, v41
	v_cmp_lt_u32_e32 vcc, 13, v41
	v_add_u32_e32 v45, 8, v45
	v_add_u32_e32 v46, 8, v46
	s_or_b64 s[4:5], vcc, s[4:5]
	s_waitcnt vmcnt(0) lgkmcnt(0)
	v_pk_mul_f32 v[52:53], v[50:51], v[48:49] op_sel:[1,1] op_sel_hi:[0,1]
	v_pk_fma_f32 v[54:55], v[50:51], v[48:49], v[52:53] neg_lo:[0,0,1] neg_hi:[0,0,1]
	v_pk_fma_f32 v[48:49], v[50:51], v[48:49], v[52:53] op_sel_hi:[1,0,1]
	s_nop 0
	v_mov_b32_e32 v55, v49
	v_pk_add_f32 v[42:43], v[42:43], v[54:55]
	s_andn2_b64 exec, exec, s[4:5]
	s_cbranch_execnz .LBB18_73
; %bb.74:
	s_or_b64 exec, exec, s[4:5]
	v_mov_b32_e32 v41, 0
	ds_read_b64 v[46:47], v41 offset:120
	s_waitcnt lgkmcnt(0)
	v_pk_mul_f32 v[48:49], v[42:43], v[46:47] op_sel:[1,1] op_sel_hi:[0,1]
	v_pk_fma_f32 v[50:51], v[42:43], v[46:47], v[48:49] neg_lo:[0,0,1] neg_hi:[0,0,1]
	v_pk_fma_f32 v[42:43], v[42:43], v[46:47], v[48:49] op_sel_hi:[1,0,1]
	s_nop 0
	v_mov_b32_e32 v51, v43
	scratch_store_dwordx2 off, v[50:51], off offset:120
.LBB18_75:
	s_or_b64 exec, exec, s[0:1]
	; wave barrier
	scratch_load_dwordx2 v[42:43], off, off offset:128
	v_cmp_gt_u32_e32 vcc, 16, v0
	s_waitcnt vmcnt(0)
	ds_write_b64 v1, v[42:43]
	s_waitcnt lgkmcnt(0)
	; wave barrier
	s_and_saveexec_b64 s[0:1], vcc
	s_cbranch_execz .LBB18_79
; %bb.76:
	v_mov_b32_e32 v42, 0
	v_add_u32_e32 v41, -1, v0
	v_add_u32_e32 v45, 0xa0, v40
	v_mov_b32_e32 v46, v40
	s_mov_b64 s[4:5], 0
	v_mov_b32_e32 v43, v42
.LBB18_77:                              ; =>This Inner Loop Header: Depth=1
	scratch_load_dwordx2 v[48:49], v46, off
	ds_read_b64 v[50:51], v45
	v_add_u32_e32 v41, 1, v41
	v_cmp_lt_u32_e32 vcc, 14, v41
	v_add_u32_e32 v45, 8, v45
	v_add_u32_e32 v46, 8, v46
	s_or_b64 s[4:5], vcc, s[4:5]
	s_waitcnt vmcnt(0) lgkmcnt(0)
	v_pk_mul_f32 v[52:53], v[50:51], v[48:49] op_sel:[1,1] op_sel_hi:[0,1]
	v_pk_fma_f32 v[54:55], v[50:51], v[48:49], v[52:53] neg_lo:[0,0,1] neg_hi:[0,0,1]
	v_pk_fma_f32 v[48:49], v[50:51], v[48:49], v[52:53] op_sel_hi:[1,0,1]
	s_nop 0
	v_mov_b32_e32 v55, v49
	v_pk_add_f32 v[42:43], v[42:43], v[54:55]
	s_andn2_b64 exec, exec, s[4:5]
	s_cbranch_execnz .LBB18_77
; %bb.78:
	s_or_b64 exec, exec, s[4:5]
	v_mov_b32_e32 v41, 0
	ds_read_b64 v[46:47], v41 offset:128
	s_waitcnt lgkmcnt(0)
	v_pk_mul_f32 v[48:49], v[42:43], v[46:47] op_sel:[1,1] op_sel_hi:[0,1]
	v_pk_fma_f32 v[50:51], v[42:43], v[46:47], v[48:49] neg_lo:[0,0,1] neg_hi:[0,0,1]
	v_pk_fma_f32 v[42:43], v[42:43], v[46:47], v[48:49] op_sel_hi:[1,0,1]
	s_nop 0
	v_mov_b32_e32 v51, v43
	scratch_store_dwordx2 off, v[50:51], off offset:128
.LBB18_79:
	s_or_b64 exec, exec, s[0:1]
	; wave barrier
	scratch_load_dwordx2 v[42:43], off, off offset:136
	v_cmp_gt_u32_e32 vcc, 17, v0
	s_waitcnt vmcnt(0)
	ds_write_b64 v1, v[42:43]
	s_waitcnt lgkmcnt(0)
	; wave barrier
	s_and_saveexec_b64 s[0:1], vcc
	s_cbranch_execz .LBB18_83
; %bb.80:
	v_mov_b32_e32 v42, 0
	v_add_u32_e32 v41, -1, v0
	v_add_u32_e32 v45, 0xa0, v40
	v_mov_b32_e32 v46, v40
	s_mov_b64 s[4:5], 0
	v_mov_b32_e32 v43, v42
.LBB18_81:                              ; =>This Inner Loop Header: Depth=1
	scratch_load_dwordx2 v[48:49], v46, off
	ds_read_b64 v[50:51], v45
	v_add_u32_e32 v41, 1, v41
	v_cmp_lt_u32_e32 vcc, 15, v41
	v_add_u32_e32 v45, 8, v45
	v_add_u32_e32 v46, 8, v46
	s_or_b64 s[4:5], vcc, s[4:5]
	s_waitcnt vmcnt(0) lgkmcnt(0)
	v_pk_mul_f32 v[52:53], v[50:51], v[48:49] op_sel:[1,1] op_sel_hi:[0,1]
	v_pk_fma_f32 v[54:55], v[50:51], v[48:49], v[52:53] neg_lo:[0,0,1] neg_hi:[0,0,1]
	v_pk_fma_f32 v[48:49], v[50:51], v[48:49], v[52:53] op_sel_hi:[1,0,1]
	s_nop 0
	v_mov_b32_e32 v55, v49
	v_pk_add_f32 v[42:43], v[42:43], v[54:55]
	s_andn2_b64 exec, exec, s[4:5]
	s_cbranch_execnz .LBB18_81
; %bb.82:
	s_or_b64 exec, exec, s[4:5]
	v_mov_b32_e32 v41, 0
	ds_read_b64 v[46:47], v41 offset:136
	s_waitcnt lgkmcnt(0)
	v_pk_mul_f32 v[48:49], v[42:43], v[46:47] op_sel:[1,1] op_sel_hi:[0,1]
	v_pk_fma_f32 v[50:51], v[42:43], v[46:47], v[48:49] neg_lo:[0,0,1] neg_hi:[0,0,1]
	v_pk_fma_f32 v[42:43], v[42:43], v[46:47], v[48:49] op_sel_hi:[1,0,1]
	s_nop 0
	v_mov_b32_e32 v51, v43
	scratch_store_dwordx2 off, v[50:51], off offset:136
.LBB18_83:
	s_or_b64 exec, exec, s[0:1]
	; wave barrier
	scratch_load_dwordx2 v[42:43], off, off offset:144
	v_cmp_ne_u32_e32 vcc, 18, v0
	s_waitcnt vmcnt(0)
	ds_write_b64 v1, v[42:43]
	s_waitcnt lgkmcnt(0)
	; wave barrier
	s_and_saveexec_b64 s[0:1], vcc
	s_cbranch_execz .LBB18_87
; %bb.84:
	v_add_u32_e32 v1, 0xa0, v40
	v_mov_b32_e32 v42, v40
	v_mov_b32_e32 v40, 0
	s_mov_b64 s[4:5], 0
	v_mov_b32_e32 v41, v40
.LBB18_85:                              ; =>This Inner Loop Header: Depth=1
	scratch_load_dwordx2 v[46:47], v42, off
	ds_read_b64 v[48:49], v1
	v_add_u32_e32 v44, 1, v44
	v_cmp_lt_u32_e32 vcc, 16, v44
	v_add_u32_e32 v1, 8, v1
	v_add_u32_e32 v42, 8, v42
	s_or_b64 s[4:5], vcc, s[4:5]
	s_waitcnt vmcnt(0) lgkmcnt(0)
	v_pk_mul_f32 v[50:51], v[48:49], v[46:47] op_sel:[1,1] op_sel_hi:[0,1]
	v_pk_fma_f32 v[52:53], v[48:49], v[46:47], v[50:51] neg_lo:[0,0,1] neg_hi:[0,0,1]
	v_pk_fma_f32 v[46:47], v[48:49], v[46:47], v[50:51] op_sel_hi:[1,0,1]
	s_nop 0
	v_mov_b32_e32 v53, v47
	v_pk_add_f32 v[40:41], v[40:41], v[52:53]
	s_andn2_b64 exec, exec, s[4:5]
	s_cbranch_execnz .LBB18_85
; %bb.86:
	s_or_b64 exec, exec, s[4:5]
	v_mov_b32_e32 v1, 0
	ds_read_b64 v[42:43], v1 offset:144
	s_waitcnt lgkmcnt(0)
	v_pk_mul_f32 v[44:45], v[40:41], v[42:43] op_sel:[1,1] op_sel_hi:[0,1]
	v_pk_fma_f32 v[46:47], v[40:41], v[42:43], v[44:45] neg_lo:[0,0,1] neg_hi:[0,0,1]
	v_pk_fma_f32 v[40:41], v[40:41], v[42:43], v[44:45] op_sel_hi:[1,0,1]
	s_nop 0
	v_mov_b32_e32 v47, v41
	scratch_store_dwordx2 off, v[46:47], off offset:144
.LBB18_87:
	s_or_b64 exec, exec, s[0:1]
	s_mov_b64 s[4:5], -1
	; wave barrier
.LBB18_88:
	s_and_b64 vcc, exec, s[4:5]
	s_cbranch_vccz .LBB18_90
; %bb.89:
	s_lshl_b64 s[0:1], s[2:3], 2
	s_add_u32 s0, s6, s0
	s_addc_u32 s1, s7, s1
	v_mov_b32_e32 v1, 0
	global_load_dword v1, v1, s[0:1]
	s_waitcnt vmcnt(0)
	v_cmp_ne_u32_e32 vcc, 0, v1
	s_cbranch_vccz .LBB18_91
.LBB18_90:
	s_endpgm
.LBB18_91:
	v_mov_b32_e32 v1, 0xa0
	v_lshl_add_u32 v1, v0, 3, v1
	v_cmp_eq_u32_e32 vcc, 18, v0
	s_and_saveexec_b64 s[0:1], vcc
	s_cbranch_execz .LBB18_93
; %bb.92:
	scratch_load_dwordx2 v[40:41], off, off offset:136
	v_mov_b32_e32 v42, 0
	v_mov_b32_e32 v43, v42
	scratch_store_dwordx2 off, v[42:43], off offset:136
	s_waitcnt vmcnt(1)
	ds_write_b64 v1, v[40:41]
.LBB18_93:
	s_or_b64 exec, exec, s[0:1]
	s_waitcnt lgkmcnt(0)
	; wave barrier
	scratch_load_dwordx2 v[42:43], off, off offset:144
	scratch_load_dwordx2 v[44:45], off, off offset:136
	v_mov_b32_e32 v40, 0
	ds_read_b64 v[46:47], v40 offset:304
	v_cmp_lt_u32_e32 vcc, 16, v0
	s_waitcnt vmcnt(1) lgkmcnt(0)
	v_pk_mul_f32 v[48:49], v[46:47], v[42:43] op_sel:[1,1] op_sel_hi:[0,1]
	v_pk_fma_f32 v[50:51], v[46:47], v[42:43], v[48:49] neg_lo:[0,0,1] neg_hi:[0,0,1]
	v_pk_fma_f32 v[42:43], v[46:47], v[42:43], v[48:49] op_sel_hi:[1,0,1]
	s_nop 0
	v_mov_b32_e32 v51, v43
	v_pk_add_f32 v[42:43], v[50:51], 0 op_sel_hi:[1,0]
	s_waitcnt vmcnt(0)
	v_pk_add_f32 v[42:43], v[44:45], v[42:43] neg_lo:[0,1] neg_hi:[0,1]
	scratch_store_dwordx2 off, v[42:43], off offset:136
	s_and_saveexec_b64 s[0:1], vcc
	s_cbranch_execz .LBB18_95
; %bb.94:
	scratch_load_dwordx2 v[42:43], off, off offset:128
	v_mov_b32_e32 v41, v40
	scratch_store_dwordx2 off, v[40:41], off offset:128
	s_waitcnt vmcnt(1)
	ds_write_b64 v1, v[42:43]
.LBB18_95:
	s_or_b64 exec, exec, s[0:1]
	s_waitcnt lgkmcnt(0)
	; wave barrier
	scratch_load_dwordx4 v[42:45], off, off offset:136
	scratch_load_dwordx2 v[50:51], off, off offset:128
	ds_read2_b64 v[46:49], v40 offset0:37 offset1:38
	v_cmp_lt_u32_e32 vcc, 15, v0
	s_waitcnt vmcnt(1) lgkmcnt(0)
	v_pk_mul_f32 v[40:41], v[46:47], v[42:43] op_sel:[1,1] op_sel_hi:[0,1]
	v_mov_b32_e32 v52, v45
	v_pk_fma_f32 v[54:55], v[46:47], v[42:43], v[40:41] neg_lo:[0,0,1] neg_hi:[0,0,1]
	v_pk_fma_f32 v[40:41], v[46:47], v[42:43], v[40:41] op_sel_hi:[1,0,1]
	v_pk_mul_f32 v[42:43], v[48:49], v[52:53] op_sel:[1,0] op_sel_hi:[0,0]
	v_mov_b32_e32 v55, v41
	v_pk_fma_f32 v[40:41], v[48:49], v[44:45], v[42:43] neg_lo:[0,0,1] neg_hi:[0,0,1]
	v_pk_fma_f32 v[42:43], v[48:49], v[44:45], v[42:43] op_sel_hi:[1,0,1]
	v_pk_add_f32 v[44:45], v[54:55], 0 op_sel_hi:[1,0]
	v_mov_b32_e32 v41, v43
	v_pk_add_f32 v[40:41], v[44:45], v[40:41]
	s_waitcnt vmcnt(0)
	v_pk_add_f32 v[40:41], v[50:51], v[40:41] neg_lo:[0,1] neg_hi:[0,1]
	scratch_store_dwordx2 off, v[40:41], off offset:128
	s_and_saveexec_b64 s[0:1], vcc
	s_cbranch_execz .LBB18_97
; %bb.96:
	scratch_load_dwordx2 v[40:41], off, off offset:120
	v_mov_b32_e32 v42, 0
	v_mov_b32_e32 v43, v42
	scratch_store_dwordx2 off, v[42:43], off offset:120
	s_waitcnt vmcnt(1)
	ds_write_b64 v1, v[40:41]
.LBB18_97:
	s_or_b64 exec, exec, s[0:1]
	s_waitcnt lgkmcnt(0)
	; wave barrier
	scratch_load_dwordx4 v[42:45], off, off offset:128
	scratch_load_dwordx2 v[50:51], off, off offset:144
	scratch_load_dwordx2 v[52:53], off, off offset:120
	v_mov_b32_e32 v40, 0
	ds_read_b128 v[46:49], v40 offset:288
	ds_read_b64 v[54:55], v40 offset:304
	v_cmp_lt_u32_e32 vcc, 14, v0
	s_waitcnt vmcnt(2) lgkmcnt(1)
	v_pk_mul_f32 v[56:57], v[46:47], v[42:43] op_sel:[1,1] op_sel_hi:[0,1]
	v_mov_b32_e32 v58, v45
	v_pk_fma_f32 v[62:63], v[46:47], v[42:43], v[56:57] neg_lo:[0,0,1] neg_hi:[0,0,1]
	v_pk_fma_f32 v[42:43], v[46:47], v[42:43], v[56:57] op_sel_hi:[1,0,1]
	v_pk_mul_f32 v[46:47], v[48:49], v[58:59] op_sel:[1,0] op_sel_hi:[0,0]
	s_waitcnt vmcnt(1) lgkmcnt(0)
	v_pk_mul_f32 v[60:61], v[54:55], v[50:51] op_sel:[1,1] op_sel_hi:[0,1]
	v_mov_b32_e32 v63, v43
	v_pk_fma_f32 v[42:43], v[48:49], v[44:45], v[46:47] neg_lo:[0,0,1] neg_hi:[0,0,1]
	v_pk_fma_f32 v[44:45], v[48:49], v[44:45], v[46:47] op_sel_hi:[1,0,1]
	v_pk_fma_f32 v[56:57], v[54:55], v[50:51], v[60:61] neg_lo:[0,0,1] neg_hi:[0,0,1]
	v_pk_fma_f32 v[50:51], v[54:55], v[50:51], v[60:61] op_sel_hi:[1,0,1]
	v_pk_add_f32 v[46:47], v[62:63], 0 op_sel_hi:[1,0]
	v_mov_b32_e32 v43, v45
	v_mov_b32_e32 v57, v51
	v_pk_add_f32 v[42:43], v[46:47], v[42:43]
	s_nop 0
	v_pk_add_f32 v[42:43], v[42:43], v[56:57]
	s_waitcnt vmcnt(0)
	v_pk_add_f32 v[42:43], v[52:53], v[42:43] neg_lo:[0,1] neg_hi:[0,1]
	scratch_store_dwordx2 off, v[42:43], off offset:120
	s_and_saveexec_b64 s[0:1], vcc
	s_cbranch_execz .LBB18_99
; %bb.98:
	scratch_load_dwordx2 v[42:43], off, off offset:112
	v_mov_b32_e32 v41, v40
	scratch_store_dwordx2 off, v[40:41], off offset:112
	s_waitcnt vmcnt(1)
	ds_write_b64 v1, v[42:43]
.LBB18_99:
	s_or_b64 exec, exec, s[0:1]
	s_waitcnt lgkmcnt(0)
	; wave barrier
	scratch_load_dwordx4 v[42:45], off, off offset:120
	scratch_load_dwordx4 v[46:49], off, off offset:136
	scratch_load_dwordx2 v[58:59], off, off offset:112
	ds_read2_b64 v[50:53], v40 offset0:35 offset1:36
	ds_read2_b64 v[54:57], v40 offset0:37 offset1:38
	v_cmp_lt_u32_e32 vcc, 13, v0
	s_waitcnt vmcnt(2) lgkmcnt(1)
	v_pk_mul_f32 v[40:41], v[50:51], v[42:43] op_sel:[1,1] op_sel_hi:[0,1]
	v_mov_b32_e32 v60, v45
	s_waitcnt vmcnt(1) lgkmcnt(0)
	v_pk_mul_f32 v[62:63], v[54:55], v[46:47] op_sel:[1,1] op_sel_hi:[0,1]
	v_mov_b32_e32 v64, v49
	v_pk_fma_f32 v[66:67], v[50:51], v[42:43], v[40:41] neg_lo:[0,0,1] neg_hi:[0,0,1]
	v_pk_fma_f32 v[40:41], v[50:51], v[42:43], v[40:41] op_sel_hi:[1,0,1]
	v_pk_mul_f32 v[42:43], v[52:53], v[60:61] op_sel:[1,0] op_sel_hi:[0,0]
	v_pk_fma_f32 v[50:51], v[54:55], v[46:47], v[62:63] neg_lo:[0,0,1] neg_hi:[0,0,1]
	v_pk_fma_f32 v[46:47], v[54:55], v[46:47], v[62:63] op_sel_hi:[1,0,1]
	v_pk_mul_f32 v[54:55], v[56:57], v[64:65] op_sel:[1,0] op_sel_hi:[0,0]
	v_mov_b32_e32 v67, v41
	v_pk_fma_f32 v[40:41], v[52:53], v[44:45], v[42:43] neg_lo:[0,0,1] neg_hi:[0,0,1]
	v_pk_fma_f32 v[42:43], v[52:53], v[44:45], v[42:43] op_sel_hi:[1,0,1]
	v_mov_b32_e32 v51, v47
	v_pk_fma_f32 v[44:45], v[56:57], v[48:49], v[54:55] neg_lo:[0,0,1] neg_hi:[0,0,1]
	v_pk_fma_f32 v[46:47], v[56:57], v[48:49], v[54:55] op_sel_hi:[1,0,1]
	v_pk_add_f32 v[48:49], v[66:67], 0 op_sel_hi:[1,0]
	v_mov_b32_e32 v41, v43
	v_pk_add_f32 v[40:41], v[48:49], v[40:41]
	v_mov_b32_e32 v45, v47
	v_pk_add_f32 v[40:41], v[40:41], v[50:51]
	s_nop 0
	v_pk_add_f32 v[40:41], v[40:41], v[44:45]
	s_waitcnt vmcnt(0)
	v_pk_add_f32 v[40:41], v[58:59], v[40:41] neg_lo:[0,1] neg_hi:[0,1]
	scratch_store_dwordx2 off, v[40:41], off offset:112
	s_and_saveexec_b64 s[0:1], vcc
	s_cbranch_execz .LBB18_101
; %bb.100:
	scratch_load_dwordx2 v[40:41], off, off offset:104
	v_mov_b32_e32 v42, 0
	v_mov_b32_e32 v43, v42
	scratch_store_dwordx2 off, v[42:43], off offset:104
	s_waitcnt vmcnt(1)
	ds_write_b64 v1, v[40:41]
.LBB18_101:
	s_or_b64 exec, exec, s[0:1]
	s_waitcnt lgkmcnt(0)
	; wave barrier
	scratch_load_dwordx4 v[42:45], off, off offset:112
	scratch_load_dwordx4 v[46:49], off, off offset:128
	scratch_load_dwordx2 v[58:59], off, off offset:144
	scratch_load_dwordx2 v[60:61], off, off offset:104
	v_mov_b32_e32 v40, 0
	ds_read_b128 v[50:53], v40 offset:272
	ds_read_b128 v[54:57], v40 offset:288
	ds_read_b64 v[62:63], v40 offset:304
	v_cmp_lt_u32_e32 vcc, 12, v0
	s_waitcnt vmcnt(3) lgkmcnt(2)
	v_pk_mul_f32 v[64:65], v[50:51], v[42:43] op_sel:[1,1] op_sel_hi:[0,1]
	v_mov_b32_e32 v66, v45
	v_pk_fma_f32 v[74:75], v[50:51], v[42:43], v[64:65] neg_lo:[0,0,1] neg_hi:[0,0,1]
	v_pk_fma_f32 v[42:43], v[50:51], v[42:43], v[64:65] op_sel_hi:[1,0,1]
	v_pk_mul_f32 v[50:51], v[52:53], v[66:67] op_sel:[1,0] op_sel_hi:[0,0]
	s_waitcnt vmcnt(2) lgkmcnt(1)
	v_pk_mul_f32 v[68:69], v[54:55], v[46:47] op_sel:[1,1] op_sel_hi:[0,1]
	v_mov_b32_e32 v70, v49
	v_mov_b32_e32 v75, v43
	v_pk_fma_f32 v[42:43], v[52:53], v[44:45], v[50:51] neg_lo:[0,0,1] neg_hi:[0,0,1]
	v_pk_fma_f32 v[44:45], v[52:53], v[44:45], v[50:51] op_sel_hi:[1,0,1]
	v_pk_fma_f32 v[64:65], v[54:55], v[46:47], v[68:69] neg_lo:[0,0,1] neg_hi:[0,0,1]
	v_pk_fma_f32 v[46:47], v[54:55], v[46:47], v[68:69] op_sel_hi:[1,0,1]
	v_pk_mul_f32 v[54:55], v[56:57], v[70:71] op_sel:[1,0] op_sel_hi:[0,0]
	v_pk_add_f32 v[50:51], v[74:75], 0 op_sel_hi:[1,0]
	v_mov_b32_e32 v43, v45
	s_waitcnt vmcnt(1) lgkmcnt(0)
	v_pk_mul_f32 v[72:73], v[62:63], v[58:59] op_sel:[1,1] op_sel_hi:[0,1]
	v_mov_b32_e32 v65, v47
	v_pk_fma_f32 v[46:47], v[56:57], v[48:49], v[54:55] neg_lo:[0,0,1] neg_hi:[0,0,1]
	v_pk_fma_f32 v[48:49], v[56:57], v[48:49], v[54:55] op_sel_hi:[1,0,1]
	v_pk_add_f32 v[42:43], v[50:51], v[42:43]
	v_pk_fma_f32 v[66:67], v[62:63], v[58:59], v[72:73] neg_lo:[0,0,1] neg_hi:[0,0,1]
	v_pk_fma_f32 v[58:59], v[62:63], v[58:59], v[72:73] op_sel_hi:[1,0,1]
	v_mov_b32_e32 v47, v49
	v_pk_add_f32 v[42:43], v[42:43], v[64:65]
	v_mov_b32_e32 v67, v59
	v_pk_add_f32 v[42:43], v[42:43], v[46:47]
	s_nop 0
	v_pk_add_f32 v[42:43], v[42:43], v[66:67]
	s_waitcnt vmcnt(0)
	v_pk_add_f32 v[42:43], v[60:61], v[42:43] neg_lo:[0,1] neg_hi:[0,1]
	scratch_store_dwordx2 off, v[42:43], off offset:104
	s_and_saveexec_b64 s[0:1], vcc
	s_cbranch_execz .LBB18_103
; %bb.102:
	scratch_load_dwordx2 v[42:43], off, off offset:96
	v_mov_b32_e32 v41, v40
	scratch_store_dwordx2 off, v[40:41], off offset:96
	s_waitcnt vmcnt(1)
	ds_write_b64 v1, v[42:43]
.LBB18_103:
	s_or_b64 exec, exec, s[0:1]
	s_waitcnt lgkmcnt(0)
	; wave barrier
	scratch_load_dwordx4 v[42:45], off, off offset:104
	scratch_load_dwordx4 v[46:49], off, off offset:120
	scratch_load_dwordx4 v[50:53], off, off offset:136
	scratch_load_dwordx2 v[66:67], off, off offset:96
	ds_read2_b64 v[54:57], v40 offset0:33 offset1:34
	ds_read2_b64 v[58:61], v40 offset0:35 offset1:36
	;; [unrolled: 1-line block ×3, first 2 shown]
	v_cmp_lt_u32_e32 vcc, 11, v0
	s_waitcnt vmcnt(3) lgkmcnt(2)
	v_pk_mul_f32 v[40:41], v[54:55], v[42:43] op_sel:[1,1] op_sel_hi:[0,1]
	v_mov_b32_e32 v68, v45
	s_waitcnt vmcnt(2) lgkmcnt(1)
	v_pk_mul_f32 v[70:71], v[58:59], v[46:47] op_sel:[1,1] op_sel_hi:[0,1]
	v_mov_b32_e32 v72, v49
	;; [unrolled: 3-line block ×3, first 2 shown]
	v_pk_fma_f32 v[78:79], v[54:55], v[42:43], v[40:41] neg_lo:[0,0,1] neg_hi:[0,0,1]
	v_pk_fma_f32 v[40:41], v[54:55], v[42:43], v[40:41] op_sel_hi:[1,0,1]
	v_pk_mul_f32 v[42:43], v[56:57], v[68:69] op_sel:[1,0] op_sel_hi:[0,0]
	v_pk_fma_f32 v[54:55], v[58:59], v[46:47], v[70:71] neg_lo:[0,0,1] neg_hi:[0,0,1]
	v_pk_fma_f32 v[46:47], v[58:59], v[46:47], v[70:71] op_sel_hi:[1,0,1]
	v_pk_mul_f32 v[58:59], v[60:61], v[72:73] op_sel:[1,0] op_sel_hi:[0,0]
	;; [unrolled: 3-line block ×3, first 2 shown]
	v_mov_b32_e32 v79, v41
	v_pk_fma_f32 v[40:41], v[56:57], v[44:45], v[42:43] neg_lo:[0,0,1] neg_hi:[0,0,1]
	v_pk_fma_f32 v[42:43], v[56:57], v[44:45], v[42:43] op_sel_hi:[1,0,1]
	v_mov_b32_e32 v55, v47
	v_pk_fma_f32 v[44:45], v[60:61], v[48:49], v[58:59] neg_lo:[0,0,1] neg_hi:[0,0,1]
	v_pk_fma_f32 v[46:47], v[60:61], v[48:49], v[58:59] op_sel_hi:[1,0,1]
	;; [unrolled: 3-line block ×3, first 2 shown]
	v_pk_add_f32 v[52:53], v[78:79], 0 op_sel_hi:[1,0]
	v_mov_b32_e32 v41, v43
	v_pk_add_f32 v[40:41], v[52:53], v[40:41]
	v_mov_b32_e32 v45, v47
	v_pk_add_f32 v[40:41], v[40:41], v[54:55]
	;; [unrolled: 2-line block ×3, first 2 shown]
	s_nop 0
	v_pk_add_f32 v[40:41], v[40:41], v[68:69]
	s_nop 0
	v_pk_add_f32 v[40:41], v[40:41], v[48:49]
	s_waitcnt vmcnt(0)
	v_pk_add_f32 v[40:41], v[66:67], v[40:41] neg_lo:[0,1] neg_hi:[0,1]
	scratch_store_dwordx2 off, v[40:41], off offset:96
	s_and_saveexec_b64 s[0:1], vcc
	s_cbranch_execz .LBB18_105
; %bb.104:
	scratch_load_dwordx2 v[40:41], off, off offset:88
	v_mov_b32_e32 v42, 0
	v_mov_b32_e32 v43, v42
	scratch_store_dwordx2 off, v[42:43], off offset:88
	s_waitcnt vmcnt(1)
	ds_write_b64 v1, v[40:41]
.LBB18_105:
	s_or_b64 exec, exec, s[0:1]
	s_waitcnt lgkmcnt(0)
	; wave barrier
	scratch_load_dwordx4 v[42:45], off, off offset:96
	scratch_load_dwordx4 v[46:49], off, off offset:112
	;; [unrolled: 1-line block ×3, first 2 shown]
	scratch_load_dwordx2 v[66:67], off, off offset:144
	scratch_load_dwordx2 v[68:69], off, off offset:88
	v_mov_b32_e32 v40, 0
	ds_read_b128 v[54:57], v40 offset:256
	ds_read_b128 v[58:61], v40 offset:272
	;; [unrolled: 1-line block ×3, first 2 shown]
	ds_read_b64 v[70:71], v40 offset:304
	v_cmp_lt_u32_e32 vcc, 10, v0
	s_waitcnt vmcnt(4) lgkmcnt(3)
	v_pk_mul_f32 v[72:73], v[54:55], v[42:43] op_sel:[1,1] op_sel_hi:[0,1]
	v_mov_b32_e32 v74, v45
	v_pk_fma_f32 v[86:87], v[54:55], v[42:43], v[72:73] neg_lo:[0,0,1] neg_hi:[0,0,1]
	v_pk_fma_f32 v[42:43], v[54:55], v[42:43], v[72:73] op_sel_hi:[1,0,1]
	v_pk_mul_f32 v[54:55], v[56:57], v[74:75] op_sel:[1,0] op_sel_hi:[0,0]
	s_waitcnt vmcnt(3) lgkmcnt(2)
	v_pk_mul_f32 v[76:77], v[58:59], v[46:47] op_sel:[1,1] op_sel_hi:[0,1]
	v_mov_b32_e32 v78, v49
	v_mov_b32_e32 v87, v43
	v_pk_fma_f32 v[42:43], v[56:57], v[44:45], v[54:55] neg_lo:[0,0,1] neg_hi:[0,0,1]
	v_pk_fma_f32 v[44:45], v[56:57], v[44:45], v[54:55] op_sel_hi:[1,0,1]
	v_pk_fma_f32 v[72:73], v[58:59], v[46:47], v[76:77] neg_lo:[0,0,1] neg_hi:[0,0,1]
	v_pk_fma_f32 v[46:47], v[58:59], v[46:47], v[76:77] op_sel_hi:[1,0,1]
	v_pk_mul_f32 v[58:59], v[60:61], v[78:79] op_sel:[1,0] op_sel_hi:[0,0]
	v_pk_add_f32 v[54:55], v[86:87], 0 op_sel_hi:[1,0]
	v_mov_b32_e32 v43, v45
	s_waitcnt vmcnt(2) lgkmcnt(1)
	v_pk_mul_f32 v[80:81], v[62:63], v[50:51] op_sel:[1,1] op_sel_hi:[0,1]
	v_mov_b32_e32 v82, v53
	v_mov_b32_e32 v73, v47
	v_pk_fma_f32 v[46:47], v[60:61], v[48:49], v[58:59] neg_lo:[0,0,1] neg_hi:[0,0,1]
	v_pk_fma_f32 v[48:49], v[60:61], v[48:49], v[58:59] op_sel_hi:[1,0,1]
	v_pk_add_f32 v[42:43], v[54:55], v[42:43]
	v_pk_fma_f32 v[74:75], v[62:63], v[50:51], v[80:81] neg_lo:[0,0,1] neg_hi:[0,0,1]
	v_pk_fma_f32 v[50:51], v[62:63], v[50:51], v[80:81] op_sel_hi:[1,0,1]
	v_pk_mul_f32 v[62:63], v[64:65], v[82:83] op_sel:[1,0] op_sel_hi:[0,0]
	v_mov_b32_e32 v47, v49
	v_pk_add_f32 v[42:43], v[42:43], v[72:73]
	s_waitcnt vmcnt(1) lgkmcnt(0)
	v_pk_mul_f32 v[84:85], v[70:71], v[66:67] op_sel:[1,1] op_sel_hi:[0,1]
	v_mov_b32_e32 v75, v51
	v_pk_fma_f32 v[50:51], v[64:65], v[52:53], v[62:63] neg_lo:[0,0,1] neg_hi:[0,0,1]
	v_pk_fma_f32 v[52:53], v[64:65], v[52:53], v[62:63] op_sel_hi:[1,0,1]
	v_pk_add_f32 v[42:43], v[42:43], v[46:47]
	v_pk_fma_f32 v[76:77], v[70:71], v[66:67], v[84:85] neg_lo:[0,0,1] neg_hi:[0,0,1]
	v_pk_fma_f32 v[66:67], v[70:71], v[66:67], v[84:85] op_sel_hi:[1,0,1]
	v_mov_b32_e32 v51, v53
	v_pk_add_f32 v[42:43], v[42:43], v[74:75]
	v_mov_b32_e32 v77, v67
	v_pk_add_f32 v[42:43], v[42:43], v[50:51]
	s_nop 0
	v_pk_add_f32 v[42:43], v[42:43], v[76:77]
	s_waitcnt vmcnt(0)
	v_pk_add_f32 v[42:43], v[68:69], v[42:43] neg_lo:[0,1] neg_hi:[0,1]
	scratch_store_dwordx2 off, v[42:43], off offset:88
	s_and_saveexec_b64 s[0:1], vcc
	s_cbranch_execz .LBB18_107
; %bb.106:
	scratch_load_dwordx2 v[42:43], off, off offset:80
	v_mov_b32_e32 v41, v40
	scratch_store_dwordx2 off, v[40:41], off offset:80
	s_waitcnt vmcnt(1)
	ds_write_b64 v1, v[42:43]
.LBB18_107:
	s_or_b64 exec, exec, s[0:1]
	s_waitcnt lgkmcnt(0)
	; wave barrier
	scratch_load_dwordx4 v[42:45], off, off offset:88
	scratch_load_dwordx4 v[46:49], off, off offset:104
	;; [unrolled: 1-line block ×4, first 2 shown]
	scratch_load_dwordx2 v[74:75], off, off offset:80
	ds_read2_b64 v[58:61], v40 offset0:31 offset1:32
	ds_read2_b64 v[62:65], v40 offset0:33 offset1:34
	;; [unrolled: 1-line block ×4, first 2 shown]
	v_cmp_lt_u32_e32 vcc, 9, v0
	s_waitcnt vmcnt(4) lgkmcnt(3)
	v_pk_mul_f32 v[40:41], v[58:59], v[42:43] op_sel:[1,1] op_sel_hi:[0,1]
	v_mov_b32_e32 v76, v45
	s_waitcnt vmcnt(3) lgkmcnt(2)
	v_pk_mul_f32 v[78:79], v[62:63], v[46:47] op_sel:[1,1] op_sel_hi:[0,1]
	v_mov_b32_e32 v80, v49
	;; [unrolled: 3-line block ×4, first 2 shown]
	v_pk_fma_f32 v[90:91], v[58:59], v[42:43], v[40:41] neg_lo:[0,0,1] neg_hi:[0,0,1]
	v_pk_fma_f32 v[40:41], v[58:59], v[42:43], v[40:41] op_sel_hi:[1,0,1]
	v_pk_mul_f32 v[42:43], v[60:61], v[76:77] op_sel:[1,0] op_sel_hi:[0,0]
	v_pk_fma_f32 v[58:59], v[62:63], v[46:47], v[78:79] neg_lo:[0,0,1] neg_hi:[0,0,1]
	v_pk_fma_f32 v[46:47], v[62:63], v[46:47], v[78:79] op_sel_hi:[1,0,1]
	v_pk_mul_f32 v[62:63], v[64:65], v[80:81] op_sel:[1,0] op_sel_hi:[0,0]
	;; [unrolled: 3-line block ×4, first 2 shown]
	v_mov_b32_e32 v91, v41
	v_pk_fma_f32 v[40:41], v[60:61], v[44:45], v[42:43] neg_lo:[0,0,1] neg_hi:[0,0,1]
	v_pk_fma_f32 v[42:43], v[60:61], v[44:45], v[42:43] op_sel_hi:[1,0,1]
	v_mov_b32_e32 v59, v47
	v_pk_fma_f32 v[44:45], v[64:65], v[48:49], v[62:63] neg_lo:[0,0,1] neg_hi:[0,0,1]
	v_pk_fma_f32 v[46:47], v[64:65], v[48:49], v[62:63] op_sel_hi:[1,0,1]
	;; [unrolled: 3-line block ×4, first 2 shown]
	v_pk_add_f32 v[56:57], v[90:91], 0 op_sel_hi:[1,0]
	v_mov_b32_e32 v41, v43
	v_pk_add_f32 v[40:41], v[56:57], v[40:41]
	v_mov_b32_e32 v45, v47
	v_pk_add_f32 v[40:41], v[40:41], v[58:59]
	;; [unrolled: 2-line block ×4, first 2 shown]
	s_nop 0
	v_pk_add_f32 v[40:41], v[40:41], v[48:49]
	s_nop 0
	v_pk_add_f32 v[40:41], v[40:41], v[78:79]
	;; [unrolled: 2-line block ×3, first 2 shown]
	s_waitcnt vmcnt(0)
	v_pk_add_f32 v[40:41], v[74:75], v[40:41] neg_lo:[0,1] neg_hi:[0,1]
	scratch_store_dwordx2 off, v[40:41], off offset:80
	s_and_saveexec_b64 s[0:1], vcc
	s_cbranch_execz .LBB18_109
; %bb.108:
	scratch_load_dwordx2 v[40:41], off, off offset:72
	v_mov_b32_e32 v42, 0
	v_mov_b32_e32 v43, v42
	scratch_store_dwordx2 off, v[42:43], off offset:72
	s_waitcnt vmcnt(1)
	ds_write_b64 v1, v[40:41]
.LBB18_109:
	s_or_b64 exec, exec, s[0:1]
	s_waitcnt lgkmcnt(0)
	; wave barrier
	scratch_load_dwordx4 v[42:45], off, off offset:80
	scratch_load_dwordx4 v[46:49], off, off offset:96
	;; [unrolled: 1-line block ×4, first 2 shown]
	scratch_load_dwordx2 v[74:75], off, off offset:144
	scratch_load_dwordx2 v[76:77], off, off offset:72
	v_mov_b32_e32 v40, 0
	ds_read_b128 v[58:61], v40 offset:240
	ds_read_b128 v[62:65], v40 offset:256
	;; [unrolled: 1-line block ×4, first 2 shown]
	ds_read_b64 v[78:79], v40 offset:304
	v_cmp_lt_u32_e32 vcc, 8, v0
	s_waitcnt vmcnt(5) lgkmcnt(4)
	v_mul_f32_e32 v81, v58, v43
	v_mul_f32_e32 v41, v59, v43
	v_mov_b32_e32 v82, v45
	s_waitcnt vmcnt(4) lgkmcnt(3)
	v_pk_mul_f32 v[84:85], v[62:63], v[46:47] op_sel:[1,1] op_sel_hi:[0,1]
	v_mov_b32_e32 v86, v49
	s_waitcnt vmcnt(1) lgkmcnt(0)
	v_pk_mul_f32 v[96:97], v[78:79], v[74:75] op_sel:[1,1] op_sel_hi:[0,1]
	v_fmac_f32_e32 v81, v59, v42
	v_fma_f32 v80, v58, v42, -v41
	v_pk_mul_f32 v[42:43], v[60:61], v[82:83] op_sel:[1,0] op_sel_hi:[0,0]
	v_pk_fma_f32 v[58:59], v[62:63], v[46:47], v[84:85] neg_lo:[0,0,1] neg_hi:[0,0,1]
	v_pk_fma_f32 v[46:47], v[62:63], v[46:47], v[84:85] op_sel_hi:[1,0,1]
	v_pk_mul_f32 v[62:63], v[64:65], v[86:87] op_sel:[1,0] op_sel_hi:[0,0]
	v_pk_fma_f32 v[86:87], v[78:79], v[74:75], v[96:97] neg_lo:[0,0,1] neg_hi:[0,0,1]
	v_pk_fma_f32 v[74:75], v[78:79], v[74:75], v[96:97] op_sel_hi:[1,0,1]
	v_pk_add_f32 v[78:79], v[80:81], 0 op_sel_hi:[1,0]
	v_pk_fma_f32 v[80:81], v[60:61], v[44:45], v[42:43] neg_lo:[0,0,1] neg_hi:[0,0,1]
	v_pk_fma_f32 v[42:43], v[60:61], v[44:45], v[42:43] op_sel_hi:[1,0,1]
	v_pk_mul_f32 v[88:89], v[66:67], v[50:51] op_sel:[1,1] op_sel_hi:[0,1]
	v_mov_b32_e32 v81, v43
	v_mov_b32_e32 v90, v53
	;; [unrolled: 1-line block ×3, first 2 shown]
	v_pk_fma_f32 v[44:45], v[64:65], v[48:49], v[62:63] neg_lo:[0,0,1] neg_hi:[0,0,1]
	v_pk_fma_f32 v[46:47], v[64:65], v[48:49], v[62:63] op_sel_hi:[1,0,1]
	v_pk_add_f32 v[42:43], v[78:79], v[80:81]
	v_pk_fma_f32 v[82:83], v[66:67], v[50:51], v[88:89] neg_lo:[0,0,1] neg_hi:[0,0,1]
	v_pk_fma_f32 v[50:51], v[66:67], v[50:51], v[88:89] op_sel_hi:[1,0,1]
	v_pk_mul_f32 v[66:67], v[68:69], v[90:91] op_sel:[1,0] op_sel_hi:[0,0]
	v_mov_b32_e32 v45, v47
	v_pk_add_f32 v[42:43], v[42:43], v[58:59]
	v_pk_mul_f32 v[92:93], v[70:71], v[54:55] op_sel:[1,1] op_sel_hi:[0,1]
	v_mov_b32_e32 v94, v57
	v_mov_b32_e32 v83, v51
	v_pk_fma_f32 v[48:49], v[68:69], v[52:53], v[66:67] neg_lo:[0,0,1] neg_hi:[0,0,1]
	v_pk_fma_f32 v[50:51], v[68:69], v[52:53], v[66:67] op_sel_hi:[1,0,1]
	v_pk_add_f32 v[42:43], v[42:43], v[44:45]
	v_pk_fma_f32 v[84:85], v[70:71], v[54:55], v[92:93] neg_lo:[0,0,1] neg_hi:[0,0,1]
	v_pk_fma_f32 v[54:55], v[70:71], v[54:55], v[92:93] op_sel_hi:[1,0,1]
	v_pk_mul_f32 v[70:71], v[72:73], v[94:95] op_sel:[1,0] op_sel_hi:[0,0]
	v_mov_b32_e32 v49, v51
	v_pk_add_f32 v[42:43], v[42:43], v[82:83]
	v_mov_b32_e32 v85, v55
	v_pk_fma_f32 v[52:53], v[72:73], v[56:57], v[70:71] neg_lo:[0,0,1] neg_hi:[0,0,1]
	v_pk_fma_f32 v[54:55], v[72:73], v[56:57], v[70:71] op_sel_hi:[1,0,1]
	v_pk_add_f32 v[42:43], v[42:43], v[48:49]
	v_mov_b32_e32 v53, v55
	v_pk_add_f32 v[42:43], v[42:43], v[84:85]
	v_mov_b32_e32 v87, v75
	v_pk_add_f32 v[42:43], v[42:43], v[52:53]
	s_nop 0
	v_pk_add_f32 v[42:43], v[42:43], v[86:87]
	s_waitcnt vmcnt(0)
	v_pk_add_f32 v[42:43], v[76:77], v[42:43] neg_lo:[0,1] neg_hi:[0,1]
	scratch_store_dwordx2 off, v[42:43], off offset:72
	s_and_saveexec_b64 s[0:1], vcc
	s_cbranch_execz .LBB18_111
; %bb.110:
	scratch_load_dwordx2 v[42:43], off, off offset:64
	v_mov_b32_e32 v41, v40
	scratch_store_dwordx2 off, v[40:41], off offset:64
	s_waitcnt vmcnt(1)
	ds_write_b64 v1, v[42:43]
.LBB18_111:
	s_or_b64 exec, exec, s[0:1]
	s_waitcnt lgkmcnt(0)
	; wave barrier
	scratch_load_dwordx4 v[42:45], off, off offset:72
	scratch_load_dwordx4 v[46:49], off, off offset:88
	;; [unrolled: 1-line block ×5, first 2 shown]
	scratch_load_dwordx2 v[82:83], off, off offset:64
	ds_read2_b64 v[62:65], v40 offset0:29 offset1:30
	ds_read2_b64 v[66:69], v40 offset0:31 offset1:32
	;; [unrolled: 1-line block ×5, first 2 shown]
	v_cmp_lt_u32_e32 vcc, 7, v0
	s_waitcnt vmcnt(5) lgkmcnt(4)
	v_mul_f32_e32 v41, v62, v43
	v_mul_f32_e32 v40, v63, v43
	;; [unrolled: 1-line block ×4, first 2 shown]
	s_waitcnt vmcnt(4) lgkmcnt(3)
	v_pk_mul_f32 v[86:87], v[66:67], v[46:47] op_sel:[1,1] op_sel_hi:[0,1]
	v_mov_b32_e32 v88, v49
	v_fmac_f32_e32 v41, v63, v42
	v_fma_f32 v40, v62, v42, -v40
	v_fmac_f32_e32 v85, v65, v44
	v_fma_f32 v84, v64, v44, -v43
	v_pk_fma_f32 v[42:43], v[66:67], v[46:47], v[86:87] neg_lo:[0,0,1] neg_hi:[0,0,1]
	v_pk_fma_f32 v[44:45], v[66:67], v[46:47], v[86:87] op_sel_hi:[1,0,1]
	v_pk_mul_f32 v[46:47], v[68:69], v[88:89] op_sel:[1,0] op_sel_hi:[0,0]
	v_pk_add_f32 v[40:41], v[40:41], 0 op_sel_hi:[1,0]
	s_waitcnt vmcnt(3) lgkmcnt(2)
	v_pk_mul_f32 v[90:91], v[70:71], v[50:51] op_sel:[1,1] op_sel_hi:[0,1]
	v_mov_b32_e32 v92, v53
	v_mov_b32_e32 v43, v45
	v_pk_fma_f32 v[44:45], v[68:69], v[48:49], v[46:47] neg_lo:[0,0,1] neg_hi:[0,0,1]
	v_pk_fma_f32 v[46:47], v[68:69], v[48:49], v[46:47] op_sel_hi:[1,0,1]
	v_pk_add_f32 v[40:41], v[40:41], v[84:85]
	v_pk_fma_f32 v[62:63], v[70:71], v[50:51], v[90:91] neg_lo:[0,0,1] neg_hi:[0,0,1]
	v_pk_fma_f32 v[50:51], v[70:71], v[50:51], v[90:91] op_sel_hi:[1,0,1]
	v_pk_mul_f32 v[64:65], v[72:73], v[92:93] op_sel:[1,0] op_sel_hi:[0,0]
	v_mov_b32_e32 v45, v47
	v_pk_add_f32 v[40:41], v[40:41], v[42:43]
	s_waitcnt vmcnt(2) lgkmcnt(1)
	v_pk_mul_f32 v[94:95], v[74:75], v[54:55] op_sel:[1,1] op_sel_hi:[0,1]
	v_mov_b32_e32 v96, v57
	v_mov_b32_e32 v63, v51
	v_pk_fma_f32 v[48:49], v[72:73], v[52:53], v[64:65] neg_lo:[0,0,1] neg_hi:[0,0,1]
	v_pk_fma_f32 v[50:51], v[72:73], v[52:53], v[64:65] op_sel_hi:[1,0,1]
	v_pk_add_f32 v[40:41], v[40:41], v[44:45]
	v_pk_fma_f32 v[66:67], v[74:75], v[54:55], v[94:95] neg_lo:[0,0,1] neg_hi:[0,0,1]
	v_pk_fma_f32 v[54:55], v[74:75], v[54:55], v[94:95] op_sel_hi:[1,0,1]
	v_pk_mul_f32 v[70:71], v[76:77], v[96:97] op_sel:[1,0] op_sel_hi:[0,0]
	v_mov_b32_e32 v49, v51
	v_pk_add_f32 v[40:41], v[40:41], v[62:63]
	;; [unrolled: 12-line block ×3, first 2 shown]
	v_mov_b32_e32 v75, v59
	v_pk_fma_f32 v[56:57], v[80:81], v[60:61], v[78:79] neg_lo:[0,0,1] neg_hi:[0,0,1]
	v_pk_fma_f32 v[58:59], v[80:81], v[60:61], v[78:79] op_sel_hi:[1,0,1]
	v_pk_add_f32 v[40:41], v[40:41], v[52:53]
	v_mov_b32_e32 v57, v59
	v_pk_add_f32 v[40:41], v[40:41], v[74:75]
	s_nop 0
	v_pk_add_f32 v[40:41], v[40:41], v[56:57]
	s_waitcnt vmcnt(0)
	v_pk_add_f32 v[40:41], v[82:83], v[40:41] neg_lo:[0,1] neg_hi:[0,1]
	scratch_store_dwordx2 off, v[40:41], off offset:64
	s_and_saveexec_b64 s[0:1], vcc
	s_cbranch_execz .LBB18_113
; %bb.112:
	scratch_load_dwordx2 v[40:41], off, off offset:56
	v_mov_b32_e32 v42, 0
	v_mov_b32_e32 v43, v42
	scratch_store_dwordx2 off, v[42:43], off offset:56
	s_waitcnt vmcnt(1)
	ds_write_b64 v1, v[40:41]
.LBB18_113:
	s_or_b64 exec, exec, s[0:1]
	s_waitcnt lgkmcnt(0)
	; wave barrier
	scratch_load_dwordx4 v[42:45], off, off offset:64
	scratch_load_dwordx4 v[46:49], off, off offset:80
	;; [unrolled: 1-line block ×5, first 2 shown]
	scratch_load_dwordx2 v[82:83], off, off offset:144
	scratch_load_dwordx2 v[84:85], off, off offset:56
	v_mov_b32_e32 v40, 0
	ds_read_b128 v[62:65], v40 offset:224
	ds_read_b128 v[66:69], v40 offset:240
	;; [unrolled: 1-line block ×5, first 2 shown]
	ds_read_b64 v[86:87], v40 offset:304
	v_cmp_lt_u32_e32 vcc, 6, v0
	s_waitcnt vmcnt(6) lgkmcnt(5)
	v_mul_f32_e32 v41, v62, v43
	v_mul_f32_e32 v43, v63, v43
	;; [unrolled: 1-line block ×3, first 2 shown]
	s_waitcnt vmcnt(5) lgkmcnt(4)
	v_mul_f32_e32 v91, v66, v47
	v_mul_f32_e32 v45, v65, v45
	v_mul_f32_e32 v47, v67, v47
	v_mov_b32_e32 v92, v49
	s_waitcnt vmcnt(3) lgkmcnt(2)
	v_pk_mul_f32 v[98:99], v[74:75], v[54:55] op_sel:[1,1] op_sel_hi:[0,1]
	s_waitcnt vmcnt(2) lgkmcnt(1)
	v_pk_mul_f32 v[102:103], v[78:79], v[58:59] op_sel:[1,1] op_sel_hi:[0,1]
	;; [unrolled: 2-line block ×3, first 2 shown]
	v_fmac_f32_e32 v41, v63, v42
	v_fma_f32 v93, v62, v42, -v43
	v_fmac_f32_e32 v89, v65, v44
	v_fmac_f32_e32 v91, v67, v46
	v_fma_f32 v88, v64, v44, -v45
	v_fma_f32 v90, v66, v46, -v47
	v_pk_mul_f32 v[42:43], v[68:69], v[92:93] op_sel:[1,0] op_sel_hi:[0,0]
	v_pk_fma_f32 v[62:63], v[74:75], v[54:55], v[98:99] neg_lo:[0,0,1] neg_hi:[0,0,1]
	v_pk_fma_f32 v[54:55], v[74:75], v[54:55], v[98:99] op_sel_hi:[1,0,1]
	v_pk_fma_f32 v[66:67], v[78:79], v[58:59], v[102:103] neg_lo:[0,0,1] neg_hi:[0,0,1]
	v_pk_fma_f32 v[58:59], v[78:79], v[58:59], v[102:103] op_sel_hi:[1,0,1]
	;; [unrolled: 2-line block ×3, first 2 shown]
	v_add_f32_e32 v83, 0, v41
	v_add_f32_e32 v82, 0, v93
	v_pk_mul_f32 v[94:95], v[70:71], v[50:51] op_sel:[1,1] op_sel_hi:[0,1]
	v_mov_b32_e32 v96, v53
	v_pk_fma_f32 v[86:87], v[68:69], v[48:49], v[42:43] neg_lo:[0,0,1] neg_hi:[0,0,1]
	v_pk_fma_f32 v[42:43], v[68:69], v[48:49], v[42:43] op_sel_hi:[1,0,1]
	v_mov_b32_e32 v67, v59
	v_pk_add_f32 v[58:59], v[82:83], v[88:89]
	v_pk_fma_f32 v[44:45], v[70:71], v[50:51], v[94:95] neg_lo:[0,0,1] neg_hi:[0,0,1]
	v_pk_fma_f32 v[46:47], v[70:71], v[50:51], v[94:95] op_sel_hi:[1,0,1]
	v_pk_mul_f32 v[50:51], v[72:73], v[96:97] op_sel:[1,0] op_sel_hi:[0,0]
	v_mov_b32_e32 v87, v43
	v_pk_add_f32 v[42:43], v[58:59], v[90:91]
	v_mov_b32_e32 v100, v57
	v_mov_b32_e32 v45, v47
	v_pk_fma_f32 v[46:47], v[72:73], v[52:53], v[50:51] neg_lo:[0,0,1] neg_hi:[0,0,1]
	v_pk_fma_f32 v[48:49], v[72:73], v[52:53], v[50:51] op_sel_hi:[1,0,1]
	v_pk_add_f32 v[42:43], v[42:43], v[86:87]
	v_pk_mul_f32 v[64:65], v[76:77], v[100:101] op_sel:[1,0] op_sel_hi:[0,0]
	v_mov_b32_e32 v47, v49
	v_pk_add_f32 v[42:43], v[42:43], v[44:45]
	v_mov_b32_e32 v104, v61
	v_mov_b32_e32 v63, v55
	v_pk_fma_f32 v[50:51], v[76:77], v[56:57], v[64:65] neg_lo:[0,0,1] neg_hi:[0,0,1]
	v_pk_fma_f32 v[52:53], v[76:77], v[56:57], v[64:65] op_sel_hi:[1,0,1]
	v_pk_add_f32 v[42:43], v[42:43], v[46:47]
	v_pk_mul_f32 v[70:71], v[80:81], v[104:105] op_sel:[1,0] op_sel_hi:[0,0]
	v_mov_b32_e32 v51, v53
	v_pk_add_f32 v[42:43], v[42:43], v[62:63]
	v_pk_fma_f32 v[54:55], v[80:81], v[60:61], v[70:71] neg_lo:[0,0,1] neg_hi:[0,0,1]
	v_pk_fma_f32 v[56:57], v[80:81], v[60:61], v[70:71] op_sel_hi:[1,0,1]
	v_pk_add_f32 v[42:43], v[42:43], v[50:51]
	v_mov_b32_e32 v55, v57
	v_pk_add_f32 v[42:43], v[42:43], v[66:67]
	v_mov_b32_e32 v75, v79
	v_pk_add_f32 v[42:43], v[42:43], v[54:55]
	s_nop 0
	v_pk_add_f32 v[42:43], v[42:43], v[74:75]
	s_waitcnt vmcnt(0)
	v_pk_add_f32 v[42:43], v[84:85], v[42:43] neg_lo:[0,1] neg_hi:[0,1]
	scratch_store_dwordx2 off, v[42:43], off offset:56
	s_and_saveexec_b64 s[0:1], vcc
	s_cbranch_execz .LBB18_115
; %bb.114:
	scratch_load_dwordx2 v[42:43], off, off offset:48
	v_mov_b32_e32 v41, v40
	scratch_store_dwordx2 off, v[40:41], off offset:48
	s_waitcnt vmcnt(1)
	ds_write_b64 v1, v[42:43]
.LBB18_115:
	s_or_b64 exec, exec, s[0:1]
	s_waitcnt lgkmcnt(0)
	; wave barrier
	scratch_load_dwordx4 v[42:45], off, off offset:56
	scratch_load_dwordx4 v[46:49], off, off offset:72
	;; [unrolled: 1-line block ×6, first 2 shown]
	scratch_load_dwordx2 v[90:91], off, off offset:48
	ds_read2_b64 v[66:69], v40 offset0:27 offset1:28
	ds_read2_b64 v[70:73], v40 offset0:29 offset1:30
	;; [unrolled: 1-line block ×6, first 2 shown]
	v_cmp_lt_u32_e32 vcc, 5, v0
	s_waitcnt vmcnt(6) lgkmcnt(5)
	v_mul_f32_e32 v97, v66, v43
	v_mul_f32_e32 v101, v68, v45
	s_waitcnt vmcnt(5) lgkmcnt(4)
	v_mul_f32_e32 v41, v70, v47
	v_mul_f32_e32 v40, v67, v43
	v_mul_f32_e32 v43, v69, v45
	v_mul_f32_e32 v45, v71, v47
	s_waitcnt vmcnt(1) lgkmcnt(0)
	v_pk_mul_f32 v[106:107], v[86:87], v[62:63] op_sel:[1,1] op_sel_hi:[0,1]
	v_pk_mul_f32 v[94:95], v[74:75], v[50:51] op_sel:[1,1] op_sel_hi:[0,1]
	v_fmac_f32_e32 v97, v67, v42
	v_fmac_f32_e32 v41, v71, v46
	v_fma_f32 v105, v66, v42, -v40
	v_fma_f32 v40, v70, v46, -v45
	v_pk_fma_f32 v[70:71], v[86:87], v[62:63], v[106:107] neg_lo:[0,0,1] neg_hi:[0,0,1]
	v_pk_fma_f32 v[62:63], v[86:87], v[62:63], v[106:107] op_sel_hi:[1,0,1]
	v_fmac_f32_e32 v101, v69, v44
	v_fma_f32 v109, v68, v44, -v43
	v_pk_fma_f32 v[42:43], v[74:75], v[50:51], v[94:95] neg_lo:[0,0,1] neg_hi:[0,0,1]
	v_pk_fma_f32 v[44:45], v[74:75], v[50:51], v[94:95] op_sel_hi:[1,0,1]
	v_add_f32_e32 v62, 0, v97
	v_add_f32_e32 v74, 0, v105
	v_mul_f32_e32 v93, v72, v49
	v_mul_f32_e32 v47, v73, v49
	v_mov_b32_e32 v96, v53
	v_mov_b32_e32 v71, v63
	v_add_f32_e32 v63, v62, v101
	v_add_f32_e32 v62, v74, v109
	v_fmac_f32_e32 v93, v73, v48
	v_fma_f32 v92, v72, v48, -v47
	v_pk_mul_f32 v[46:47], v[76:77], v[96:97] op_sel:[1,0] op_sel_hi:[0,0]
	v_pk_add_f32 v[40:41], v[62:63], v[40:41]
	v_pk_mul_f32 v[98:99], v[78:79], v[54:55] op_sel:[1,1] op_sel_hi:[0,1]
	v_mov_b32_e32 v100, v57
	v_mov_b32_e32 v43, v45
	v_pk_fma_f32 v[44:45], v[76:77], v[52:53], v[46:47] neg_lo:[0,0,1] neg_hi:[0,0,1]
	v_pk_fma_f32 v[46:47], v[76:77], v[52:53], v[46:47] op_sel_hi:[1,0,1]
	v_pk_add_f32 v[40:41], v[40:41], v[92:93]
	v_pk_fma_f32 v[48:49], v[78:79], v[54:55], v[98:99] neg_lo:[0,0,1] neg_hi:[0,0,1]
	v_pk_fma_f32 v[50:51], v[78:79], v[54:55], v[98:99] op_sel_hi:[1,0,1]
	v_pk_mul_f32 v[54:55], v[80:81], v[100:101] op_sel:[1,0] op_sel_hi:[0,0]
	v_mov_b32_e32 v45, v47
	v_pk_add_f32 v[40:41], v[40:41], v[42:43]
	v_pk_mul_f32 v[102:103], v[82:83], v[58:59] op_sel:[1,1] op_sel_hi:[0,1]
	v_mov_b32_e32 v104, v61
	v_mov_b32_e32 v49, v51
	v_pk_fma_f32 v[50:51], v[80:81], v[56:57], v[54:55] neg_lo:[0,0,1] neg_hi:[0,0,1]
	v_pk_fma_f32 v[52:53], v[80:81], v[56:57], v[54:55] op_sel_hi:[1,0,1]
	v_pk_add_f32 v[40:41], v[40:41], v[44:45]
	v_pk_fma_f32 v[66:67], v[82:83], v[58:59], v[102:103] neg_lo:[0,0,1] neg_hi:[0,0,1]
	v_pk_fma_f32 v[58:59], v[82:83], v[58:59], v[102:103] op_sel_hi:[1,0,1]
	v_pk_mul_f32 v[68:69], v[84:85], v[104:105] op_sel:[1,0] op_sel_hi:[0,0]
	v_mov_b32_e32 v51, v53
	v_pk_add_f32 v[40:41], v[40:41], v[48:49]
	v_mov_b32_e32 v108, v65
	v_mov_b32_e32 v67, v59
	v_pk_fma_f32 v[54:55], v[84:85], v[60:61], v[68:69] neg_lo:[0,0,1] neg_hi:[0,0,1]
	v_pk_fma_f32 v[56:57], v[84:85], v[60:61], v[68:69] op_sel_hi:[1,0,1]
	v_pk_add_f32 v[40:41], v[40:41], v[50:51]
	v_pk_mul_f32 v[72:73], v[88:89], v[108:109] op_sel:[1,0] op_sel_hi:[0,0]
	v_mov_b32_e32 v55, v57
	v_pk_add_f32 v[40:41], v[40:41], v[66:67]
	v_pk_fma_f32 v[58:59], v[88:89], v[64:65], v[72:73] neg_lo:[0,0,1] neg_hi:[0,0,1]
	v_pk_fma_f32 v[60:61], v[88:89], v[64:65], v[72:73] op_sel_hi:[1,0,1]
	v_pk_add_f32 v[40:41], v[40:41], v[54:55]
	v_mov_b32_e32 v59, v61
	v_pk_add_f32 v[40:41], v[40:41], v[70:71]
	s_nop 0
	v_pk_add_f32 v[40:41], v[40:41], v[58:59]
	s_waitcnt vmcnt(0)
	v_pk_add_f32 v[40:41], v[90:91], v[40:41] neg_lo:[0,1] neg_hi:[0,1]
	scratch_store_dwordx2 off, v[40:41], off offset:48
	s_and_saveexec_b64 s[0:1], vcc
	s_cbranch_execz .LBB18_117
; %bb.116:
	scratch_load_dwordx2 v[40:41], off, off offset:40
	v_mov_b32_e32 v42, 0
	v_mov_b32_e32 v43, v42
	scratch_store_dwordx2 off, v[42:43], off offset:40
	s_waitcnt vmcnt(1)
	ds_write_b64 v1, v[40:41]
.LBB18_117:
	s_or_b64 exec, exec, s[0:1]
	s_waitcnt lgkmcnt(0)
	; wave barrier
	scratch_load_dwordx4 v[42:45], off, off offset:48
	scratch_load_dwordx4 v[46:49], off, off offset:64
	;; [unrolled: 1-line block ×6, first 2 shown]
	scratch_load_dwordx2 v[90:91], off, off offset:144
	scratch_load_dwordx2 v[92:93], off, off offset:40
	v_mov_b32_e32 v40, 0
	ds_read_b128 v[66:69], v40 offset:208
	ds_read_b128 v[70:73], v40 offset:224
	;; [unrolled: 1-line block ×6, first 2 shown]
	ds_read_b64 v[94:95], v40 offset:304
	v_cmp_lt_u32_e32 vcc, 4, v0
	s_waitcnt vmcnt(7) lgkmcnt(6)
	v_mul_f32_e32 v101, v68, v45
	v_mul_f32_e32 v41, v66, v43
	s_waitcnt vmcnt(5) lgkmcnt(4)
	v_mul_f32_e32 v99, v74, v51
	v_mul_f32_e32 v43, v67, v43
	v_mov_b32_e32 v100, v53
	s_waitcnt vmcnt(2) lgkmcnt(1)
	v_pk_mul_f32 v[110:111], v[86:87], v[62:63] op_sel:[1,1] op_sel_hi:[0,1]
	v_fmac_f32_e32 v101, v69, v44
	v_mul_f32_e32 v45, v69, v45
	v_mul_f32_e32 v51, v75, v51
	v_fmac_f32_e32 v41, v67, v42
	v_fmac_f32_e32 v99, v75, v50
	v_fma_f32 v75, v66, v42, -v43
	v_pk_mul_f32 v[42:43], v[76:77], v[100:101] op_sel:[1,0] op_sel_hi:[0,0]
	v_pk_fma_f32 v[66:67], v[86:87], v[62:63], v[110:111] neg_lo:[0,0,1] neg_hi:[0,0,1]
	v_pk_fma_f32 v[62:63], v[86:87], v[62:63], v[110:111] op_sel_hi:[1,0,1]
	v_mul_f32_e32 v105, v70, v47
	v_mul_f32_e32 v47, v71, v47
	v_fma_f32 v109, v68, v44, -v45
	v_fma_f32 v98, v74, v50, -v51
	v_add_f32_e32 v41, 0, v41
	v_add_f32_e32 v62, 0, v75
	v_pk_fma_f32 v[74:75], v[76:77], v[52:53], v[42:43] neg_lo:[0,0,1] neg_hi:[0,0,1]
	v_pk_fma_f32 v[42:43], v[76:77], v[52:53], v[42:43] op_sel_hi:[1,0,1]
	v_mul_f32_e32 v97, v72, v49
	v_mul_f32_e32 v49, v73, v49
	v_fmac_f32_e32 v105, v71, v46
	v_fma_f32 v113, v70, v46, -v47
	v_add_f32_e32 v41, v41, v101
	v_add_f32_e32 v42, v62, v109
	v_fmac_f32_e32 v97, v73, v48
	v_fma_f32 v96, v72, v48, -v49
	v_mov_b32_e32 v75, v43
	v_add_f32_e32 v43, v41, v105
	v_add_f32_e32 v42, v42, v113
	v_pk_mul_f32 v[102:103], v[78:79], v[54:55] op_sel:[1,1] op_sel_hi:[0,1]
	v_mov_b32_e32 v104, v57
	v_pk_add_f32 v[42:43], v[42:43], v[96:97]
	v_pk_fma_f32 v[44:45], v[78:79], v[54:55], v[102:103] neg_lo:[0,0,1] neg_hi:[0,0,1]
	v_pk_fma_f32 v[46:47], v[78:79], v[54:55], v[102:103] op_sel_hi:[1,0,1]
	v_pk_mul_f32 v[48:49], v[80:81], v[104:105] op_sel:[1,0] op_sel_hi:[0,0]
	v_pk_add_f32 v[42:43], v[42:43], v[98:99]
	v_pk_mul_f32 v[106:107], v[82:83], v[58:59] op_sel:[1,1] op_sel_hi:[0,1]
	v_mov_b32_e32 v108, v61
	v_mov_b32_e32 v45, v47
	v_pk_fma_f32 v[46:47], v[80:81], v[56:57], v[48:49] neg_lo:[0,0,1] neg_hi:[0,0,1]
	v_pk_fma_f32 v[48:49], v[80:81], v[56:57], v[48:49] op_sel_hi:[1,0,1]
	v_pk_add_f32 v[42:43], v[42:43], v[74:75]
	v_pk_fma_f32 v[50:51], v[82:83], v[58:59], v[106:107] neg_lo:[0,0,1] neg_hi:[0,0,1]
	v_pk_fma_f32 v[54:55], v[82:83], v[58:59], v[106:107] op_sel_hi:[1,0,1]
	v_pk_mul_f32 v[58:59], v[84:85], v[108:109] op_sel:[1,0] op_sel_hi:[0,0]
	v_mov_b32_e32 v47, v49
	v_pk_add_f32 v[42:43], v[42:43], v[44:45]
	v_mov_b32_e32 v112, v65
	v_mov_b32_e32 v51, v55
	v_pk_fma_f32 v[52:53], v[84:85], v[60:61], v[58:59] neg_lo:[0,0,1] neg_hi:[0,0,1]
	v_pk_fma_f32 v[54:55], v[84:85], v[60:61], v[58:59] op_sel_hi:[1,0,1]
	v_pk_add_f32 v[42:43], v[42:43], v[46:47]
	v_pk_mul_f32 v[68:69], v[88:89], v[112:113] op_sel:[1,0] op_sel_hi:[0,0]
	v_mov_b32_e32 v53, v55
	v_pk_add_f32 v[42:43], v[42:43], v[50:51]
	s_waitcnt vmcnt(1) lgkmcnt(0)
	v_pk_mul_f32 v[114:115], v[94:95], v[90:91] op_sel:[1,1] op_sel_hi:[0,1]
	v_mov_b32_e32 v67, v63
	v_pk_fma_f32 v[56:57], v[88:89], v[64:65], v[68:69] neg_lo:[0,0,1] neg_hi:[0,0,1]
	v_pk_fma_f32 v[58:59], v[88:89], v[64:65], v[68:69] op_sel_hi:[1,0,1]
	v_pk_add_f32 v[42:43], v[42:43], v[52:53]
	v_pk_fma_f32 v[70:71], v[94:95], v[90:91], v[114:115] neg_lo:[0,0,1] neg_hi:[0,0,1]
	v_pk_fma_f32 v[72:73], v[94:95], v[90:91], v[114:115] op_sel_hi:[1,0,1]
	v_mov_b32_e32 v57, v59
	v_pk_add_f32 v[42:43], v[42:43], v[66:67]
	v_mov_b32_e32 v71, v73
	v_pk_add_f32 v[42:43], v[42:43], v[56:57]
	s_nop 0
	v_pk_add_f32 v[42:43], v[42:43], v[70:71]
	s_waitcnt vmcnt(0)
	v_pk_add_f32 v[42:43], v[92:93], v[42:43] neg_lo:[0,1] neg_hi:[0,1]
	scratch_store_dwordx2 off, v[42:43], off offset:40
	s_and_saveexec_b64 s[0:1], vcc
	s_cbranch_execz .LBB18_119
; %bb.118:
	scratch_load_dwordx2 v[42:43], off, off offset:32
	v_mov_b32_e32 v41, v40
	scratch_store_dwordx2 off, v[40:41], off offset:32
	s_waitcnt vmcnt(1)
	ds_write_b64 v1, v[42:43]
.LBB18_119:
	s_or_b64 exec, exec, s[0:1]
	s_waitcnt lgkmcnt(0)
	; wave barrier
	scratch_load_dwordx4 v[42:45], off, off offset:40
	scratch_load_dwordx4 v[46:49], off, off offset:56
	;; [unrolled: 1-line block ×7, first 2 shown]
	ds_read2_b64 v[70:73], v40 offset0:25 offset1:26
	ds_read2_b64 v[74:77], v40 offset0:27 offset1:28
	;; [unrolled: 1-line block ×6, first 2 shown]
	scratch_load_dwordx2 v[98:99], off, off offset:32
	ds_read2_b64 v[94:97], v40 offset0:37 offset1:38
	v_cmp_lt_u32_e32 vcc, 3, v0
	s_waitcnt vmcnt(7) lgkmcnt(6)
	v_mul_f32_e32 v105, v70, v43
	v_mul_f32_e32 v109, v72, v45
	s_waitcnt vmcnt(6) lgkmcnt(5)
	v_mul_f32_e32 v113, v74, v47
	v_mul_f32_e32 v117, v76, v49
	;; [unrolled: 3-line block ×3, first 2 shown]
	v_mul_f32_e32 v40, v71, v43
	v_mul_f32_e32 v43, v73, v45
	;; [unrolled: 1-line block ×6, first 2 shown]
	s_waitcnt vmcnt(4) lgkmcnt(3)
	v_pk_mul_f32 v[102:103], v[82:83], v[54:55] op_sel:[1,1] op_sel_hi:[0,1]
	v_mov_b32_e32 v104, v57
	s_waitcnt vmcnt(3) lgkmcnt(2)
	v_pk_mul_f32 v[106:107], v[86:87], v[58:59] op_sel:[1,1] op_sel_hi:[0,1]
	v_mov_b32_e32 v108, v61
	s_waitcnt vmcnt(1) lgkmcnt(0)
	v_pk_mul_f32 v[114:115], v[94:95], v[66:67] op_sel:[1,1] op_sel_hi:[0,1]
	v_fmac_f32_e32 v105, v71, v42
	v_fmac_f32_e32 v109, v73, v44
	;; [unrolled: 1-line block ×6, first 2 shown]
	v_fma_f32 v75, v70, v42, -v40
	v_fma_f32 v77, v72, v44, -v43
	;; [unrolled: 1-line block ×6, first 2 shown]
	v_pk_fma_f32 v[42:43], v[82:83], v[54:55], v[102:103] neg_lo:[0,0,1] neg_hi:[0,0,1]
	v_pk_fma_f32 v[44:45], v[82:83], v[54:55], v[102:103] op_sel_hi:[1,0,1]
	v_pk_mul_f32 v[46:47], v[84:85], v[104:105] op_sel:[1,0] op_sel_hi:[0,0]
	v_pk_fma_f32 v[48:49], v[86:87], v[58:59], v[106:107] neg_lo:[0,0,1] neg_hi:[0,0,1]
	v_pk_fma_f32 v[50:51], v[86:87], v[58:59], v[106:107] op_sel_hi:[1,0,1]
	v_pk_mul_f32 v[52:53], v[88:89], v[108:109] op_sel:[1,0] op_sel_hi:[0,0]
	v_pk_fma_f32 v[70:71], v[94:95], v[66:67], v[114:115] neg_lo:[0,0,1] neg_hi:[0,0,1]
	v_pk_fma_f32 v[66:67], v[94:95], v[66:67], v[114:115] op_sel_hi:[1,0,1]
	v_add_f32_e32 v75, 0, v75
	v_add_f32_e32 v66, 0, v105
	v_mov_b32_e32 v43, v45
	v_pk_fma_f32 v[44:45], v[84:85], v[56:57], v[46:47] neg_lo:[0,0,1] neg_hi:[0,0,1]
	v_pk_fma_f32 v[46:47], v[84:85], v[56:57], v[46:47] op_sel_hi:[1,0,1]
	v_mov_b32_e32 v49, v51
	v_pk_fma_f32 v[50:51], v[88:89], v[60:61], v[52:53] neg_lo:[0,0,1] neg_hi:[0,0,1]
	v_pk_fma_f32 v[52:53], v[88:89], v[60:61], v[52:53] op_sel_hi:[1,0,1]
	v_add_f32_e32 v46, v66, v109
	v_add_f32_e32 v52, v75, v77
	;; [unrolled: 1-line block ×4, first 2 shown]
	v_mov_b32_e32 v45, v47
	v_add_f32_e32 v47, v46, v117
	v_add_f32_e32 v46, v52, v76
	v_pk_add_f32 v[40:41], v[46:47], v[40:41]
	v_pk_mul_f32 v[110:111], v[90:91], v[62:63] op_sel:[1,1] op_sel_hi:[0,1]
	v_pk_add_f32 v[40:41], v[40:41], v[100:101]
	v_mov_b32_e32 v112, v65
	v_pk_add_f32 v[40:41], v[40:41], v[42:43]
	v_pk_fma_f32 v[54:55], v[90:91], v[62:63], v[110:111] neg_lo:[0,0,1] neg_hi:[0,0,1]
	v_pk_add_f32 v[40:41], v[40:41], v[44:45]
	v_pk_fma_f32 v[58:59], v[90:91], v[62:63], v[110:111] op_sel_hi:[1,0,1]
	v_pk_mul_f32 v[62:63], v[92:93], v[112:113] op_sel:[1,0] op_sel_hi:[0,0]
	v_mov_b32_e32 v51, v53
	v_pk_add_f32 v[40:41], v[40:41], v[48:49]
	v_mov_b32_e32 v116, v69
	v_mov_b32_e32 v55, v59
	v_pk_fma_f32 v[56:57], v[92:93], v[64:65], v[62:63] neg_lo:[0,0,1] neg_hi:[0,0,1]
	v_pk_fma_f32 v[58:59], v[92:93], v[64:65], v[62:63] op_sel_hi:[1,0,1]
	v_pk_add_f32 v[40:41], v[40:41], v[50:51]
	v_pk_mul_f32 v[72:73], v[96:97], v[116:117] op_sel:[1,0] op_sel_hi:[0,0]
	v_mov_b32_e32 v57, v59
	v_pk_add_f32 v[40:41], v[40:41], v[54:55]
	v_mov_b32_e32 v71, v67
	v_pk_fma_f32 v[60:61], v[96:97], v[68:69], v[72:73] neg_lo:[0,0,1] neg_hi:[0,0,1]
	v_pk_fma_f32 v[62:63], v[96:97], v[68:69], v[72:73] op_sel_hi:[1,0,1]
	v_pk_add_f32 v[40:41], v[40:41], v[56:57]
	v_mov_b32_e32 v61, v63
	v_pk_add_f32 v[40:41], v[40:41], v[70:71]
	s_nop 0
	v_pk_add_f32 v[40:41], v[40:41], v[60:61]
	s_waitcnt vmcnt(0)
	v_pk_add_f32 v[40:41], v[98:99], v[40:41] neg_lo:[0,1] neg_hi:[0,1]
	scratch_store_dwordx2 off, v[40:41], off offset:32
	s_and_saveexec_b64 s[0:1], vcc
	s_cbranch_execz .LBB18_121
; %bb.120:
	scratch_load_dwordx2 v[40:41], off, off offset:24
	v_mov_b32_e32 v42, 0
	v_mov_b32_e32 v43, v42
	scratch_store_dwordx2 off, v[42:43], off offset:24
	s_waitcnt vmcnt(1)
	ds_write_b64 v1, v[40:41]
.LBB18_121:
	s_or_b64 exec, exec, s[0:1]
	s_waitcnt lgkmcnt(0)
	; wave barrier
	scratch_load_dwordx4 v[42:45], off, off offset:32
	scratch_load_dwordx4 v[46:49], off, off offset:48
	;; [unrolled: 1-line block ×7, first 2 shown]
	scratch_load_dwordx2 v[98:99], off, off offset:144
	scratch_load_dwordx2 v[100:101], off, off offset:24
	v_mov_b32_e32 v40, 0
	ds_read_b128 v[70:73], v40 offset:192
	ds_read_b128 v[74:77], v40 offset:208
	;; [unrolled: 1-line block ×7, first 2 shown]
	ds_read_b64 v[102:103], v40 offset:304
	v_cmp_lt_u32_e32 vcc, 2, v0
	s_waitcnt vmcnt(8) lgkmcnt(7)
	v_mul_f32_e32 v109, v72, v45
	v_mul_f32_e32 v41, v70, v43
	s_waitcnt vmcnt(7) lgkmcnt(6)
	v_mul_f32_e32 v113, v74, v47
	s_waitcnt vmcnt(6) lgkmcnt(5)
	v_mul_f32_e32 v121, v78, v51
	v_mul_f32_e32 v105, v80, v53
	;; [unrolled: 1-line block ×5, first 2 shown]
	s_waitcnt vmcnt(5)
	v_mov_b32_e32 v108, v57
	s_waitcnt vmcnt(3) lgkmcnt(2)
	v_pk_mul_f32 v[114:115], v[90:91], v[62:63] op_sel:[1,1] op_sel_hi:[0,1]
	s_waitcnt vmcnt(2) lgkmcnt(1)
	v_pk_mul_f32 v[118:119], v[94:95], v[66:67] op_sel:[1,1] op_sel_hi:[0,1]
	v_fmac_f32_e32 v109, v73, v44
	v_mul_f32_e32 v45, v73, v45
	v_mul_f32_e32 v47, v75, v47
	v_fmac_f32_e32 v41, v71, v42
	v_fmac_f32_e32 v113, v75, v46
	;; [unrolled: 1-line block ×4, first 2 shown]
	v_fma_f32 v70, v70, v42, -v43
	v_fma_f32 v75, v78, v50, -v51
	;; [unrolled: 1-line block ×3, first 2 shown]
	v_pk_mul_f32 v[42:43], v[84:85], v[108:109] op_sel:[1,0] op_sel_hi:[0,0]
	v_pk_fma_f32 v[50:51], v[90:91], v[62:63], v[114:115] neg_lo:[0,0,1] neg_hi:[0,0,1]
	v_pk_fma_f32 v[52:53], v[90:91], v[62:63], v[114:115] op_sel_hi:[1,0,1]
	v_pk_fma_f32 v[62:63], v[94:95], v[66:67], v[118:119] op_sel_hi:[1,0,1]
	v_fma_f32 v72, v72, v44, -v45
	v_add_f32_e32 v41, 0, v41
	v_add_f32_e32 v62, 0, v70
	v_pk_fma_f32 v[70:71], v[84:85], v[56:57], v[42:43] neg_lo:[0,0,1] neg_hi:[0,0,1]
	v_pk_fma_f32 v[42:43], v[84:85], v[56:57], v[42:43] op_sel_hi:[1,0,1]
	v_mul_f32_e32 v117, v76, v49
	v_mul_f32_e32 v49, v77, v49
	v_fma_f32 v73, v74, v46, -v47
	v_add_f32_e32 v41, v41, v109
	v_add_f32_e32 v42, v62, v72
	v_fmac_f32_e32 v117, v77, v48
	v_fma_f32 v74, v76, v48, -v49
	v_add_f32_e32 v41, v41, v113
	v_add_f32_e32 v42, v42, v73
	;; [unrolled: 1-line block ×4, first 2 shown]
	v_mul_f32_e32 v107, v82, v55
	v_mul_f32_e32 v55, v83, v55
	v_mov_b32_e32 v71, v43
	v_add_f32_e32 v43, v41, v121
	v_add_f32_e32 v42, v42, v75
	v_pk_mul_f32 v[110:111], v[86:87], v[58:59] op_sel:[1,1] op_sel_hi:[0,1]
	v_mov_b32_e32 v112, v61
	v_fmac_f32_e32 v107, v83, v54
	v_fma_f32 v106, v82, v54, -v55
	v_pk_add_f32 v[42:43], v[42:43], v[104:105]
	v_pk_fma_f32 v[44:45], v[86:87], v[58:59], v[110:111] neg_lo:[0,0,1] neg_hi:[0,0,1]
	v_pk_fma_f32 v[46:47], v[86:87], v[58:59], v[110:111] op_sel_hi:[1,0,1]
	v_pk_mul_f32 v[48:49], v[88:89], v[112:113] op_sel:[1,0] op_sel_hi:[0,0]
	v_pk_add_f32 v[42:43], v[42:43], v[106:107]
	v_mov_b32_e32 v116, v65
	v_mov_b32_e32 v45, v47
	v_pk_fma_f32 v[46:47], v[88:89], v[60:61], v[48:49] neg_lo:[0,0,1] neg_hi:[0,0,1]
	v_pk_fma_f32 v[48:49], v[88:89], v[60:61], v[48:49] op_sel_hi:[1,0,1]
	v_pk_add_f32 v[42:43], v[42:43], v[70:71]
	v_pk_mul_f32 v[54:55], v[92:93], v[116:117] op_sel:[1,0] op_sel_hi:[0,0]
	v_mov_b32_e32 v47, v49
	v_pk_add_f32 v[42:43], v[42:43], v[44:45]
	v_mov_b32_e32 v120, v69
	v_mov_b32_e32 v51, v53
	v_pk_fma_f32 v[52:53], v[92:93], v[64:65], v[54:55] neg_lo:[0,0,1] neg_hi:[0,0,1]
	v_pk_fma_f32 v[54:55], v[92:93], v[64:65], v[54:55] op_sel_hi:[1,0,1]
	v_pk_add_f32 v[42:43], v[42:43], v[46:47]
	v_pk_fma_f32 v[58:59], v[94:95], v[66:67], v[118:119] neg_lo:[0,0,1] neg_hi:[0,0,1]
	v_pk_mul_f32 v[66:67], v[96:97], v[120:121] op_sel:[1,0] op_sel_hi:[0,0]
	v_mov_b32_e32 v53, v55
	v_pk_add_f32 v[42:43], v[42:43], v[50:51]
	v_mov_b32_e32 v59, v63
	v_pk_add_f32 v[42:43], v[42:43], v[52:53]
	v_pk_fma_f32 v[44:45], v[96:97], v[68:69], v[66:67] neg_lo:[0,0,1] neg_hi:[0,0,1]
	v_pk_fma_f32 v[46:47], v[96:97], v[68:69], v[66:67] op_sel_hi:[1,0,1]
	v_pk_add_f32 v[42:43], v[42:43], v[58:59]
	v_mov_b32_e32 v45, v47
	v_pk_add_f32 v[42:43], v[42:43], v[44:45]
	s_waitcnt vmcnt(1) lgkmcnt(0)
	v_pk_mul_f32 v[44:45], v[102:103], v[98:99] op_sel:[1,1] op_sel_hi:[0,1]
	v_pk_fma_f32 v[46:47], v[102:103], v[98:99], v[44:45] neg_lo:[0,0,1] neg_hi:[0,0,1]
	v_pk_fma_f32 v[44:45], v[102:103], v[98:99], v[44:45] op_sel_hi:[1,0,1]
	s_nop 0
	v_mov_b32_e32 v47, v45
	v_pk_add_f32 v[42:43], v[42:43], v[46:47]
	s_waitcnt vmcnt(0)
	v_pk_add_f32 v[42:43], v[100:101], v[42:43] neg_lo:[0,1] neg_hi:[0,1]
	scratch_store_dwordx2 off, v[42:43], off offset:24
	s_and_saveexec_b64 s[0:1], vcc
	s_cbranch_execz .LBB18_123
; %bb.122:
	scratch_load_dwordx2 v[42:43], off, off offset:16
	v_mov_b32_e32 v41, v40
	scratch_store_dwordx2 off, v[40:41], off offset:16
	s_waitcnt vmcnt(1)
	ds_write_b64 v1, v[42:43]
.LBB18_123:
	s_or_b64 exec, exec, s[0:1]
	s_waitcnt lgkmcnt(0)
	; wave barrier
	scratch_load_dwordx4 v[42:45], off, off offset:24
	scratch_load_dwordx4 v[46:49], off, off offset:40
	;; [unrolled: 1-line block ×7, first 2 shown]
	ds_read2_b64 v[70:73], v40 offset0:23 offset1:24
	ds_read2_b64 v[74:77], v40 offset0:25 offset1:26
	ds_read2_b64 v[78:81], v40 offset0:27 offset1:28
	ds_read2_b64 v[82:85], v40 offset0:29 offset1:30
	scratch_load_dwordx4 v[86:89], off, off offset:136
	ds_read2_b64 v[90:93], v40 offset0:31 offset1:32
	ds_read2_b64 v[94:97], v40 offset0:33 offset1:34
	;; [unrolled: 1-line block ×4, first 2 shown]
	scratch_load_dwordx2 v[40:41], off, off offset:16
	v_cmp_lt_u32_e32 vcc, 1, v0
	s_waitcnt vmcnt(8) lgkmcnt(7)
	v_mul_f32_e32 v113, v70, v43
	v_mul_f32_e32 v117, v72, v45
	s_waitcnt vmcnt(7) lgkmcnt(6)
	v_mul_f32_e32 v121, v74, v47
	v_mul_f32_e32 v122, v76, v49
	;; [unrolled: 3-line block ×3, first 2 shown]
	v_mul_f32_e32 v43, v71, v43
	v_mul_f32_e32 v45, v73, v45
	;; [unrolled: 1-line block ×6, first 2 shown]
	s_waitcnt vmcnt(4) lgkmcnt(3)
	v_pk_mul_f32 v[110:111], v[90:91], v[58:59] op_sel:[1,1] op_sel_hi:[0,1]
	v_mov_b32_e32 v112, v61
	s_waitcnt vmcnt(3) lgkmcnt(2)
	v_pk_mul_f32 v[114:115], v[94:95], v[62:63] op_sel:[1,1] op_sel_hi:[0,1]
	v_mov_b32_e32 v116, v65
	v_fmac_f32_e32 v113, v71, v42
	v_fmac_f32_e32 v117, v73, v44
	;; [unrolled: 1-line block ×6, first 2 shown]
	v_fma_f32 v70, v70, v42, -v43
	v_fma_f32 v71, v72, v44, -v45
	v_fma_f32 v72, v74, v46, -v47
	v_fma_f32 v73, v76, v48, -v49
	v_fma_f32 v74, v78, v50, -v51
	v_fma_f32 v75, v80, v52, -v53
	v_pk_fma_f32 v[42:43], v[90:91], v[58:59], v[110:111] neg_lo:[0,0,1] neg_hi:[0,0,1]
	v_pk_fma_f32 v[44:45], v[90:91], v[58:59], v[110:111] op_sel_hi:[1,0,1]
	v_pk_mul_f32 v[46:47], v[92:93], v[112:113] op_sel:[1,0] op_sel_hi:[0,0]
	v_pk_fma_f32 v[48:49], v[94:95], v[62:63], v[114:115] neg_lo:[0,0,1] neg_hi:[0,0,1]
	v_pk_fma_f32 v[50:51], v[94:95], v[62:63], v[114:115] op_sel_hi:[1,0,1]
	v_pk_mul_f32 v[52:53], v[96:97], v[116:117] op_sel:[1,0] op_sel_hi:[0,0]
	v_add_f32_e32 v62, 0, v113
	v_add_f32_e32 v63, 0, v70
	v_mov_b32_e32 v43, v45
	v_pk_fma_f32 v[44:45], v[92:93], v[60:61], v[46:47] neg_lo:[0,0,1] neg_hi:[0,0,1]
	v_pk_fma_f32 v[46:47], v[92:93], v[60:61], v[46:47] op_sel_hi:[1,0,1]
	v_mov_b32_e32 v49, v51
	v_pk_fma_f32 v[50:51], v[96:97], v[64:65], v[52:53] neg_lo:[0,0,1] neg_hi:[0,0,1]
	v_pk_fma_f32 v[52:53], v[96:97], v[64:65], v[52:53] op_sel_hi:[1,0,1]
	v_add_f32_e32 v46, v62, v117
	v_add_f32_e32 v52, v63, v71
	v_mov_b32_e32 v45, v47
	v_add_f32_e32 v46, v46, v121
	v_add_f32_e32 v47, v52, v72
	;; [unrolled: 1-line block ×4, first 2 shown]
	v_mul_f32_e32 v107, v82, v55
	v_mul_f32_e32 v55, v83, v55
	v_add_f32_e32 v46, v46, v123
	v_add_f32_e32 v52, v47, v74
	v_mul_f32_e32 v109, v84, v57
	v_mul_f32_e32 v57, v85, v57
	v_fmac_f32_e32 v107, v83, v54
	v_fma_f32 v106, v82, v54, -v55
	v_add_f32_e32 v47, v46, v124
	v_add_f32_e32 v46, v52, v75
	v_fmac_f32_e32 v109, v85, v56
	v_fma_f32 v108, v84, v56, -v57
	v_pk_add_f32 v[46:47], v[46:47], v[106:107]
	s_waitcnt vmcnt(2) lgkmcnt(1)
	v_pk_mul_f32 v[118:119], v[98:99], v[66:67] op_sel:[1,1] op_sel_hi:[0,1]
	v_mov_b32_e32 v120, v69
	v_pk_add_f32 v[46:47], v[46:47], v[108:109]
	v_pk_fma_f32 v[54:55], v[98:99], v[66:67], v[118:119] neg_lo:[0,0,1] neg_hi:[0,0,1]
	v_pk_fma_f32 v[56:57], v[98:99], v[66:67], v[118:119] op_sel_hi:[1,0,1]
	v_pk_mul_f32 v[58:59], v[100:101], v[120:121] op_sel:[1,0] op_sel_hi:[0,0]
	v_pk_add_f32 v[42:43], v[46:47], v[42:43]
	v_mov_b32_e32 v55, v57
	v_pk_fma_f32 v[56:57], v[100:101], v[68:69], v[58:59] neg_lo:[0,0,1] neg_hi:[0,0,1]
	v_pk_add_f32 v[42:43], v[42:43], v[44:45]
	v_pk_fma_f32 v[44:45], v[100:101], v[68:69], v[58:59] op_sel_hi:[1,0,1]
	v_mov_b32_e32 v51, v53
	v_pk_add_f32 v[42:43], v[42:43], v[48:49]
	v_mov_b32_e32 v57, v45
	s_waitcnt vmcnt(1) lgkmcnt(0)
	v_pk_mul_f32 v[44:45], v[102:103], v[86:87] op_sel:[1,1] op_sel_hi:[0,1]
	v_pk_add_f32 v[42:43], v[42:43], v[50:51]
	v_pk_fma_f32 v[46:47], v[102:103], v[86:87], v[44:45] neg_lo:[0,0,1] neg_hi:[0,0,1]
	v_pk_fma_f32 v[44:45], v[102:103], v[86:87], v[44:45] op_sel_hi:[1,0,1]
	v_pk_add_f32 v[42:43], v[42:43], v[54:55]
	v_mov_b32_e32 v44, v89
	v_pk_add_f32 v[42:43], v[42:43], v[56:57]
	v_mov_b32_e32 v47, v45
	v_pk_mul_f32 v[44:45], v[104:105], v[44:45] op_sel:[1,0] op_sel_hi:[0,0]
	v_pk_add_f32 v[42:43], v[42:43], v[46:47]
	v_pk_fma_f32 v[46:47], v[104:105], v[88:89], v[44:45] neg_lo:[0,0,1] neg_hi:[0,0,1]
	v_pk_fma_f32 v[44:45], v[104:105], v[88:89], v[44:45] op_sel_hi:[1,0,1]
	s_nop 0
	v_mov_b32_e32 v47, v45
	v_pk_add_f32 v[42:43], v[42:43], v[46:47]
	s_waitcnt vmcnt(0)
	v_pk_add_f32 v[40:41], v[40:41], v[42:43] neg_lo:[0,1] neg_hi:[0,1]
	scratch_store_dwordx2 off, v[40:41], off offset:16
	s_and_saveexec_b64 s[0:1], vcc
	s_cbranch_execz .LBB18_125
; %bb.124:
	scratch_load_dwordx2 v[40:41], off, off offset:8
	v_mov_b32_e32 v42, 0
	v_mov_b32_e32 v43, v42
	scratch_store_dwordx2 off, v[42:43], off offset:8
	s_waitcnt vmcnt(1)
	ds_write_b64 v1, v[40:41]
.LBB18_125:
	s_or_b64 exec, exec, s[0:1]
	s_waitcnt lgkmcnt(0)
	; wave barrier
	scratch_load_dwordx4 v[42:45], off, off offset:16
	scratch_load_dwordx4 v[46:49], off, off offset:32
	;; [unrolled: 1-line block ×8, first 2 shown]
	scratch_load_dwordx2 v[106:107], off, off offset:144
	scratch_load_dwordx2 v[108:109], off, off offset:8
	v_mov_b32_e32 v40, 0
	ds_read_b128 v[74:77], v40 offset:176
	ds_read_b128 v[78:81], v40 offset:192
	;; [unrolled: 1-line block ×8, first 2 shown]
	ds_read_b64 v[110:111], v40 offset:304
	v_cmp_ne_u32_e32 vcc, 0, v0
	s_waitcnt vmcnt(9) lgkmcnt(8)
	v_mul_f32_e32 v117, v76, v45
	v_mul_f32_e32 v41, v74, v43
	s_waitcnt vmcnt(8) lgkmcnt(7)
	v_mul_f32_e32 v121, v78, v47
	s_waitcnt vmcnt(7) lgkmcnt(6)
	v_mul_f32_e32 v125, v82, v51
	v_mul_f32_e32 v43, v75, v43
	;; [unrolled: 1-line block ×5, first 2 shown]
	s_waitcnt vmcnt(5)
	v_mov_b32_e32 v116, v61
	s_waitcnt vmcnt(3) lgkmcnt(2)
	v_pk_mul_f32 v[122:123], v[98:99], v[66:67] op_sel:[1,1] op_sel_hi:[0,1]
	v_fmac_f32_e32 v117, v77, v44
	v_mul_f32_e32 v124, v80, v49
	v_mul_f32_e32 v127, v86, v55
	;; [unrolled: 1-line block ×4, first 2 shown]
	v_fmac_f32_e32 v41, v75, v42
	v_fmac_f32_e32 v125, v83, v50
	v_fma_f32 v74, v74, v42, -v43
	v_fma_f32 v75, v76, v44, -v45
	;; [unrolled: 1-line block ×4, first 2 shown]
	v_pk_mul_f32 v[42:43], v[92:93], v[116:117] op_sel:[1,0] op_sel_hi:[0,0]
	v_pk_fma_f32 v[50:51], v[98:99], v[66:67], v[122:123] neg_lo:[0,0,1] neg_hi:[0,0,1]
	v_fmac_f32_e32 v127, v87, v54
	v_fma_f32 v77, v80, v48, -v49
	v_fma_f32 v80, v86, v54, -v55
	v_add_f32_e32 v41, 0, v41
	v_add_f32_e32 v51, 0, v74
	v_pk_fma_f32 v[54:55], v[92:93], v[60:61], v[42:43] neg_lo:[0,0,1] neg_hi:[0,0,1]
	v_pk_fma_f32 v[42:43], v[92:93], v[60:61], v[42:43] op_sel_hi:[1,0,1]
	v_fmac_f32_e32 v121, v79, v46
	v_add_f32_e32 v41, v41, v117
	v_add_f32_e32 v42, v51, v75
	v_fmac_f32_e32 v124, v81, v48
	v_add_f32_e32 v41, v41, v121
	v_add_f32_e32 v42, v42, v76
	v_mul_f32_e32 v126, v84, v53
	v_mul_f32_e32 v53, v85, v53
	v_add_f32_e32 v41, v41, v124
	v_add_f32_e32 v42, v42, v77
	v_fmac_f32_e32 v126, v85, v52
	v_fma_f32 v79, v84, v52, -v53
	v_add_f32_e32 v41, v41, v125
	v_add_f32_e32 v42, v42, v78
	v_mul_f32_e32 v113, v88, v57
	v_mul_f32_e32 v57, v89, v57
	v_add_f32_e32 v41, v41, v126
	v_add_f32_e32 v42, v42, v79
	v_mul_f32_e32 v115, v90, v59
	v_mul_f32_e32 v59, v91, v59
	v_fmac_f32_e32 v113, v89, v56
	v_fma_f32 v112, v88, v56, -v57
	v_mov_b32_e32 v55, v43
	v_add_f32_e32 v43, v41, v127
	v_add_f32_e32 v42, v42, v80
	v_pk_mul_f32 v[118:119], v[94:95], v[62:63] op_sel:[1,1] op_sel_hi:[0,1]
	v_fmac_f32_e32 v115, v91, v58
	v_fma_f32 v114, v90, v58, -v59
	v_pk_add_f32 v[42:43], v[42:43], v[112:113]
	v_mov_b32_e32 v120, v65
	v_pk_fma_f32 v[44:45], v[94:95], v[62:63], v[118:119] neg_lo:[0,0,1] neg_hi:[0,0,1]
	v_pk_fma_f32 v[46:47], v[94:95], v[62:63], v[118:119] op_sel_hi:[1,0,1]
	v_pk_add_f32 v[42:43], v[42:43], v[114:115]
	v_pk_mul_f32 v[48:49], v[96:97], v[120:121] op_sel:[1,0] op_sel_hi:[0,0]
	v_mov_b32_e32 v45, v47
	v_pk_add_f32 v[42:43], v[42:43], v[54:55]
	v_pk_fma_f32 v[46:47], v[96:97], v[64:65], v[48:49] neg_lo:[0,0,1] neg_hi:[0,0,1]
	v_pk_fma_f32 v[48:49], v[96:97], v[64:65], v[48:49] op_sel_hi:[1,0,1]
	v_pk_add_f32 v[42:43], v[42:43], v[44:45]
	v_mov_b32_e32 v44, v69
	v_pk_fma_f32 v[52:53], v[98:99], v[66:67], v[122:123] op_sel_hi:[1,0,1]
	v_mov_b32_e32 v47, v49
	v_pk_mul_f32 v[44:45], v[100:101], v[44:45] op_sel:[1,0] op_sel_hi:[0,0]
	v_pk_add_f32 v[42:43], v[42:43], v[46:47]
	v_mov_b32_e32 v51, v53
	v_pk_fma_f32 v[46:47], v[100:101], v[68:69], v[44:45] neg_lo:[0,0,1] neg_hi:[0,0,1]
	v_pk_fma_f32 v[44:45], v[100:101], v[68:69], v[44:45] op_sel_hi:[1,0,1]
	v_pk_add_f32 v[42:43], v[42:43], v[50:51]
	v_mov_b32_e32 v47, v45
	s_waitcnt vmcnt(2) lgkmcnt(1)
	v_pk_mul_f32 v[44:45], v[102:103], v[70:71] op_sel:[1,1] op_sel_hi:[0,1]
	v_pk_add_f32 v[42:43], v[42:43], v[46:47]
	v_pk_fma_f32 v[46:47], v[102:103], v[70:71], v[44:45] neg_lo:[0,0,1] neg_hi:[0,0,1]
	v_pk_fma_f32 v[44:45], v[102:103], v[70:71], v[44:45] op_sel_hi:[1,0,1]
	s_nop 0
	v_mov_b32_e32 v44, v73
	v_mov_b32_e32 v47, v45
	v_pk_mul_f32 v[44:45], v[104:105], v[44:45] op_sel:[1,0] op_sel_hi:[0,0]
	v_pk_add_f32 v[42:43], v[42:43], v[46:47]
	v_pk_fma_f32 v[46:47], v[104:105], v[72:73], v[44:45] neg_lo:[0,0,1] neg_hi:[0,0,1]
	v_pk_fma_f32 v[44:45], v[104:105], v[72:73], v[44:45] op_sel_hi:[1,0,1]
	s_nop 0
	v_mov_b32_e32 v47, v45
	s_waitcnt vmcnt(1) lgkmcnt(0)
	v_pk_mul_f32 v[44:45], v[110:111], v[106:107] op_sel:[1,1] op_sel_hi:[0,1]
	v_pk_add_f32 v[42:43], v[42:43], v[46:47]
	v_pk_fma_f32 v[46:47], v[110:111], v[106:107], v[44:45] neg_lo:[0,0,1] neg_hi:[0,0,1]
	v_pk_fma_f32 v[44:45], v[110:111], v[106:107], v[44:45] op_sel_hi:[1,0,1]
	s_nop 0
	v_mov_b32_e32 v47, v45
	v_pk_add_f32 v[42:43], v[42:43], v[46:47]
	s_waitcnt vmcnt(0)
	v_pk_add_f32 v[42:43], v[108:109], v[42:43] neg_lo:[0,1] neg_hi:[0,1]
	scratch_store_dwordx2 off, v[42:43], off offset:8
	s_and_saveexec_b64 s[0:1], vcc
	s_cbranch_execz .LBB18_127
; %bb.126:
	scratch_load_dwordx2 v[42:43], off, off
	v_mov_b32_e32 v41, v40
	scratch_store_dwordx2 off, v[40:41], off
	s_waitcnt vmcnt(1)
	ds_write_b64 v1, v[42:43]
.LBB18_127:
	s_or_b64 exec, exec, s[0:1]
	s_waitcnt lgkmcnt(0)
	; wave barrier
	scratch_load_dwordx4 v[42:45], off, off offset:8
	scratch_load_dwordx4 v[46:49], off, off offset:24
	;; [unrolled: 1-line block ×7, first 2 shown]
	ds_read2_b64 v[70:73], v40 offset0:21 offset1:22
	ds_read2_b64 v[74:77], v40 offset0:23 offset1:24
	;; [unrolled: 1-line block ×4, first 2 shown]
	scratch_load_dwordx4 v[86:89], off, off offset:120
	scratch_load_dwordx4 v[90:93], off, off offset:136
	ds_read2_b64 v[94:97], v40 offset0:29 offset1:30
	ds_read2_b64 v[98:101], v40 offset0:31 offset1:32
	;; [unrolled: 1-line block ×5, first 2 shown]
	scratch_load_dwordx2 v[0:1], off, off
	s_and_b64 vcc, exec, s[18:19]
	s_waitcnt vmcnt(9) lgkmcnt(8)
	v_mul_f32_e32 v119, v70, v43
	v_mul_f32_e32 v122, v72, v45
	s_waitcnt vmcnt(8) lgkmcnt(7)
	v_mul_f32_e32 v123, v74, v47
	v_mul_f32_e32 v124, v76, v49
	;; [unrolled: 3-line block ×3, first 2 shown]
	v_mul_f32_e32 v40, v71, v43
	v_mul_f32_e32 v43, v73, v45
	;; [unrolled: 1-line block ×6, first 2 shown]
	s_waitcnt vmcnt(4) lgkmcnt(3)
	v_pk_mul_f32 v[116:117], v[98:99], v[62:63] op_sel:[1,1] op_sel_hi:[0,1]
	v_mov_b32_e32 v118, v65
	s_waitcnt vmcnt(3) lgkmcnt(2)
	v_pk_mul_f32 v[120:121], v[102:103], v[66:67] op_sel:[1,1] op_sel_hi:[0,1]
	v_fmac_f32_e32 v119, v71, v42
	v_mul_f32_e32 v127, v82, v55
	v_mul_f32_e32 v128, v84, v57
	;; [unrolled: 1-line block ×8, first 2 shown]
	v_fmac_f32_e32 v122, v73, v44
	v_fmac_f32_e32 v123, v75, v46
	;; [unrolled: 1-line block ×4, first 2 shown]
	v_fma_f32 v61, v70, v42, -v40
	v_fma_f32 v70, v72, v44, -v43
	;; [unrolled: 1-line block ×6, first 2 shown]
	v_pk_fma_f32 v[42:43], v[98:99], v[62:63], v[116:117] neg_lo:[0,0,1] neg_hi:[0,0,1]
	v_pk_fma_f32 v[44:45], v[98:99], v[62:63], v[116:117] op_sel_hi:[1,0,1]
	v_pk_mul_f32 v[46:47], v[100:101], v[118:119] op_sel:[1,0] op_sel_hi:[0,0]
	v_pk_fma_f32 v[50:51], v[102:103], v[66:67], v[120:121] op_sel_hi:[1,0,1]
	v_fmac_f32_e32 v127, v83, v54
	v_fma_f32 v53, v82, v54, -v53
	v_fma_f32 v54, v84, v56, -v55
	v_add_f32_e32 v50, 0, v119
	v_add_f32_e32 v55, 0, v61
	v_mov_b32_e32 v43, v45
	v_pk_fma_f32 v[44:45], v[100:101], v[64:65], v[46:47] neg_lo:[0,0,1] neg_hi:[0,0,1]
	v_pk_fma_f32 v[46:47], v[100:101], v[64:65], v[46:47] op_sel_hi:[1,0,1]
	v_fmac_f32_e32 v124, v77, v48
	v_add_f32_e32 v46, v50, v122
	v_add_f32_e32 v50, v55, v70
	v_mov_b32_e32 v45, v47
	v_add_f32_e32 v46, v46, v123
	v_add_f32_e32 v47, v50, v71
	;; [unrolled: 1-line block ×8, first 2 shown]
	v_fmac_f32_e32 v128, v85, v56
	v_add_f32_e32 v46, v46, v127
	v_add_f32_e32 v50, v47, v53
	v_fmac_f32_e32 v41, v95, v58
	v_fma_f32 v40, v94, v58, -v57
	v_add_f32_e32 v47, v46, v128
	v_add_f32_e32 v46, v50, v54
	v_fmac_f32_e32 v115, v97, v60
	v_fma_f32 v114, v96, v60, -v59
	v_pk_add_f32 v[40:41], v[46:47], v[40:41]
	v_pk_fma_f32 v[48:49], v[102:103], v[66:67], v[120:121] neg_lo:[0,0,1] neg_hi:[0,0,1]
	v_pk_add_f32 v[40:41], v[40:41], v[114:115]
	v_mov_b32_e32 v49, v51
	v_pk_add_f32 v[40:41], v[40:41], v[42:43]
	v_mov_b32_e32 v42, v69
	v_pk_mul_f32 v[42:43], v[104:105], v[42:43] op_sel:[1,0] op_sel_hi:[0,0]
	v_pk_add_f32 v[40:41], v[40:41], v[44:45]
	v_pk_fma_f32 v[44:45], v[104:105], v[68:69], v[42:43] neg_lo:[0,0,1] neg_hi:[0,0,1]
	v_pk_fma_f32 v[42:43], v[104:105], v[68:69], v[42:43] op_sel_hi:[1,0,1]
	v_pk_add_f32 v[40:41], v[40:41], v[48:49]
	v_mov_b32_e32 v45, v43
	s_waitcnt vmcnt(2) lgkmcnt(1)
	v_pk_mul_f32 v[42:43], v[106:107], v[86:87] op_sel:[1,1] op_sel_hi:[0,1]
	v_pk_add_f32 v[40:41], v[40:41], v[44:45]
	v_pk_fma_f32 v[44:45], v[106:107], v[86:87], v[42:43] neg_lo:[0,0,1] neg_hi:[0,0,1]
	v_pk_fma_f32 v[42:43], v[106:107], v[86:87], v[42:43] op_sel_hi:[1,0,1]
	s_nop 0
	v_mov_b32_e32 v42, v89
	v_mov_b32_e32 v45, v43
	v_pk_mul_f32 v[42:43], v[108:109], v[42:43] op_sel:[1,0] op_sel_hi:[0,0]
	v_pk_add_f32 v[40:41], v[40:41], v[44:45]
	v_pk_fma_f32 v[44:45], v[108:109], v[88:89], v[42:43] neg_lo:[0,0,1] neg_hi:[0,0,1]
	v_pk_fma_f32 v[42:43], v[108:109], v[88:89], v[42:43] op_sel_hi:[1,0,1]
	s_nop 0
	v_mov_b32_e32 v45, v43
	s_waitcnt vmcnt(1) lgkmcnt(0)
	v_pk_mul_f32 v[42:43], v[110:111], v[90:91] op_sel:[1,1] op_sel_hi:[0,1]
	v_pk_add_f32 v[40:41], v[40:41], v[44:45]
	v_pk_fma_f32 v[44:45], v[110:111], v[90:91], v[42:43] neg_lo:[0,0,1] neg_hi:[0,0,1]
	v_pk_fma_f32 v[42:43], v[110:111], v[90:91], v[42:43] op_sel_hi:[1,0,1]
	s_nop 0
	v_mov_b32_e32 v42, v93
	v_mov_b32_e32 v45, v43
	v_pk_mul_f32 v[42:43], v[112:113], v[42:43] op_sel:[1,0] op_sel_hi:[0,0]
	v_pk_add_f32 v[40:41], v[40:41], v[44:45]
	v_pk_fma_f32 v[44:45], v[112:113], v[92:93], v[42:43] neg_lo:[0,0,1] neg_hi:[0,0,1]
	v_pk_fma_f32 v[42:43], v[112:113], v[92:93], v[42:43] op_sel_hi:[1,0,1]
	s_nop 0
	v_mov_b32_e32 v45, v43
	v_pk_add_f32 v[40:41], v[40:41], v[44:45]
	s_waitcnt vmcnt(0)
	v_pk_add_f32 v[0:1], v[0:1], v[40:41] neg_lo:[0,1] neg_hi:[0,1]
	scratch_store_dwordx2 off, v[0:1], off
	s_cbranch_vccz .LBB18_164
; %bb.128:
	v_mov_b32_e32 v0, 0
	global_load_dword v1, v0, s[16:17] offset:68
	s_waitcnt vmcnt(0)
	v_readfirstlane_b32 s0, v1
	s_add_i32 s0, s0, -1
	s_cmp_lg_u32 s0, 17
	s_cbranch_scc0 .LBB18_130
; %bb.129:
	s_lshl_b32 s0, s0, 3
	s_nop 0
	scratch_load_dwordx2 v[40:41], off, s0
	scratch_load_dwordx2 v[42:43], off, off offset:136
	s_waitcnt vmcnt(1)
	scratch_store_dwordx2 off, v[40:41], off offset:136
	s_waitcnt vmcnt(1)
	scratch_store_dwordx2 off, v[42:43], s0
.LBB18_130:
	global_load_dword v0, v0, s[16:17] offset:64
	s_waitcnt vmcnt(0)
	v_readfirstlane_b32 s0, v0
	s_add_i32 s0, s0, -1
	s_cmp_eq_u32 s0, 16
	s_cbranch_scc1 .LBB18_132
; %bb.131:
	s_lshl_b32 s0, s0, 3
	s_nop 0
	scratch_load_dwordx2 v[0:1], off, s0
	scratch_load_dwordx2 v[40:41], off, off offset:128
	s_waitcnt vmcnt(1)
	scratch_store_dwordx2 off, v[0:1], off offset:128
	s_waitcnt vmcnt(1)
	scratch_store_dwordx2 off, v[40:41], s0
.LBB18_132:
	v_mov_b32_e32 v0, 0
	global_load_dword v1, v0, s[16:17] offset:60
	s_waitcnt vmcnt(0)
	v_readfirstlane_b32 s0, v1
	s_add_i32 s0, s0, -1
	s_cmp_eq_u32 s0, 15
	s_cbranch_scc1 .LBB18_134
; %bb.133:
	s_lshl_b32 s0, s0, 3
	s_nop 0
	scratch_load_dwordx2 v[40:41], off, s0
	scratch_load_dwordx2 v[42:43], off, off offset:120
	s_waitcnt vmcnt(1)
	scratch_store_dwordx2 off, v[40:41], off offset:120
	s_waitcnt vmcnt(1)
	scratch_store_dwordx2 off, v[42:43], s0
.LBB18_134:
	global_load_dword v0, v0, s[16:17] offset:56
	s_waitcnt vmcnt(0)
	v_readfirstlane_b32 s0, v0
	s_add_i32 s0, s0, -1
	s_cmp_eq_u32 s0, 14
	s_cbranch_scc1 .LBB18_136
; %bb.135:
	s_lshl_b32 s0, s0, 3
	s_nop 0
	scratch_load_dwordx2 v[0:1], off, s0
	scratch_load_dwordx2 v[40:41], off, off offset:112
	s_waitcnt vmcnt(1)
	scratch_store_dwordx2 off, v[0:1], off offset:112
	s_waitcnt vmcnt(1)
	scratch_store_dwordx2 off, v[40:41], s0
.LBB18_136:
	v_mov_b32_e32 v0, 0
	global_load_dword v1, v0, s[16:17] offset:52
	s_waitcnt vmcnt(0)
	v_readfirstlane_b32 s0, v1
	s_add_i32 s0, s0, -1
	s_cmp_eq_u32 s0, 13
	s_cbranch_scc1 .LBB18_138
; %bb.137:
	s_lshl_b32 s0, s0, 3
	s_nop 0
	scratch_load_dwordx2 v[40:41], off, s0
	scratch_load_dwordx2 v[42:43], off, off offset:104
	s_waitcnt vmcnt(1)
	scratch_store_dwordx2 off, v[40:41], off offset:104
	s_waitcnt vmcnt(1)
	scratch_store_dwordx2 off, v[42:43], s0
.LBB18_138:
	;; [unrolled: 33-line block ×8, first 2 shown]
	global_load_dword v40, v0, s[16:17]
	s_nop 0
	scratch_load_dwordx2 v[0:1], off, off
	s_waitcnt vmcnt(1)
	v_readfirstlane_b32 s0, v40
	s_add_i32 s0, s0, -1
	s_cmp_eq_u32 s0, 0
	s_cbranch_scc1 .LBB18_164
; %bb.163:
	s_lshl_b32 s0, s0, 3
	s_nop 0
	scratch_load_dwordx2 v[40:41], off, s0
	s_waitcnt vmcnt(0)
	scratch_store_dwordx2 off, v[40:41], off
	scratch_store_dwordx2 off, v[0:1], s0
	scratch_load_dwordx2 v[0:1], off, off
.LBB18_164:
	s_nop 0
	scratch_load_dwordx4 v[40:43], off, off offset:8
	scratch_load_dwordx4 v[44:47], off, off offset:24
	scratch_load_dwordx4 v[48:51], off, off offset:40
	scratch_load_dwordx4 v[52:55], off, off offset:56
	scratch_load_dwordx4 v[56:59], off, off offset:72
	scratch_load_dwordx4 v[60:63], off, off offset:88
	scratch_load_dwordx4 v[64:67], off, off offset:104
	scratch_load_dwordx4 v[68:71], off, off offset:120
	scratch_load_dwordx4 v[72:75], off, off offset:136
	s_waitcnt vmcnt(9)
	global_store_dwordx2 v[2:3], v[0:1], off
	s_waitcnt vmcnt(9)
	global_store_dwordx2 v[4:5], v[40:41], off
	global_store_dwordx2 v[6:7], v[42:43], off
	s_waitcnt vmcnt(10)
	global_store_dwordx2 v[8:9], v[44:45], off
	;; [unrolled: 3-line block ×9, first 2 shown]
	global_store_dwordx2 v[38:39], v[74:75], off
	s_endpgm
	.section	.rodata,"a",@progbits
	.p2align	6, 0x0
	.amdhsa_kernel _ZN9rocsolver6v33100L18getri_kernel_smallILi19E19rocblas_complex_numIfEPS3_EEvT1_iilPiilS6_bb
		.amdhsa_group_segment_fixed_size 312
		.amdhsa_private_segment_fixed_size 160
		.amdhsa_kernarg_size 60
		.amdhsa_user_sgpr_count 2
		.amdhsa_user_sgpr_dispatch_ptr 0
		.amdhsa_user_sgpr_queue_ptr 0
		.amdhsa_user_sgpr_kernarg_segment_ptr 1
		.amdhsa_user_sgpr_dispatch_id 0
		.amdhsa_user_sgpr_kernarg_preload_length 0
		.amdhsa_user_sgpr_kernarg_preload_offset 0
		.amdhsa_user_sgpr_private_segment_size 0
		.amdhsa_uses_dynamic_stack 0
		.amdhsa_enable_private_segment 1
		.amdhsa_system_sgpr_workgroup_id_x 1
		.amdhsa_system_sgpr_workgroup_id_y 0
		.amdhsa_system_sgpr_workgroup_id_z 0
		.amdhsa_system_sgpr_workgroup_info 0
		.amdhsa_system_vgpr_workitem_id 0
		.amdhsa_next_free_vgpr 129
		.amdhsa_next_free_sgpr 20
		.amdhsa_accum_offset 132
		.amdhsa_reserve_vcc 1
		.amdhsa_float_round_mode_32 0
		.amdhsa_float_round_mode_16_64 0
		.amdhsa_float_denorm_mode_32 3
		.amdhsa_float_denorm_mode_16_64 3
		.amdhsa_dx10_clamp 1
		.amdhsa_ieee_mode 1
		.amdhsa_fp16_overflow 0
		.amdhsa_tg_split 0
		.amdhsa_exception_fp_ieee_invalid_op 0
		.amdhsa_exception_fp_denorm_src 0
		.amdhsa_exception_fp_ieee_div_zero 0
		.amdhsa_exception_fp_ieee_overflow 0
		.amdhsa_exception_fp_ieee_underflow 0
		.amdhsa_exception_fp_ieee_inexact 0
		.amdhsa_exception_int_div_zero 0
	.end_amdhsa_kernel
	.section	.text._ZN9rocsolver6v33100L18getri_kernel_smallILi19E19rocblas_complex_numIfEPS3_EEvT1_iilPiilS6_bb,"axG",@progbits,_ZN9rocsolver6v33100L18getri_kernel_smallILi19E19rocblas_complex_numIfEPS3_EEvT1_iilPiilS6_bb,comdat
.Lfunc_end18:
	.size	_ZN9rocsolver6v33100L18getri_kernel_smallILi19E19rocblas_complex_numIfEPS3_EEvT1_iilPiilS6_bb, .Lfunc_end18-_ZN9rocsolver6v33100L18getri_kernel_smallILi19E19rocblas_complex_numIfEPS3_EEvT1_iilPiilS6_bb
                                        ; -- End function
	.set _ZN9rocsolver6v33100L18getri_kernel_smallILi19E19rocblas_complex_numIfEPS3_EEvT1_iilPiilS6_bb.num_vgpr, 129
	.set _ZN9rocsolver6v33100L18getri_kernel_smallILi19E19rocblas_complex_numIfEPS3_EEvT1_iilPiilS6_bb.num_agpr, 0
	.set _ZN9rocsolver6v33100L18getri_kernel_smallILi19E19rocblas_complex_numIfEPS3_EEvT1_iilPiilS6_bb.numbered_sgpr, 20
	.set _ZN9rocsolver6v33100L18getri_kernel_smallILi19E19rocblas_complex_numIfEPS3_EEvT1_iilPiilS6_bb.num_named_barrier, 0
	.set _ZN9rocsolver6v33100L18getri_kernel_smallILi19E19rocblas_complex_numIfEPS3_EEvT1_iilPiilS6_bb.private_seg_size, 160
	.set _ZN9rocsolver6v33100L18getri_kernel_smallILi19E19rocblas_complex_numIfEPS3_EEvT1_iilPiilS6_bb.uses_vcc, 1
	.set _ZN9rocsolver6v33100L18getri_kernel_smallILi19E19rocblas_complex_numIfEPS3_EEvT1_iilPiilS6_bb.uses_flat_scratch, 0
	.set _ZN9rocsolver6v33100L18getri_kernel_smallILi19E19rocblas_complex_numIfEPS3_EEvT1_iilPiilS6_bb.has_dyn_sized_stack, 0
	.set _ZN9rocsolver6v33100L18getri_kernel_smallILi19E19rocblas_complex_numIfEPS3_EEvT1_iilPiilS6_bb.has_recursion, 0
	.set _ZN9rocsolver6v33100L18getri_kernel_smallILi19E19rocblas_complex_numIfEPS3_EEvT1_iilPiilS6_bb.has_indirect_call, 0
	.section	.AMDGPU.csdata,"",@progbits
; Kernel info:
; codeLenInByte = 16328
; TotalNumSgprs: 26
; NumVgprs: 129
; NumAgprs: 0
; TotalNumVgprs: 129
; ScratchSize: 160
; MemoryBound: 0
; FloatMode: 240
; IeeeMode: 1
; LDSByteSize: 312 bytes/workgroup (compile time only)
; SGPRBlocks: 3
; VGPRBlocks: 16
; NumSGPRsForWavesPerEU: 26
; NumVGPRsForWavesPerEU: 129
; AccumOffset: 132
; Occupancy: 3
; WaveLimiterHint : 1
; COMPUTE_PGM_RSRC2:SCRATCH_EN: 1
; COMPUTE_PGM_RSRC2:USER_SGPR: 2
; COMPUTE_PGM_RSRC2:TRAP_HANDLER: 0
; COMPUTE_PGM_RSRC2:TGID_X_EN: 1
; COMPUTE_PGM_RSRC2:TGID_Y_EN: 0
; COMPUTE_PGM_RSRC2:TGID_Z_EN: 0
; COMPUTE_PGM_RSRC2:TIDIG_COMP_CNT: 0
; COMPUTE_PGM_RSRC3_GFX90A:ACCUM_OFFSET: 32
; COMPUTE_PGM_RSRC3_GFX90A:TG_SPLIT: 0
	.section	.text._ZN9rocsolver6v33100L18getri_kernel_smallILi20E19rocblas_complex_numIfEPS3_EEvT1_iilPiilS6_bb,"axG",@progbits,_ZN9rocsolver6v33100L18getri_kernel_smallILi20E19rocblas_complex_numIfEPS3_EEvT1_iilPiilS6_bb,comdat
	.globl	_ZN9rocsolver6v33100L18getri_kernel_smallILi20E19rocblas_complex_numIfEPS3_EEvT1_iilPiilS6_bb ; -- Begin function _ZN9rocsolver6v33100L18getri_kernel_smallILi20E19rocblas_complex_numIfEPS3_EEvT1_iilPiilS6_bb
	.p2align	8
	.type	_ZN9rocsolver6v33100L18getri_kernel_smallILi20E19rocblas_complex_numIfEPS3_EEvT1_iilPiilS6_bb,@function
_ZN9rocsolver6v33100L18getri_kernel_smallILi20E19rocblas_complex_numIfEPS3_EEvT1_iilPiilS6_bb: ; @_ZN9rocsolver6v33100L18getri_kernel_smallILi20E19rocblas_complex_numIfEPS3_EEvT1_iilPiilS6_bb
; %bb.0:
	v_cmp_gt_u32_e32 vcc, 20, v0
	s_and_saveexec_b64 s[4:5], vcc
	s_cbranch_execz .LBB19_94
; %bb.1:
	s_load_dword s8, s[0:1], 0x38
	s_load_dwordx4 s[12:15], s[0:1], 0x10
	s_load_dwordx4 s[4:7], s[0:1], 0x28
                                        ; implicit-def: $sgpr16_sgpr17
	s_waitcnt lgkmcnt(0)
	s_bitcmp1_b32 s8, 8
	s_cselect_b64 s[18:19], -1, 0
	s_ashr_i32 s3, s2, 31
	s_bfe_u32 s8, s8, 0x10008
	s_cmp_eq_u32 s8, 0
	s_cbranch_scc1 .LBB19_3
; %bb.2:
	s_load_dword s8, s[0:1], 0x20
	s_mul_i32 s9, s4, s3
	s_mul_hi_u32 s10, s4, s2
	s_mul_i32 s5, s5, s2
	s_add_i32 s10, s10, s9
	s_add_i32 s5, s10, s5
	s_mul_i32 s4, s4, s2
	s_waitcnt lgkmcnt(0)
	s_ashr_i32 s9, s8, 31
	s_lshl_b64 s[4:5], s[4:5], 2
	s_add_u32 s10, s14, s4
	s_addc_u32 s11, s15, s5
	s_lshl_b64 s[4:5], s[8:9], 2
	s_add_u32 s16, s10, s4
	s_addc_u32 s17, s11, s5
.LBB19_3:
	s_load_dwordx4 s[8:11], s[0:1], 0x0
	s_load_dword s4, s[0:1], 0x38
	s_mul_i32 s5, s12, s3
	s_mul_hi_u32 s14, s12, s2
	s_add_i32 s5, s14, s5
	s_waitcnt lgkmcnt(0)
	s_ashr_i32 s1, s10, 31
	s_mov_b32 s0, s10
	s_mul_i32 s10, s13, s2
	s_add_i32 s13, s5, s10
	s_mul_i32 s12, s12, s2
	s_lshl_b64 s[12:13], s[12:13], 3
	s_add_u32 s5, s8, s12
	s_addc_u32 s8, s9, s13
	s_lshl_b64 s[0:1], s[0:1], 3
	s_add_u32 s0, s5, s0
	s_addc_u32 s1, s8, s1
	s_add_i32 s5, s11, s11
	v_add_u32_e32 v8, s5, v0
	v_add_u32_e32 v10, s11, v8
	;; [unrolled: 1-line block ×17, first 2 shown]
	v_lshlrev_b32_e32 v42, 3, v0
	v_mov_b32_e32 v43, 0
	v_ashrrev_i32_e32 v9, 31, v8
	v_ashrrev_i32_e32 v11, 31, v10
	;; [unrolled: 1-line block ×17, first 2 shown]
	v_lshl_add_u64 v[2:3], s[0:1], 0, v[42:43]
	s_ashr_i32 s9, s11, 31
	s_mov_b32 s8, s11
	v_lshl_add_u64 v[6:7], v[8:9], 3, s[0:1]
	v_lshl_add_u64 v[8:9], v[10:11], 3, s[0:1]
	;; [unrolled: 1-line block ×17, first 2 shown]
	v_add_u32_e32 v40, s11, v40
	v_lshl_add_u64 v[4:5], s[8:9], 3, v[2:3]
	v_ashrrev_i32_e32 v41, 31, v40
	global_load_dwordx2 v[44:45], v42, s[0:1]
	global_load_dwordx2 v[46:47], v[4:5], off
	global_load_dwordx2 v[48:49], v[6:7], off
	;; [unrolled: 1-line block ×16, first 2 shown]
	v_lshl_add_u64 v[40:41], v[40:41], 3, s[0:1]
	global_load_dwordx2 v[78:79], v[36:37], off
	global_load_dwordx2 v[80:81], v[38:39], off
	;; [unrolled: 1-line block ×3, first 2 shown]
	s_bitcmp0_b32 s4, 0
	s_mov_b64 s[4:5], -1
	s_waitcnt vmcnt(18)
	scratch_store_dwordx4 off, v[44:47], off
	s_waitcnt vmcnt(17)
	scratch_store_dwordx4 off, v[48:51], off offset:16
	s_waitcnt vmcnt(16)
	scratch_store_dwordx4 off, v[52:55], off offset:32
	;; [unrolled: 2-line block ×9, first 2 shown]
	s_cbranch_scc1 .LBB19_92
; %bb.4:
	v_cmp_eq_u32_e64 s[0:1], 0, v0
	s_and_saveexec_b64 s[4:5], s[0:1]
; %bb.5:
	v_mov_b32_e32 v1, 0
	ds_write_b32 v1, v1 offset:320
; %bb.6:
	s_or_b64 exec, exec, s[4:5]
	s_waitcnt lgkmcnt(0)
	; wave barrier
	scratch_load_dwordx2 v[44:45], v42, off
	s_waitcnt vmcnt(0)
	v_cmp_eq_f32_e32 vcc, 0, v44
	v_cmp_eq_f32_e64 s[4:5], 0, v45
	s_and_b64 s[4:5], vcc, s[4:5]
	s_and_saveexec_b64 s[8:9], s[4:5]
	s_cbranch_execz .LBB19_10
; %bb.7:
	v_mov_b32_e32 v1, 0
	ds_read_b32 v44, v1 offset:320
	v_add_u32_e32 v43, 1, v0
	s_waitcnt lgkmcnt(0)
	v_readfirstlane_b32 s4, v44
	s_cmp_eq_u32 s4, 0
	s_cselect_b64 s[10:11], -1, 0
	v_cmp_gt_i32_e32 vcc, s4, v43
	s_or_b64 s[10:11], s[10:11], vcc
	s_and_b64 exec, exec, s[10:11]
	s_cbranch_execz .LBB19_10
; %bb.8:
	s_mov_b64 s[10:11], 0
	v_mov_b32_e32 v44, s4
.LBB19_9:                               ; =>This Inner Loop Header: Depth=1
	ds_cmpst_rtn_b32 v44, v1, v44, v43 offset:320
	s_waitcnt lgkmcnt(0)
	v_cmp_ne_u32_e32 vcc, 0, v44
	v_cmp_le_i32_e64 s[4:5], v44, v43
	s_and_b64 s[4:5], vcc, s[4:5]
	s_and_b64 s[4:5], exec, s[4:5]
	s_or_b64 s[10:11], s[4:5], s[10:11]
	s_andn2_b64 exec, exec, s[10:11]
	s_cbranch_execnz .LBB19_9
.LBB19_10:
	s_or_b64 exec, exec, s[8:9]
	v_mov_b32_e32 v43, 0
	; wave barrier
	ds_read_b32 v1, v43 offset:320
	s_and_saveexec_b64 s[4:5], s[0:1]
	s_cbranch_execz .LBB19_12
; %bb.11:
	s_lshl_b64 s[8:9], s[2:3], 2
	s_add_u32 s8, s6, s8
	s_addc_u32 s9, s7, s9
	s_waitcnt lgkmcnt(0)
	global_store_dword v43, v1, s[8:9]
.LBB19_12:
	s_or_b64 exec, exec, s[4:5]
	s_waitcnt lgkmcnt(0)
	v_cmp_ne_u32_e32 vcc, 0, v1
	s_mov_b64 s[4:5], 0
	s_cbranch_vccnz .LBB19_92
; %bb.13:
	v_mov_b32_e32 v43, v42
	scratch_load_dwordx2 v[44:45], v43, off
                                        ; implicit-def: $vgpr47
                                        ; implicit-def: $vgpr48
	s_waitcnt vmcnt(0)
	v_cmp_ngt_f32_e64 s[4:5], |v44|, |v45|
	s_and_saveexec_b64 s[8:9], s[4:5]
	s_xor_b64 s[4:5], exec, s[8:9]
	s_cbranch_execz .LBB19_15
; %bb.14:
	v_div_scale_f32 v1, s[8:9], v45, v45, v44
	v_rcp_f32_e32 v46, v1
	v_div_scale_f32 v47, vcc, v44, v45, v44
	v_fma_f32 v48, -v1, v46, 1.0
	v_fmac_f32_e32 v46, v48, v46
	v_mul_f32_e32 v48, v47, v46
	v_fma_f32 v49, -v1, v48, v47
	v_fmac_f32_e32 v48, v49, v46
	v_fma_f32 v1, -v1, v48, v47
	v_div_fmas_f32 v1, v1, v46, v48
	v_div_fixup_f32 v1, v1, v45, v44
	v_fmac_f32_e32 v45, v44, v1
	v_div_scale_f32 v44, s[8:9], v45, v45, -1.0
	v_rcp_f32_e32 v46, v44
	s_nop 0
	v_fma_f32 v47, -v44, v46, 1.0
	v_fmac_f32_e32 v46, v47, v46
	v_div_scale_f32 v47, vcc, -1.0, v45, -1.0
	v_mul_f32_e32 v48, v47, v46
	v_fma_f32 v49, -v44, v48, v47
	v_fmac_f32_e32 v48, v49, v46
	v_fma_f32 v44, -v44, v48, v47
	v_div_fmas_f32 v44, v44, v46, v48
	v_div_fixup_f32 v47, v44, v45, -1.0
	v_mul_f32_e32 v48, v1, v47
	v_xor_b32_e32 v46, 0x80000000, v48
                                        ; implicit-def: $vgpr44_vgpr45
.LBB19_15:
	s_andn2_saveexec_b64 s[4:5], s[4:5]
	s_cbranch_execz .LBB19_17
; %bb.16:
	v_div_scale_f32 v1, s[8:9], v44, v44, v45
	v_rcp_f32_e32 v46, v1
	v_div_scale_f32 v47, vcc, v45, v44, v45
	v_fma_f32 v48, -v1, v46, 1.0
	v_fmac_f32_e32 v46, v48, v46
	v_mul_f32_e32 v48, v47, v46
	v_fma_f32 v49, -v1, v48, v47
	v_fmac_f32_e32 v48, v49, v46
	v_fma_f32 v1, -v1, v48, v47
	v_div_fmas_f32 v1, v1, v46, v48
	v_div_fixup_f32 v1, v1, v44, v45
	v_fmac_f32_e32 v44, v45, v1
	v_div_scale_f32 v45, s[8:9], v44, v44, 1.0
	v_rcp_f32_e32 v46, v45
	s_nop 0
	v_fma_f32 v47, -v45, v46, 1.0
	v_fmac_f32_e32 v46, v47, v46
	v_div_scale_f32 v47, vcc, 1.0, v44, 1.0
	v_mul_f32_e32 v48, v47, v46
	v_fma_f32 v49, -v45, v48, v47
	v_fmac_f32_e32 v48, v49, v46
	v_fma_f32 v45, -v45, v48, v47
	v_div_fmas_f32 v45, v45, v46, v48
	v_div_fixup_f32 v46, v45, v44, 1.0
	v_xor_b32_e32 v48, 0x80000000, v46
	v_mul_f32_e64 v47, v1, -v46
.LBB19_17:
	s_or_b64 exec, exec, s[4:5]
	scratch_store_dwordx2 v43, v[46:47], off
	scratch_load_dwordx2 v[44:45], off, off offset:8
	v_xor_b32_e32 v49, 0x80000000, v47
	v_add_u32_e32 v1, 0xa0, v42
	s_waitcnt vmcnt(0)
	ds_write2_b64 v42, v[48:49], v[44:45] offset1:20
	s_waitcnt lgkmcnt(0)
	; wave barrier
	s_and_saveexec_b64 s[4:5], s[0:1]
	s_cbranch_execz .LBB19_19
; %bb.18:
	scratch_load_dwordx2 v[44:45], v43, off
	ds_read_b64 v[46:47], v1
	v_mov_b32_e32 v48, 0
	ds_read_b64 v[48:49], v48 offset:8
	s_waitcnt vmcnt(0) lgkmcnt(1)
	v_pk_mul_f32 v[50:51], v[46:47], v[44:45] op_sel:[1,1] op_sel_hi:[0,1]
	v_pk_fma_f32 v[52:53], v[46:47], v[44:45], v[50:51] neg_lo:[0,0,1] neg_hi:[0,0,1]
	v_pk_fma_f32 v[44:45], v[46:47], v[44:45], v[50:51] op_sel_hi:[1,0,1]
	s_nop 0
	v_mov_b32_e32 v53, v45
	v_pk_add_f32 v[44:45], v[52:53], 0 op_sel_hi:[1,0]
	s_waitcnt lgkmcnt(0)
	v_pk_mul_f32 v[46:47], v[44:45], v[48:49] op_sel:[1,1] op_sel_hi:[0,1]
	v_pk_fma_f32 v[50:51], v[44:45], v[48:49], v[46:47] neg_lo:[0,0,1] neg_hi:[0,0,1]
	v_pk_fma_f32 v[44:45], v[44:45], v[48:49], v[46:47] op_sel_hi:[1,0,1]
	s_nop 0
	v_mov_b32_e32 v51, v45
	scratch_store_dwordx2 off, v[50:51], off offset:8
.LBB19_19:
	s_or_b64 exec, exec, s[4:5]
	; wave barrier
	scratch_load_dwordx2 v[44:45], off, off offset:16
	v_cmp_gt_u32_e32 vcc, 2, v0
	s_waitcnt vmcnt(0)
	ds_write_b64 v1, v[44:45]
	s_waitcnt lgkmcnt(0)
	; wave barrier
	s_and_saveexec_b64 s[4:5], vcc
	s_cbranch_execz .LBB19_23
; %bb.20:
	scratch_load_dwordx2 v[44:45], v43, off
	ds_read_b64 v[46:47], v1
	s_waitcnt vmcnt(0) lgkmcnt(0)
	v_pk_mul_f32 v[48:49], v[46:47], v[44:45] op_sel:[1,1] op_sel_hi:[0,1]
	v_pk_fma_f32 v[50:51], v[46:47], v[44:45], v[48:49] neg_lo:[0,0,1] neg_hi:[0,0,1]
	v_pk_fma_f32 v[44:45], v[46:47], v[44:45], v[48:49] op_sel_hi:[1,0,1]
	s_nop 0
	v_mov_b32_e32 v51, v45
	v_pk_add_f32 v[44:45], v[50:51], 0 op_sel_hi:[1,0]
	s_and_saveexec_b64 s[8:9], s[0:1]
	s_cbranch_execz .LBB19_22
; %bb.21:
	scratch_load_dwordx2 v[46:47], off, off offset:8
	v_mov_b32_e32 v43, 0
	ds_read_b64 v[48:49], v43 offset:168
	s_waitcnt vmcnt(0) lgkmcnt(0)
	v_pk_mul_f32 v[50:51], v[48:49], v[46:47] op_sel:[1,1] op_sel_hi:[0,1]
	v_pk_fma_f32 v[52:53], v[48:49], v[46:47], v[50:51] neg_lo:[0,0,1] neg_hi:[0,0,1]
	v_pk_fma_f32 v[46:47], v[48:49], v[46:47], v[50:51] op_sel_hi:[1,0,1]
	s_nop 0
	v_mov_b32_e32 v53, v47
	v_pk_add_f32 v[44:45], v[44:45], v[52:53]
.LBB19_22:
	s_or_b64 exec, exec, s[8:9]
	v_mov_b32_e32 v43, 0
	ds_read_b64 v[46:47], v43 offset:16
	s_waitcnt lgkmcnt(0)
	v_pk_mul_f32 v[48:49], v[44:45], v[46:47] op_sel:[1,1] op_sel_hi:[0,1]
	v_pk_fma_f32 v[50:51], v[44:45], v[46:47], v[48:49] neg_lo:[0,0,1] neg_hi:[0,0,1]
	v_pk_fma_f32 v[44:45], v[44:45], v[46:47], v[48:49] op_sel_hi:[1,0,1]
	s_nop 0
	v_mov_b32_e32 v51, v45
	scratch_store_dwordx2 off, v[50:51], off offset:16
.LBB19_23:
	s_or_b64 exec, exec, s[4:5]
	; wave barrier
	scratch_load_dwordx2 v[44:45], off, off offset:24
	v_cmp_gt_u32_e32 vcc, 3, v0
	v_add_u32_e32 v46, -1, v0
	s_waitcnt vmcnt(0)
	ds_write_b64 v1, v[44:45]
	s_waitcnt lgkmcnt(0)
	; wave barrier
	s_and_saveexec_b64 s[0:1], vcc
	s_cbranch_execz .LBB19_27
; %bb.24:
	v_mov_b32_e32 v44, 0
	v_add_u32_e32 v43, -1, v0
	v_add_u32_e32 v47, 0xa0, v42
	v_mov_b32_e32 v48, v42
	s_mov_b64 s[4:5], 0
	v_mov_b32_e32 v45, v44
.LBB19_25:                              ; =>This Inner Loop Header: Depth=1
	scratch_load_dwordx2 v[50:51], v48, off
	ds_read_b64 v[52:53], v47
	v_add_u32_e32 v43, 1, v43
	v_cmp_lt_u32_e32 vcc, 1, v43
	v_add_u32_e32 v47, 8, v47
	v_add_u32_e32 v48, 8, v48
	s_or_b64 s[4:5], vcc, s[4:5]
	s_waitcnt vmcnt(0) lgkmcnt(0)
	v_pk_mul_f32 v[54:55], v[52:53], v[50:51] op_sel:[1,1] op_sel_hi:[0,1]
	v_pk_fma_f32 v[56:57], v[52:53], v[50:51], v[54:55] neg_lo:[0,0,1] neg_hi:[0,0,1]
	v_pk_fma_f32 v[50:51], v[52:53], v[50:51], v[54:55] op_sel_hi:[1,0,1]
	s_nop 0
	v_mov_b32_e32 v57, v51
	v_pk_add_f32 v[44:45], v[44:45], v[56:57]
	s_andn2_b64 exec, exec, s[4:5]
	s_cbranch_execnz .LBB19_25
; %bb.26:
	s_or_b64 exec, exec, s[4:5]
	v_mov_b32_e32 v43, 0
	ds_read_b64 v[48:49], v43 offset:24
	s_waitcnt lgkmcnt(0)
	v_pk_mul_f32 v[50:51], v[44:45], v[48:49] op_sel:[1,1] op_sel_hi:[0,1]
	v_pk_fma_f32 v[52:53], v[44:45], v[48:49], v[50:51] neg_lo:[0,0,1] neg_hi:[0,0,1]
	v_pk_fma_f32 v[44:45], v[44:45], v[48:49], v[50:51] op_sel_hi:[1,0,1]
	s_nop 0
	v_mov_b32_e32 v53, v45
	scratch_store_dwordx2 off, v[52:53], off offset:24
.LBB19_27:
	s_or_b64 exec, exec, s[0:1]
	; wave barrier
	scratch_load_dwordx2 v[44:45], off, off offset:32
	v_cmp_gt_u32_e32 vcc, 4, v0
	s_waitcnt vmcnt(0)
	ds_write_b64 v1, v[44:45]
	s_waitcnt lgkmcnt(0)
	; wave barrier
	s_and_saveexec_b64 s[0:1], vcc
	s_cbranch_execz .LBB19_31
; %bb.28:
	v_mov_b32_e32 v44, 0
	v_add_u32_e32 v43, -1, v0
	v_add_u32_e32 v47, 0xa0, v42
	v_mov_b32_e32 v48, v42
	s_mov_b64 s[4:5], 0
	v_mov_b32_e32 v45, v44
.LBB19_29:                              ; =>This Inner Loop Header: Depth=1
	scratch_load_dwordx2 v[50:51], v48, off
	ds_read_b64 v[52:53], v47
	v_add_u32_e32 v43, 1, v43
	v_cmp_lt_u32_e32 vcc, 2, v43
	v_add_u32_e32 v47, 8, v47
	v_add_u32_e32 v48, 8, v48
	s_or_b64 s[4:5], vcc, s[4:5]
	s_waitcnt vmcnt(0) lgkmcnt(0)
	v_pk_mul_f32 v[54:55], v[52:53], v[50:51] op_sel:[1,1] op_sel_hi:[0,1]
	v_pk_fma_f32 v[56:57], v[52:53], v[50:51], v[54:55] neg_lo:[0,0,1] neg_hi:[0,0,1]
	v_pk_fma_f32 v[50:51], v[52:53], v[50:51], v[54:55] op_sel_hi:[1,0,1]
	s_nop 0
	v_mov_b32_e32 v57, v51
	v_pk_add_f32 v[44:45], v[44:45], v[56:57]
	s_andn2_b64 exec, exec, s[4:5]
	s_cbranch_execnz .LBB19_29
; %bb.30:
	s_or_b64 exec, exec, s[4:5]
	v_mov_b32_e32 v43, 0
	ds_read_b64 v[48:49], v43 offset:32
	s_waitcnt lgkmcnt(0)
	v_pk_mul_f32 v[50:51], v[44:45], v[48:49] op_sel:[1,1] op_sel_hi:[0,1]
	v_pk_fma_f32 v[52:53], v[44:45], v[48:49], v[50:51] neg_lo:[0,0,1] neg_hi:[0,0,1]
	v_pk_fma_f32 v[44:45], v[44:45], v[48:49], v[50:51] op_sel_hi:[1,0,1]
	s_nop 0
	v_mov_b32_e32 v53, v45
	scratch_store_dwordx2 off, v[52:53], off offset:32
.LBB19_31:
	s_or_b64 exec, exec, s[0:1]
	; wave barrier
	scratch_load_dwordx2 v[44:45], off, off offset:40
	v_cmp_gt_u32_e32 vcc, 5, v0
	;; [unrolled: 46-line block ×15, first 2 shown]
	s_waitcnt vmcnt(0)
	ds_write_b64 v1, v[44:45]
	s_waitcnt lgkmcnt(0)
	; wave barrier
	s_and_saveexec_b64 s[0:1], vcc
	s_cbranch_execz .LBB19_87
; %bb.84:
	v_mov_b32_e32 v44, 0
	v_add_u32_e32 v43, -1, v0
	v_add_u32_e32 v47, 0xa0, v42
	v_mov_b32_e32 v48, v42
	s_mov_b64 s[4:5], 0
	v_mov_b32_e32 v45, v44
.LBB19_85:                              ; =>This Inner Loop Header: Depth=1
	scratch_load_dwordx2 v[50:51], v48, off
	ds_read_b64 v[52:53], v47
	v_add_u32_e32 v43, 1, v43
	v_cmp_lt_u32_e32 vcc, 16, v43
	v_add_u32_e32 v47, 8, v47
	v_add_u32_e32 v48, 8, v48
	s_or_b64 s[4:5], vcc, s[4:5]
	s_waitcnt vmcnt(0) lgkmcnt(0)
	v_pk_mul_f32 v[54:55], v[52:53], v[50:51] op_sel:[1,1] op_sel_hi:[0,1]
	v_pk_fma_f32 v[56:57], v[52:53], v[50:51], v[54:55] neg_lo:[0,0,1] neg_hi:[0,0,1]
	v_pk_fma_f32 v[50:51], v[52:53], v[50:51], v[54:55] op_sel_hi:[1,0,1]
	s_nop 0
	v_mov_b32_e32 v57, v51
	v_pk_add_f32 v[44:45], v[44:45], v[56:57]
	s_andn2_b64 exec, exec, s[4:5]
	s_cbranch_execnz .LBB19_85
; %bb.86:
	s_or_b64 exec, exec, s[4:5]
	v_mov_b32_e32 v43, 0
	ds_read_b64 v[48:49], v43 offset:144
	s_waitcnt lgkmcnt(0)
	v_pk_mul_f32 v[50:51], v[44:45], v[48:49] op_sel:[1,1] op_sel_hi:[0,1]
	v_pk_fma_f32 v[52:53], v[44:45], v[48:49], v[50:51] neg_lo:[0,0,1] neg_hi:[0,0,1]
	v_pk_fma_f32 v[44:45], v[44:45], v[48:49], v[50:51] op_sel_hi:[1,0,1]
	s_nop 0
	v_mov_b32_e32 v53, v45
	scratch_store_dwordx2 off, v[52:53], off offset:144
.LBB19_87:
	s_or_b64 exec, exec, s[0:1]
	; wave barrier
	scratch_load_dwordx2 v[44:45], off, off offset:152
	v_cmp_ne_u32_e32 vcc, 19, v0
	s_waitcnt vmcnt(0)
	ds_write_b64 v1, v[44:45]
	s_waitcnt lgkmcnt(0)
	; wave barrier
	s_and_saveexec_b64 s[0:1], vcc
	s_cbranch_execz .LBB19_91
; %bb.88:
	v_add_u32_e32 v1, 0xa0, v42
	v_mov_b32_e32 v44, v42
	v_mov_b32_e32 v42, 0
	s_mov_b64 s[4:5], 0
	v_mov_b32_e32 v43, v42
.LBB19_89:                              ; =>This Inner Loop Header: Depth=1
	scratch_load_dwordx2 v[48:49], v44, off
	ds_read_b64 v[50:51], v1
	v_add_u32_e32 v46, 1, v46
	v_cmp_lt_u32_e32 vcc, 17, v46
	v_add_u32_e32 v1, 8, v1
	v_add_u32_e32 v44, 8, v44
	s_or_b64 s[4:5], vcc, s[4:5]
	s_waitcnt vmcnt(0) lgkmcnt(0)
	v_pk_mul_f32 v[52:53], v[50:51], v[48:49] op_sel:[1,1] op_sel_hi:[0,1]
	v_pk_fma_f32 v[54:55], v[50:51], v[48:49], v[52:53] neg_lo:[0,0,1] neg_hi:[0,0,1]
	v_pk_fma_f32 v[48:49], v[50:51], v[48:49], v[52:53] op_sel_hi:[1,0,1]
	s_nop 0
	v_mov_b32_e32 v55, v49
	v_pk_add_f32 v[42:43], v[42:43], v[54:55]
	s_andn2_b64 exec, exec, s[4:5]
	s_cbranch_execnz .LBB19_89
; %bb.90:
	s_or_b64 exec, exec, s[4:5]
	v_mov_b32_e32 v1, 0
	ds_read_b64 v[44:45], v1 offset:152
	s_waitcnt lgkmcnt(0)
	v_pk_mul_f32 v[46:47], v[42:43], v[44:45] op_sel:[1,1] op_sel_hi:[0,1]
	v_pk_fma_f32 v[48:49], v[42:43], v[44:45], v[46:47] neg_lo:[0,0,1] neg_hi:[0,0,1]
	v_pk_fma_f32 v[42:43], v[42:43], v[44:45], v[46:47] op_sel_hi:[1,0,1]
	s_nop 0
	v_mov_b32_e32 v49, v43
	scratch_store_dwordx2 off, v[48:49], off offset:152
.LBB19_91:
	s_or_b64 exec, exec, s[0:1]
	s_mov_b64 s[4:5], -1
	; wave barrier
.LBB19_92:
	s_and_b64 vcc, exec, s[4:5]
	s_cbranch_vccz .LBB19_94
; %bb.93:
	s_lshl_b64 s[0:1], s[2:3], 2
	s_add_u32 s0, s6, s0
	s_addc_u32 s1, s7, s1
	v_mov_b32_e32 v1, 0
	global_load_dword v1, v1, s[0:1]
	s_waitcnt vmcnt(0)
	v_cmp_ne_u32_e32 vcc, 0, v1
	s_cbranch_vccz .LBB19_95
.LBB19_94:
	s_endpgm
.LBB19_95:
	v_mov_b32_e32 v1, 0xa0
	v_lshl_add_u32 v1, v0, 3, v1
	v_cmp_eq_u32_e32 vcc, 19, v0
	s_and_saveexec_b64 s[0:1], vcc
	s_cbranch_execz .LBB19_97
; %bb.96:
	scratch_load_dwordx2 v[42:43], off, off offset:144
	v_mov_b32_e32 v44, 0
	v_mov_b32_e32 v45, v44
	scratch_store_dwordx2 off, v[44:45], off offset:144
	s_waitcnt vmcnt(1)
	ds_write_b64 v1, v[42:43]
.LBB19_97:
	s_or_b64 exec, exec, s[0:1]
	s_waitcnt lgkmcnt(0)
	; wave barrier
	scratch_load_dwordx2 v[44:45], off, off offset:152
	scratch_load_dwordx2 v[46:47], off, off offset:144
	v_mov_b32_e32 v42, 0
	ds_read_b64 v[48:49], v42 offset:312
	v_cmp_lt_u32_e32 vcc, 17, v0
	s_waitcnt vmcnt(1) lgkmcnt(0)
	v_pk_mul_f32 v[50:51], v[48:49], v[44:45] op_sel:[1,1] op_sel_hi:[0,1]
	v_pk_fma_f32 v[52:53], v[48:49], v[44:45], v[50:51] neg_lo:[0,0,1] neg_hi:[0,0,1]
	v_pk_fma_f32 v[44:45], v[48:49], v[44:45], v[50:51] op_sel_hi:[1,0,1]
	s_nop 0
	v_mov_b32_e32 v53, v45
	v_pk_add_f32 v[44:45], v[52:53], 0 op_sel_hi:[1,0]
	s_waitcnt vmcnt(0)
	v_pk_add_f32 v[44:45], v[46:47], v[44:45] neg_lo:[0,1] neg_hi:[0,1]
	scratch_store_dwordx2 off, v[44:45], off offset:144
	s_and_saveexec_b64 s[0:1], vcc
	s_cbranch_execz .LBB19_99
; %bb.98:
	scratch_load_dwordx2 v[44:45], off, off offset:136
	v_mov_b32_e32 v43, v42
	scratch_store_dwordx2 off, v[42:43], off offset:136
	s_waitcnt vmcnt(1)
	ds_write_b64 v1, v[44:45]
.LBB19_99:
	s_or_b64 exec, exec, s[0:1]
	s_waitcnt lgkmcnt(0)
	; wave barrier
	scratch_load_dwordx4 v[44:47], off, off offset:144
	scratch_load_dwordx2 v[52:53], off, off offset:136
	ds_read_b128 v[48:51], v42 offset:304
	v_cmp_lt_u32_e32 vcc, 16, v0
	s_waitcnt vmcnt(1) lgkmcnt(0)
	v_pk_mul_f32 v[42:43], v[48:49], v[44:45] op_sel:[1,1] op_sel_hi:[0,1]
	v_mov_b32_e32 v54, v47
	v_pk_fma_f32 v[56:57], v[48:49], v[44:45], v[42:43] neg_lo:[0,0,1] neg_hi:[0,0,1]
	v_pk_fma_f32 v[42:43], v[48:49], v[44:45], v[42:43] op_sel_hi:[1,0,1]
	v_pk_mul_f32 v[44:45], v[50:51], v[54:55] op_sel:[1,0] op_sel_hi:[0,0]
	v_mov_b32_e32 v57, v43
	v_pk_fma_f32 v[42:43], v[50:51], v[46:47], v[44:45] neg_lo:[0,0,1] neg_hi:[0,0,1]
	v_pk_fma_f32 v[44:45], v[50:51], v[46:47], v[44:45] op_sel_hi:[1,0,1]
	v_pk_add_f32 v[46:47], v[56:57], 0 op_sel_hi:[1,0]
	v_mov_b32_e32 v43, v45
	v_pk_add_f32 v[42:43], v[46:47], v[42:43]
	s_waitcnt vmcnt(0)
	v_pk_add_f32 v[42:43], v[52:53], v[42:43] neg_lo:[0,1] neg_hi:[0,1]
	scratch_store_dwordx2 off, v[42:43], off offset:136
	s_and_saveexec_b64 s[0:1], vcc
	s_cbranch_execz .LBB19_101
; %bb.100:
	scratch_load_dwordx2 v[42:43], off, off offset:128
	v_mov_b32_e32 v44, 0
	v_mov_b32_e32 v45, v44
	scratch_store_dwordx2 off, v[44:45], off offset:128
	s_waitcnt vmcnt(1)
	ds_write_b64 v1, v[42:43]
.LBB19_101:
	s_or_b64 exec, exec, s[0:1]
	s_waitcnt lgkmcnt(0)
	; wave barrier
	scratch_load_dwordx4 v[44:47], off, off offset:136
	scratch_load_dwordx2 v[52:53], off, off offset:152
	scratch_load_dwordx2 v[54:55], off, off offset:128
	v_mov_b32_e32 v42, 0
	ds_read2_b64 v[48:51], v42 offset0:37 offset1:38
	ds_read_b64 v[56:57], v42 offset:312
	v_cmp_lt_u32_e32 vcc, 15, v0
	s_waitcnt vmcnt(2) lgkmcnt(1)
	v_pk_mul_f32 v[58:59], v[48:49], v[44:45] op_sel:[1,1] op_sel_hi:[0,1]
	v_mov_b32_e32 v60, v47
	v_pk_fma_f32 v[64:65], v[48:49], v[44:45], v[58:59] neg_lo:[0,0,1] neg_hi:[0,0,1]
	v_pk_fma_f32 v[44:45], v[48:49], v[44:45], v[58:59] op_sel_hi:[1,0,1]
	v_pk_mul_f32 v[48:49], v[50:51], v[60:61] op_sel:[1,0] op_sel_hi:[0,0]
	s_waitcnt vmcnt(1) lgkmcnt(0)
	v_pk_mul_f32 v[62:63], v[56:57], v[52:53] op_sel:[1,1] op_sel_hi:[0,1]
	v_mov_b32_e32 v65, v45
	v_pk_fma_f32 v[44:45], v[50:51], v[46:47], v[48:49] neg_lo:[0,0,1] neg_hi:[0,0,1]
	v_pk_fma_f32 v[46:47], v[50:51], v[46:47], v[48:49] op_sel_hi:[1,0,1]
	v_pk_fma_f32 v[58:59], v[56:57], v[52:53], v[62:63] neg_lo:[0,0,1] neg_hi:[0,0,1]
	v_pk_fma_f32 v[52:53], v[56:57], v[52:53], v[62:63] op_sel_hi:[1,0,1]
	v_pk_add_f32 v[48:49], v[64:65], 0 op_sel_hi:[1,0]
	v_mov_b32_e32 v45, v47
	v_mov_b32_e32 v59, v53
	v_pk_add_f32 v[44:45], v[48:49], v[44:45]
	s_nop 0
	v_pk_add_f32 v[44:45], v[44:45], v[58:59]
	s_waitcnt vmcnt(0)
	v_pk_add_f32 v[44:45], v[54:55], v[44:45] neg_lo:[0,1] neg_hi:[0,1]
	scratch_store_dwordx2 off, v[44:45], off offset:128
	s_and_saveexec_b64 s[0:1], vcc
	s_cbranch_execz .LBB19_103
; %bb.102:
	scratch_load_dwordx2 v[44:45], off, off offset:120
	v_mov_b32_e32 v43, v42
	scratch_store_dwordx2 off, v[42:43], off offset:120
	s_waitcnt vmcnt(1)
	ds_write_b64 v1, v[44:45]
.LBB19_103:
	s_or_b64 exec, exec, s[0:1]
	s_waitcnt lgkmcnt(0)
	; wave barrier
	scratch_load_dwordx4 v[44:47], off, off offset:128
	scratch_load_dwordx4 v[48:51], off, off offset:144
	scratch_load_dwordx2 v[60:61], off, off offset:120
	ds_read_b128 v[52:55], v42 offset:288
	ds_read_b128 v[56:59], v42 offset:304
	v_cmp_lt_u32_e32 vcc, 14, v0
	s_waitcnt vmcnt(2) lgkmcnt(1)
	v_pk_mul_f32 v[42:43], v[52:53], v[44:45] op_sel:[1,1] op_sel_hi:[0,1]
	v_mov_b32_e32 v62, v47
	s_waitcnt vmcnt(1) lgkmcnt(0)
	v_pk_mul_f32 v[64:65], v[56:57], v[48:49] op_sel:[1,1] op_sel_hi:[0,1]
	v_mov_b32_e32 v66, v51
	v_pk_fma_f32 v[68:69], v[52:53], v[44:45], v[42:43] neg_lo:[0,0,1] neg_hi:[0,0,1]
	v_pk_fma_f32 v[42:43], v[52:53], v[44:45], v[42:43] op_sel_hi:[1,0,1]
	v_pk_mul_f32 v[44:45], v[54:55], v[62:63] op_sel:[1,0] op_sel_hi:[0,0]
	v_pk_fma_f32 v[52:53], v[56:57], v[48:49], v[64:65] neg_lo:[0,0,1] neg_hi:[0,0,1]
	v_pk_fma_f32 v[48:49], v[56:57], v[48:49], v[64:65] op_sel_hi:[1,0,1]
	v_pk_mul_f32 v[56:57], v[58:59], v[66:67] op_sel:[1,0] op_sel_hi:[0,0]
	v_mov_b32_e32 v69, v43
	v_pk_fma_f32 v[42:43], v[54:55], v[46:47], v[44:45] neg_lo:[0,0,1] neg_hi:[0,0,1]
	v_pk_fma_f32 v[44:45], v[54:55], v[46:47], v[44:45] op_sel_hi:[1,0,1]
	v_mov_b32_e32 v53, v49
	v_pk_fma_f32 v[46:47], v[58:59], v[50:51], v[56:57] neg_lo:[0,0,1] neg_hi:[0,0,1]
	v_pk_fma_f32 v[48:49], v[58:59], v[50:51], v[56:57] op_sel_hi:[1,0,1]
	v_pk_add_f32 v[50:51], v[68:69], 0 op_sel_hi:[1,0]
	v_mov_b32_e32 v43, v45
	v_pk_add_f32 v[42:43], v[50:51], v[42:43]
	v_mov_b32_e32 v47, v49
	v_pk_add_f32 v[42:43], v[42:43], v[52:53]
	s_nop 0
	v_pk_add_f32 v[42:43], v[42:43], v[46:47]
	s_waitcnt vmcnt(0)
	v_pk_add_f32 v[42:43], v[60:61], v[42:43] neg_lo:[0,1] neg_hi:[0,1]
	scratch_store_dwordx2 off, v[42:43], off offset:120
	s_and_saveexec_b64 s[0:1], vcc
	s_cbranch_execz .LBB19_105
; %bb.104:
	scratch_load_dwordx2 v[42:43], off, off offset:112
	v_mov_b32_e32 v44, 0
	v_mov_b32_e32 v45, v44
	scratch_store_dwordx2 off, v[44:45], off offset:112
	s_waitcnt vmcnt(1)
	ds_write_b64 v1, v[42:43]
.LBB19_105:
	s_or_b64 exec, exec, s[0:1]
	s_waitcnt lgkmcnt(0)
	; wave barrier
	scratch_load_dwordx4 v[44:47], off, off offset:120
	scratch_load_dwordx4 v[48:51], off, off offset:136
	scratch_load_dwordx2 v[60:61], off, off offset:152
	scratch_load_dwordx2 v[62:63], off, off offset:112
	v_mov_b32_e32 v42, 0
	ds_read2_b64 v[52:55], v42 offset0:35 offset1:36
	ds_read2_b64 v[56:59], v42 offset0:37 offset1:38
	ds_read_b64 v[64:65], v42 offset:312
	v_cmp_lt_u32_e32 vcc, 13, v0
	s_waitcnt vmcnt(3) lgkmcnt(2)
	v_pk_mul_f32 v[66:67], v[52:53], v[44:45] op_sel:[1,1] op_sel_hi:[0,1]
	v_mov_b32_e32 v68, v47
	v_pk_fma_f32 v[76:77], v[52:53], v[44:45], v[66:67] neg_lo:[0,0,1] neg_hi:[0,0,1]
	v_pk_fma_f32 v[44:45], v[52:53], v[44:45], v[66:67] op_sel_hi:[1,0,1]
	v_pk_mul_f32 v[52:53], v[54:55], v[68:69] op_sel:[1,0] op_sel_hi:[0,0]
	s_waitcnt vmcnt(2) lgkmcnt(1)
	v_pk_mul_f32 v[70:71], v[56:57], v[48:49] op_sel:[1,1] op_sel_hi:[0,1]
	v_mov_b32_e32 v72, v51
	v_mov_b32_e32 v77, v45
	v_pk_fma_f32 v[44:45], v[54:55], v[46:47], v[52:53] neg_lo:[0,0,1] neg_hi:[0,0,1]
	v_pk_fma_f32 v[46:47], v[54:55], v[46:47], v[52:53] op_sel_hi:[1,0,1]
	v_pk_fma_f32 v[66:67], v[56:57], v[48:49], v[70:71] neg_lo:[0,0,1] neg_hi:[0,0,1]
	v_pk_fma_f32 v[48:49], v[56:57], v[48:49], v[70:71] op_sel_hi:[1,0,1]
	v_pk_mul_f32 v[56:57], v[58:59], v[72:73] op_sel:[1,0] op_sel_hi:[0,0]
	v_pk_add_f32 v[52:53], v[76:77], 0 op_sel_hi:[1,0]
	v_mov_b32_e32 v45, v47
	s_waitcnt vmcnt(1) lgkmcnt(0)
	v_pk_mul_f32 v[74:75], v[64:65], v[60:61] op_sel:[1,1] op_sel_hi:[0,1]
	v_mov_b32_e32 v67, v49
	v_pk_fma_f32 v[48:49], v[58:59], v[50:51], v[56:57] neg_lo:[0,0,1] neg_hi:[0,0,1]
	v_pk_fma_f32 v[50:51], v[58:59], v[50:51], v[56:57] op_sel_hi:[1,0,1]
	v_pk_add_f32 v[44:45], v[52:53], v[44:45]
	v_pk_fma_f32 v[68:69], v[64:65], v[60:61], v[74:75] neg_lo:[0,0,1] neg_hi:[0,0,1]
	v_pk_fma_f32 v[60:61], v[64:65], v[60:61], v[74:75] op_sel_hi:[1,0,1]
	v_mov_b32_e32 v49, v51
	v_pk_add_f32 v[44:45], v[44:45], v[66:67]
	v_mov_b32_e32 v69, v61
	v_pk_add_f32 v[44:45], v[44:45], v[48:49]
	s_nop 0
	v_pk_add_f32 v[44:45], v[44:45], v[68:69]
	s_waitcnt vmcnt(0)
	v_pk_add_f32 v[44:45], v[62:63], v[44:45] neg_lo:[0,1] neg_hi:[0,1]
	scratch_store_dwordx2 off, v[44:45], off offset:112
	s_and_saveexec_b64 s[0:1], vcc
	s_cbranch_execz .LBB19_107
; %bb.106:
	scratch_load_dwordx2 v[44:45], off, off offset:104
	v_mov_b32_e32 v43, v42
	scratch_store_dwordx2 off, v[42:43], off offset:104
	s_waitcnt vmcnt(1)
	ds_write_b64 v1, v[44:45]
.LBB19_107:
	s_or_b64 exec, exec, s[0:1]
	s_waitcnt lgkmcnt(0)
	; wave barrier
	scratch_load_dwordx4 v[44:47], off, off offset:112
	scratch_load_dwordx4 v[48:51], off, off offset:128
	;; [unrolled: 1-line block ×3, first 2 shown]
	scratch_load_dwordx2 v[68:69], off, off offset:104
	ds_read_b128 v[56:59], v42 offset:272
	ds_read_b128 v[60:63], v42 offset:288
	;; [unrolled: 1-line block ×3, first 2 shown]
	v_cmp_lt_u32_e32 vcc, 12, v0
	s_waitcnt vmcnt(3) lgkmcnt(2)
	v_pk_mul_f32 v[42:43], v[56:57], v[44:45] op_sel:[1,1] op_sel_hi:[0,1]
	v_mov_b32_e32 v70, v47
	s_waitcnt vmcnt(2) lgkmcnt(1)
	v_pk_mul_f32 v[72:73], v[60:61], v[48:49] op_sel:[1,1] op_sel_hi:[0,1]
	v_mov_b32_e32 v74, v51
	;; [unrolled: 3-line block ×3, first 2 shown]
	v_pk_fma_f32 v[80:81], v[56:57], v[44:45], v[42:43] neg_lo:[0,0,1] neg_hi:[0,0,1]
	v_pk_fma_f32 v[42:43], v[56:57], v[44:45], v[42:43] op_sel_hi:[1,0,1]
	v_pk_mul_f32 v[44:45], v[58:59], v[70:71] op_sel:[1,0] op_sel_hi:[0,0]
	v_pk_fma_f32 v[56:57], v[60:61], v[48:49], v[72:73] neg_lo:[0,0,1] neg_hi:[0,0,1]
	v_pk_fma_f32 v[48:49], v[60:61], v[48:49], v[72:73] op_sel_hi:[1,0,1]
	v_pk_mul_f32 v[60:61], v[62:63], v[74:75] op_sel:[1,0] op_sel_hi:[0,0]
	v_pk_fma_f32 v[70:71], v[64:65], v[52:53], v[76:77] neg_lo:[0,0,1] neg_hi:[0,0,1]
	v_pk_fma_f32 v[52:53], v[64:65], v[52:53], v[76:77] op_sel_hi:[1,0,1]
	v_pk_mul_f32 v[64:65], v[66:67], v[78:79] op_sel:[1,0] op_sel_hi:[0,0]
	v_mov_b32_e32 v81, v43
	v_pk_fma_f32 v[42:43], v[58:59], v[46:47], v[44:45] neg_lo:[0,0,1] neg_hi:[0,0,1]
	v_pk_fma_f32 v[44:45], v[58:59], v[46:47], v[44:45] op_sel_hi:[1,0,1]
	v_mov_b32_e32 v57, v49
	v_pk_fma_f32 v[46:47], v[62:63], v[50:51], v[60:61] neg_lo:[0,0,1] neg_hi:[0,0,1]
	v_pk_fma_f32 v[48:49], v[62:63], v[50:51], v[60:61] op_sel_hi:[1,0,1]
	;; [unrolled: 3-line block ×3, first 2 shown]
	v_pk_add_f32 v[54:55], v[80:81], 0 op_sel_hi:[1,0]
	v_mov_b32_e32 v43, v45
	v_pk_add_f32 v[42:43], v[54:55], v[42:43]
	v_mov_b32_e32 v47, v49
	v_pk_add_f32 v[42:43], v[42:43], v[56:57]
	;; [unrolled: 2-line block ×3, first 2 shown]
	s_nop 0
	v_pk_add_f32 v[42:43], v[42:43], v[70:71]
	s_nop 0
	v_pk_add_f32 v[42:43], v[42:43], v[50:51]
	s_waitcnt vmcnt(0)
	v_pk_add_f32 v[42:43], v[68:69], v[42:43] neg_lo:[0,1] neg_hi:[0,1]
	scratch_store_dwordx2 off, v[42:43], off offset:104
	s_and_saveexec_b64 s[0:1], vcc
	s_cbranch_execz .LBB19_109
; %bb.108:
	scratch_load_dwordx2 v[42:43], off, off offset:96
	v_mov_b32_e32 v44, 0
	v_mov_b32_e32 v45, v44
	scratch_store_dwordx2 off, v[44:45], off offset:96
	s_waitcnt vmcnt(1)
	ds_write_b64 v1, v[42:43]
.LBB19_109:
	s_or_b64 exec, exec, s[0:1]
	s_waitcnt lgkmcnt(0)
	; wave barrier
	scratch_load_dwordx4 v[44:47], off, off offset:104
	scratch_load_dwordx4 v[48:51], off, off offset:120
	;; [unrolled: 1-line block ×3, first 2 shown]
	scratch_load_dwordx2 v[68:69], off, off offset:152
	scratch_load_dwordx2 v[70:71], off, off offset:96
	v_mov_b32_e32 v42, 0
	ds_read2_b64 v[56:59], v42 offset0:33 offset1:34
	ds_read2_b64 v[60:63], v42 offset0:35 offset1:36
	;; [unrolled: 1-line block ×3, first 2 shown]
	ds_read_b64 v[72:73], v42 offset:312
	v_cmp_lt_u32_e32 vcc, 11, v0
	s_waitcnt vmcnt(4) lgkmcnt(3)
	v_pk_mul_f32 v[74:75], v[56:57], v[44:45] op_sel:[1,1] op_sel_hi:[0,1]
	v_mov_b32_e32 v76, v47
	v_pk_fma_f32 v[88:89], v[56:57], v[44:45], v[74:75] neg_lo:[0,0,1] neg_hi:[0,0,1]
	v_pk_fma_f32 v[44:45], v[56:57], v[44:45], v[74:75] op_sel_hi:[1,0,1]
	v_pk_mul_f32 v[56:57], v[58:59], v[76:77] op_sel:[1,0] op_sel_hi:[0,0]
	s_waitcnt vmcnt(3) lgkmcnt(2)
	v_pk_mul_f32 v[78:79], v[60:61], v[48:49] op_sel:[1,1] op_sel_hi:[0,1]
	v_mov_b32_e32 v80, v51
	v_mov_b32_e32 v89, v45
	v_pk_fma_f32 v[44:45], v[58:59], v[46:47], v[56:57] neg_lo:[0,0,1] neg_hi:[0,0,1]
	v_pk_fma_f32 v[46:47], v[58:59], v[46:47], v[56:57] op_sel_hi:[1,0,1]
	v_pk_fma_f32 v[74:75], v[60:61], v[48:49], v[78:79] neg_lo:[0,0,1] neg_hi:[0,0,1]
	v_pk_fma_f32 v[48:49], v[60:61], v[48:49], v[78:79] op_sel_hi:[1,0,1]
	v_pk_mul_f32 v[60:61], v[62:63], v[80:81] op_sel:[1,0] op_sel_hi:[0,0]
	v_pk_add_f32 v[56:57], v[88:89], 0 op_sel_hi:[1,0]
	v_mov_b32_e32 v45, v47
	s_waitcnt vmcnt(2) lgkmcnt(1)
	v_pk_mul_f32 v[82:83], v[64:65], v[52:53] op_sel:[1,1] op_sel_hi:[0,1]
	v_mov_b32_e32 v84, v55
	v_mov_b32_e32 v75, v49
	v_pk_fma_f32 v[48:49], v[62:63], v[50:51], v[60:61] neg_lo:[0,0,1] neg_hi:[0,0,1]
	v_pk_fma_f32 v[50:51], v[62:63], v[50:51], v[60:61] op_sel_hi:[1,0,1]
	v_pk_add_f32 v[44:45], v[56:57], v[44:45]
	v_pk_fma_f32 v[76:77], v[64:65], v[52:53], v[82:83] neg_lo:[0,0,1] neg_hi:[0,0,1]
	v_pk_fma_f32 v[52:53], v[64:65], v[52:53], v[82:83] op_sel_hi:[1,0,1]
	v_pk_mul_f32 v[64:65], v[66:67], v[84:85] op_sel:[1,0] op_sel_hi:[0,0]
	v_mov_b32_e32 v49, v51
	v_pk_add_f32 v[44:45], v[44:45], v[74:75]
	s_waitcnt vmcnt(1) lgkmcnt(0)
	v_pk_mul_f32 v[86:87], v[72:73], v[68:69] op_sel:[1,1] op_sel_hi:[0,1]
	v_mov_b32_e32 v77, v53
	v_pk_fma_f32 v[52:53], v[66:67], v[54:55], v[64:65] neg_lo:[0,0,1] neg_hi:[0,0,1]
	v_pk_fma_f32 v[54:55], v[66:67], v[54:55], v[64:65] op_sel_hi:[1,0,1]
	v_pk_add_f32 v[44:45], v[44:45], v[48:49]
	v_pk_fma_f32 v[78:79], v[72:73], v[68:69], v[86:87] neg_lo:[0,0,1] neg_hi:[0,0,1]
	v_pk_fma_f32 v[68:69], v[72:73], v[68:69], v[86:87] op_sel_hi:[1,0,1]
	v_mov_b32_e32 v53, v55
	v_pk_add_f32 v[44:45], v[44:45], v[76:77]
	v_mov_b32_e32 v79, v69
	v_pk_add_f32 v[44:45], v[44:45], v[52:53]
	s_nop 0
	v_pk_add_f32 v[44:45], v[44:45], v[78:79]
	s_waitcnt vmcnt(0)
	v_pk_add_f32 v[44:45], v[70:71], v[44:45] neg_lo:[0,1] neg_hi:[0,1]
	scratch_store_dwordx2 off, v[44:45], off offset:96
	s_and_saveexec_b64 s[0:1], vcc
	s_cbranch_execz .LBB19_111
; %bb.110:
	scratch_load_dwordx2 v[44:45], off, off offset:88
	v_mov_b32_e32 v43, v42
	scratch_store_dwordx2 off, v[42:43], off offset:88
	s_waitcnt vmcnt(1)
	ds_write_b64 v1, v[44:45]
.LBB19_111:
	s_or_b64 exec, exec, s[0:1]
	s_waitcnt lgkmcnt(0)
	; wave barrier
	scratch_load_dwordx4 v[44:47], off, off offset:96
	scratch_load_dwordx4 v[48:51], off, off offset:112
	;; [unrolled: 1-line block ×4, first 2 shown]
	scratch_load_dwordx2 v[76:77], off, off offset:88
	ds_read_b128 v[60:63], v42 offset:256
	ds_read_b128 v[64:67], v42 offset:272
	;; [unrolled: 1-line block ×4, first 2 shown]
	v_cmp_lt_u32_e32 vcc, 10, v0
	s_waitcnt vmcnt(4) lgkmcnt(3)
	v_pk_mul_f32 v[42:43], v[60:61], v[44:45] op_sel:[1,1] op_sel_hi:[0,1]
	v_mov_b32_e32 v78, v47
	s_waitcnt vmcnt(3) lgkmcnt(2)
	v_pk_mul_f32 v[80:81], v[64:65], v[48:49] op_sel:[1,1] op_sel_hi:[0,1]
	v_mov_b32_e32 v82, v51
	;; [unrolled: 3-line block ×4, first 2 shown]
	v_pk_fma_f32 v[92:93], v[60:61], v[44:45], v[42:43] neg_lo:[0,0,1] neg_hi:[0,0,1]
	v_pk_fma_f32 v[42:43], v[60:61], v[44:45], v[42:43] op_sel_hi:[1,0,1]
	v_pk_mul_f32 v[44:45], v[62:63], v[78:79] op_sel:[1,0] op_sel_hi:[0,0]
	v_pk_fma_f32 v[60:61], v[64:65], v[48:49], v[80:81] neg_lo:[0,0,1] neg_hi:[0,0,1]
	v_pk_fma_f32 v[48:49], v[64:65], v[48:49], v[80:81] op_sel_hi:[1,0,1]
	v_pk_mul_f32 v[64:65], v[66:67], v[82:83] op_sel:[1,0] op_sel_hi:[0,0]
	;; [unrolled: 3-line block ×4, first 2 shown]
	v_mov_b32_e32 v93, v43
	v_pk_fma_f32 v[42:43], v[62:63], v[46:47], v[44:45] neg_lo:[0,0,1] neg_hi:[0,0,1]
	v_pk_fma_f32 v[44:45], v[62:63], v[46:47], v[44:45] op_sel_hi:[1,0,1]
	v_mov_b32_e32 v61, v49
	v_pk_fma_f32 v[46:47], v[66:67], v[50:51], v[64:65] neg_lo:[0,0,1] neg_hi:[0,0,1]
	v_pk_fma_f32 v[48:49], v[66:67], v[50:51], v[64:65] op_sel_hi:[1,0,1]
	;; [unrolled: 3-line block ×4, first 2 shown]
	v_pk_add_f32 v[58:59], v[92:93], 0 op_sel_hi:[1,0]
	v_mov_b32_e32 v43, v45
	v_pk_add_f32 v[42:43], v[58:59], v[42:43]
	v_mov_b32_e32 v47, v49
	v_pk_add_f32 v[42:43], v[42:43], v[60:61]
	;; [unrolled: 2-line block ×4, first 2 shown]
	s_nop 0
	v_pk_add_f32 v[42:43], v[42:43], v[50:51]
	s_nop 0
	v_pk_add_f32 v[42:43], v[42:43], v[80:81]
	;; [unrolled: 2-line block ×3, first 2 shown]
	s_waitcnt vmcnt(0)
	v_pk_add_f32 v[42:43], v[76:77], v[42:43] neg_lo:[0,1] neg_hi:[0,1]
	scratch_store_dwordx2 off, v[42:43], off offset:88
	s_and_saveexec_b64 s[0:1], vcc
	s_cbranch_execz .LBB19_113
; %bb.112:
	scratch_load_dwordx2 v[42:43], off, off offset:80
	v_mov_b32_e32 v44, 0
	v_mov_b32_e32 v45, v44
	scratch_store_dwordx2 off, v[44:45], off offset:80
	s_waitcnt vmcnt(1)
	ds_write_b64 v1, v[42:43]
.LBB19_113:
	s_or_b64 exec, exec, s[0:1]
	s_waitcnt lgkmcnt(0)
	; wave barrier
	scratch_load_dwordx4 v[44:47], off, off offset:88
	scratch_load_dwordx4 v[48:51], off, off offset:104
	;; [unrolled: 1-line block ×4, first 2 shown]
	scratch_load_dwordx2 v[76:77], off, off offset:152
	scratch_load_dwordx2 v[78:79], off, off offset:80
	v_mov_b32_e32 v42, 0
	ds_read2_b64 v[60:63], v42 offset0:31 offset1:32
	ds_read2_b64 v[64:67], v42 offset0:33 offset1:34
	;; [unrolled: 1-line block ×4, first 2 shown]
	ds_read_b64 v[80:81], v42 offset:312
	v_cmp_lt_u32_e32 vcc, 9, v0
	s_waitcnt vmcnt(5) lgkmcnt(4)
	v_mul_f32_e32 v83, v60, v45
	v_mul_f32_e32 v43, v61, v45
	v_mov_b32_e32 v84, v47
	s_waitcnt vmcnt(4) lgkmcnt(3)
	v_pk_mul_f32 v[86:87], v[64:65], v[48:49] op_sel:[1,1] op_sel_hi:[0,1]
	v_mov_b32_e32 v88, v51
	s_waitcnt vmcnt(1) lgkmcnt(0)
	v_pk_mul_f32 v[98:99], v[80:81], v[76:77] op_sel:[1,1] op_sel_hi:[0,1]
	v_fmac_f32_e32 v83, v61, v44
	v_fma_f32 v82, v60, v44, -v43
	v_pk_mul_f32 v[44:45], v[62:63], v[84:85] op_sel:[1,0] op_sel_hi:[0,0]
	v_pk_fma_f32 v[60:61], v[64:65], v[48:49], v[86:87] neg_lo:[0,0,1] neg_hi:[0,0,1]
	v_pk_fma_f32 v[48:49], v[64:65], v[48:49], v[86:87] op_sel_hi:[1,0,1]
	v_pk_mul_f32 v[64:65], v[66:67], v[88:89] op_sel:[1,0] op_sel_hi:[0,0]
	v_pk_fma_f32 v[88:89], v[80:81], v[76:77], v[98:99] neg_lo:[0,0,1] neg_hi:[0,0,1]
	v_pk_fma_f32 v[76:77], v[80:81], v[76:77], v[98:99] op_sel_hi:[1,0,1]
	v_pk_add_f32 v[80:81], v[82:83], 0 op_sel_hi:[1,0]
	v_pk_fma_f32 v[82:83], v[62:63], v[46:47], v[44:45] neg_lo:[0,0,1] neg_hi:[0,0,1]
	v_pk_fma_f32 v[44:45], v[62:63], v[46:47], v[44:45] op_sel_hi:[1,0,1]
	v_pk_mul_f32 v[90:91], v[68:69], v[52:53] op_sel:[1,1] op_sel_hi:[0,1]
	v_mov_b32_e32 v83, v45
	v_mov_b32_e32 v92, v55
	;; [unrolled: 1-line block ×3, first 2 shown]
	v_pk_fma_f32 v[46:47], v[66:67], v[50:51], v[64:65] neg_lo:[0,0,1] neg_hi:[0,0,1]
	v_pk_fma_f32 v[48:49], v[66:67], v[50:51], v[64:65] op_sel_hi:[1,0,1]
	v_pk_add_f32 v[44:45], v[80:81], v[82:83]
	v_pk_fma_f32 v[84:85], v[68:69], v[52:53], v[90:91] neg_lo:[0,0,1] neg_hi:[0,0,1]
	v_pk_fma_f32 v[52:53], v[68:69], v[52:53], v[90:91] op_sel_hi:[1,0,1]
	v_pk_mul_f32 v[68:69], v[70:71], v[92:93] op_sel:[1,0] op_sel_hi:[0,0]
	v_mov_b32_e32 v47, v49
	v_pk_add_f32 v[44:45], v[44:45], v[60:61]
	v_pk_mul_f32 v[94:95], v[72:73], v[56:57] op_sel:[1,1] op_sel_hi:[0,1]
	v_mov_b32_e32 v96, v59
	v_mov_b32_e32 v85, v53
	v_pk_fma_f32 v[50:51], v[70:71], v[54:55], v[68:69] neg_lo:[0,0,1] neg_hi:[0,0,1]
	v_pk_fma_f32 v[52:53], v[70:71], v[54:55], v[68:69] op_sel_hi:[1,0,1]
	v_pk_add_f32 v[44:45], v[44:45], v[46:47]
	v_pk_fma_f32 v[86:87], v[72:73], v[56:57], v[94:95] neg_lo:[0,0,1] neg_hi:[0,0,1]
	v_pk_fma_f32 v[56:57], v[72:73], v[56:57], v[94:95] op_sel_hi:[1,0,1]
	v_pk_mul_f32 v[72:73], v[74:75], v[96:97] op_sel:[1,0] op_sel_hi:[0,0]
	v_mov_b32_e32 v51, v53
	v_pk_add_f32 v[44:45], v[44:45], v[84:85]
	v_mov_b32_e32 v87, v57
	v_pk_fma_f32 v[54:55], v[74:75], v[58:59], v[72:73] neg_lo:[0,0,1] neg_hi:[0,0,1]
	v_pk_fma_f32 v[56:57], v[74:75], v[58:59], v[72:73] op_sel_hi:[1,0,1]
	v_pk_add_f32 v[44:45], v[44:45], v[50:51]
	v_mov_b32_e32 v55, v57
	v_pk_add_f32 v[44:45], v[44:45], v[86:87]
	v_mov_b32_e32 v89, v77
	v_pk_add_f32 v[44:45], v[44:45], v[54:55]
	s_nop 0
	v_pk_add_f32 v[44:45], v[44:45], v[88:89]
	s_waitcnt vmcnt(0)
	v_pk_add_f32 v[44:45], v[78:79], v[44:45] neg_lo:[0,1] neg_hi:[0,1]
	scratch_store_dwordx2 off, v[44:45], off offset:80
	s_and_saveexec_b64 s[0:1], vcc
	s_cbranch_execz .LBB19_115
; %bb.114:
	scratch_load_dwordx2 v[44:45], off, off offset:72
	v_mov_b32_e32 v43, v42
	scratch_store_dwordx2 off, v[42:43], off offset:72
	s_waitcnt vmcnt(1)
	ds_write_b64 v1, v[44:45]
.LBB19_115:
	s_or_b64 exec, exec, s[0:1]
	s_waitcnt lgkmcnt(0)
	; wave barrier
	scratch_load_dwordx4 v[44:47], off, off offset:80
	scratch_load_dwordx4 v[48:51], off, off offset:96
	;; [unrolled: 1-line block ×5, first 2 shown]
	scratch_load_dwordx2 v[84:85], off, off offset:72
	ds_read_b128 v[64:67], v42 offset:240
	ds_read_b128 v[68:71], v42 offset:256
	;; [unrolled: 1-line block ×5, first 2 shown]
	v_cmp_lt_u32_e32 vcc, 8, v0
	s_waitcnt vmcnt(5) lgkmcnt(4)
	v_mul_f32_e32 v43, v64, v45
	v_mul_f32_e32 v42, v65, v45
	;; [unrolled: 1-line block ×4, first 2 shown]
	s_waitcnt vmcnt(4) lgkmcnt(3)
	v_pk_mul_f32 v[88:89], v[68:69], v[48:49] op_sel:[1,1] op_sel_hi:[0,1]
	v_mov_b32_e32 v90, v51
	v_fmac_f32_e32 v43, v65, v44
	v_fma_f32 v42, v64, v44, -v42
	v_fmac_f32_e32 v87, v67, v46
	v_fma_f32 v86, v66, v46, -v45
	v_pk_fma_f32 v[44:45], v[68:69], v[48:49], v[88:89] neg_lo:[0,0,1] neg_hi:[0,0,1]
	v_pk_fma_f32 v[46:47], v[68:69], v[48:49], v[88:89] op_sel_hi:[1,0,1]
	v_pk_mul_f32 v[48:49], v[70:71], v[90:91] op_sel:[1,0] op_sel_hi:[0,0]
	v_pk_add_f32 v[42:43], v[42:43], 0 op_sel_hi:[1,0]
	s_waitcnt vmcnt(3) lgkmcnt(2)
	v_pk_mul_f32 v[92:93], v[72:73], v[52:53] op_sel:[1,1] op_sel_hi:[0,1]
	v_mov_b32_e32 v94, v55
	v_mov_b32_e32 v45, v47
	v_pk_fma_f32 v[46:47], v[70:71], v[50:51], v[48:49] neg_lo:[0,0,1] neg_hi:[0,0,1]
	v_pk_fma_f32 v[48:49], v[70:71], v[50:51], v[48:49] op_sel_hi:[1,0,1]
	v_pk_add_f32 v[42:43], v[42:43], v[86:87]
	v_pk_fma_f32 v[64:65], v[72:73], v[52:53], v[92:93] neg_lo:[0,0,1] neg_hi:[0,0,1]
	v_pk_fma_f32 v[52:53], v[72:73], v[52:53], v[92:93] op_sel_hi:[1,0,1]
	v_pk_mul_f32 v[66:67], v[74:75], v[94:95] op_sel:[1,0] op_sel_hi:[0,0]
	v_mov_b32_e32 v47, v49
	v_pk_add_f32 v[42:43], v[42:43], v[44:45]
	s_waitcnt vmcnt(2) lgkmcnt(1)
	v_pk_mul_f32 v[96:97], v[76:77], v[56:57] op_sel:[1,1] op_sel_hi:[0,1]
	v_mov_b32_e32 v98, v59
	v_mov_b32_e32 v65, v53
	v_pk_fma_f32 v[50:51], v[74:75], v[54:55], v[66:67] neg_lo:[0,0,1] neg_hi:[0,0,1]
	v_pk_fma_f32 v[52:53], v[74:75], v[54:55], v[66:67] op_sel_hi:[1,0,1]
	v_pk_add_f32 v[42:43], v[42:43], v[46:47]
	v_pk_fma_f32 v[68:69], v[76:77], v[56:57], v[96:97] neg_lo:[0,0,1] neg_hi:[0,0,1]
	v_pk_fma_f32 v[56:57], v[76:77], v[56:57], v[96:97] op_sel_hi:[1,0,1]
	v_pk_mul_f32 v[72:73], v[78:79], v[98:99] op_sel:[1,0] op_sel_hi:[0,0]
	v_mov_b32_e32 v51, v53
	v_pk_add_f32 v[42:43], v[42:43], v[64:65]
	;; [unrolled: 12-line block ×3, first 2 shown]
	v_mov_b32_e32 v77, v61
	v_pk_fma_f32 v[58:59], v[82:83], v[62:63], v[80:81] neg_lo:[0,0,1] neg_hi:[0,0,1]
	v_pk_fma_f32 v[60:61], v[82:83], v[62:63], v[80:81] op_sel_hi:[1,0,1]
	v_pk_add_f32 v[42:43], v[42:43], v[54:55]
	v_mov_b32_e32 v59, v61
	v_pk_add_f32 v[42:43], v[42:43], v[76:77]
	s_nop 0
	v_pk_add_f32 v[42:43], v[42:43], v[58:59]
	s_waitcnt vmcnt(0)
	v_pk_add_f32 v[42:43], v[84:85], v[42:43] neg_lo:[0,1] neg_hi:[0,1]
	scratch_store_dwordx2 off, v[42:43], off offset:72
	s_and_saveexec_b64 s[0:1], vcc
	s_cbranch_execz .LBB19_117
; %bb.116:
	scratch_load_dwordx2 v[42:43], off, off offset:64
	v_mov_b32_e32 v44, 0
	v_mov_b32_e32 v45, v44
	scratch_store_dwordx2 off, v[44:45], off offset:64
	s_waitcnt vmcnt(1)
	ds_write_b64 v1, v[42:43]
.LBB19_117:
	s_or_b64 exec, exec, s[0:1]
	s_waitcnt lgkmcnt(0)
	; wave barrier
	scratch_load_dwordx4 v[44:47], off, off offset:72
	scratch_load_dwordx4 v[48:51], off, off offset:88
	scratch_load_dwordx4 v[52:55], off, off offset:104
	scratch_load_dwordx4 v[56:59], off, off offset:120
	scratch_load_dwordx4 v[60:63], off, off offset:136
	scratch_load_dwordx2 v[84:85], off, off offset:152
	scratch_load_dwordx2 v[86:87], off, off offset:64
	v_mov_b32_e32 v42, 0
	ds_read2_b64 v[64:67], v42 offset0:29 offset1:30
	ds_read2_b64 v[68:71], v42 offset0:31 offset1:32
	ds_read2_b64 v[72:75], v42 offset0:33 offset1:34
	ds_read2_b64 v[76:79], v42 offset0:35 offset1:36
	ds_read2_b64 v[80:83], v42 offset0:37 offset1:38
	ds_read_b64 v[88:89], v42 offset:312
	v_cmp_lt_u32_e32 vcc, 7, v0
	s_waitcnt vmcnt(6) lgkmcnt(5)
	v_mul_f32_e32 v43, v64, v45
	v_mul_f32_e32 v45, v65, v45
	;; [unrolled: 1-line block ×3, first 2 shown]
	s_waitcnt vmcnt(5) lgkmcnt(4)
	v_mul_f32_e32 v93, v68, v49
	v_mul_f32_e32 v47, v67, v47
	v_mul_f32_e32 v49, v69, v49
	v_mov_b32_e32 v94, v51
	s_waitcnt vmcnt(3) lgkmcnt(2)
	v_pk_mul_f32 v[100:101], v[76:77], v[56:57] op_sel:[1,1] op_sel_hi:[0,1]
	s_waitcnt vmcnt(2) lgkmcnt(1)
	v_pk_mul_f32 v[104:105], v[80:81], v[60:61] op_sel:[1,1] op_sel_hi:[0,1]
	;; [unrolled: 2-line block ×3, first 2 shown]
	v_fmac_f32_e32 v43, v65, v44
	v_fma_f32 v95, v64, v44, -v45
	v_fmac_f32_e32 v91, v67, v46
	v_fmac_f32_e32 v93, v69, v48
	v_fma_f32 v90, v66, v46, -v47
	v_fma_f32 v92, v68, v48, -v49
	v_pk_mul_f32 v[44:45], v[70:71], v[94:95] op_sel:[1,0] op_sel_hi:[0,0]
	v_pk_fma_f32 v[64:65], v[76:77], v[56:57], v[100:101] neg_lo:[0,0,1] neg_hi:[0,0,1]
	v_pk_fma_f32 v[56:57], v[76:77], v[56:57], v[100:101] op_sel_hi:[1,0,1]
	v_pk_fma_f32 v[68:69], v[80:81], v[60:61], v[104:105] neg_lo:[0,0,1] neg_hi:[0,0,1]
	v_pk_fma_f32 v[60:61], v[80:81], v[60:61], v[104:105] op_sel_hi:[1,0,1]
	;; [unrolled: 2-line block ×3, first 2 shown]
	v_add_f32_e32 v85, 0, v43
	v_add_f32_e32 v84, 0, v95
	v_pk_mul_f32 v[96:97], v[72:73], v[52:53] op_sel:[1,1] op_sel_hi:[0,1]
	v_mov_b32_e32 v98, v55
	v_pk_fma_f32 v[88:89], v[70:71], v[50:51], v[44:45] neg_lo:[0,0,1] neg_hi:[0,0,1]
	v_pk_fma_f32 v[44:45], v[70:71], v[50:51], v[44:45] op_sel_hi:[1,0,1]
	v_mov_b32_e32 v69, v61
	v_pk_add_f32 v[60:61], v[84:85], v[90:91]
	v_pk_fma_f32 v[46:47], v[72:73], v[52:53], v[96:97] neg_lo:[0,0,1] neg_hi:[0,0,1]
	v_pk_fma_f32 v[48:49], v[72:73], v[52:53], v[96:97] op_sel_hi:[1,0,1]
	v_pk_mul_f32 v[52:53], v[74:75], v[98:99] op_sel:[1,0] op_sel_hi:[0,0]
	v_mov_b32_e32 v89, v45
	v_pk_add_f32 v[44:45], v[60:61], v[92:93]
	v_mov_b32_e32 v102, v59
	v_mov_b32_e32 v47, v49
	v_pk_fma_f32 v[48:49], v[74:75], v[54:55], v[52:53] neg_lo:[0,0,1] neg_hi:[0,0,1]
	v_pk_fma_f32 v[50:51], v[74:75], v[54:55], v[52:53] op_sel_hi:[1,0,1]
	v_pk_add_f32 v[44:45], v[44:45], v[88:89]
	v_pk_mul_f32 v[66:67], v[78:79], v[102:103] op_sel:[1,0] op_sel_hi:[0,0]
	v_mov_b32_e32 v49, v51
	v_pk_add_f32 v[44:45], v[44:45], v[46:47]
	v_mov_b32_e32 v106, v63
	v_mov_b32_e32 v65, v57
	v_pk_fma_f32 v[52:53], v[78:79], v[58:59], v[66:67] neg_lo:[0,0,1] neg_hi:[0,0,1]
	v_pk_fma_f32 v[54:55], v[78:79], v[58:59], v[66:67] op_sel_hi:[1,0,1]
	v_pk_add_f32 v[44:45], v[44:45], v[48:49]
	v_pk_mul_f32 v[72:73], v[82:83], v[106:107] op_sel:[1,0] op_sel_hi:[0,0]
	v_mov_b32_e32 v53, v55
	v_pk_add_f32 v[44:45], v[44:45], v[64:65]
	v_pk_fma_f32 v[56:57], v[82:83], v[62:63], v[72:73] neg_lo:[0,0,1] neg_hi:[0,0,1]
	v_pk_fma_f32 v[58:59], v[82:83], v[62:63], v[72:73] op_sel_hi:[1,0,1]
	v_pk_add_f32 v[44:45], v[44:45], v[52:53]
	v_mov_b32_e32 v57, v59
	v_pk_add_f32 v[44:45], v[44:45], v[68:69]
	v_mov_b32_e32 v77, v81
	v_pk_add_f32 v[44:45], v[44:45], v[56:57]
	s_nop 0
	v_pk_add_f32 v[44:45], v[44:45], v[76:77]
	s_waitcnt vmcnt(0)
	v_pk_add_f32 v[44:45], v[86:87], v[44:45] neg_lo:[0,1] neg_hi:[0,1]
	scratch_store_dwordx2 off, v[44:45], off offset:64
	s_and_saveexec_b64 s[0:1], vcc
	s_cbranch_execz .LBB19_119
; %bb.118:
	scratch_load_dwordx2 v[44:45], off, off offset:56
	v_mov_b32_e32 v43, v42
	scratch_store_dwordx2 off, v[42:43], off offset:56
	s_waitcnt vmcnt(1)
	ds_write_b64 v1, v[44:45]
.LBB19_119:
	s_or_b64 exec, exec, s[0:1]
	s_waitcnt lgkmcnt(0)
	; wave barrier
	scratch_load_dwordx4 v[44:47], off, off offset:64
	scratch_load_dwordx4 v[48:51], off, off offset:80
	;; [unrolled: 1-line block ×6, first 2 shown]
	scratch_load_dwordx2 v[92:93], off, off offset:56
	ds_read_b128 v[68:71], v42 offset:224
	ds_read_b128 v[72:75], v42 offset:240
	;; [unrolled: 1-line block ×6, first 2 shown]
	v_cmp_lt_u32_e32 vcc, 6, v0
	s_waitcnt vmcnt(6) lgkmcnt(5)
	v_mul_f32_e32 v99, v68, v45
	v_mul_f32_e32 v103, v70, v47
	s_waitcnt vmcnt(5) lgkmcnt(4)
	v_mul_f32_e32 v43, v72, v49
	v_mul_f32_e32 v42, v69, v45
	;; [unrolled: 1-line block ×4, first 2 shown]
	s_waitcnt vmcnt(1) lgkmcnt(0)
	v_pk_mul_f32 v[108:109], v[88:89], v[64:65] op_sel:[1,1] op_sel_hi:[0,1]
	v_pk_mul_f32 v[96:97], v[76:77], v[52:53] op_sel:[1,1] op_sel_hi:[0,1]
	v_fmac_f32_e32 v99, v69, v44
	v_fmac_f32_e32 v43, v73, v48
	v_fma_f32 v107, v68, v44, -v42
	v_fma_f32 v42, v72, v48, -v47
	v_pk_fma_f32 v[72:73], v[88:89], v[64:65], v[108:109] neg_lo:[0,0,1] neg_hi:[0,0,1]
	v_pk_fma_f32 v[64:65], v[88:89], v[64:65], v[108:109] op_sel_hi:[1,0,1]
	v_fmac_f32_e32 v103, v71, v46
	v_fma_f32 v111, v70, v46, -v45
	v_pk_fma_f32 v[44:45], v[76:77], v[52:53], v[96:97] neg_lo:[0,0,1] neg_hi:[0,0,1]
	v_pk_fma_f32 v[46:47], v[76:77], v[52:53], v[96:97] op_sel_hi:[1,0,1]
	v_add_f32_e32 v64, 0, v99
	v_add_f32_e32 v76, 0, v107
	v_mul_f32_e32 v95, v74, v51
	v_mul_f32_e32 v49, v75, v51
	v_mov_b32_e32 v98, v55
	v_mov_b32_e32 v73, v65
	v_add_f32_e32 v65, v64, v103
	v_add_f32_e32 v64, v76, v111
	v_fmac_f32_e32 v95, v75, v50
	v_fma_f32 v94, v74, v50, -v49
	v_pk_mul_f32 v[48:49], v[78:79], v[98:99] op_sel:[1,0] op_sel_hi:[0,0]
	v_pk_add_f32 v[42:43], v[64:65], v[42:43]
	v_pk_mul_f32 v[100:101], v[80:81], v[56:57] op_sel:[1,1] op_sel_hi:[0,1]
	v_mov_b32_e32 v102, v59
	v_mov_b32_e32 v45, v47
	v_pk_fma_f32 v[46:47], v[78:79], v[54:55], v[48:49] neg_lo:[0,0,1] neg_hi:[0,0,1]
	v_pk_fma_f32 v[48:49], v[78:79], v[54:55], v[48:49] op_sel_hi:[1,0,1]
	v_pk_add_f32 v[42:43], v[42:43], v[94:95]
	v_pk_fma_f32 v[50:51], v[80:81], v[56:57], v[100:101] neg_lo:[0,0,1] neg_hi:[0,0,1]
	v_pk_fma_f32 v[52:53], v[80:81], v[56:57], v[100:101] op_sel_hi:[1,0,1]
	v_pk_mul_f32 v[56:57], v[82:83], v[102:103] op_sel:[1,0] op_sel_hi:[0,0]
	v_mov_b32_e32 v47, v49
	v_pk_add_f32 v[42:43], v[42:43], v[44:45]
	v_pk_mul_f32 v[104:105], v[84:85], v[60:61] op_sel:[1,1] op_sel_hi:[0,1]
	v_mov_b32_e32 v106, v63
	v_mov_b32_e32 v51, v53
	v_pk_fma_f32 v[52:53], v[82:83], v[58:59], v[56:57] neg_lo:[0,0,1] neg_hi:[0,0,1]
	v_pk_fma_f32 v[54:55], v[82:83], v[58:59], v[56:57] op_sel_hi:[1,0,1]
	v_pk_add_f32 v[42:43], v[42:43], v[46:47]
	v_pk_fma_f32 v[68:69], v[84:85], v[60:61], v[104:105] neg_lo:[0,0,1] neg_hi:[0,0,1]
	v_pk_fma_f32 v[60:61], v[84:85], v[60:61], v[104:105] op_sel_hi:[1,0,1]
	v_pk_mul_f32 v[70:71], v[86:87], v[106:107] op_sel:[1,0] op_sel_hi:[0,0]
	v_mov_b32_e32 v53, v55
	v_pk_add_f32 v[42:43], v[42:43], v[50:51]
	v_mov_b32_e32 v110, v67
	v_mov_b32_e32 v69, v61
	v_pk_fma_f32 v[56:57], v[86:87], v[62:63], v[70:71] neg_lo:[0,0,1] neg_hi:[0,0,1]
	v_pk_fma_f32 v[58:59], v[86:87], v[62:63], v[70:71] op_sel_hi:[1,0,1]
	v_pk_add_f32 v[42:43], v[42:43], v[52:53]
	v_pk_mul_f32 v[74:75], v[90:91], v[110:111] op_sel:[1,0] op_sel_hi:[0,0]
	v_mov_b32_e32 v57, v59
	v_pk_add_f32 v[42:43], v[42:43], v[68:69]
	v_pk_fma_f32 v[60:61], v[90:91], v[66:67], v[74:75] neg_lo:[0,0,1] neg_hi:[0,0,1]
	v_pk_fma_f32 v[62:63], v[90:91], v[66:67], v[74:75] op_sel_hi:[1,0,1]
	v_pk_add_f32 v[42:43], v[42:43], v[56:57]
	v_mov_b32_e32 v61, v63
	v_pk_add_f32 v[42:43], v[42:43], v[72:73]
	s_nop 0
	v_pk_add_f32 v[42:43], v[42:43], v[60:61]
	s_waitcnt vmcnt(0)
	v_pk_add_f32 v[42:43], v[92:93], v[42:43] neg_lo:[0,1] neg_hi:[0,1]
	scratch_store_dwordx2 off, v[42:43], off offset:56
	s_and_saveexec_b64 s[0:1], vcc
	s_cbranch_execz .LBB19_121
; %bb.120:
	scratch_load_dwordx2 v[42:43], off, off offset:48
	v_mov_b32_e32 v44, 0
	v_mov_b32_e32 v45, v44
	scratch_store_dwordx2 off, v[44:45], off offset:48
	s_waitcnt vmcnt(1)
	ds_write_b64 v1, v[42:43]
.LBB19_121:
	s_or_b64 exec, exec, s[0:1]
	s_waitcnt lgkmcnt(0)
	; wave barrier
	scratch_load_dwordx4 v[44:47], off, off offset:56
	scratch_load_dwordx4 v[48:51], off, off offset:72
	;; [unrolled: 1-line block ×6, first 2 shown]
	scratch_load_dwordx2 v[92:93], off, off offset:152
	scratch_load_dwordx2 v[94:95], off, off offset:48
	v_mov_b32_e32 v42, 0
	ds_read2_b64 v[68:71], v42 offset0:27 offset1:28
	ds_read2_b64 v[72:75], v42 offset0:29 offset1:30
	;; [unrolled: 1-line block ×6, first 2 shown]
	ds_read_b64 v[96:97], v42 offset:312
	v_cmp_lt_u32_e32 vcc, 5, v0
	s_waitcnt vmcnt(7) lgkmcnt(6)
	v_mul_f32_e32 v103, v70, v47
	v_mul_f32_e32 v43, v68, v45
	s_waitcnt vmcnt(5) lgkmcnt(4)
	v_mul_f32_e32 v101, v76, v53
	v_mul_f32_e32 v45, v69, v45
	v_mov_b32_e32 v102, v55
	s_waitcnt vmcnt(2) lgkmcnt(1)
	v_pk_mul_f32 v[112:113], v[88:89], v[64:65] op_sel:[1,1] op_sel_hi:[0,1]
	v_fmac_f32_e32 v103, v71, v46
	v_mul_f32_e32 v47, v71, v47
	v_mul_f32_e32 v53, v77, v53
	v_fmac_f32_e32 v43, v69, v44
	v_fmac_f32_e32 v101, v77, v52
	v_fma_f32 v77, v68, v44, -v45
	v_pk_mul_f32 v[44:45], v[78:79], v[102:103] op_sel:[1,0] op_sel_hi:[0,0]
	v_pk_fma_f32 v[68:69], v[88:89], v[64:65], v[112:113] neg_lo:[0,0,1] neg_hi:[0,0,1]
	v_pk_fma_f32 v[64:65], v[88:89], v[64:65], v[112:113] op_sel_hi:[1,0,1]
	v_mul_f32_e32 v107, v72, v49
	v_mul_f32_e32 v49, v73, v49
	v_fma_f32 v111, v70, v46, -v47
	v_fma_f32 v100, v76, v52, -v53
	v_add_f32_e32 v43, 0, v43
	v_add_f32_e32 v64, 0, v77
	v_pk_fma_f32 v[76:77], v[78:79], v[54:55], v[44:45] neg_lo:[0,0,1] neg_hi:[0,0,1]
	v_pk_fma_f32 v[44:45], v[78:79], v[54:55], v[44:45] op_sel_hi:[1,0,1]
	v_mul_f32_e32 v99, v74, v51
	v_mul_f32_e32 v51, v75, v51
	v_fmac_f32_e32 v107, v73, v48
	v_fma_f32 v115, v72, v48, -v49
	v_add_f32_e32 v43, v43, v103
	v_add_f32_e32 v44, v64, v111
	v_fmac_f32_e32 v99, v75, v50
	v_fma_f32 v98, v74, v50, -v51
	v_mov_b32_e32 v77, v45
	v_add_f32_e32 v45, v43, v107
	v_add_f32_e32 v44, v44, v115
	v_pk_mul_f32 v[104:105], v[80:81], v[56:57] op_sel:[1,1] op_sel_hi:[0,1]
	v_mov_b32_e32 v106, v59
	v_pk_add_f32 v[44:45], v[44:45], v[98:99]
	v_pk_fma_f32 v[46:47], v[80:81], v[56:57], v[104:105] neg_lo:[0,0,1] neg_hi:[0,0,1]
	v_pk_fma_f32 v[48:49], v[80:81], v[56:57], v[104:105] op_sel_hi:[1,0,1]
	v_pk_mul_f32 v[50:51], v[82:83], v[106:107] op_sel:[1,0] op_sel_hi:[0,0]
	v_pk_add_f32 v[44:45], v[44:45], v[100:101]
	v_pk_mul_f32 v[108:109], v[84:85], v[60:61] op_sel:[1,1] op_sel_hi:[0,1]
	v_mov_b32_e32 v110, v63
	v_mov_b32_e32 v47, v49
	v_pk_fma_f32 v[48:49], v[82:83], v[58:59], v[50:51] neg_lo:[0,0,1] neg_hi:[0,0,1]
	v_pk_fma_f32 v[50:51], v[82:83], v[58:59], v[50:51] op_sel_hi:[1,0,1]
	v_pk_add_f32 v[44:45], v[44:45], v[76:77]
	v_pk_fma_f32 v[52:53], v[84:85], v[60:61], v[108:109] neg_lo:[0,0,1] neg_hi:[0,0,1]
	v_pk_fma_f32 v[56:57], v[84:85], v[60:61], v[108:109] op_sel_hi:[1,0,1]
	v_pk_mul_f32 v[60:61], v[86:87], v[110:111] op_sel:[1,0] op_sel_hi:[0,0]
	v_mov_b32_e32 v49, v51
	v_pk_add_f32 v[44:45], v[44:45], v[46:47]
	v_mov_b32_e32 v114, v67
	v_mov_b32_e32 v53, v57
	v_pk_fma_f32 v[54:55], v[86:87], v[62:63], v[60:61] neg_lo:[0,0,1] neg_hi:[0,0,1]
	v_pk_fma_f32 v[56:57], v[86:87], v[62:63], v[60:61] op_sel_hi:[1,0,1]
	v_pk_add_f32 v[44:45], v[44:45], v[48:49]
	v_pk_mul_f32 v[70:71], v[90:91], v[114:115] op_sel:[1,0] op_sel_hi:[0,0]
	v_mov_b32_e32 v55, v57
	v_pk_add_f32 v[44:45], v[44:45], v[52:53]
	s_waitcnt vmcnt(1) lgkmcnt(0)
	v_pk_mul_f32 v[116:117], v[96:97], v[92:93] op_sel:[1,1] op_sel_hi:[0,1]
	v_mov_b32_e32 v69, v65
	v_pk_fma_f32 v[58:59], v[90:91], v[66:67], v[70:71] neg_lo:[0,0,1] neg_hi:[0,0,1]
	v_pk_fma_f32 v[60:61], v[90:91], v[66:67], v[70:71] op_sel_hi:[1,0,1]
	v_pk_add_f32 v[44:45], v[44:45], v[54:55]
	v_pk_fma_f32 v[72:73], v[96:97], v[92:93], v[116:117] neg_lo:[0,0,1] neg_hi:[0,0,1]
	v_pk_fma_f32 v[74:75], v[96:97], v[92:93], v[116:117] op_sel_hi:[1,0,1]
	v_mov_b32_e32 v59, v61
	v_pk_add_f32 v[44:45], v[44:45], v[68:69]
	v_mov_b32_e32 v73, v75
	v_pk_add_f32 v[44:45], v[44:45], v[58:59]
	s_nop 0
	v_pk_add_f32 v[44:45], v[44:45], v[72:73]
	s_waitcnt vmcnt(0)
	v_pk_add_f32 v[44:45], v[94:95], v[44:45] neg_lo:[0,1] neg_hi:[0,1]
	scratch_store_dwordx2 off, v[44:45], off offset:48
	s_and_saveexec_b64 s[0:1], vcc
	s_cbranch_execz .LBB19_123
; %bb.122:
	scratch_load_dwordx2 v[44:45], off, off offset:40
	v_mov_b32_e32 v43, v42
	scratch_store_dwordx2 off, v[42:43], off offset:40
	s_waitcnt vmcnt(1)
	ds_write_b64 v1, v[44:45]
.LBB19_123:
	s_or_b64 exec, exec, s[0:1]
	s_waitcnt lgkmcnt(0)
	; wave barrier
	scratch_load_dwordx4 v[44:47], off, off offset:48
	scratch_load_dwordx4 v[48:51], off, off offset:64
	;; [unrolled: 1-line block ×7, first 2 shown]
	ds_read_b128 v[72:75], v42 offset:208
	ds_read_b128 v[76:79], v42 offset:224
	;; [unrolled: 1-line block ×6, first 2 shown]
	scratch_load_dwordx2 v[100:101], off, off offset:40
	ds_read_b128 v[96:99], v42 offset:304
	v_cmp_lt_u32_e32 vcc, 4, v0
	s_waitcnt vmcnt(7) lgkmcnt(6)
	v_mul_f32_e32 v107, v72, v45
	v_mul_f32_e32 v111, v74, v47
	s_waitcnt vmcnt(6) lgkmcnt(5)
	v_mul_f32_e32 v115, v76, v49
	v_mul_f32_e32 v119, v78, v51
	;; [unrolled: 3-line block ×3, first 2 shown]
	v_mul_f32_e32 v42, v73, v45
	v_mul_f32_e32 v45, v75, v47
	;; [unrolled: 1-line block ×6, first 2 shown]
	s_waitcnt vmcnt(4) lgkmcnt(3)
	v_pk_mul_f32 v[104:105], v[84:85], v[56:57] op_sel:[1,1] op_sel_hi:[0,1]
	v_mov_b32_e32 v106, v59
	s_waitcnt vmcnt(3) lgkmcnt(2)
	v_pk_mul_f32 v[108:109], v[88:89], v[60:61] op_sel:[1,1] op_sel_hi:[0,1]
	v_mov_b32_e32 v110, v63
	s_waitcnt vmcnt(1) lgkmcnt(0)
	v_pk_mul_f32 v[116:117], v[96:97], v[68:69] op_sel:[1,1] op_sel_hi:[0,1]
	v_fmac_f32_e32 v107, v73, v44
	v_fmac_f32_e32 v111, v75, v46
	;; [unrolled: 1-line block ×6, first 2 shown]
	v_fma_f32 v77, v72, v44, -v42
	v_fma_f32 v79, v74, v46, -v45
	v_fma_f32 v76, v76, v48, -v47
	v_fma_f32 v78, v78, v50, -v49
	v_fma_f32 v42, v80, v52, -v51
	v_fma_f32 v102, v82, v54, -v53
	v_pk_fma_f32 v[44:45], v[84:85], v[56:57], v[104:105] neg_lo:[0,0,1] neg_hi:[0,0,1]
	v_pk_fma_f32 v[46:47], v[84:85], v[56:57], v[104:105] op_sel_hi:[1,0,1]
	v_pk_mul_f32 v[48:49], v[86:87], v[106:107] op_sel:[1,0] op_sel_hi:[0,0]
	v_pk_fma_f32 v[50:51], v[88:89], v[60:61], v[108:109] neg_lo:[0,0,1] neg_hi:[0,0,1]
	v_pk_fma_f32 v[52:53], v[88:89], v[60:61], v[108:109] op_sel_hi:[1,0,1]
	v_pk_mul_f32 v[54:55], v[90:91], v[110:111] op_sel:[1,0] op_sel_hi:[0,0]
	v_pk_fma_f32 v[72:73], v[96:97], v[68:69], v[116:117] neg_lo:[0,0,1] neg_hi:[0,0,1]
	v_pk_fma_f32 v[68:69], v[96:97], v[68:69], v[116:117] op_sel_hi:[1,0,1]
	v_add_f32_e32 v77, 0, v77
	v_add_f32_e32 v68, 0, v107
	v_mov_b32_e32 v45, v47
	v_pk_fma_f32 v[46:47], v[86:87], v[58:59], v[48:49] neg_lo:[0,0,1] neg_hi:[0,0,1]
	v_pk_fma_f32 v[48:49], v[86:87], v[58:59], v[48:49] op_sel_hi:[1,0,1]
	v_mov_b32_e32 v51, v53
	v_pk_fma_f32 v[52:53], v[90:91], v[62:63], v[54:55] neg_lo:[0,0,1] neg_hi:[0,0,1]
	v_pk_fma_f32 v[54:55], v[90:91], v[62:63], v[54:55] op_sel_hi:[1,0,1]
	v_add_f32_e32 v48, v68, v111
	v_add_f32_e32 v54, v77, v79
	;; [unrolled: 1-line block ×4, first 2 shown]
	v_mov_b32_e32 v47, v49
	v_add_f32_e32 v49, v48, v119
	v_add_f32_e32 v48, v54, v78
	v_pk_add_f32 v[42:43], v[48:49], v[42:43]
	v_pk_mul_f32 v[112:113], v[92:93], v[64:65] op_sel:[1,1] op_sel_hi:[0,1]
	v_pk_add_f32 v[42:43], v[42:43], v[102:103]
	v_mov_b32_e32 v114, v67
	v_pk_add_f32 v[42:43], v[42:43], v[44:45]
	v_pk_fma_f32 v[56:57], v[92:93], v[64:65], v[112:113] neg_lo:[0,0,1] neg_hi:[0,0,1]
	v_pk_add_f32 v[42:43], v[42:43], v[46:47]
	v_pk_fma_f32 v[60:61], v[92:93], v[64:65], v[112:113] op_sel_hi:[1,0,1]
	v_pk_mul_f32 v[64:65], v[94:95], v[114:115] op_sel:[1,0] op_sel_hi:[0,0]
	v_mov_b32_e32 v53, v55
	v_pk_add_f32 v[42:43], v[42:43], v[50:51]
	v_mov_b32_e32 v118, v71
	v_mov_b32_e32 v57, v61
	v_pk_fma_f32 v[58:59], v[94:95], v[66:67], v[64:65] neg_lo:[0,0,1] neg_hi:[0,0,1]
	v_pk_fma_f32 v[60:61], v[94:95], v[66:67], v[64:65] op_sel_hi:[1,0,1]
	v_pk_add_f32 v[42:43], v[42:43], v[52:53]
	v_pk_mul_f32 v[74:75], v[98:99], v[118:119] op_sel:[1,0] op_sel_hi:[0,0]
	v_mov_b32_e32 v59, v61
	v_pk_add_f32 v[42:43], v[42:43], v[56:57]
	v_mov_b32_e32 v73, v69
	v_pk_fma_f32 v[62:63], v[98:99], v[70:71], v[74:75] neg_lo:[0,0,1] neg_hi:[0,0,1]
	v_pk_fma_f32 v[64:65], v[98:99], v[70:71], v[74:75] op_sel_hi:[1,0,1]
	v_pk_add_f32 v[42:43], v[42:43], v[58:59]
	v_mov_b32_e32 v63, v65
	v_pk_add_f32 v[42:43], v[42:43], v[72:73]
	s_nop 0
	v_pk_add_f32 v[42:43], v[42:43], v[62:63]
	s_waitcnt vmcnt(0)
	v_pk_add_f32 v[42:43], v[100:101], v[42:43] neg_lo:[0,1] neg_hi:[0,1]
	scratch_store_dwordx2 off, v[42:43], off offset:40
	s_and_saveexec_b64 s[0:1], vcc
	s_cbranch_execz .LBB19_125
; %bb.124:
	scratch_load_dwordx2 v[42:43], off, off offset:32
	v_mov_b32_e32 v44, 0
	v_mov_b32_e32 v45, v44
	scratch_store_dwordx2 off, v[44:45], off offset:32
	s_waitcnt vmcnt(1)
	ds_write_b64 v1, v[42:43]
.LBB19_125:
	s_or_b64 exec, exec, s[0:1]
	s_waitcnt lgkmcnt(0)
	; wave barrier
	scratch_load_dwordx4 v[44:47], off, off offset:40
	scratch_load_dwordx4 v[48:51], off, off offset:56
	;; [unrolled: 1-line block ×7, first 2 shown]
	scratch_load_dwordx2 v[100:101], off, off offset:152
	scratch_load_dwordx2 v[102:103], off, off offset:32
	v_mov_b32_e32 v42, 0
	ds_read2_b64 v[72:75], v42 offset0:25 offset1:26
	ds_read2_b64 v[76:79], v42 offset0:27 offset1:28
	ds_read2_b64 v[80:83], v42 offset0:29 offset1:30
	ds_read2_b64 v[84:87], v42 offset0:31 offset1:32
	ds_read2_b64 v[88:91], v42 offset0:33 offset1:34
	ds_read2_b64 v[92:95], v42 offset0:35 offset1:36
	ds_read2_b64 v[96:99], v42 offset0:37 offset1:38
	ds_read_b64 v[104:105], v42 offset:312
	v_cmp_lt_u32_e32 vcc, 3, v0
	s_waitcnt vmcnt(8) lgkmcnt(7)
	v_mul_f32_e32 v111, v74, v47
	v_mul_f32_e32 v43, v72, v45
	s_waitcnt vmcnt(7) lgkmcnt(6)
	v_mul_f32_e32 v115, v76, v49
	s_waitcnt vmcnt(6) lgkmcnt(5)
	v_mul_f32_e32 v123, v80, v53
	v_mul_f32_e32 v107, v82, v55
	;; [unrolled: 1-line block ×5, first 2 shown]
	s_waitcnt vmcnt(5)
	v_mov_b32_e32 v110, v59
	s_waitcnt vmcnt(3) lgkmcnt(2)
	v_pk_mul_f32 v[116:117], v[92:93], v[64:65] op_sel:[1,1] op_sel_hi:[0,1]
	s_waitcnt vmcnt(2) lgkmcnt(1)
	v_pk_mul_f32 v[120:121], v[96:97], v[68:69] op_sel:[1,1] op_sel_hi:[0,1]
	v_fmac_f32_e32 v111, v75, v46
	v_mul_f32_e32 v47, v75, v47
	v_mul_f32_e32 v49, v77, v49
	v_fmac_f32_e32 v43, v73, v44
	v_fmac_f32_e32 v115, v77, v48
	;; [unrolled: 1-line block ×4, first 2 shown]
	v_fma_f32 v72, v72, v44, -v45
	v_fma_f32 v77, v80, v52, -v53
	;; [unrolled: 1-line block ×3, first 2 shown]
	v_pk_mul_f32 v[44:45], v[86:87], v[110:111] op_sel:[1,0] op_sel_hi:[0,0]
	v_pk_fma_f32 v[52:53], v[92:93], v[64:65], v[116:117] neg_lo:[0,0,1] neg_hi:[0,0,1]
	v_pk_fma_f32 v[54:55], v[92:93], v[64:65], v[116:117] op_sel_hi:[1,0,1]
	v_pk_fma_f32 v[64:65], v[96:97], v[68:69], v[120:121] op_sel_hi:[1,0,1]
	v_fma_f32 v74, v74, v46, -v47
	v_add_f32_e32 v43, 0, v43
	v_add_f32_e32 v64, 0, v72
	v_pk_fma_f32 v[72:73], v[86:87], v[58:59], v[44:45] neg_lo:[0,0,1] neg_hi:[0,0,1]
	v_pk_fma_f32 v[44:45], v[86:87], v[58:59], v[44:45] op_sel_hi:[1,0,1]
	v_mul_f32_e32 v119, v78, v51
	v_mul_f32_e32 v51, v79, v51
	v_fma_f32 v75, v76, v48, -v49
	v_add_f32_e32 v43, v43, v111
	v_add_f32_e32 v44, v64, v74
	v_fmac_f32_e32 v119, v79, v50
	v_fma_f32 v76, v78, v50, -v51
	v_add_f32_e32 v43, v43, v115
	v_add_f32_e32 v44, v44, v75
	v_add_f32_e32 v43, v43, v119
	v_add_f32_e32 v44, v44, v76
	v_mul_f32_e32 v109, v84, v57
	v_mul_f32_e32 v57, v85, v57
	v_mov_b32_e32 v73, v45
	v_add_f32_e32 v45, v43, v123
	v_add_f32_e32 v44, v44, v77
	v_pk_mul_f32 v[112:113], v[88:89], v[60:61] op_sel:[1,1] op_sel_hi:[0,1]
	v_mov_b32_e32 v114, v63
	v_fmac_f32_e32 v109, v85, v56
	v_fma_f32 v108, v84, v56, -v57
	v_pk_add_f32 v[44:45], v[44:45], v[106:107]
	v_pk_fma_f32 v[46:47], v[88:89], v[60:61], v[112:113] neg_lo:[0,0,1] neg_hi:[0,0,1]
	v_pk_fma_f32 v[48:49], v[88:89], v[60:61], v[112:113] op_sel_hi:[1,0,1]
	v_pk_mul_f32 v[50:51], v[90:91], v[114:115] op_sel:[1,0] op_sel_hi:[0,0]
	v_pk_add_f32 v[44:45], v[44:45], v[108:109]
	v_mov_b32_e32 v118, v67
	v_mov_b32_e32 v47, v49
	v_pk_fma_f32 v[48:49], v[90:91], v[62:63], v[50:51] neg_lo:[0,0,1] neg_hi:[0,0,1]
	v_pk_fma_f32 v[50:51], v[90:91], v[62:63], v[50:51] op_sel_hi:[1,0,1]
	v_pk_add_f32 v[44:45], v[44:45], v[72:73]
	v_pk_mul_f32 v[56:57], v[94:95], v[118:119] op_sel:[1,0] op_sel_hi:[0,0]
	v_mov_b32_e32 v49, v51
	v_pk_add_f32 v[44:45], v[44:45], v[46:47]
	v_mov_b32_e32 v122, v71
	v_mov_b32_e32 v53, v55
	v_pk_fma_f32 v[54:55], v[94:95], v[66:67], v[56:57] neg_lo:[0,0,1] neg_hi:[0,0,1]
	v_pk_fma_f32 v[56:57], v[94:95], v[66:67], v[56:57] op_sel_hi:[1,0,1]
	v_pk_add_f32 v[44:45], v[44:45], v[48:49]
	v_pk_fma_f32 v[60:61], v[96:97], v[68:69], v[120:121] neg_lo:[0,0,1] neg_hi:[0,0,1]
	v_pk_mul_f32 v[68:69], v[98:99], v[122:123] op_sel:[1,0] op_sel_hi:[0,0]
	v_mov_b32_e32 v55, v57
	v_pk_add_f32 v[44:45], v[44:45], v[52:53]
	v_mov_b32_e32 v61, v65
	v_pk_add_f32 v[44:45], v[44:45], v[54:55]
	v_pk_fma_f32 v[46:47], v[98:99], v[70:71], v[68:69] neg_lo:[0,0,1] neg_hi:[0,0,1]
	v_pk_fma_f32 v[48:49], v[98:99], v[70:71], v[68:69] op_sel_hi:[1,0,1]
	v_pk_add_f32 v[44:45], v[44:45], v[60:61]
	v_mov_b32_e32 v47, v49
	v_pk_add_f32 v[44:45], v[44:45], v[46:47]
	s_waitcnt vmcnt(1) lgkmcnt(0)
	v_pk_mul_f32 v[46:47], v[104:105], v[100:101] op_sel:[1,1] op_sel_hi:[0,1]
	v_pk_fma_f32 v[48:49], v[104:105], v[100:101], v[46:47] neg_lo:[0,0,1] neg_hi:[0,0,1]
	v_pk_fma_f32 v[46:47], v[104:105], v[100:101], v[46:47] op_sel_hi:[1,0,1]
	s_nop 0
	v_mov_b32_e32 v49, v47
	v_pk_add_f32 v[44:45], v[44:45], v[48:49]
	s_waitcnt vmcnt(0)
	v_pk_add_f32 v[44:45], v[102:103], v[44:45] neg_lo:[0,1] neg_hi:[0,1]
	scratch_store_dwordx2 off, v[44:45], off offset:32
	s_and_saveexec_b64 s[0:1], vcc
	s_cbranch_execz .LBB19_127
; %bb.126:
	scratch_load_dwordx2 v[44:45], off, off offset:24
	v_mov_b32_e32 v43, v42
	scratch_store_dwordx2 off, v[42:43], off offset:24
	s_waitcnt vmcnt(1)
	ds_write_b64 v1, v[44:45]
.LBB19_127:
	s_or_b64 exec, exec, s[0:1]
	s_waitcnt lgkmcnt(0)
	; wave barrier
	scratch_load_dwordx4 v[44:47], off, off offset:32
	scratch_load_dwordx4 v[48:51], off, off offset:48
	;; [unrolled: 1-line block ×7, first 2 shown]
	ds_read_b128 v[72:75], v42 offset:192
	ds_read_b128 v[76:79], v42 offset:208
	;; [unrolled: 1-line block ×4, first 2 shown]
	scratch_load_dwordx4 v[88:91], off, off offset:144
	ds_read_b128 v[92:95], v42 offset:256
	ds_read_b128 v[96:99], v42 offset:272
	;; [unrolled: 1-line block ×4, first 2 shown]
	scratch_load_dwordx2 v[42:43], off, off offset:24
	v_cmp_lt_u32_e32 vcc, 2, v0
	s_waitcnt vmcnt(8) lgkmcnt(7)
	v_mul_f32_e32 v115, v72, v45
	v_mul_f32_e32 v119, v74, v47
	s_waitcnt vmcnt(7) lgkmcnt(6)
	v_mul_f32_e32 v123, v76, v49
	v_mul_f32_e32 v124, v78, v51
	;; [unrolled: 3-line block ×3, first 2 shown]
	v_mul_f32_e32 v45, v73, v45
	v_mul_f32_e32 v47, v75, v47
	;; [unrolled: 1-line block ×6, first 2 shown]
	s_waitcnt vmcnt(4) lgkmcnt(3)
	v_pk_mul_f32 v[112:113], v[92:93], v[60:61] op_sel:[1,1] op_sel_hi:[0,1]
	v_mov_b32_e32 v114, v63
	s_waitcnt vmcnt(3) lgkmcnt(2)
	v_pk_mul_f32 v[116:117], v[96:97], v[64:65] op_sel:[1,1] op_sel_hi:[0,1]
	v_mov_b32_e32 v118, v67
	v_fmac_f32_e32 v115, v73, v44
	v_fmac_f32_e32 v119, v75, v46
	;; [unrolled: 1-line block ×6, first 2 shown]
	v_fma_f32 v72, v72, v44, -v45
	v_fma_f32 v73, v74, v46, -v47
	v_fma_f32 v74, v76, v48, -v49
	v_fma_f32 v75, v78, v50, -v51
	v_fma_f32 v76, v80, v52, -v53
	v_fma_f32 v77, v82, v54, -v55
	v_pk_fma_f32 v[44:45], v[92:93], v[60:61], v[112:113] neg_lo:[0,0,1] neg_hi:[0,0,1]
	v_pk_fma_f32 v[46:47], v[92:93], v[60:61], v[112:113] op_sel_hi:[1,0,1]
	v_pk_mul_f32 v[48:49], v[94:95], v[114:115] op_sel:[1,0] op_sel_hi:[0,0]
	v_pk_fma_f32 v[50:51], v[96:97], v[64:65], v[116:117] neg_lo:[0,0,1] neg_hi:[0,0,1]
	v_pk_fma_f32 v[52:53], v[96:97], v[64:65], v[116:117] op_sel_hi:[1,0,1]
	v_pk_mul_f32 v[54:55], v[98:99], v[118:119] op_sel:[1,0] op_sel_hi:[0,0]
	v_add_f32_e32 v64, 0, v115
	v_add_f32_e32 v65, 0, v72
	v_mov_b32_e32 v45, v47
	v_pk_fma_f32 v[46:47], v[94:95], v[62:63], v[48:49] neg_lo:[0,0,1] neg_hi:[0,0,1]
	v_pk_fma_f32 v[48:49], v[94:95], v[62:63], v[48:49] op_sel_hi:[1,0,1]
	v_mov_b32_e32 v51, v53
	v_pk_fma_f32 v[52:53], v[98:99], v[66:67], v[54:55] neg_lo:[0,0,1] neg_hi:[0,0,1]
	v_pk_fma_f32 v[54:55], v[98:99], v[66:67], v[54:55] op_sel_hi:[1,0,1]
	v_add_f32_e32 v48, v64, v119
	v_add_f32_e32 v54, v65, v73
	v_mov_b32_e32 v47, v49
	v_add_f32_e32 v48, v48, v123
	v_add_f32_e32 v49, v54, v74
	;; [unrolled: 1-line block ×4, first 2 shown]
	v_mul_f32_e32 v109, v84, v57
	v_mul_f32_e32 v57, v85, v57
	v_add_f32_e32 v48, v48, v125
	v_add_f32_e32 v54, v49, v76
	v_mul_f32_e32 v111, v86, v59
	v_mul_f32_e32 v59, v87, v59
	v_fmac_f32_e32 v109, v85, v56
	v_fma_f32 v108, v84, v56, -v57
	v_add_f32_e32 v49, v48, v126
	v_add_f32_e32 v48, v54, v77
	v_fmac_f32_e32 v111, v87, v58
	v_fma_f32 v110, v86, v58, -v59
	v_pk_add_f32 v[48:49], v[48:49], v[108:109]
	s_waitcnt vmcnt(2) lgkmcnt(1)
	v_pk_mul_f32 v[120:121], v[100:101], v[68:69] op_sel:[1,1] op_sel_hi:[0,1]
	v_mov_b32_e32 v122, v71
	v_pk_add_f32 v[48:49], v[48:49], v[110:111]
	v_pk_fma_f32 v[56:57], v[100:101], v[68:69], v[120:121] neg_lo:[0,0,1] neg_hi:[0,0,1]
	v_pk_fma_f32 v[58:59], v[100:101], v[68:69], v[120:121] op_sel_hi:[1,0,1]
	v_pk_mul_f32 v[60:61], v[102:103], v[122:123] op_sel:[1,0] op_sel_hi:[0,0]
	v_pk_add_f32 v[44:45], v[48:49], v[44:45]
	v_mov_b32_e32 v57, v59
	v_pk_fma_f32 v[58:59], v[102:103], v[70:71], v[60:61] neg_lo:[0,0,1] neg_hi:[0,0,1]
	v_pk_add_f32 v[44:45], v[44:45], v[46:47]
	v_pk_fma_f32 v[46:47], v[102:103], v[70:71], v[60:61] op_sel_hi:[1,0,1]
	v_mov_b32_e32 v53, v55
	v_pk_add_f32 v[44:45], v[44:45], v[50:51]
	v_mov_b32_e32 v59, v47
	s_waitcnt vmcnt(1) lgkmcnt(0)
	v_pk_mul_f32 v[46:47], v[104:105], v[88:89] op_sel:[1,1] op_sel_hi:[0,1]
	v_pk_add_f32 v[44:45], v[44:45], v[52:53]
	v_pk_fma_f32 v[48:49], v[104:105], v[88:89], v[46:47] neg_lo:[0,0,1] neg_hi:[0,0,1]
	v_pk_fma_f32 v[46:47], v[104:105], v[88:89], v[46:47] op_sel_hi:[1,0,1]
	v_pk_add_f32 v[44:45], v[44:45], v[56:57]
	v_mov_b32_e32 v46, v91
	v_pk_add_f32 v[44:45], v[44:45], v[58:59]
	v_mov_b32_e32 v49, v47
	v_pk_mul_f32 v[46:47], v[106:107], v[46:47] op_sel:[1,0] op_sel_hi:[0,0]
	v_pk_add_f32 v[44:45], v[44:45], v[48:49]
	v_pk_fma_f32 v[48:49], v[106:107], v[90:91], v[46:47] neg_lo:[0,0,1] neg_hi:[0,0,1]
	v_pk_fma_f32 v[46:47], v[106:107], v[90:91], v[46:47] op_sel_hi:[1,0,1]
	s_nop 0
	v_mov_b32_e32 v49, v47
	v_pk_add_f32 v[44:45], v[44:45], v[48:49]
	s_waitcnt vmcnt(0)
	v_pk_add_f32 v[42:43], v[42:43], v[44:45] neg_lo:[0,1] neg_hi:[0,1]
	scratch_store_dwordx2 off, v[42:43], off offset:24
	s_and_saveexec_b64 s[0:1], vcc
	s_cbranch_execz .LBB19_129
; %bb.128:
	scratch_load_dwordx2 v[42:43], off, off offset:16
	v_mov_b32_e32 v44, 0
	v_mov_b32_e32 v45, v44
	scratch_store_dwordx2 off, v[44:45], off offset:16
	s_waitcnt vmcnt(1)
	ds_write_b64 v1, v[42:43]
.LBB19_129:
	s_or_b64 exec, exec, s[0:1]
	s_waitcnt lgkmcnt(0)
	; wave barrier
	scratch_load_dwordx4 v[44:47], off, off offset:24
	scratch_load_dwordx4 v[48:51], off, off offset:40
	;; [unrolled: 1-line block ×8, first 2 shown]
	scratch_load_dwordx2 v[108:109], off, off offset:152
	scratch_load_dwordx2 v[110:111], off, off offset:16
	v_mov_b32_e32 v42, 0
	ds_read2_b64 v[76:79], v42 offset0:23 offset1:24
	ds_read2_b64 v[80:83], v42 offset0:25 offset1:26
	;; [unrolled: 1-line block ×8, first 2 shown]
	ds_read_b64 v[112:113], v42 offset:312
	v_cmp_lt_u32_e32 vcc, 1, v0
	s_waitcnt vmcnt(9) lgkmcnt(8)
	v_mul_f32_e32 v119, v78, v47
	v_mul_f32_e32 v43, v76, v45
	s_waitcnt vmcnt(8) lgkmcnt(7)
	v_mul_f32_e32 v123, v80, v49
	s_waitcnt vmcnt(7) lgkmcnt(6)
	v_mul_f32_e32 v127, v84, v53
	v_mul_f32_e32 v45, v77, v45
	;; [unrolled: 1-line block ×5, first 2 shown]
	s_waitcnt vmcnt(5)
	v_mov_b32_e32 v118, v63
	s_waitcnt vmcnt(3) lgkmcnt(2)
	v_pk_mul_f32 v[124:125], v[100:101], v[68:69] op_sel:[1,1] op_sel_hi:[0,1]
	v_fmac_f32_e32 v119, v79, v46
	v_mul_f32_e32 v126, v82, v51
	v_mul_f32_e32 v129, v88, v57
	;; [unrolled: 1-line block ×4, first 2 shown]
	v_fmac_f32_e32 v43, v77, v44
	v_fmac_f32_e32 v127, v85, v52
	v_fma_f32 v76, v76, v44, -v45
	v_fma_f32 v77, v78, v46, -v47
	;; [unrolled: 1-line block ×4, first 2 shown]
	v_pk_mul_f32 v[44:45], v[94:95], v[118:119] op_sel:[1,0] op_sel_hi:[0,0]
	v_pk_fma_f32 v[52:53], v[100:101], v[68:69], v[124:125] neg_lo:[0,0,1] neg_hi:[0,0,1]
	v_fmac_f32_e32 v129, v89, v56
	v_fma_f32 v79, v82, v50, -v51
	v_fma_f32 v82, v88, v56, -v57
	v_add_f32_e32 v43, 0, v43
	v_add_f32_e32 v53, 0, v76
	v_pk_fma_f32 v[56:57], v[94:95], v[62:63], v[44:45] neg_lo:[0,0,1] neg_hi:[0,0,1]
	v_pk_fma_f32 v[44:45], v[94:95], v[62:63], v[44:45] op_sel_hi:[1,0,1]
	v_fmac_f32_e32 v123, v81, v48
	v_add_f32_e32 v43, v43, v119
	v_add_f32_e32 v44, v53, v77
	v_fmac_f32_e32 v126, v83, v50
	v_add_f32_e32 v43, v43, v123
	v_add_f32_e32 v44, v44, v78
	v_mul_f32_e32 v128, v86, v55
	v_mul_f32_e32 v55, v87, v55
	v_add_f32_e32 v43, v43, v126
	v_add_f32_e32 v44, v44, v79
	v_fmac_f32_e32 v128, v87, v54
	v_fma_f32 v81, v86, v54, -v55
	v_add_f32_e32 v43, v43, v127
	v_add_f32_e32 v44, v44, v80
	v_mul_f32_e32 v115, v90, v59
	v_mul_f32_e32 v59, v91, v59
	v_add_f32_e32 v43, v43, v128
	v_add_f32_e32 v44, v44, v81
	v_mul_f32_e32 v117, v92, v61
	v_mul_f32_e32 v61, v93, v61
	v_fmac_f32_e32 v115, v91, v58
	v_fma_f32 v114, v90, v58, -v59
	v_mov_b32_e32 v57, v45
	v_add_f32_e32 v45, v43, v129
	v_add_f32_e32 v44, v44, v82
	v_pk_mul_f32 v[120:121], v[96:97], v[64:65] op_sel:[1,1] op_sel_hi:[0,1]
	v_fmac_f32_e32 v117, v93, v60
	v_fma_f32 v116, v92, v60, -v61
	v_pk_add_f32 v[44:45], v[44:45], v[114:115]
	v_mov_b32_e32 v122, v67
	v_pk_fma_f32 v[46:47], v[96:97], v[64:65], v[120:121] neg_lo:[0,0,1] neg_hi:[0,0,1]
	v_pk_fma_f32 v[48:49], v[96:97], v[64:65], v[120:121] op_sel_hi:[1,0,1]
	v_pk_add_f32 v[44:45], v[44:45], v[116:117]
	v_pk_mul_f32 v[50:51], v[98:99], v[122:123] op_sel:[1,0] op_sel_hi:[0,0]
	v_mov_b32_e32 v47, v49
	v_pk_add_f32 v[44:45], v[44:45], v[56:57]
	v_pk_fma_f32 v[48:49], v[98:99], v[66:67], v[50:51] neg_lo:[0,0,1] neg_hi:[0,0,1]
	v_pk_fma_f32 v[50:51], v[98:99], v[66:67], v[50:51] op_sel_hi:[1,0,1]
	v_pk_add_f32 v[44:45], v[44:45], v[46:47]
	v_mov_b32_e32 v46, v71
	v_pk_fma_f32 v[54:55], v[100:101], v[68:69], v[124:125] op_sel_hi:[1,0,1]
	v_mov_b32_e32 v49, v51
	v_pk_mul_f32 v[46:47], v[102:103], v[46:47] op_sel:[1,0] op_sel_hi:[0,0]
	v_pk_add_f32 v[44:45], v[44:45], v[48:49]
	v_mov_b32_e32 v53, v55
	v_pk_fma_f32 v[48:49], v[102:103], v[70:71], v[46:47] neg_lo:[0,0,1] neg_hi:[0,0,1]
	v_pk_fma_f32 v[46:47], v[102:103], v[70:71], v[46:47] op_sel_hi:[1,0,1]
	v_pk_add_f32 v[44:45], v[44:45], v[52:53]
	v_mov_b32_e32 v49, v47
	s_waitcnt vmcnt(2) lgkmcnt(1)
	v_pk_mul_f32 v[46:47], v[104:105], v[72:73] op_sel:[1,1] op_sel_hi:[0,1]
	v_pk_add_f32 v[44:45], v[44:45], v[48:49]
	v_pk_fma_f32 v[48:49], v[104:105], v[72:73], v[46:47] neg_lo:[0,0,1] neg_hi:[0,0,1]
	v_pk_fma_f32 v[46:47], v[104:105], v[72:73], v[46:47] op_sel_hi:[1,0,1]
	s_nop 0
	v_mov_b32_e32 v46, v75
	v_mov_b32_e32 v49, v47
	v_pk_mul_f32 v[46:47], v[106:107], v[46:47] op_sel:[1,0] op_sel_hi:[0,0]
	v_pk_add_f32 v[44:45], v[44:45], v[48:49]
	v_pk_fma_f32 v[48:49], v[106:107], v[74:75], v[46:47] neg_lo:[0,0,1] neg_hi:[0,0,1]
	v_pk_fma_f32 v[46:47], v[106:107], v[74:75], v[46:47] op_sel_hi:[1,0,1]
	s_nop 0
	v_mov_b32_e32 v49, v47
	s_waitcnt vmcnt(1) lgkmcnt(0)
	v_pk_mul_f32 v[46:47], v[112:113], v[108:109] op_sel:[1,1] op_sel_hi:[0,1]
	v_pk_add_f32 v[44:45], v[44:45], v[48:49]
	v_pk_fma_f32 v[48:49], v[112:113], v[108:109], v[46:47] neg_lo:[0,0,1] neg_hi:[0,0,1]
	v_pk_fma_f32 v[46:47], v[112:113], v[108:109], v[46:47] op_sel_hi:[1,0,1]
	s_nop 0
	v_mov_b32_e32 v49, v47
	v_pk_add_f32 v[44:45], v[44:45], v[48:49]
	s_waitcnt vmcnt(0)
	v_pk_add_f32 v[44:45], v[110:111], v[44:45] neg_lo:[0,1] neg_hi:[0,1]
	scratch_store_dwordx2 off, v[44:45], off offset:16
	s_and_saveexec_b64 s[0:1], vcc
	s_cbranch_execz .LBB19_131
; %bb.130:
	scratch_load_dwordx2 v[44:45], off, off offset:8
	v_mov_b32_e32 v43, v42
	scratch_store_dwordx2 off, v[42:43], off offset:8
	s_waitcnt vmcnt(1)
	ds_write_b64 v1, v[44:45]
.LBB19_131:
	s_or_b64 exec, exec, s[0:1]
	s_waitcnt lgkmcnt(0)
	; wave barrier
	ds_read_b128 v[44:47], v42 offset:176
	ds_read_b128 v[48:51], v42 offset:192
	;; [unrolled: 1-line block ×4, first 2 shown]
	scratch_load_dwordx4 v[60:63], off, off offset:16
	scratch_load_dwordx4 v[80:83], off, off offset:80
	v_cmp_ne_u32_e32 vcc, 0, v0
	s_waitcnt vmcnt(1) lgkmcnt(3)
	v_mul_f32_e32 v43, v44, v61
	v_fmac_f32_e32 v43, v45, v60
	v_mul_f32_e32 v64, v46, v63
	v_add_f32_e32 v43, 0, v43
	v_fmac_f32_e32 v64, v47, v62
	v_add_f32_e32 v43, v43, v64
	scratch_load_dwordx4 v[64:67], off, off offset:32
	s_waitcnt vmcnt(0) lgkmcnt(2)
	v_mul_f32_e32 v68, v48, v65
	v_fmac_f32_e32 v68, v49, v64
	v_add_f32_e32 v43, v43, v68
	v_mul_f32_e32 v68, v50, v67
	v_fmac_f32_e32 v68, v51, v66
	v_add_f32_e32 v43, v43, v68
	scratch_load_dwordx4 v[68:71], off, off offset:48
	s_waitcnt vmcnt(0) lgkmcnt(1)
	v_mul_f32_e32 v72, v52, v69
	v_fmac_f32_e32 v72, v53, v68
	v_add_f32_e32 v43, v43, v72
	v_mul_f32_e32 v72, v54, v71
	;; [unrolled: 8-line block ×3, first 2 shown]
	v_fmac_f32_e32 v76, v59, v74
	v_add_f32_e32 v101, v43, v76
	ds_read_b128 v[76:79], v42 offset:240
	scratch_load_dwordx4 v[84:87], off, off offset:96
	scratch_load_dwordx4 v[88:91], off, off offset:112
	;; [unrolled: 1-line block ×4, first 2 shown]
	v_mul_f32_e32 v43, v45, v61
	v_fma_f32 v43, v44, v60, -v43
	v_mul_f32_e32 v44, v47, v63
	v_add_f32_e32 v43, 0, v43
	v_fma_f32 v44, v46, v62, -v44
	v_add_f32_e32 v43, v43, v44
	v_mul_f32_e32 v44, v49, v65
	v_fma_f32 v44, v48, v64, -v44
	v_add_f32_e32 v43, v43, v44
	v_mul_f32_e32 v44, v51, v67
	v_fma_f32 v44, v50, v66, -v44
	v_add_f32_e32 v43, v43, v44
	v_mul_f32_e32 v44, v53, v69
	v_fma_f32 v44, v52, v68, -v44
	v_add_f32_e32 v43, v43, v44
	v_mul_f32_e32 v44, v55, v71
	v_fma_f32 v44, v54, v70, -v44
	v_add_f32_e32 v43, v43, v44
	v_mul_f32_e32 v44, v57, v73
	v_fma_f32 v44, v56, v72, -v44
	v_add_f32_e32 v43, v43, v44
	v_mul_f32_e32 v44, v59, v75
	v_fma_f32 v44, v58, v74, -v44
	v_add_f32_e32 v100, v43, v44
	ds_read_b128 v[44:47], v42 offset:256
	ds_read_b128 v[48:51], v42 offset:272
	ds_read_b128 v[52:55], v42 offset:288
	ds_read_b128 v[56:59], v42 offset:304
	s_waitcnt lgkmcnt(4)
	v_mul_f32_e32 v103, v76, v81
	v_mul_f32_e32 v43, v77, v81
	v_fmac_f32_e32 v103, v77, v80
	v_mul_f32_e32 v105, v78, v83
	v_fma_f32 v102, v76, v80, -v43
	v_mul_f32_e32 v43, v79, v83
	v_fmac_f32_e32 v105, v79, v82
	v_fma_f32 v104, v78, v82, -v43
	v_pk_add_f32 v[42:43], v[100:101], v[102:103]
	s_waitcnt vmcnt(3) lgkmcnt(3)
	v_pk_mul_f32 v[60:61], v[44:45], v[84:85] op_sel:[1,1] op_sel_hi:[0,1]
	v_pk_fma_f32 v[62:63], v[44:45], v[84:85], v[60:61] neg_lo:[0,0,1] neg_hi:[0,0,1]
	v_pk_fma_f32 v[44:45], v[44:45], v[84:85], v[60:61] op_sel_hi:[1,0,1]
	v_pk_add_f32 v[42:43], v[42:43], v[104:105]
	v_mov_b32_e32 v44, v87
	v_mov_b32_e32 v63, v45
	v_pk_mul_f32 v[44:45], v[46:47], v[44:45] op_sel:[1,0] op_sel_hi:[0,0]
	v_pk_fma_f32 v[60:61], v[46:47], v[86:87], v[44:45] neg_lo:[0,0,1] neg_hi:[0,0,1]
	v_pk_fma_f32 v[44:45], v[46:47], v[86:87], v[44:45] op_sel_hi:[1,0,1]
	v_pk_add_f32 v[42:43], v[42:43], v[62:63]
	v_mov_b32_e32 v61, v45
	s_waitcnt vmcnt(2) lgkmcnt(2)
	v_pk_mul_f32 v[44:45], v[48:49], v[88:89] op_sel:[1,1] op_sel_hi:[0,1]
	v_pk_fma_f32 v[46:47], v[48:49], v[88:89], v[44:45] neg_lo:[0,0,1] neg_hi:[0,0,1]
	v_pk_fma_f32 v[44:45], v[48:49], v[88:89], v[44:45] op_sel_hi:[1,0,1]
	v_pk_add_f32 v[42:43], v[42:43], v[60:61]
	v_mov_b32_e32 v44, v91
	v_mov_b32_e32 v47, v45
	v_pk_mul_f32 v[44:45], v[50:51], v[44:45] op_sel:[1,0] op_sel_hi:[0,0]
	v_pk_add_f32 v[42:43], v[42:43], v[46:47]
	v_pk_fma_f32 v[46:47], v[50:51], v[90:91], v[44:45] neg_lo:[0,0,1] neg_hi:[0,0,1]
	v_pk_fma_f32 v[44:45], v[50:51], v[90:91], v[44:45] op_sel_hi:[1,0,1]
	s_nop 0
	v_mov_b32_e32 v47, v45
	s_waitcnt vmcnt(1) lgkmcnt(1)
	v_pk_mul_f32 v[44:45], v[52:53], v[92:93] op_sel:[1,1] op_sel_hi:[0,1]
	v_pk_add_f32 v[42:43], v[42:43], v[46:47]
	v_pk_fma_f32 v[46:47], v[52:53], v[92:93], v[44:45] neg_lo:[0,0,1] neg_hi:[0,0,1]
	v_pk_fma_f32 v[44:45], v[52:53], v[92:93], v[44:45] op_sel_hi:[1,0,1]
	s_nop 0
	v_mov_b32_e32 v44, v95
	v_mov_b32_e32 v47, v45
	v_pk_mul_f32 v[44:45], v[54:55], v[44:45] op_sel:[1,0] op_sel_hi:[0,0]
	v_pk_add_f32 v[42:43], v[42:43], v[46:47]
	v_pk_fma_f32 v[46:47], v[54:55], v[94:95], v[44:45] neg_lo:[0,0,1] neg_hi:[0,0,1]
	v_pk_fma_f32 v[44:45], v[54:55], v[94:95], v[44:45] op_sel_hi:[1,0,1]
	s_nop 0
	v_mov_b32_e32 v47, v45
	s_waitcnt vmcnt(0) lgkmcnt(0)
	v_pk_mul_f32 v[44:45], v[56:57], v[96:97] op_sel:[1,1] op_sel_hi:[0,1]
	v_pk_add_f32 v[42:43], v[42:43], v[46:47]
	v_pk_fma_f32 v[46:47], v[56:57], v[96:97], v[44:45] neg_lo:[0,0,1] neg_hi:[0,0,1]
	v_pk_fma_f32 v[44:45], v[56:57], v[96:97], v[44:45] op_sel_hi:[1,0,1]
	s_nop 0
	v_mov_b32_e32 v44, v99
	v_mov_b32_e32 v47, v45
	v_pk_mul_f32 v[44:45], v[58:59], v[44:45] op_sel:[1,0] op_sel_hi:[0,0]
	v_pk_add_f32 v[42:43], v[42:43], v[46:47]
	v_pk_fma_f32 v[46:47], v[58:59], v[98:99], v[44:45] neg_lo:[0,0,1] neg_hi:[0,0,1]
	v_pk_fma_f32 v[44:45], v[58:59], v[98:99], v[44:45] op_sel_hi:[1,0,1]
	s_nop 0
	v_mov_b32_e32 v47, v45
	scratch_load_dwordx2 v[44:45], off, off offset:8
	v_pk_add_f32 v[42:43], v[42:43], v[46:47]
	s_waitcnt vmcnt(0)
	v_pk_add_f32 v[42:43], v[44:45], v[42:43] neg_lo:[0,1] neg_hi:[0,1]
	scratch_store_dwordx2 off, v[42:43], off offset:8
	s_and_saveexec_b64 s[0:1], vcc
	s_cbranch_execz .LBB19_133
; %bb.132:
	scratch_load_dwordx2 v[42:43], off, off
	v_mov_b32_e32 v44, 0
	v_mov_b32_e32 v45, v44
	scratch_store_dwordx2 off, v[44:45], off
	s_waitcnt vmcnt(1)
	ds_write_b64 v1, v[42:43]
.LBB19_133:
	s_or_b64 exec, exec, s[0:1]
	s_waitcnt lgkmcnt(0)
	; wave barrier
	scratch_load_dwordx4 v[48:51], off, off offset:8
	scratch_load_dwordx4 v[56:59], off, off offset:24
	;; [unrolled: 1-line block ×6, first 2 shown]
	v_mov_b32_e32 v42, 0
	ds_read2_b64 v[44:47], v42 offset0:21 offset1:22
	ds_read2_b64 v[52:55], v42 offset0:23 offset1:24
	;; [unrolled: 1-line block ×6, first 2 shown]
	scratch_load_dwordx4 v[92:95], off, off offset:104
	scratch_load_dwordx4 v[96:99], off, off offset:120
	;; [unrolled: 1-line block ×3, first 2 shown]
	scratch_load_dwordx2 v[108:109], off, off offset:152
	s_and_b64 vcc, exec, s[18:19]
	s_waitcnt vmcnt(9) lgkmcnt(5)
	v_mul_f32_e32 v0, v44, v49
	v_fmac_f32_e32 v0, v45, v48
	v_mul_f32_e32 v1, v46, v51
	v_add_f32_e32 v0, 0, v0
	v_fmac_f32_e32 v1, v47, v50
	v_add_f32_e32 v0, v0, v1
	s_waitcnt vmcnt(8) lgkmcnt(4)
	v_mul_f32_e32 v1, v52, v57
	v_fmac_f32_e32 v1, v53, v56
	v_add_f32_e32 v0, v0, v1
	v_mul_f32_e32 v1, v54, v59
	v_fmac_f32_e32 v1, v55, v58
	v_add_f32_e32 v0, v0, v1
	s_waitcnt vmcnt(7) lgkmcnt(3)
	v_mul_f32_e32 v1, v60, v65
	v_fmac_f32_e32 v1, v61, v64
	v_add_f32_e32 v0, v0, v1
	v_mul_f32_e32 v1, v62, v67
	;; [unrolled: 7-line block ×4, first 2 shown]
	v_fma_f32 v0, v44, v48, -v0
	v_mul_f32_e32 v43, v47, v51
	v_add_f32_e32 v0, 0, v0
	v_fma_f32 v43, v46, v50, -v43
	v_add_f32_e32 v0, v0, v43
	v_mul_f32_e32 v43, v53, v57
	v_fma_f32 v43, v52, v56, -v43
	v_add_f32_e32 v0, v0, v43
	v_mul_f32_e32 v43, v55, v59
	;; [unrolled: 3-line block ×7, first 2 shown]
	v_fma_f32 v43, v76, v80, -v43
	v_mul_f32_e32 v105, v78, v83
	v_add_f32_e32 v0, v0, v43
	v_mul_f32_e32 v43, v79, v83
	s_waitcnt vmcnt(4)
	v_mov_b32_e32 v58, v91
	v_fmac_f32_e32 v105, v79, v82
	s_waitcnt lgkmcnt(0)
	v_mul_f32_e32 v107, v84, v89
	v_fma_f32 v104, v78, v82, -v43
	v_mul_f32_e32 v43, v85, v89
	ds_read2_b64 v[44:47], v42 offset0:33 offset1:34
	ds_read2_b64 v[48:51], v42 offset0:35 offset1:36
	;; [unrolled: 1-line block ×3, first 2 shown]
	ds_read_b64 v[56:57], v42 offset:312
	v_pk_mul_f32 v[58:59], v[86:87], v[58:59] op_sel:[1,0] op_sel_hi:[0,0]
	v_fmac_f32_e32 v107, v85, v88
	v_fma_f32 v106, v84, v88, -v43
	v_pk_add_f32 v[0:1], v[0:1], v[104:105]
	v_pk_fma_f32 v[60:61], v[86:87], v[90:91], v[58:59] neg_lo:[0,0,1] neg_hi:[0,0,1]
	v_pk_fma_f32 v[58:59], v[86:87], v[90:91], v[58:59] op_sel_hi:[1,0,1]
	v_pk_add_f32 v[0:1], v[0:1], v[106:107]
	v_mov_b32_e32 v61, v59
	s_waitcnt vmcnt(3) lgkmcnt(3)
	v_pk_mul_f32 v[58:59], v[44:45], v[92:93] op_sel:[1,1] op_sel_hi:[0,1]
	v_pk_add_f32 v[0:1], v[0:1], v[60:61]
	v_pk_fma_f32 v[60:61], v[44:45], v[92:93], v[58:59] neg_lo:[0,0,1] neg_hi:[0,0,1]
	v_pk_fma_f32 v[44:45], v[44:45], v[92:93], v[58:59] op_sel_hi:[1,0,1]
	s_nop 0
	v_mov_b32_e32 v44, v95
	v_mov_b32_e32 v61, v45
	v_pk_mul_f32 v[44:45], v[46:47], v[44:45] op_sel:[1,0] op_sel_hi:[0,0]
	v_pk_fma_f32 v[58:59], v[46:47], v[94:95], v[44:45] neg_lo:[0,0,1] neg_hi:[0,0,1]
	v_pk_fma_f32 v[44:45], v[46:47], v[94:95], v[44:45] op_sel_hi:[1,0,1]
	v_pk_add_f32 v[0:1], v[0:1], v[60:61]
	v_mov_b32_e32 v59, v45
	s_waitcnt vmcnt(2) lgkmcnt(2)
	v_pk_mul_f32 v[44:45], v[48:49], v[96:97] op_sel:[1,1] op_sel_hi:[0,1]
	v_pk_fma_f32 v[46:47], v[48:49], v[96:97], v[44:45] neg_lo:[0,0,1] neg_hi:[0,0,1]
	v_pk_fma_f32 v[44:45], v[48:49], v[96:97], v[44:45] op_sel_hi:[1,0,1]
	v_pk_add_f32 v[0:1], v[0:1], v[58:59]
	v_mov_b32_e32 v44, v99
	v_mov_b32_e32 v47, v45
	v_pk_mul_f32 v[44:45], v[50:51], v[44:45] op_sel:[1,0] op_sel_hi:[0,0]
	v_pk_add_f32 v[0:1], v[0:1], v[46:47]
	v_pk_fma_f32 v[46:47], v[50:51], v[98:99], v[44:45] neg_lo:[0,0,1] neg_hi:[0,0,1]
	v_pk_fma_f32 v[44:45], v[50:51], v[98:99], v[44:45] op_sel_hi:[1,0,1]
	s_nop 0
	v_mov_b32_e32 v47, v45
	s_waitcnt vmcnt(1) lgkmcnt(1)
	v_pk_mul_f32 v[44:45], v[52:53], v[100:101] op_sel:[1,1] op_sel_hi:[0,1]
	v_pk_add_f32 v[0:1], v[0:1], v[46:47]
	v_pk_fma_f32 v[46:47], v[52:53], v[100:101], v[44:45] neg_lo:[0,0,1] neg_hi:[0,0,1]
	v_pk_fma_f32 v[44:45], v[52:53], v[100:101], v[44:45] op_sel_hi:[1,0,1]
	s_nop 0
	v_mov_b32_e32 v44, v103
	v_mov_b32_e32 v47, v45
	v_pk_mul_f32 v[44:45], v[54:55], v[44:45] op_sel:[1,0] op_sel_hi:[0,0]
	v_pk_add_f32 v[0:1], v[0:1], v[46:47]
	v_pk_fma_f32 v[46:47], v[54:55], v[102:103], v[44:45] neg_lo:[0,0,1] neg_hi:[0,0,1]
	v_pk_fma_f32 v[44:45], v[54:55], v[102:103], v[44:45] op_sel_hi:[1,0,1]
	s_nop 0
	v_mov_b32_e32 v47, v45
	s_waitcnt vmcnt(0) lgkmcnt(0)
	v_pk_mul_f32 v[44:45], v[56:57], v[108:109] op_sel:[1,1] op_sel_hi:[0,1]
	v_pk_add_f32 v[0:1], v[0:1], v[46:47]
	v_pk_fma_f32 v[46:47], v[56:57], v[108:109], v[44:45] neg_lo:[0,0,1] neg_hi:[0,0,1]
	v_pk_fma_f32 v[44:45], v[56:57], v[108:109], v[44:45] op_sel_hi:[1,0,1]
	s_nop 0
	v_mov_b32_e32 v47, v45
	scratch_load_dwordx2 v[44:45], off, off
	v_pk_add_f32 v[0:1], v[0:1], v[46:47]
	s_waitcnt vmcnt(0)
	v_pk_add_f32 v[0:1], v[44:45], v[0:1] neg_lo:[0,1] neg_hi:[0,1]
	scratch_store_dwordx2 off, v[0:1], off
	s_cbranch_vccz .LBB19_172
; %bb.134:
	global_load_dword v0, v42, s[16:17] offset:72
	s_waitcnt vmcnt(0)
	v_readfirstlane_b32 s0, v0
	s_add_i32 s0, s0, -1
	s_cmp_lg_u32 s0, 18
	s_cbranch_scc0 .LBB19_136
; %bb.135:
	s_lshl_b32 s0, s0, 3
	s_nop 0
	scratch_load_dwordx2 v[0:1], off, s0
	scratch_load_dwordx2 v[42:43], off, off offset:144
	s_waitcnt vmcnt(1)
	scratch_store_dwordx2 off, v[0:1], off offset:144
	s_waitcnt vmcnt(1)
	scratch_store_dwordx2 off, v[42:43], s0
.LBB19_136:
	v_mov_b32_e32 v0, 0
	global_load_dword v1, v0, s[16:17] offset:68
	s_waitcnt vmcnt(0)
	v_readfirstlane_b32 s0, v1
	s_add_i32 s0, s0, -1
	s_cmp_eq_u32 s0, 17
	s_cbranch_scc1 .LBB19_138
; %bb.137:
	s_lshl_b32 s0, s0, 3
	s_nop 0
	scratch_load_dwordx2 v[42:43], off, s0
	scratch_load_dwordx2 v[44:45], off, off offset:136
	s_waitcnt vmcnt(1)
	scratch_store_dwordx2 off, v[42:43], off offset:136
	s_waitcnt vmcnt(1)
	scratch_store_dwordx2 off, v[44:45], s0
.LBB19_138:
	global_load_dword v0, v0, s[16:17] offset:64
	s_waitcnt vmcnt(0)
	v_readfirstlane_b32 s0, v0
	s_add_i32 s0, s0, -1
	s_cmp_eq_u32 s0, 16
	s_cbranch_scc1 .LBB19_140
; %bb.139:
	s_lshl_b32 s0, s0, 3
	s_nop 0
	scratch_load_dwordx2 v[0:1], off, s0
	scratch_load_dwordx2 v[42:43], off, off offset:128
	s_waitcnt vmcnt(1)
	scratch_store_dwordx2 off, v[0:1], off offset:128
	s_waitcnt vmcnt(1)
	scratch_store_dwordx2 off, v[42:43], s0
.LBB19_140:
	v_mov_b32_e32 v0, 0
	global_load_dword v1, v0, s[16:17] offset:60
	s_waitcnt vmcnt(0)
	v_readfirstlane_b32 s0, v1
	s_add_i32 s0, s0, -1
	s_cmp_eq_u32 s0, 15
	s_cbranch_scc1 .LBB19_142
; %bb.141:
	s_lshl_b32 s0, s0, 3
	s_nop 0
	scratch_load_dwordx2 v[42:43], off, s0
	scratch_load_dwordx2 v[44:45], off, off offset:120
	s_waitcnt vmcnt(1)
	scratch_store_dwordx2 off, v[42:43], off offset:120
	s_waitcnt vmcnt(1)
	scratch_store_dwordx2 off, v[44:45], s0
.LBB19_142:
	global_load_dword v0, v0, s[16:17] offset:56
	s_waitcnt vmcnt(0)
	v_readfirstlane_b32 s0, v0
	s_add_i32 s0, s0, -1
	s_cmp_eq_u32 s0, 14
	s_cbranch_scc1 .LBB19_144
; %bb.143:
	s_lshl_b32 s0, s0, 3
	s_nop 0
	scratch_load_dwordx2 v[0:1], off, s0
	scratch_load_dwordx2 v[42:43], off, off offset:112
	s_waitcnt vmcnt(1)
	scratch_store_dwordx2 off, v[0:1], off offset:112
	s_waitcnt vmcnt(1)
	scratch_store_dwordx2 off, v[42:43], s0
.LBB19_144:
	;; [unrolled: 33-line block ×8, first 2 shown]
	v_mov_b32_e32 v0, 0
	global_load_dword v1, v0, s[16:17] offset:4
	s_waitcnt vmcnt(0)
	v_readfirstlane_b32 s0, v1
	s_add_i32 s0, s0, -1
	s_cmp_eq_u32 s0, 1
	s_cbranch_scc1 .LBB19_170
; %bb.169:
	s_lshl_b32 s0, s0, 3
	s_nop 0
	scratch_load_dwordx2 v[42:43], off, s0
	scratch_load_dwordx2 v[44:45], off, off offset:8
	s_waitcnt vmcnt(1)
	scratch_store_dwordx2 off, v[42:43], off offset:8
	s_waitcnt vmcnt(1)
	scratch_store_dwordx2 off, v[44:45], s0
.LBB19_170:
	global_load_dword v42, v0, s[16:17]
	s_nop 0
	scratch_load_dwordx2 v[0:1], off, off
	s_waitcnt vmcnt(1)
	v_readfirstlane_b32 s0, v42
	s_add_i32 s0, s0, -1
	s_cmp_eq_u32 s0, 0
	s_cbranch_scc1 .LBB19_172
; %bb.171:
	s_lshl_b32 s0, s0, 3
	s_nop 0
	scratch_load_dwordx2 v[42:43], off, s0
	s_waitcnt vmcnt(0)
	scratch_store_dwordx2 off, v[42:43], off
	scratch_store_dwordx2 off, v[0:1], s0
	scratch_load_dwordx2 v[0:1], off, off
.LBB19_172:
	s_nop 0
	scratch_load_dwordx4 v[44:47], off, off offset:8
	scratch_load_dwordx4 v[48:51], off, off offset:24
	;; [unrolled: 1-line block ×9, first 2 shown]
	scratch_load_dwordx2 v[42:43], off, off offset:152
	s_waitcnt vmcnt(10)
	global_store_dwordx2 v[2:3], v[0:1], off
	s_waitcnt vmcnt(10)
	global_store_dwordx2 v[4:5], v[44:45], off
	global_store_dwordx2 v[6:7], v[46:47], off
	s_waitcnt vmcnt(11)
	global_store_dwordx2 v[8:9], v[48:49], off
	;; [unrolled: 3-line block ×10, first 2 shown]
	s_endpgm
	.section	.rodata,"a",@progbits
	.p2align	6, 0x0
	.amdhsa_kernel _ZN9rocsolver6v33100L18getri_kernel_smallILi20E19rocblas_complex_numIfEPS3_EEvT1_iilPiilS6_bb
		.amdhsa_group_segment_fixed_size 324
		.amdhsa_private_segment_fixed_size 176
		.amdhsa_kernarg_size 60
		.amdhsa_user_sgpr_count 2
		.amdhsa_user_sgpr_dispatch_ptr 0
		.amdhsa_user_sgpr_queue_ptr 0
		.amdhsa_user_sgpr_kernarg_segment_ptr 1
		.amdhsa_user_sgpr_dispatch_id 0
		.amdhsa_user_sgpr_kernarg_preload_length 0
		.amdhsa_user_sgpr_kernarg_preload_offset 0
		.amdhsa_user_sgpr_private_segment_size 0
		.amdhsa_uses_dynamic_stack 0
		.amdhsa_enable_private_segment 1
		.amdhsa_system_sgpr_workgroup_id_x 1
		.amdhsa_system_sgpr_workgroup_id_y 0
		.amdhsa_system_sgpr_workgroup_id_z 0
		.amdhsa_system_sgpr_workgroup_info 0
		.amdhsa_system_vgpr_workitem_id 0
		.amdhsa_next_free_vgpr 130
		.amdhsa_next_free_sgpr 20
		.amdhsa_accum_offset 132
		.amdhsa_reserve_vcc 1
		.amdhsa_float_round_mode_32 0
		.amdhsa_float_round_mode_16_64 0
		.amdhsa_float_denorm_mode_32 3
		.amdhsa_float_denorm_mode_16_64 3
		.amdhsa_dx10_clamp 1
		.amdhsa_ieee_mode 1
		.amdhsa_fp16_overflow 0
		.amdhsa_tg_split 0
		.amdhsa_exception_fp_ieee_invalid_op 0
		.amdhsa_exception_fp_denorm_src 0
		.amdhsa_exception_fp_ieee_div_zero 0
		.amdhsa_exception_fp_ieee_overflow 0
		.amdhsa_exception_fp_ieee_underflow 0
		.amdhsa_exception_fp_ieee_inexact 0
		.amdhsa_exception_int_div_zero 0
	.end_amdhsa_kernel
	.section	.text._ZN9rocsolver6v33100L18getri_kernel_smallILi20E19rocblas_complex_numIfEPS3_EEvT1_iilPiilS6_bb,"axG",@progbits,_ZN9rocsolver6v33100L18getri_kernel_smallILi20E19rocblas_complex_numIfEPS3_EEvT1_iilPiilS6_bb,comdat
.Lfunc_end19:
	.size	_ZN9rocsolver6v33100L18getri_kernel_smallILi20E19rocblas_complex_numIfEPS3_EEvT1_iilPiilS6_bb, .Lfunc_end19-_ZN9rocsolver6v33100L18getri_kernel_smallILi20E19rocblas_complex_numIfEPS3_EEvT1_iilPiilS6_bb
                                        ; -- End function
	.set _ZN9rocsolver6v33100L18getri_kernel_smallILi20E19rocblas_complex_numIfEPS3_EEvT1_iilPiilS6_bb.num_vgpr, 130
	.set _ZN9rocsolver6v33100L18getri_kernel_smallILi20E19rocblas_complex_numIfEPS3_EEvT1_iilPiilS6_bb.num_agpr, 0
	.set _ZN9rocsolver6v33100L18getri_kernel_smallILi20E19rocblas_complex_numIfEPS3_EEvT1_iilPiilS6_bb.numbered_sgpr, 20
	.set _ZN9rocsolver6v33100L18getri_kernel_smallILi20E19rocblas_complex_numIfEPS3_EEvT1_iilPiilS6_bb.num_named_barrier, 0
	.set _ZN9rocsolver6v33100L18getri_kernel_smallILi20E19rocblas_complex_numIfEPS3_EEvT1_iilPiilS6_bb.private_seg_size, 176
	.set _ZN9rocsolver6v33100L18getri_kernel_smallILi20E19rocblas_complex_numIfEPS3_EEvT1_iilPiilS6_bb.uses_vcc, 1
	.set _ZN9rocsolver6v33100L18getri_kernel_smallILi20E19rocblas_complex_numIfEPS3_EEvT1_iilPiilS6_bb.uses_flat_scratch, 0
	.set _ZN9rocsolver6v33100L18getri_kernel_smallILi20E19rocblas_complex_numIfEPS3_EEvT1_iilPiilS6_bb.has_dyn_sized_stack, 0
	.set _ZN9rocsolver6v33100L18getri_kernel_smallILi20E19rocblas_complex_numIfEPS3_EEvT1_iilPiilS6_bb.has_recursion, 0
	.set _ZN9rocsolver6v33100L18getri_kernel_smallILi20E19rocblas_complex_numIfEPS3_EEvT1_iilPiilS6_bb.has_indirect_call, 0
	.section	.AMDGPU.csdata,"",@progbits
; Kernel info:
; codeLenInByte = 17600
; TotalNumSgprs: 26
; NumVgprs: 130
; NumAgprs: 0
; TotalNumVgprs: 130
; ScratchSize: 176
; MemoryBound: 0
; FloatMode: 240
; IeeeMode: 1
; LDSByteSize: 324 bytes/workgroup (compile time only)
; SGPRBlocks: 3
; VGPRBlocks: 16
; NumSGPRsForWavesPerEU: 26
; NumVGPRsForWavesPerEU: 130
; AccumOffset: 132
; Occupancy: 3
; WaveLimiterHint : 1
; COMPUTE_PGM_RSRC2:SCRATCH_EN: 1
; COMPUTE_PGM_RSRC2:USER_SGPR: 2
; COMPUTE_PGM_RSRC2:TRAP_HANDLER: 0
; COMPUTE_PGM_RSRC2:TGID_X_EN: 1
; COMPUTE_PGM_RSRC2:TGID_Y_EN: 0
; COMPUTE_PGM_RSRC2:TGID_Z_EN: 0
; COMPUTE_PGM_RSRC2:TIDIG_COMP_CNT: 0
; COMPUTE_PGM_RSRC3_GFX90A:ACCUM_OFFSET: 32
; COMPUTE_PGM_RSRC3_GFX90A:TG_SPLIT: 0
	.section	.text._ZN9rocsolver6v33100L18getri_kernel_smallILi21E19rocblas_complex_numIfEPS3_EEvT1_iilPiilS6_bb,"axG",@progbits,_ZN9rocsolver6v33100L18getri_kernel_smallILi21E19rocblas_complex_numIfEPS3_EEvT1_iilPiilS6_bb,comdat
	.globl	_ZN9rocsolver6v33100L18getri_kernel_smallILi21E19rocblas_complex_numIfEPS3_EEvT1_iilPiilS6_bb ; -- Begin function _ZN9rocsolver6v33100L18getri_kernel_smallILi21E19rocblas_complex_numIfEPS3_EEvT1_iilPiilS6_bb
	.p2align	8
	.type	_ZN9rocsolver6v33100L18getri_kernel_smallILi21E19rocblas_complex_numIfEPS3_EEvT1_iilPiilS6_bb,@function
_ZN9rocsolver6v33100L18getri_kernel_smallILi21E19rocblas_complex_numIfEPS3_EEvT1_iilPiilS6_bb: ; @_ZN9rocsolver6v33100L18getri_kernel_smallILi21E19rocblas_complex_numIfEPS3_EEvT1_iilPiilS6_bb
; %bb.0:
	v_cmp_gt_u32_e32 vcc, 21, v0
	s_and_saveexec_b64 s[4:5], vcc
	s_cbranch_execz .LBB20_98
; %bb.1:
	s_load_dword s8, s[0:1], 0x38
	s_load_dwordx4 s[12:15], s[0:1], 0x10
	s_load_dwordx4 s[4:7], s[0:1], 0x28
                                        ; implicit-def: $sgpr16_sgpr17
	s_waitcnt lgkmcnt(0)
	s_bitcmp1_b32 s8, 8
	s_cselect_b64 s[18:19], -1, 0
	s_ashr_i32 s3, s2, 31
	s_bfe_u32 s8, s8, 0x10008
	s_cmp_eq_u32 s8, 0
	s_cbranch_scc1 .LBB20_3
; %bb.2:
	s_load_dword s8, s[0:1], 0x20
	s_mul_i32 s9, s4, s3
	s_mul_hi_u32 s10, s4, s2
	s_mul_i32 s5, s5, s2
	s_add_i32 s10, s10, s9
	s_add_i32 s5, s10, s5
	s_mul_i32 s4, s4, s2
	s_waitcnt lgkmcnt(0)
	s_ashr_i32 s9, s8, 31
	s_lshl_b64 s[4:5], s[4:5], 2
	s_add_u32 s10, s14, s4
	s_addc_u32 s11, s15, s5
	s_lshl_b64 s[4:5], s[8:9], 2
	s_add_u32 s16, s10, s4
	s_addc_u32 s17, s11, s5
.LBB20_3:
	s_load_dwordx4 s[8:11], s[0:1], 0x0
	s_load_dword s4, s[0:1], 0x38
	s_mul_i32 s5, s12, s3
	s_mul_hi_u32 s14, s12, s2
	s_add_i32 s5, s14, s5
	s_waitcnt lgkmcnt(0)
	s_ashr_i32 s1, s10, 31
	s_mov_b32 s0, s10
	s_mul_i32 s10, s13, s2
	s_add_i32 s13, s5, s10
	s_mul_i32 s12, s12, s2
	s_lshl_b64 s[12:13], s[12:13], 3
	s_add_u32 s5, s8, s12
	s_addc_u32 s8, s9, s13
	s_lshl_b64 s[0:1], s[0:1], 3
	s_add_u32 s0, s5, s0
	s_addc_u32 s1, s8, s1
	s_add_i32 s5, s11, s11
	v_add_u32_e32 v8, s5, v0
	v_add_u32_e32 v10, s11, v8
	v_add_u32_e32 v12, s11, v10
	v_add_u32_e32 v14, s11, v12
	v_add_u32_e32 v16, s11, v14
	v_add_u32_e32 v18, s11, v16
	v_add_u32_e32 v20, s11, v18
	v_add_u32_e32 v22, s11, v20
	v_add_u32_e32 v24, s11, v22
	v_add_u32_e32 v26, s11, v24
	v_add_u32_e32 v28, s11, v26
	v_add_u32_e32 v30, s11, v28
	v_add_u32_e32 v32, s11, v30
	v_add_u32_e32 v34, s11, v32
	v_add_u32_e32 v36, s11, v34
	v_add_u32_e32 v38, s11, v36
	v_add_u32_e32 v40, s11, v38
	v_add_u32_e32 v42, s11, v40
	v_lshlrev_b32_e32 v44, 3, v0
	v_mov_b32_e32 v45, 0
	v_ashrrev_i32_e32 v9, 31, v8
	v_ashrrev_i32_e32 v11, 31, v10
	;; [unrolled: 1-line block ×18, first 2 shown]
	v_lshl_add_u64 v[2:3], s[0:1], 0, v[44:45]
	s_ashr_i32 s9, s11, 31
	s_mov_b32 s8, s11
	v_lshl_add_u64 v[6:7], v[8:9], 3, s[0:1]
	v_lshl_add_u64 v[8:9], v[10:11], 3, s[0:1]
	;; [unrolled: 1-line block ×18, first 2 shown]
	v_add_u32_e32 v42, s11, v42
	v_lshl_add_u64 v[4:5], s[8:9], 3, v[2:3]
	v_ashrrev_i32_e32 v43, 31, v42
	global_load_dwordx2 v[48:49], v44, s[0:1]
	global_load_dwordx2 v[50:51], v[4:5], off
	global_load_dwordx2 v[52:53], v[6:7], off
	global_load_dwordx2 v[54:55], v[8:9], off
	global_load_dwordx2 v[56:57], v[10:11], off
	global_load_dwordx2 v[58:59], v[12:13], off
	global_load_dwordx2 v[60:61], v[14:15], off
	global_load_dwordx2 v[62:63], v[16:17], off
	global_load_dwordx2 v[64:65], v[18:19], off
	global_load_dwordx2 v[66:67], v[20:21], off
	global_load_dwordx2 v[68:69], v[22:23], off
	global_load_dwordx2 v[70:71], v[24:25], off
	global_load_dwordx2 v[72:73], v[26:27], off
	global_load_dwordx2 v[74:75], v[28:29], off
	global_load_dwordx2 v[76:77], v[30:31], off
	global_load_dwordx2 v[78:79], v[32:33], off
	global_load_dwordx2 v[80:81], v[34:35], off
	v_lshl_add_u64 v[42:43], v[42:43], 3, s[0:1]
	global_load_dwordx2 v[82:83], v[36:37], off
	global_load_dwordx2 v[84:85], v[38:39], off
	;; [unrolled: 1-line block ×4, first 2 shown]
	s_bitcmp0_b32 s4, 0
	s_mov_b64 s[4:5], -1
	s_waitcnt vmcnt(19)
	scratch_store_dwordx4 off, v[48:51], off
	s_waitcnt vmcnt(18)
	scratch_store_dwordx4 off, v[52:55], off offset:16
	s_waitcnt vmcnt(17)
	scratch_store_dwordx4 off, v[56:59], off offset:32
	;; [unrolled: 2-line block ×9, first 2 shown]
	s_waitcnt vmcnt(10)
	scratch_store_dwordx2 off, v[46:47], off offset:160
	s_cbranch_scc1 .LBB20_96
; %bb.4:
	v_cmp_eq_u32_e64 s[0:1], 0, v0
	s_and_saveexec_b64 s[4:5], s[0:1]
; %bb.5:
	v_mov_b32_e32 v1, 0
	ds_write_b32 v1, v1 offset:168
; %bb.6:
	s_or_b64 exec, exec, s[4:5]
	s_waitcnt lgkmcnt(0)
	; wave barrier
	scratch_load_dwordx2 v[46:47], v44, off
	s_waitcnt vmcnt(0)
	v_cmp_eq_f32_e32 vcc, 0, v46
	v_cmp_eq_f32_e64 s[4:5], 0, v47
	s_and_b64 s[4:5], vcc, s[4:5]
	s_and_saveexec_b64 s[8:9], s[4:5]
	s_cbranch_execz .LBB20_10
; %bb.7:
	v_mov_b32_e32 v1, 0
	ds_read_b32 v46, v1 offset:168
	v_add_u32_e32 v45, 1, v0
	s_waitcnt lgkmcnt(0)
	v_readfirstlane_b32 s4, v46
	s_cmp_eq_u32 s4, 0
	s_cselect_b64 s[10:11], -1, 0
	v_cmp_gt_i32_e32 vcc, s4, v45
	s_or_b64 s[10:11], s[10:11], vcc
	s_and_b64 exec, exec, s[10:11]
	s_cbranch_execz .LBB20_10
; %bb.8:
	s_mov_b64 s[10:11], 0
	v_mov_b32_e32 v46, s4
.LBB20_9:                               ; =>This Inner Loop Header: Depth=1
	ds_cmpst_rtn_b32 v46, v1, v46, v45 offset:168
	s_waitcnt lgkmcnt(0)
	v_cmp_ne_u32_e32 vcc, 0, v46
	v_cmp_le_i32_e64 s[4:5], v46, v45
	s_and_b64 s[4:5], vcc, s[4:5]
	s_and_b64 s[4:5], exec, s[4:5]
	s_or_b64 s[10:11], s[4:5], s[10:11]
	s_andn2_b64 exec, exec, s[10:11]
	s_cbranch_execnz .LBB20_9
.LBB20_10:
	s_or_b64 exec, exec, s[8:9]
	v_mov_b32_e32 v45, 0
	; wave barrier
	ds_read_b32 v1, v45 offset:168
	s_and_saveexec_b64 s[4:5], s[0:1]
	s_cbranch_execz .LBB20_12
; %bb.11:
	s_lshl_b64 s[8:9], s[2:3], 2
	s_add_u32 s8, s6, s8
	s_addc_u32 s9, s7, s9
	s_waitcnt lgkmcnt(0)
	global_store_dword v45, v1, s[8:9]
.LBB20_12:
	s_or_b64 exec, exec, s[4:5]
	s_waitcnt lgkmcnt(0)
	v_cmp_ne_u32_e32 vcc, 0, v1
	s_mov_b64 s[4:5], 0
	s_cbranch_vccnz .LBB20_96
; %bb.13:
	v_mov_b32_e32 v45, v44
	scratch_load_dwordx2 v[46:47], v45, off
                                        ; implicit-def: $vgpr49
                                        ; implicit-def: $vgpr50
	s_waitcnt vmcnt(0)
	v_cmp_ngt_f32_e64 s[4:5], |v46|, |v47|
	s_and_saveexec_b64 s[8:9], s[4:5]
	s_xor_b64 s[4:5], exec, s[8:9]
	s_cbranch_execz .LBB20_15
; %bb.14:
	v_div_scale_f32 v1, s[8:9], v47, v47, v46
	v_rcp_f32_e32 v48, v1
	v_div_scale_f32 v49, vcc, v46, v47, v46
	v_fma_f32 v50, -v1, v48, 1.0
	v_fmac_f32_e32 v48, v50, v48
	v_mul_f32_e32 v50, v49, v48
	v_fma_f32 v51, -v1, v50, v49
	v_fmac_f32_e32 v50, v51, v48
	v_fma_f32 v1, -v1, v50, v49
	v_div_fmas_f32 v1, v1, v48, v50
	v_div_fixup_f32 v1, v1, v47, v46
	v_fmac_f32_e32 v47, v46, v1
	v_div_scale_f32 v46, s[8:9], v47, v47, -1.0
	v_rcp_f32_e32 v48, v46
	s_nop 0
	v_fma_f32 v49, -v46, v48, 1.0
	v_fmac_f32_e32 v48, v49, v48
	v_div_scale_f32 v49, vcc, -1.0, v47, -1.0
	v_mul_f32_e32 v50, v49, v48
	v_fma_f32 v51, -v46, v50, v49
	v_fmac_f32_e32 v50, v51, v48
	v_fma_f32 v46, -v46, v50, v49
	v_div_fmas_f32 v46, v46, v48, v50
	v_div_fixup_f32 v49, v46, v47, -1.0
	v_mul_f32_e32 v50, v1, v49
	v_xor_b32_e32 v48, 0x80000000, v50
                                        ; implicit-def: $vgpr46_vgpr47
.LBB20_15:
	s_andn2_saveexec_b64 s[4:5], s[4:5]
	s_cbranch_execz .LBB20_17
; %bb.16:
	v_div_scale_f32 v1, s[8:9], v46, v46, v47
	v_rcp_f32_e32 v48, v1
	v_div_scale_f32 v49, vcc, v47, v46, v47
	v_fma_f32 v50, -v1, v48, 1.0
	v_fmac_f32_e32 v48, v50, v48
	v_mul_f32_e32 v50, v49, v48
	v_fma_f32 v51, -v1, v50, v49
	v_fmac_f32_e32 v50, v51, v48
	v_fma_f32 v1, -v1, v50, v49
	v_div_fmas_f32 v1, v1, v48, v50
	v_div_fixup_f32 v1, v1, v46, v47
	v_fmac_f32_e32 v46, v47, v1
	v_div_scale_f32 v47, s[8:9], v46, v46, 1.0
	v_rcp_f32_e32 v48, v47
	s_nop 0
	v_fma_f32 v49, -v47, v48, 1.0
	v_fmac_f32_e32 v48, v49, v48
	v_div_scale_f32 v49, vcc, 1.0, v46, 1.0
	v_mul_f32_e32 v50, v49, v48
	v_fma_f32 v51, -v47, v50, v49
	v_fmac_f32_e32 v50, v51, v48
	v_fma_f32 v47, -v47, v50, v49
	v_div_fmas_f32 v47, v47, v48, v50
	v_div_fixup_f32 v48, v47, v46, 1.0
	v_xor_b32_e32 v50, 0x80000000, v48
	v_mul_f32_e64 v49, v1, -v48
.LBB20_17:
	s_or_b64 exec, exec, s[4:5]
	scratch_store_dwordx2 v45, v[48:49], off
	scratch_load_dwordx2 v[46:47], off, off offset:8
	v_xor_b32_e32 v51, 0x80000000, v49
	v_add_u32_e32 v1, 0xb0, v44
	s_waitcnt vmcnt(0)
	ds_write2_b64 v44, v[50:51], v[46:47] offset1:22
	s_waitcnt lgkmcnt(0)
	; wave barrier
	s_and_saveexec_b64 s[4:5], s[0:1]
	s_cbranch_execz .LBB20_19
; %bb.18:
	scratch_load_dwordx2 v[46:47], v45, off
	ds_read_b64 v[48:49], v1
	v_mov_b32_e32 v50, 0
	ds_read_b64 v[50:51], v50 offset:8
	s_waitcnt vmcnt(0) lgkmcnt(1)
	v_pk_mul_f32 v[52:53], v[48:49], v[46:47] op_sel:[1,1] op_sel_hi:[0,1]
	v_pk_fma_f32 v[54:55], v[48:49], v[46:47], v[52:53] neg_lo:[0,0,1] neg_hi:[0,0,1]
	v_pk_fma_f32 v[46:47], v[48:49], v[46:47], v[52:53] op_sel_hi:[1,0,1]
	s_nop 0
	v_mov_b32_e32 v55, v47
	v_pk_add_f32 v[46:47], v[54:55], 0 op_sel_hi:[1,0]
	s_waitcnt lgkmcnt(0)
	v_pk_mul_f32 v[48:49], v[46:47], v[50:51] op_sel:[1,1] op_sel_hi:[0,1]
	v_pk_fma_f32 v[52:53], v[46:47], v[50:51], v[48:49] neg_lo:[0,0,1] neg_hi:[0,0,1]
	v_pk_fma_f32 v[46:47], v[46:47], v[50:51], v[48:49] op_sel_hi:[1,0,1]
	s_nop 0
	v_mov_b32_e32 v53, v47
	scratch_store_dwordx2 off, v[52:53], off offset:8
.LBB20_19:
	s_or_b64 exec, exec, s[4:5]
	; wave barrier
	scratch_load_dwordx2 v[46:47], off, off offset:16
	v_cmp_gt_u32_e32 vcc, 2, v0
	s_waitcnt vmcnt(0)
	ds_write_b64 v1, v[46:47]
	s_waitcnt lgkmcnt(0)
	; wave barrier
	s_and_saveexec_b64 s[4:5], vcc
	s_cbranch_execz .LBB20_23
; %bb.20:
	scratch_load_dwordx2 v[46:47], v45, off
	ds_read_b64 v[48:49], v1
	s_waitcnt vmcnt(0) lgkmcnt(0)
	v_pk_mul_f32 v[50:51], v[48:49], v[46:47] op_sel:[1,1] op_sel_hi:[0,1]
	v_pk_fma_f32 v[52:53], v[48:49], v[46:47], v[50:51] neg_lo:[0,0,1] neg_hi:[0,0,1]
	v_pk_fma_f32 v[46:47], v[48:49], v[46:47], v[50:51] op_sel_hi:[1,0,1]
	s_nop 0
	v_mov_b32_e32 v53, v47
	v_pk_add_f32 v[46:47], v[52:53], 0 op_sel_hi:[1,0]
	s_and_saveexec_b64 s[8:9], s[0:1]
	s_cbranch_execz .LBB20_22
; %bb.21:
	scratch_load_dwordx2 v[48:49], off, off offset:8
	v_mov_b32_e32 v45, 0
	ds_read_b64 v[50:51], v45 offset:184
	s_waitcnt vmcnt(0) lgkmcnt(0)
	v_pk_mul_f32 v[52:53], v[50:51], v[48:49] op_sel:[1,1] op_sel_hi:[0,1]
	v_pk_fma_f32 v[54:55], v[50:51], v[48:49], v[52:53] neg_lo:[0,0,1] neg_hi:[0,0,1]
	v_pk_fma_f32 v[48:49], v[50:51], v[48:49], v[52:53] op_sel_hi:[1,0,1]
	s_nop 0
	v_mov_b32_e32 v55, v49
	v_pk_add_f32 v[46:47], v[46:47], v[54:55]
.LBB20_22:
	s_or_b64 exec, exec, s[8:9]
	v_mov_b32_e32 v45, 0
	ds_read_b64 v[48:49], v45 offset:16
	s_waitcnt lgkmcnt(0)
	v_pk_mul_f32 v[50:51], v[46:47], v[48:49] op_sel:[1,1] op_sel_hi:[0,1]
	v_pk_fma_f32 v[52:53], v[46:47], v[48:49], v[50:51] neg_lo:[0,0,1] neg_hi:[0,0,1]
	v_pk_fma_f32 v[46:47], v[46:47], v[48:49], v[50:51] op_sel_hi:[1,0,1]
	s_nop 0
	v_mov_b32_e32 v53, v47
	scratch_store_dwordx2 off, v[52:53], off offset:16
.LBB20_23:
	s_or_b64 exec, exec, s[4:5]
	; wave barrier
	scratch_load_dwordx2 v[46:47], off, off offset:24
	v_cmp_gt_u32_e32 vcc, 3, v0
	v_add_u32_e32 v48, -1, v0
	s_waitcnt vmcnt(0)
	ds_write_b64 v1, v[46:47]
	s_waitcnt lgkmcnt(0)
	; wave barrier
	s_and_saveexec_b64 s[0:1], vcc
	s_cbranch_execz .LBB20_27
; %bb.24:
	v_mov_b32_e32 v46, 0
	v_add_u32_e32 v45, -1, v0
	v_add_u32_e32 v49, 0xb0, v44
	v_mov_b32_e32 v50, v44
	s_mov_b64 s[4:5], 0
	v_mov_b32_e32 v47, v46
.LBB20_25:                              ; =>This Inner Loop Header: Depth=1
	scratch_load_dwordx2 v[52:53], v50, off
	ds_read_b64 v[54:55], v49
	v_add_u32_e32 v45, 1, v45
	v_cmp_lt_u32_e32 vcc, 1, v45
	v_add_u32_e32 v49, 8, v49
	v_add_u32_e32 v50, 8, v50
	s_or_b64 s[4:5], vcc, s[4:5]
	s_waitcnt vmcnt(0) lgkmcnt(0)
	v_pk_mul_f32 v[56:57], v[54:55], v[52:53] op_sel:[1,1] op_sel_hi:[0,1]
	v_pk_fma_f32 v[58:59], v[54:55], v[52:53], v[56:57] neg_lo:[0,0,1] neg_hi:[0,0,1]
	v_pk_fma_f32 v[52:53], v[54:55], v[52:53], v[56:57] op_sel_hi:[1,0,1]
	s_nop 0
	v_mov_b32_e32 v59, v53
	v_pk_add_f32 v[46:47], v[46:47], v[58:59]
	s_andn2_b64 exec, exec, s[4:5]
	s_cbranch_execnz .LBB20_25
; %bb.26:
	s_or_b64 exec, exec, s[4:5]
	v_mov_b32_e32 v45, 0
	ds_read_b64 v[50:51], v45 offset:24
	s_waitcnt lgkmcnt(0)
	v_pk_mul_f32 v[52:53], v[46:47], v[50:51] op_sel:[1,1] op_sel_hi:[0,1]
	v_pk_fma_f32 v[54:55], v[46:47], v[50:51], v[52:53] neg_lo:[0,0,1] neg_hi:[0,0,1]
	v_pk_fma_f32 v[46:47], v[46:47], v[50:51], v[52:53] op_sel_hi:[1,0,1]
	s_nop 0
	v_mov_b32_e32 v55, v47
	scratch_store_dwordx2 off, v[54:55], off offset:24
.LBB20_27:
	s_or_b64 exec, exec, s[0:1]
	; wave barrier
	scratch_load_dwordx2 v[46:47], off, off offset:32
	v_cmp_gt_u32_e32 vcc, 4, v0
	s_waitcnt vmcnt(0)
	ds_write_b64 v1, v[46:47]
	s_waitcnt lgkmcnt(0)
	; wave barrier
	s_and_saveexec_b64 s[0:1], vcc
	s_cbranch_execz .LBB20_31
; %bb.28:
	v_mov_b32_e32 v46, 0
	v_add_u32_e32 v45, -1, v0
	v_add_u32_e32 v49, 0xb0, v44
	v_mov_b32_e32 v50, v44
	s_mov_b64 s[4:5], 0
	v_mov_b32_e32 v47, v46
.LBB20_29:                              ; =>This Inner Loop Header: Depth=1
	scratch_load_dwordx2 v[52:53], v50, off
	ds_read_b64 v[54:55], v49
	v_add_u32_e32 v45, 1, v45
	v_cmp_lt_u32_e32 vcc, 2, v45
	v_add_u32_e32 v49, 8, v49
	v_add_u32_e32 v50, 8, v50
	s_or_b64 s[4:5], vcc, s[4:5]
	s_waitcnt vmcnt(0) lgkmcnt(0)
	v_pk_mul_f32 v[56:57], v[54:55], v[52:53] op_sel:[1,1] op_sel_hi:[0,1]
	v_pk_fma_f32 v[58:59], v[54:55], v[52:53], v[56:57] neg_lo:[0,0,1] neg_hi:[0,0,1]
	v_pk_fma_f32 v[52:53], v[54:55], v[52:53], v[56:57] op_sel_hi:[1,0,1]
	s_nop 0
	v_mov_b32_e32 v59, v53
	v_pk_add_f32 v[46:47], v[46:47], v[58:59]
	s_andn2_b64 exec, exec, s[4:5]
	s_cbranch_execnz .LBB20_29
; %bb.30:
	s_or_b64 exec, exec, s[4:5]
	v_mov_b32_e32 v45, 0
	ds_read_b64 v[50:51], v45 offset:32
	s_waitcnt lgkmcnt(0)
	v_pk_mul_f32 v[52:53], v[46:47], v[50:51] op_sel:[1,1] op_sel_hi:[0,1]
	v_pk_fma_f32 v[54:55], v[46:47], v[50:51], v[52:53] neg_lo:[0,0,1] neg_hi:[0,0,1]
	v_pk_fma_f32 v[46:47], v[46:47], v[50:51], v[52:53] op_sel_hi:[1,0,1]
	s_nop 0
	v_mov_b32_e32 v55, v47
	scratch_store_dwordx2 off, v[54:55], off offset:32
.LBB20_31:
	s_or_b64 exec, exec, s[0:1]
	; wave barrier
	scratch_load_dwordx2 v[46:47], off, off offset:40
	v_cmp_gt_u32_e32 vcc, 5, v0
	;; [unrolled: 46-line block ×16, first 2 shown]
	s_waitcnt vmcnt(0)
	ds_write_b64 v1, v[46:47]
	s_waitcnt lgkmcnt(0)
	; wave barrier
	s_and_saveexec_b64 s[0:1], vcc
	s_cbranch_execz .LBB20_91
; %bb.88:
	v_mov_b32_e32 v46, 0
	v_add_u32_e32 v45, -1, v0
	v_add_u32_e32 v49, 0xb0, v44
	v_mov_b32_e32 v50, v44
	s_mov_b64 s[4:5], 0
	v_mov_b32_e32 v47, v46
.LBB20_89:                              ; =>This Inner Loop Header: Depth=1
	scratch_load_dwordx2 v[52:53], v50, off
	ds_read_b64 v[54:55], v49
	v_add_u32_e32 v45, 1, v45
	v_cmp_lt_u32_e32 vcc, 17, v45
	v_add_u32_e32 v49, 8, v49
	v_add_u32_e32 v50, 8, v50
	s_or_b64 s[4:5], vcc, s[4:5]
	s_waitcnt vmcnt(0) lgkmcnt(0)
	v_pk_mul_f32 v[56:57], v[54:55], v[52:53] op_sel:[1,1] op_sel_hi:[0,1]
	v_pk_fma_f32 v[58:59], v[54:55], v[52:53], v[56:57] neg_lo:[0,0,1] neg_hi:[0,0,1]
	v_pk_fma_f32 v[52:53], v[54:55], v[52:53], v[56:57] op_sel_hi:[1,0,1]
	s_nop 0
	v_mov_b32_e32 v59, v53
	v_pk_add_f32 v[46:47], v[46:47], v[58:59]
	s_andn2_b64 exec, exec, s[4:5]
	s_cbranch_execnz .LBB20_89
; %bb.90:
	s_or_b64 exec, exec, s[4:5]
	v_mov_b32_e32 v45, 0
	ds_read_b64 v[50:51], v45 offset:152
	s_waitcnt lgkmcnt(0)
	v_pk_mul_f32 v[52:53], v[46:47], v[50:51] op_sel:[1,1] op_sel_hi:[0,1]
	v_pk_fma_f32 v[54:55], v[46:47], v[50:51], v[52:53] neg_lo:[0,0,1] neg_hi:[0,0,1]
	v_pk_fma_f32 v[46:47], v[46:47], v[50:51], v[52:53] op_sel_hi:[1,0,1]
	s_nop 0
	v_mov_b32_e32 v55, v47
	scratch_store_dwordx2 off, v[54:55], off offset:152
.LBB20_91:
	s_or_b64 exec, exec, s[0:1]
	; wave barrier
	scratch_load_dwordx2 v[46:47], off, off offset:160
	v_cmp_ne_u32_e32 vcc, 20, v0
	s_waitcnt vmcnt(0)
	ds_write_b64 v1, v[46:47]
	s_waitcnt lgkmcnt(0)
	; wave barrier
	s_and_saveexec_b64 s[0:1], vcc
	s_cbranch_execz .LBB20_95
; %bb.92:
	v_add_u32_e32 v1, 0xb0, v44
	v_mov_b32_e32 v46, v44
	v_mov_b32_e32 v44, 0
	s_mov_b64 s[4:5], 0
	v_mov_b32_e32 v45, v44
.LBB20_93:                              ; =>This Inner Loop Header: Depth=1
	scratch_load_dwordx2 v[50:51], v46, off
	ds_read_b64 v[52:53], v1
	v_add_u32_e32 v48, 1, v48
	v_cmp_lt_u32_e32 vcc, 18, v48
	v_add_u32_e32 v1, 8, v1
	v_add_u32_e32 v46, 8, v46
	s_or_b64 s[4:5], vcc, s[4:5]
	s_waitcnt vmcnt(0) lgkmcnt(0)
	v_pk_mul_f32 v[54:55], v[52:53], v[50:51] op_sel:[1,1] op_sel_hi:[0,1]
	v_pk_fma_f32 v[56:57], v[52:53], v[50:51], v[54:55] neg_lo:[0,0,1] neg_hi:[0,0,1]
	v_pk_fma_f32 v[50:51], v[52:53], v[50:51], v[54:55] op_sel_hi:[1,0,1]
	s_nop 0
	v_mov_b32_e32 v57, v51
	v_pk_add_f32 v[44:45], v[44:45], v[56:57]
	s_andn2_b64 exec, exec, s[4:5]
	s_cbranch_execnz .LBB20_93
; %bb.94:
	s_or_b64 exec, exec, s[4:5]
	v_mov_b32_e32 v1, 0
	ds_read_b64 v[46:47], v1 offset:160
	s_waitcnt lgkmcnt(0)
	v_pk_mul_f32 v[48:49], v[44:45], v[46:47] op_sel:[1,1] op_sel_hi:[0,1]
	v_pk_fma_f32 v[50:51], v[44:45], v[46:47], v[48:49] neg_lo:[0,0,1] neg_hi:[0,0,1]
	v_pk_fma_f32 v[44:45], v[44:45], v[46:47], v[48:49] op_sel_hi:[1,0,1]
	s_nop 0
	v_mov_b32_e32 v51, v45
	scratch_store_dwordx2 off, v[50:51], off offset:160
.LBB20_95:
	s_or_b64 exec, exec, s[0:1]
	s_mov_b64 s[4:5], -1
	; wave barrier
.LBB20_96:
	s_and_b64 vcc, exec, s[4:5]
	s_cbranch_vccz .LBB20_98
; %bb.97:
	s_lshl_b64 s[0:1], s[2:3], 2
	s_add_u32 s0, s6, s0
	s_addc_u32 s1, s7, s1
	v_mov_b32_e32 v1, 0
	global_load_dword v1, v1, s[0:1]
	s_waitcnt vmcnt(0)
	v_cmp_ne_u32_e32 vcc, 0, v1
	s_cbranch_vccz .LBB20_99
.LBB20_98:
	s_endpgm
.LBB20_99:
	v_mov_b32_e32 v1, 0xb0
	v_lshl_add_u32 v1, v0, 3, v1
	v_cmp_eq_u32_e32 vcc, 20, v0
	s_and_saveexec_b64 s[0:1], vcc
	s_cbranch_execz .LBB20_101
; %bb.100:
	scratch_load_dwordx2 v[44:45], off, off offset:152
	v_mov_b32_e32 v46, 0
	v_mov_b32_e32 v47, v46
	scratch_store_dwordx2 off, v[46:47], off offset:152
	s_waitcnt vmcnt(1)
	ds_write_b64 v1, v[44:45]
.LBB20_101:
	s_or_b64 exec, exec, s[0:1]
	s_waitcnt lgkmcnt(0)
	; wave barrier
	scratch_load_dwordx2 v[46:47], off, off offset:160
	scratch_load_dwordx2 v[48:49], off, off offset:152
	v_mov_b32_e32 v44, 0
	ds_read_b64 v[50:51], v44 offset:336
	v_cmp_lt_u32_e32 vcc, 18, v0
	s_waitcnt vmcnt(1) lgkmcnt(0)
	v_pk_mul_f32 v[52:53], v[50:51], v[46:47] op_sel:[1,1] op_sel_hi:[0,1]
	v_pk_fma_f32 v[54:55], v[50:51], v[46:47], v[52:53] neg_lo:[0,0,1] neg_hi:[0,0,1]
	v_pk_fma_f32 v[46:47], v[50:51], v[46:47], v[52:53] op_sel_hi:[1,0,1]
	s_nop 0
	v_mov_b32_e32 v55, v47
	v_pk_add_f32 v[46:47], v[54:55], 0 op_sel_hi:[1,0]
	s_waitcnt vmcnt(0)
	v_pk_add_f32 v[46:47], v[48:49], v[46:47] neg_lo:[0,1] neg_hi:[0,1]
	scratch_store_dwordx2 off, v[46:47], off offset:152
	s_and_saveexec_b64 s[0:1], vcc
	s_cbranch_execz .LBB20_103
; %bb.102:
	scratch_load_dwordx2 v[46:47], off, off offset:144
	v_mov_b32_e32 v45, v44
	scratch_store_dwordx2 off, v[44:45], off offset:144
	s_waitcnt vmcnt(1)
	ds_write_b64 v1, v[46:47]
.LBB20_103:
	s_or_b64 exec, exec, s[0:1]
	s_waitcnt lgkmcnt(0)
	; wave barrier
	scratch_load_dwordx4 v[46:49], off, off offset:152
	scratch_load_dwordx2 v[54:55], off, off offset:144
	ds_read2_b64 v[50:53], v44 offset0:41 offset1:42
	v_cmp_lt_u32_e32 vcc, 17, v0
	s_waitcnt vmcnt(1) lgkmcnt(0)
	v_pk_mul_f32 v[44:45], v[50:51], v[46:47] op_sel:[1,1] op_sel_hi:[0,1]
	v_mov_b32_e32 v56, v49
	v_pk_fma_f32 v[58:59], v[50:51], v[46:47], v[44:45] neg_lo:[0,0,1] neg_hi:[0,0,1]
	v_pk_fma_f32 v[44:45], v[50:51], v[46:47], v[44:45] op_sel_hi:[1,0,1]
	v_pk_mul_f32 v[46:47], v[52:53], v[56:57] op_sel:[1,0] op_sel_hi:[0,0]
	v_mov_b32_e32 v59, v45
	v_pk_fma_f32 v[44:45], v[52:53], v[48:49], v[46:47] neg_lo:[0,0,1] neg_hi:[0,0,1]
	v_pk_fma_f32 v[46:47], v[52:53], v[48:49], v[46:47] op_sel_hi:[1,0,1]
	v_pk_add_f32 v[48:49], v[58:59], 0 op_sel_hi:[1,0]
	v_mov_b32_e32 v45, v47
	v_pk_add_f32 v[44:45], v[48:49], v[44:45]
	s_waitcnt vmcnt(0)
	v_pk_add_f32 v[44:45], v[54:55], v[44:45] neg_lo:[0,1] neg_hi:[0,1]
	scratch_store_dwordx2 off, v[44:45], off offset:144
	s_and_saveexec_b64 s[0:1], vcc
	s_cbranch_execz .LBB20_105
; %bb.104:
	scratch_load_dwordx2 v[44:45], off, off offset:136
	v_mov_b32_e32 v46, 0
	v_mov_b32_e32 v47, v46
	scratch_store_dwordx2 off, v[46:47], off offset:136
	s_waitcnt vmcnt(1)
	ds_write_b64 v1, v[44:45]
.LBB20_105:
	s_or_b64 exec, exec, s[0:1]
	s_waitcnt lgkmcnt(0)
	; wave barrier
	scratch_load_dwordx4 v[46:49], off, off offset:144
	scratch_load_dwordx2 v[54:55], off, off offset:160
	scratch_load_dwordx2 v[56:57], off, off offset:136
	v_mov_b32_e32 v44, 0
	ds_read_b128 v[50:53], v44 offset:320
	ds_read_b64 v[58:59], v44 offset:336
	v_cmp_lt_u32_e32 vcc, 16, v0
	s_waitcnt vmcnt(2) lgkmcnt(1)
	v_pk_mul_f32 v[60:61], v[50:51], v[46:47] op_sel:[1,1] op_sel_hi:[0,1]
	v_mov_b32_e32 v62, v49
	v_pk_fma_f32 v[66:67], v[50:51], v[46:47], v[60:61] neg_lo:[0,0,1] neg_hi:[0,0,1]
	v_pk_fma_f32 v[46:47], v[50:51], v[46:47], v[60:61] op_sel_hi:[1,0,1]
	v_pk_mul_f32 v[50:51], v[52:53], v[62:63] op_sel:[1,0] op_sel_hi:[0,0]
	s_waitcnt vmcnt(1) lgkmcnt(0)
	v_pk_mul_f32 v[64:65], v[58:59], v[54:55] op_sel:[1,1] op_sel_hi:[0,1]
	v_mov_b32_e32 v67, v47
	v_pk_fma_f32 v[46:47], v[52:53], v[48:49], v[50:51] neg_lo:[0,0,1] neg_hi:[0,0,1]
	v_pk_fma_f32 v[48:49], v[52:53], v[48:49], v[50:51] op_sel_hi:[1,0,1]
	v_pk_fma_f32 v[60:61], v[58:59], v[54:55], v[64:65] neg_lo:[0,0,1] neg_hi:[0,0,1]
	v_pk_fma_f32 v[54:55], v[58:59], v[54:55], v[64:65] op_sel_hi:[1,0,1]
	v_pk_add_f32 v[50:51], v[66:67], 0 op_sel_hi:[1,0]
	v_mov_b32_e32 v47, v49
	v_mov_b32_e32 v61, v55
	v_pk_add_f32 v[46:47], v[50:51], v[46:47]
	s_nop 0
	v_pk_add_f32 v[46:47], v[46:47], v[60:61]
	s_waitcnt vmcnt(0)
	v_pk_add_f32 v[46:47], v[56:57], v[46:47] neg_lo:[0,1] neg_hi:[0,1]
	scratch_store_dwordx2 off, v[46:47], off offset:136
	s_and_saveexec_b64 s[0:1], vcc
	s_cbranch_execz .LBB20_107
; %bb.106:
	scratch_load_dwordx2 v[46:47], off, off offset:128
	v_mov_b32_e32 v45, v44
	scratch_store_dwordx2 off, v[44:45], off offset:128
	s_waitcnt vmcnt(1)
	ds_write_b64 v1, v[46:47]
.LBB20_107:
	s_or_b64 exec, exec, s[0:1]
	s_waitcnt lgkmcnt(0)
	; wave barrier
	scratch_load_dwordx4 v[46:49], off, off offset:136
	scratch_load_dwordx4 v[50:53], off, off offset:152
	scratch_load_dwordx2 v[62:63], off, off offset:128
	ds_read2_b64 v[54:57], v44 offset0:39 offset1:40
	ds_read2_b64 v[58:61], v44 offset0:41 offset1:42
	v_cmp_lt_u32_e32 vcc, 15, v0
	s_waitcnt vmcnt(2) lgkmcnt(1)
	v_pk_mul_f32 v[44:45], v[54:55], v[46:47] op_sel:[1,1] op_sel_hi:[0,1]
	v_mov_b32_e32 v64, v49
	s_waitcnt vmcnt(1) lgkmcnt(0)
	v_pk_mul_f32 v[66:67], v[58:59], v[50:51] op_sel:[1,1] op_sel_hi:[0,1]
	v_mov_b32_e32 v68, v53
	v_pk_fma_f32 v[70:71], v[54:55], v[46:47], v[44:45] neg_lo:[0,0,1] neg_hi:[0,0,1]
	v_pk_fma_f32 v[44:45], v[54:55], v[46:47], v[44:45] op_sel_hi:[1,0,1]
	v_pk_mul_f32 v[46:47], v[56:57], v[64:65] op_sel:[1,0] op_sel_hi:[0,0]
	v_pk_fma_f32 v[54:55], v[58:59], v[50:51], v[66:67] neg_lo:[0,0,1] neg_hi:[0,0,1]
	v_pk_fma_f32 v[50:51], v[58:59], v[50:51], v[66:67] op_sel_hi:[1,0,1]
	v_pk_mul_f32 v[58:59], v[60:61], v[68:69] op_sel:[1,0] op_sel_hi:[0,0]
	v_mov_b32_e32 v71, v45
	v_pk_fma_f32 v[44:45], v[56:57], v[48:49], v[46:47] neg_lo:[0,0,1] neg_hi:[0,0,1]
	v_pk_fma_f32 v[46:47], v[56:57], v[48:49], v[46:47] op_sel_hi:[1,0,1]
	v_mov_b32_e32 v55, v51
	v_pk_fma_f32 v[48:49], v[60:61], v[52:53], v[58:59] neg_lo:[0,0,1] neg_hi:[0,0,1]
	v_pk_fma_f32 v[50:51], v[60:61], v[52:53], v[58:59] op_sel_hi:[1,0,1]
	v_pk_add_f32 v[52:53], v[70:71], 0 op_sel_hi:[1,0]
	v_mov_b32_e32 v45, v47
	v_pk_add_f32 v[44:45], v[52:53], v[44:45]
	v_mov_b32_e32 v49, v51
	v_pk_add_f32 v[44:45], v[44:45], v[54:55]
	s_nop 0
	v_pk_add_f32 v[44:45], v[44:45], v[48:49]
	s_waitcnt vmcnt(0)
	v_pk_add_f32 v[44:45], v[62:63], v[44:45] neg_lo:[0,1] neg_hi:[0,1]
	scratch_store_dwordx2 off, v[44:45], off offset:128
	s_and_saveexec_b64 s[0:1], vcc
	s_cbranch_execz .LBB20_109
; %bb.108:
	scratch_load_dwordx2 v[44:45], off, off offset:120
	v_mov_b32_e32 v46, 0
	v_mov_b32_e32 v47, v46
	scratch_store_dwordx2 off, v[46:47], off offset:120
	s_waitcnt vmcnt(1)
	ds_write_b64 v1, v[44:45]
.LBB20_109:
	s_or_b64 exec, exec, s[0:1]
	s_waitcnt lgkmcnt(0)
	; wave barrier
	scratch_load_dwordx4 v[46:49], off, off offset:128
	scratch_load_dwordx4 v[50:53], off, off offset:144
	scratch_load_dwordx2 v[62:63], off, off offset:160
	scratch_load_dwordx2 v[64:65], off, off offset:120
	v_mov_b32_e32 v44, 0
	ds_read_b128 v[54:57], v44 offset:304
	ds_read_b128 v[58:61], v44 offset:320
	ds_read_b64 v[66:67], v44 offset:336
	v_cmp_lt_u32_e32 vcc, 14, v0
	s_waitcnt vmcnt(3) lgkmcnt(2)
	v_pk_mul_f32 v[68:69], v[54:55], v[46:47] op_sel:[1,1] op_sel_hi:[0,1]
	v_mov_b32_e32 v70, v49
	v_pk_fma_f32 v[78:79], v[54:55], v[46:47], v[68:69] neg_lo:[0,0,1] neg_hi:[0,0,1]
	v_pk_fma_f32 v[46:47], v[54:55], v[46:47], v[68:69] op_sel_hi:[1,0,1]
	v_pk_mul_f32 v[54:55], v[56:57], v[70:71] op_sel:[1,0] op_sel_hi:[0,0]
	s_waitcnt vmcnt(2) lgkmcnt(1)
	v_pk_mul_f32 v[72:73], v[58:59], v[50:51] op_sel:[1,1] op_sel_hi:[0,1]
	v_mov_b32_e32 v74, v53
	v_mov_b32_e32 v79, v47
	v_pk_fma_f32 v[46:47], v[56:57], v[48:49], v[54:55] neg_lo:[0,0,1] neg_hi:[0,0,1]
	v_pk_fma_f32 v[48:49], v[56:57], v[48:49], v[54:55] op_sel_hi:[1,0,1]
	v_pk_fma_f32 v[68:69], v[58:59], v[50:51], v[72:73] neg_lo:[0,0,1] neg_hi:[0,0,1]
	v_pk_fma_f32 v[50:51], v[58:59], v[50:51], v[72:73] op_sel_hi:[1,0,1]
	v_pk_mul_f32 v[58:59], v[60:61], v[74:75] op_sel:[1,0] op_sel_hi:[0,0]
	v_pk_add_f32 v[54:55], v[78:79], 0 op_sel_hi:[1,0]
	v_mov_b32_e32 v47, v49
	s_waitcnt vmcnt(1) lgkmcnt(0)
	v_pk_mul_f32 v[76:77], v[66:67], v[62:63] op_sel:[1,1] op_sel_hi:[0,1]
	v_mov_b32_e32 v69, v51
	v_pk_fma_f32 v[50:51], v[60:61], v[52:53], v[58:59] neg_lo:[0,0,1] neg_hi:[0,0,1]
	v_pk_fma_f32 v[52:53], v[60:61], v[52:53], v[58:59] op_sel_hi:[1,0,1]
	v_pk_add_f32 v[46:47], v[54:55], v[46:47]
	v_pk_fma_f32 v[70:71], v[66:67], v[62:63], v[76:77] neg_lo:[0,0,1] neg_hi:[0,0,1]
	v_pk_fma_f32 v[62:63], v[66:67], v[62:63], v[76:77] op_sel_hi:[1,0,1]
	v_mov_b32_e32 v51, v53
	v_pk_add_f32 v[46:47], v[46:47], v[68:69]
	v_mov_b32_e32 v71, v63
	v_pk_add_f32 v[46:47], v[46:47], v[50:51]
	s_nop 0
	v_pk_add_f32 v[46:47], v[46:47], v[70:71]
	s_waitcnt vmcnt(0)
	v_pk_add_f32 v[46:47], v[64:65], v[46:47] neg_lo:[0,1] neg_hi:[0,1]
	scratch_store_dwordx2 off, v[46:47], off offset:120
	s_and_saveexec_b64 s[0:1], vcc
	s_cbranch_execz .LBB20_111
; %bb.110:
	scratch_load_dwordx2 v[46:47], off, off offset:112
	v_mov_b32_e32 v45, v44
	scratch_store_dwordx2 off, v[44:45], off offset:112
	s_waitcnt vmcnt(1)
	ds_write_b64 v1, v[46:47]
.LBB20_111:
	s_or_b64 exec, exec, s[0:1]
	s_waitcnt lgkmcnt(0)
	; wave barrier
	scratch_load_dwordx4 v[46:49], off, off offset:120
	scratch_load_dwordx4 v[50:53], off, off offset:136
	;; [unrolled: 1-line block ×3, first 2 shown]
	scratch_load_dwordx2 v[70:71], off, off offset:112
	ds_read2_b64 v[58:61], v44 offset0:37 offset1:38
	ds_read2_b64 v[62:65], v44 offset0:39 offset1:40
	;; [unrolled: 1-line block ×3, first 2 shown]
	v_cmp_lt_u32_e32 vcc, 13, v0
	s_waitcnt vmcnt(3) lgkmcnt(2)
	v_pk_mul_f32 v[44:45], v[58:59], v[46:47] op_sel:[1,1] op_sel_hi:[0,1]
	v_mov_b32_e32 v72, v49
	s_waitcnt vmcnt(2) lgkmcnt(1)
	v_pk_mul_f32 v[74:75], v[62:63], v[50:51] op_sel:[1,1] op_sel_hi:[0,1]
	v_mov_b32_e32 v76, v53
	;; [unrolled: 3-line block ×3, first 2 shown]
	v_pk_fma_f32 v[82:83], v[58:59], v[46:47], v[44:45] neg_lo:[0,0,1] neg_hi:[0,0,1]
	v_pk_fma_f32 v[44:45], v[58:59], v[46:47], v[44:45] op_sel_hi:[1,0,1]
	v_pk_mul_f32 v[46:47], v[60:61], v[72:73] op_sel:[1,0] op_sel_hi:[0,0]
	v_pk_fma_f32 v[58:59], v[62:63], v[50:51], v[74:75] neg_lo:[0,0,1] neg_hi:[0,0,1]
	v_pk_fma_f32 v[50:51], v[62:63], v[50:51], v[74:75] op_sel_hi:[1,0,1]
	v_pk_mul_f32 v[62:63], v[64:65], v[76:77] op_sel:[1,0] op_sel_hi:[0,0]
	;; [unrolled: 3-line block ×3, first 2 shown]
	v_mov_b32_e32 v83, v45
	v_pk_fma_f32 v[44:45], v[60:61], v[48:49], v[46:47] neg_lo:[0,0,1] neg_hi:[0,0,1]
	v_pk_fma_f32 v[46:47], v[60:61], v[48:49], v[46:47] op_sel_hi:[1,0,1]
	v_mov_b32_e32 v59, v51
	v_pk_fma_f32 v[48:49], v[64:65], v[52:53], v[62:63] neg_lo:[0,0,1] neg_hi:[0,0,1]
	v_pk_fma_f32 v[50:51], v[64:65], v[52:53], v[62:63] op_sel_hi:[1,0,1]
	v_mov_b32_e32 v73, v55
	v_pk_fma_f32 v[52:53], v[68:69], v[56:57], v[66:67] neg_lo:[0,0,1] neg_hi:[0,0,1]
	v_pk_fma_f32 v[54:55], v[68:69], v[56:57], v[66:67] op_sel_hi:[1,0,1]
	v_pk_add_f32 v[56:57], v[82:83], 0 op_sel_hi:[1,0]
	v_mov_b32_e32 v45, v47
	v_pk_add_f32 v[44:45], v[56:57], v[44:45]
	v_mov_b32_e32 v49, v51
	v_pk_add_f32 v[44:45], v[44:45], v[58:59]
	;; [unrolled: 2-line block ×3, first 2 shown]
	s_nop 0
	v_pk_add_f32 v[44:45], v[44:45], v[72:73]
	s_nop 0
	v_pk_add_f32 v[44:45], v[44:45], v[52:53]
	s_waitcnt vmcnt(0)
	v_pk_add_f32 v[44:45], v[70:71], v[44:45] neg_lo:[0,1] neg_hi:[0,1]
	scratch_store_dwordx2 off, v[44:45], off offset:112
	s_and_saveexec_b64 s[0:1], vcc
	s_cbranch_execz .LBB20_113
; %bb.112:
	scratch_load_dwordx2 v[44:45], off, off offset:104
	v_mov_b32_e32 v46, 0
	v_mov_b32_e32 v47, v46
	scratch_store_dwordx2 off, v[46:47], off offset:104
	s_waitcnt vmcnt(1)
	ds_write_b64 v1, v[44:45]
.LBB20_113:
	s_or_b64 exec, exec, s[0:1]
	s_waitcnt lgkmcnt(0)
	; wave barrier
	scratch_load_dwordx4 v[46:49], off, off offset:112
	scratch_load_dwordx4 v[50:53], off, off offset:128
	;; [unrolled: 1-line block ×3, first 2 shown]
	scratch_load_dwordx2 v[70:71], off, off offset:160
	scratch_load_dwordx2 v[72:73], off, off offset:104
	v_mov_b32_e32 v44, 0
	ds_read_b128 v[58:61], v44 offset:288
	ds_read_b128 v[62:65], v44 offset:304
	;; [unrolled: 1-line block ×3, first 2 shown]
	ds_read_b64 v[74:75], v44 offset:336
	v_cmp_lt_u32_e32 vcc, 12, v0
	s_waitcnt vmcnt(4) lgkmcnt(3)
	v_pk_mul_f32 v[76:77], v[58:59], v[46:47] op_sel:[1,1] op_sel_hi:[0,1]
	v_mov_b32_e32 v78, v49
	v_pk_fma_f32 v[90:91], v[58:59], v[46:47], v[76:77] neg_lo:[0,0,1] neg_hi:[0,0,1]
	v_pk_fma_f32 v[46:47], v[58:59], v[46:47], v[76:77] op_sel_hi:[1,0,1]
	v_pk_mul_f32 v[58:59], v[60:61], v[78:79] op_sel:[1,0] op_sel_hi:[0,0]
	s_waitcnt vmcnt(3) lgkmcnt(2)
	v_pk_mul_f32 v[80:81], v[62:63], v[50:51] op_sel:[1,1] op_sel_hi:[0,1]
	v_mov_b32_e32 v82, v53
	v_mov_b32_e32 v91, v47
	v_pk_fma_f32 v[46:47], v[60:61], v[48:49], v[58:59] neg_lo:[0,0,1] neg_hi:[0,0,1]
	v_pk_fma_f32 v[48:49], v[60:61], v[48:49], v[58:59] op_sel_hi:[1,0,1]
	v_pk_fma_f32 v[76:77], v[62:63], v[50:51], v[80:81] neg_lo:[0,0,1] neg_hi:[0,0,1]
	v_pk_fma_f32 v[50:51], v[62:63], v[50:51], v[80:81] op_sel_hi:[1,0,1]
	v_pk_mul_f32 v[62:63], v[64:65], v[82:83] op_sel:[1,0] op_sel_hi:[0,0]
	v_pk_add_f32 v[58:59], v[90:91], 0 op_sel_hi:[1,0]
	v_mov_b32_e32 v47, v49
	s_waitcnt vmcnt(2) lgkmcnt(1)
	v_pk_mul_f32 v[84:85], v[66:67], v[54:55] op_sel:[1,1] op_sel_hi:[0,1]
	v_mov_b32_e32 v86, v57
	v_mov_b32_e32 v77, v51
	v_pk_fma_f32 v[50:51], v[64:65], v[52:53], v[62:63] neg_lo:[0,0,1] neg_hi:[0,0,1]
	v_pk_fma_f32 v[52:53], v[64:65], v[52:53], v[62:63] op_sel_hi:[1,0,1]
	v_pk_add_f32 v[46:47], v[58:59], v[46:47]
	v_pk_fma_f32 v[78:79], v[66:67], v[54:55], v[84:85] neg_lo:[0,0,1] neg_hi:[0,0,1]
	v_pk_fma_f32 v[54:55], v[66:67], v[54:55], v[84:85] op_sel_hi:[1,0,1]
	v_pk_mul_f32 v[66:67], v[68:69], v[86:87] op_sel:[1,0] op_sel_hi:[0,0]
	v_mov_b32_e32 v51, v53
	v_pk_add_f32 v[46:47], v[46:47], v[76:77]
	s_waitcnt vmcnt(1) lgkmcnt(0)
	v_pk_mul_f32 v[88:89], v[74:75], v[70:71] op_sel:[1,1] op_sel_hi:[0,1]
	v_mov_b32_e32 v79, v55
	v_pk_fma_f32 v[54:55], v[68:69], v[56:57], v[66:67] neg_lo:[0,0,1] neg_hi:[0,0,1]
	v_pk_fma_f32 v[56:57], v[68:69], v[56:57], v[66:67] op_sel_hi:[1,0,1]
	v_pk_add_f32 v[46:47], v[46:47], v[50:51]
	v_pk_fma_f32 v[80:81], v[74:75], v[70:71], v[88:89] neg_lo:[0,0,1] neg_hi:[0,0,1]
	v_pk_fma_f32 v[70:71], v[74:75], v[70:71], v[88:89] op_sel_hi:[1,0,1]
	v_mov_b32_e32 v55, v57
	v_pk_add_f32 v[46:47], v[46:47], v[78:79]
	v_mov_b32_e32 v81, v71
	v_pk_add_f32 v[46:47], v[46:47], v[54:55]
	s_nop 0
	v_pk_add_f32 v[46:47], v[46:47], v[80:81]
	s_waitcnt vmcnt(0)
	v_pk_add_f32 v[46:47], v[72:73], v[46:47] neg_lo:[0,1] neg_hi:[0,1]
	scratch_store_dwordx2 off, v[46:47], off offset:104
	s_and_saveexec_b64 s[0:1], vcc
	s_cbranch_execz .LBB20_115
; %bb.114:
	scratch_load_dwordx2 v[46:47], off, off offset:96
	v_mov_b32_e32 v45, v44
	scratch_store_dwordx2 off, v[44:45], off offset:96
	s_waitcnt vmcnt(1)
	ds_write_b64 v1, v[46:47]
.LBB20_115:
	s_or_b64 exec, exec, s[0:1]
	s_waitcnt lgkmcnt(0)
	; wave barrier
	scratch_load_dwordx4 v[46:49], off, off offset:104
	scratch_load_dwordx4 v[50:53], off, off offset:120
	scratch_load_dwordx4 v[54:57], off, off offset:136
	scratch_load_dwordx4 v[58:61], off, off offset:152
	scratch_load_dwordx2 v[78:79], off, off offset:96
	ds_read2_b64 v[62:65], v44 offset0:35 offset1:36
	ds_read2_b64 v[66:69], v44 offset0:37 offset1:38
	;; [unrolled: 1-line block ×4, first 2 shown]
	v_cmp_lt_u32_e32 vcc, 11, v0
	s_waitcnt vmcnt(4) lgkmcnt(3)
	v_pk_mul_f32 v[44:45], v[62:63], v[46:47] op_sel:[1,1] op_sel_hi:[0,1]
	v_mov_b32_e32 v80, v49
	s_waitcnt vmcnt(3) lgkmcnt(2)
	v_pk_mul_f32 v[82:83], v[66:67], v[50:51] op_sel:[1,1] op_sel_hi:[0,1]
	v_mov_b32_e32 v84, v53
	;; [unrolled: 3-line block ×4, first 2 shown]
	v_pk_fma_f32 v[94:95], v[62:63], v[46:47], v[44:45] neg_lo:[0,0,1] neg_hi:[0,0,1]
	v_pk_fma_f32 v[44:45], v[62:63], v[46:47], v[44:45] op_sel_hi:[1,0,1]
	v_pk_mul_f32 v[46:47], v[64:65], v[80:81] op_sel:[1,0] op_sel_hi:[0,0]
	v_pk_fma_f32 v[62:63], v[66:67], v[50:51], v[82:83] neg_lo:[0,0,1] neg_hi:[0,0,1]
	v_pk_fma_f32 v[50:51], v[66:67], v[50:51], v[82:83] op_sel_hi:[1,0,1]
	v_pk_mul_f32 v[66:67], v[68:69], v[84:85] op_sel:[1,0] op_sel_hi:[0,0]
	;; [unrolled: 3-line block ×4, first 2 shown]
	v_mov_b32_e32 v95, v45
	v_pk_fma_f32 v[44:45], v[64:65], v[48:49], v[46:47] neg_lo:[0,0,1] neg_hi:[0,0,1]
	v_pk_fma_f32 v[46:47], v[64:65], v[48:49], v[46:47] op_sel_hi:[1,0,1]
	v_mov_b32_e32 v63, v51
	v_pk_fma_f32 v[48:49], v[68:69], v[52:53], v[66:67] neg_lo:[0,0,1] neg_hi:[0,0,1]
	v_pk_fma_f32 v[50:51], v[68:69], v[52:53], v[66:67] op_sel_hi:[1,0,1]
	;; [unrolled: 3-line block ×4, first 2 shown]
	v_pk_add_f32 v[60:61], v[94:95], 0 op_sel_hi:[1,0]
	v_mov_b32_e32 v45, v47
	v_pk_add_f32 v[44:45], v[60:61], v[44:45]
	v_mov_b32_e32 v49, v51
	v_pk_add_f32 v[44:45], v[44:45], v[62:63]
	;; [unrolled: 2-line block ×4, first 2 shown]
	s_nop 0
	v_pk_add_f32 v[44:45], v[44:45], v[52:53]
	s_nop 0
	v_pk_add_f32 v[44:45], v[44:45], v[82:83]
	;; [unrolled: 2-line block ×3, first 2 shown]
	s_waitcnt vmcnt(0)
	v_pk_add_f32 v[44:45], v[78:79], v[44:45] neg_lo:[0,1] neg_hi:[0,1]
	scratch_store_dwordx2 off, v[44:45], off offset:96
	s_and_saveexec_b64 s[0:1], vcc
	s_cbranch_execz .LBB20_117
; %bb.116:
	scratch_load_dwordx2 v[44:45], off, off offset:88
	v_mov_b32_e32 v46, 0
	v_mov_b32_e32 v47, v46
	scratch_store_dwordx2 off, v[46:47], off offset:88
	s_waitcnt vmcnt(1)
	ds_write_b64 v1, v[44:45]
.LBB20_117:
	s_or_b64 exec, exec, s[0:1]
	s_waitcnt lgkmcnt(0)
	; wave barrier
	scratch_load_dwordx4 v[46:49], off, off offset:96
	scratch_load_dwordx4 v[50:53], off, off offset:112
	;; [unrolled: 1-line block ×4, first 2 shown]
	scratch_load_dwordx2 v[78:79], off, off offset:160
	scratch_load_dwordx2 v[80:81], off, off offset:88
	v_mov_b32_e32 v44, 0
	ds_read_b128 v[62:65], v44 offset:272
	ds_read_b128 v[66:69], v44 offset:288
	;; [unrolled: 1-line block ×4, first 2 shown]
	ds_read_b64 v[82:83], v44 offset:336
	v_cmp_lt_u32_e32 vcc, 10, v0
	s_waitcnt vmcnt(5) lgkmcnt(4)
	v_mul_f32_e32 v85, v62, v47
	v_mul_f32_e32 v45, v63, v47
	v_mov_b32_e32 v86, v49
	s_waitcnt vmcnt(4) lgkmcnt(3)
	v_pk_mul_f32 v[88:89], v[66:67], v[50:51] op_sel:[1,1] op_sel_hi:[0,1]
	v_mov_b32_e32 v90, v53
	s_waitcnt vmcnt(1) lgkmcnt(0)
	v_pk_mul_f32 v[100:101], v[82:83], v[78:79] op_sel:[1,1] op_sel_hi:[0,1]
	v_fmac_f32_e32 v85, v63, v46
	v_fma_f32 v84, v62, v46, -v45
	v_pk_mul_f32 v[46:47], v[64:65], v[86:87] op_sel:[1,0] op_sel_hi:[0,0]
	v_pk_fma_f32 v[62:63], v[66:67], v[50:51], v[88:89] neg_lo:[0,0,1] neg_hi:[0,0,1]
	v_pk_fma_f32 v[50:51], v[66:67], v[50:51], v[88:89] op_sel_hi:[1,0,1]
	v_pk_mul_f32 v[66:67], v[68:69], v[90:91] op_sel:[1,0] op_sel_hi:[0,0]
	v_pk_fma_f32 v[90:91], v[82:83], v[78:79], v[100:101] neg_lo:[0,0,1] neg_hi:[0,0,1]
	v_pk_fma_f32 v[78:79], v[82:83], v[78:79], v[100:101] op_sel_hi:[1,0,1]
	v_pk_add_f32 v[82:83], v[84:85], 0 op_sel_hi:[1,0]
	v_pk_fma_f32 v[84:85], v[64:65], v[48:49], v[46:47] neg_lo:[0,0,1] neg_hi:[0,0,1]
	v_pk_fma_f32 v[46:47], v[64:65], v[48:49], v[46:47] op_sel_hi:[1,0,1]
	v_pk_mul_f32 v[92:93], v[70:71], v[54:55] op_sel:[1,1] op_sel_hi:[0,1]
	v_mov_b32_e32 v85, v47
	v_mov_b32_e32 v94, v57
	;; [unrolled: 1-line block ×3, first 2 shown]
	v_pk_fma_f32 v[48:49], v[68:69], v[52:53], v[66:67] neg_lo:[0,0,1] neg_hi:[0,0,1]
	v_pk_fma_f32 v[50:51], v[68:69], v[52:53], v[66:67] op_sel_hi:[1,0,1]
	v_pk_add_f32 v[46:47], v[82:83], v[84:85]
	v_pk_fma_f32 v[86:87], v[70:71], v[54:55], v[92:93] neg_lo:[0,0,1] neg_hi:[0,0,1]
	v_pk_fma_f32 v[54:55], v[70:71], v[54:55], v[92:93] op_sel_hi:[1,0,1]
	v_pk_mul_f32 v[70:71], v[72:73], v[94:95] op_sel:[1,0] op_sel_hi:[0,0]
	v_mov_b32_e32 v49, v51
	v_pk_add_f32 v[46:47], v[46:47], v[62:63]
	v_pk_mul_f32 v[96:97], v[74:75], v[58:59] op_sel:[1,1] op_sel_hi:[0,1]
	v_mov_b32_e32 v98, v61
	v_mov_b32_e32 v87, v55
	v_pk_fma_f32 v[52:53], v[72:73], v[56:57], v[70:71] neg_lo:[0,0,1] neg_hi:[0,0,1]
	v_pk_fma_f32 v[54:55], v[72:73], v[56:57], v[70:71] op_sel_hi:[1,0,1]
	v_pk_add_f32 v[46:47], v[46:47], v[48:49]
	v_pk_fma_f32 v[88:89], v[74:75], v[58:59], v[96:97] neg_lo:[0,0,1] neg_hi:[0,0,1]
	v_pk_fma_f32 v[58:59], v[74:75], v[58:59], v[96:97] op_sel_hi:[1,0,1]
	v_pk_mul_f32 v[74:75], v[76:77], v[98:99] op_sel:[1,0] op_sel_hi:[0,0]
	v_mov_b32_e32 v53, v55
	v_pk_add_f32 v[46:47], v[46:47], v[86:87]
	v_mov_b32_e32 v89, v59
	v_pk_fma_f32 v[56:57], v[76:77], v[60:61], v[74:75] neg_lo:[0,0,1] neg_hi:[0,0,1]
	v_pk_fma_f32 v[58:59], v[76:77], v[60:61], v[74:75] op_sel_hi:[1,0,1]
	v_pk_add_f32 v[46:47], v[46:47], v[52:53]
	v_mov_b32_e32 v57, v59
	v_pk_add_f32 v[46:47], v[46:47], v[88:89]
	v_mov_b32_e32 v91, v79
	v_pk_add_f32 v[46:47], v[46:47], v[56:57]
	s_nop 0
	v_pk_add_f32 v[46:47], v[46:47], v[90:91]
	s_waitcnt vmcnt(0)
	v_pk_add_f32 v[46:47], v[80:81], v[46:47] neg_lo:[0,1] neg_hi:[0,1]
	scratch_store_dwordx2 off, v[46:47], off offset:88
	s_and_saveexec_b64 s[0:1], vcc
	s_cbranch_execz .LBB20_119
; %bb.118:
	scratch_load_dwordx2 v[46:47], off, off offset:80
	v_mov_b32_e32 v45, v44
	scratch_store_dwordx2 off, v[44:45], off offset:80
	s_waitcnt vmcnt(1)
	ds_write_b64 v1, v[46:47]
.LBB20_119:
	s_or_b64 exec, exec, s[0:1]
	s_waitcnt lgkmcnt(0)
	; wave barrier
	scratch_load_dwordx4 v[46:49], off, off offset:88
	scratch_load_dwordx4 v[50:53], off, off offset:104
	;; [unrolled: 1-line block ×5, first 2 shown]
	scratch_load_dwordx2 v[86:87], off, off offset:80
	ds_read2_b64 v[66:69], v44 offset0:33 offset1:34
	ds_read2_b64 v[70:73], v44 offset0:35 offset1:36
	;; [unrolled: 1-line block ×5, first 2 shown]
	v_cmp_lt_u32_e32 vcc, 9, v0
	s_waitcnt vmcnt(5) lgkmcnt(4)
	v_mul_f32_e32 v45, v66, v47
	v_mul_f32_e32 v44, v67, v47
	;; [unrolled: 1-line block ×4, first 2 shown]
	s_waitcnt vmcnt(4) lgkmcnt(3)
	v_pk_mul_f32 v[90:91], v[70:71], v[50:51] op_sel:[1,1] op_sel_hi:[0,1]
	v_mov_b32_e32 v92, v53
	v_fmac_f32_e32 v45, v67, v46
	v_fma_f32 v44, v66, v46, -v44
	v_fmac_f32_e32 v89, v69, v48
	v_fma_f32 v88, v68, v48, -v47
	v_pk_fma_f32 v[46:47], v[70:71], v[50:51], v[90:91] neg_lo:[0,0,1] neg_hi:[0,0,1]
	v_pk_fma_f32 v[48:49], v[70:71], v[50:51], v[90:91] op_sel_hi:[1,0,1]
	v_pk_mul_f32 v[50:51], v[72:73], v[92:93] op_sel:[1,0] op_sel_hi:[0,0]
	v_pk_add_f32 v[44:45], v[44:45], 0 op_sel_hi:[1,0]
	s_waitcnt vmcnt(3) lgkmcnt(2)
	v_pk_mul_f32 v[94:95], v[74:75], v[54:55] op_sel:[1,1] op_sel_hi:[0,1]
	v_mov_b32_e32 v96, v57
	v_mov_b32_e32 v47, v49
	v_pk_fma_f32 v[48:49], v[72:73], v[52:53], v[50:51] neg_lo:[0,0,1] neg_hi:[0,0,1]
	v_pk_fma_f32 v[50:51], v[72:73], v[52:53], v[50:51] op_sel_hi:[1,0,1]
	v_pk_add_f32 v[44:45], v[44:45], v[88:89]
	v_pk_fma_f32 v[66:67], v[74:75], v[54:55], v[94:95] neg_lo:[0,0,1] neg_hi:[0,0,1]
	v_pk_fma_f32 v[54:55], v[74:75], v[54:55], v[94:95] op_sel_hi:[1,0,1]
	v_pk_mul_f32 v[68:69], v[76:77], v[96:97] op_sel:[1,0] op_sel_hi:[0,0]
	v_mov_b32_e32 v49, v51
	v_pk_add_f32 v[44:45], v[44:45], v[46:47]
	s_waitcnt vmcnt(2) lgkmcnt(1)
	v_pk_mul_f32 v[98:99], v[78:79], v[58:59] op_sel:[1,1] op_sel_hi:[0,1]
	v_mov_b32_e32 v100, v61
	v_mov_b32_e32 v67, v55
	v_pk_fma_f32 v[52:53], v[76:77], v[56:57], v[68:69] neg_lo:[0,0,1] neg_hi:[0,0,1]
	v_pk_fma_f32 v[54:55], v[76:77], v[56:57], v[68:69] op_sel_hi:[1,0,1]
	v_pk_add_f32 v[44:45], v[44:45], v[48:49]
	v_pk_fma_f32 v[70:71], v[78:79], v[58:59], v[98:99] neg_lo:[0,0,1] neg_hi:[0,0,1]
	v_pk_fma_f32 v[58:59], v[78:79], v[58:59], v[98:99] op_sel_hi:[1,0,1]
	v_pk_mul_f32 v[74:75], v[80:81], v[100:101] op_sel:[1,0] op_sel_hi:[0,0]
	v_mov_b32_e32 v53, v55
	v_pk_add_f32 v[44:45], v[44:45], v[66:67]
	;; [unrolled: 12-line block ×3, first 2 shown]
	v_mov_b32_e32 v79, v63
	v_pk_fma_f32 v[60:61], v[84:85], v[64:65], v[82:83] neg_lo:[0,0,1] neg_hi:[0,0,1]
	v_pk_fma_f32 v[62:63], v[84:85], v[64:65], v[82:83] op_sel_hi:[1,0,1]
	v_pk_add_f32 v[44:45], v[44:45], v[56:57]
	v_mov_b32_e32 v61, v63
	v_pk_add_f32 v[44:45], v[44:45], v[78:79]
	s_nop 0
	v_pk_add_f32 v[44:45], v[44:45], v[60:61]
	s_waitcnt vmcnt(0)
	v_pk_add_f32 v[44:45], v[86:87], v[44:45] neg_lo:[0,1] neg_hi:[0,1]
	scratch_store_dwordx2 off, v[44:45], off offset:80
	s_and_saveexec_b64 s[0:1], vcc
	s_cbranch_execz .LBB20_121
; %bb.120:
	scratch_load_dwordx2 v[44:45], off, off offset:72
	v_mov_b32_e32 v46, 0
	v_mov_b32_e32 v47, v46
	scratch_store_dwordx2 off, v[46:47], off offset:72
	s_waitcnt vmcnt(1)
	ds_write_b64 v1, v[44:45]
.LBB20_121:
	s_or_b64 exec, exec, s[0:1]
	s_waitcnt lgkmcnt(0)
	; wave barrier
	scratch_load_dwordx4 v[46:49], off, off offset:80
	scratch_load_dwordx4 v[50:53], off, off offset:96
	;; [unrolled: 1-line block ×5, first 2 shown]
	scratch_load_dwordx2 v[86:87], off, off offset:160
	scratch_load_dwordx2 v[88:89], off, off offset:72
	v_mov_b32_e32 v44, 0
	ds_read_b128 v[66:69], v44 offset:256
	ds_read_b128 v[70:73], v44 offset:272
	;; [unrolled: 1-line block ×5, first 2 shown]
	ds_read_b64 v[90:91], v44 offset:336
	v_cmp_lt_u32_e32 vcc, 8, v0
	s_waitcnt vmcnt(6) lgkmcnt(5)
	v_mul_f32_e32 v45, v66, v47
	v_mul_f32_e32 v47, v67, v47
	;; [unrolled: 1-line block ×3, first 2 shown]
	s_waitcnt vmcnt(5) lgkmcnt(4)
	v_mul_f32_e32 v95, v70, v51
	v_mul_f32_e32 v49, v69, v49
	;; [unrolled: 1-line block ×3, first 2 shown]
	v_mov_b32_e32 v96, v53
	s_waitcnt vmcnt(3) lgkmcnt(2)
	v_pk_mul_f32 v[102:103], v[78:79], v[58:59] op_sel:[1,1] op_sel_hi:[0,1]
	s_waitcnt vmcnt(2) lgkmcnt(1)
	v_pk_mul_f32 v[106:107], v[82:83], v[62:63] op_sel:[1,1] op_sel_hi:[0,1]
	;; [unrolled: 2-line block ×3, first 2 shown]
	v_fmac_f32_e32 v45, v67, v46
	v_fma_f32 v97, v66, v46, -v47
	v_fmac_f32_e32 v93, v69, v48
	v_fmac_f32_e32 v95, v71, v50
	v_fma_f32 v92, v68, v48, -v49
	v_fma_f32 v94, v70, v50, -v51
	v_pk_mul_f32 v[46:47], v[72:73], v[96:97] op_sel:[1,0] op_sel_hi:[0,0]
	v_pk_fma_f32 v[66:67], v[78:79], v[58:59], v[102:103] neg_lo:[0,0,1] neg_hi:[0,0,1]
	v_pk_fma_f32 v[58:59], v[78:79], v[58:59], v[102:103] op_sel_hi:[1,0,1]
	v_pk_fma_f32 v[70:71], v[82:83], v[62:63], v[106:107] neg_lo:[0,0,1] neg_hi:[0,0,1]
	v_pk_fma_f32 v[62:63], v[82:83], v[62:63], v[106:107] op_sel_hi:[1,0,1]
	;; [unrolled: 2-line block ×3, first 2 shown]
	v_add_f32_e32 v87, 0, v45
	v_add_f32_e32 v86, 0, v97
	v_pk_mul_f32 v[98:99], v[74:75], v[54:55] op_sel:[1,1] op_sel_hi:[0,1]
	v_mov_b32_e32 v100, v57
	v_pk_fma_f32 v[90:91], v[72:73], v[52:53], v[46:47] neg_lo:[0,0,1] neg_hi:[0,0,1]
	v_pk_fma_f32 v[46:47], v[72:73], v[52:53], v[46:47] op_sel_hi:[1,0,1]
	v_mov_b32_e32 v71, v63
	v_pk_add_f32 v[62:63], v[86:87], v[92:93]
	v_pk_fma_f32 v[48:49], v[74:75], v[54:55], v[98:99] neg_lo:[0,0,1] neg_hi:[0,0,1]
	v_pk_fma_f32 v[50:51], v[74:75], v[54:55], v[98:99] op_sel_hi:[1,0,1]
	v_pk_mul_f32 v[54:55], v[76:77], v[100:101] op_sel:[1,0] op_sel_hi:[0,0]
	v_mov_b32_e32 v91, v47
	v_pk_add_f32 v[46:47], v[62:63], v[94:95]
	v_mov_b32_e32 v104, v61
	v_mov_b32_e32 v49, v51
	v_pk_fma_f32 v[50:51], v[76:77], v[56:57], v[54:55] neg_lo:[0,0,1] neg_hi:[0,0,1]
	v_pk_fma_f32 v[52:53], v[76:77], v[56:57], v[54:55] op_sel_hi:[1,0,1]
	v_pk_add_f32 v[46:47], v[46:47], v[90:91]
	v_pk_mul_f32 v[68:69], v[80:81], v[104:105] op_sel:[1,0] op_sel_hi:[0,0]
	v_mov_b32_e32 v51, v53
	v_pk_add_f32 v[46:47], v[46:47], v[48:49]
	v_mov_b32_e32 v108, v65
	v_mov_b32_e32 v67, v59
	v_pk_fma_f32 v[54:55], v[80:81], v[60:61], v[68:69] neg_lo:[0,0,1] neg_hi:[0,0,1]
	v_pk_fma_f32 v[56:57], v[80:81], v[60:61], v[68:69] op_sel_hi:[1,0,1]
	v_pk_add_f32 v[46:47], v[46:47], v[50:51]
	v_pk_mul_f32 v[74:75], v[84:85], v[108:109] op_sel:[1,0] op_sel_hi:[0,0]
	v_mov_b32_e32 v55, v57
	v_pk_add_f32 v[46:47], v[46:47], v[66:67]
	v_pk_fma_f32 v[58:59], v[84:85], v[64:65], v[74:75] neg_lo:[0,0,1] neg_hi:[0,0,1]
	v_pk_fma_f32 v[60:61], v[84:85], v[64:65], v[74:75] op_sel_hi:[1,0,1]
	v_pk_add_f32 v[46:47], v[46:47], v[54:55]
	v_mov_b32_e32 v59, v61
	v_pk_add_f32 v[46:47], v[46:47], v[70:71]
	v_mov_b32_e32 v79, v83
	v_pk_add_f32 v[46:47], v[46:47], v[58:59]
	s_nop 0
	v_pk_add_f32 v[46:47], v[46:47], v[78:79]
	s_waitcnt vmcnt(0)
	v_pk_add_f32 v[46:47], v[88:89], v[46:47] neg_lo:[0,1] neg_hi:[0,1]
	scratch_store_dwordx2 off, v[46:47], off offset:72
	s_and_saveexec_b64 s[0:1], vcc
	s_cbranch_execz .LBB20_123
; %bb.122:
	scratch_load_dwordx2 v[46:47], off, off offset:64
	v_mov_b32_e32 v45, v44
	scratch_store_dwordx2 off, v[44:45], off offset:64
	s_waitcnt vmcnt(1)
	ds_write_b64 v1, v[46:47]
.LBB20_123:
	s_or_b64 exec, exec, s[0:1]
	s_waitcnt lgkmcnt(0)
	; wave barrier
	scratch_load_dwordx4 v[46:49], off, off offset:72
	scratch_load_dwordx4 v[50:53], off, off offset:88
	;; [unrolled: 1-line block ×6, first 2 shown]
	scratch_load_dwordx2 v[94:95], off, off offset:64
	ds_read2_b64 v[70:73], v44 offset0:31 offset1:32
	ds_read2_b64 v[74:77], v44 offset0:33 offset1:34
	;; [unrolled: 1-line block ×6, first 2 shown]
	v_cmp_lt_u32_e32 vcc, 7, v0
	s_waitcnt vmcnt(6) lgkmcnt(5)
	v_mul_f32_e32 v101, v70, v47
	v_mul_f32_e32 v105, v72, v49
	s_waitcnt vmcnt(5) lgkmcnt(4)
	v_mul_f32_e32 v45, v74, v51
	v_mul_f32_e32 v44, v71, v47
	;; [unrolled: 1-line block ×4, first 2 shown]
	s_waitcnt vmcnt(1) lgkmcnt(0)
	v_pk_mul_f32 v[110:111], v[90:91], v[66:67] op_sel:[1,1] op_sel_hi:[0,1]
	v_pk_mul_f32 v[98:99], v[78:79], v[54:55] op_sel:[1,1] op_sel_hi:[0,1]
	v_fmac_f32_e32 v101, v71, v46
	v_fmac_f32_e32 v45, v75, v50
	v_fma_f32 v109, v70, v46, -v44
	v_fma_f32 v44, v74, v50, -v49
	v_pk_fma_f32 v[74:75], v[90:91], v[66:67], v[110:111] neg_lo:[0,0,1] neg_hi:[0,0,1]
	v_pk_fma_f32 v[66:67], v[90:91], v[66:67], v[110:111] op_sel_hi:[1,0,1]
	v_fmac_f32_e32 v105, v73, v48
	v_fma_f32 v113, v72, v48, -v47
	v_pk_fma_f32 v[46:47], v[78:79], v[54:55], v[98:99] neg_lo:[0,0,1] neg_hi:[0,0,1]
	v_pk_fma_f32 v[48:49], v[78:79], v[54:55], v[98:99] op_sel_hi:[1,0,1]
	v_add_f32_e32 v66, 0, v101
	v_add_f32_e32 v78, 0, v109
	v_mul_f32_e32 v97, v76, v53
	v_mul_f32_e32 v51, v77, v53
	v_mov_b32_e32 v100, v57
	v_mov_b32_e32 v75, v67
	v_add_f32_e32 v67, v66, v105
	v_add_f32_e32 v66, v78, v113
	v_fmac_f32_e32 v97, v77, v52
	v_fma_f32 v96, v76, v52, -v51
	v_pk_mul_f32 v[50:51], v[80:81], v[100:101] op_sel:[1,0] op_sel_hi:[0,0]
	v_pk_add_f32 v[44:45], v[66:67], v[44:45]
	v_pk_mul_f32 v[102:103], v[82:83], v[58:59] op_sel:[1,1] op_sel_hi:[0,1]
	v_mov_b32_e32 v104, v61
	v_mov_b32_e32 v47, v49
	v_pk_fma_f32 v[48:49], v[80:81], v[56:57], v[50:51] neg_lo:[0,0,1] neg_hi:[0,0,1]
	v_pk_fma_f32 v[50:51], v[80:81], v[56:57], v[50:51] op_sel_hi:[1,0,1]
	v_pk_add_f32 v[44:45], v[44:45], v[96:97]
	v_pk_fma_f32 v[52:53], v[82:83], v[58:59], v[102:103] neg_lo:[0,0,1] neg_hi:[0,0,1]
	v_pk_fma_f32 v[54:55], v[82:83], v[58:59], v[102:103] op_sel_hi:[1,0,1]
	v_pk_mul_f32 v[58:59], v[84:85], v[104:105] op_sel:[1,0] op_sel_hi:[0,0]
	v_mov_b32_e32 v49, v51
	v_pk_add_f32 v[44:45], v[44:45], v[46:47]
	v_pk_mul_f32 v[106:107], v[86:87], v[62:63] op_sel:[1,1] op_sel_hi:[0,1]
	v_mov_b32_e32 v108, v65
	v_mov_b32_e32 v53, v55
	v_pk_fma_f32 v[54:55], v[84:85], v[60:61], v[58:59] neg_lo:[0,0,1] neg_hi:[0,0,1]
	v_pk_fma_f32 v[56:57], v[84:85], v[60:61], v[58:59] op_sel_hi:[1,0,1]
	v_pk_add_f32 v[44:45], v[44:45], v[48:49]
	v_pk_fma_f32 v[70:71], v[86:87], v[62:63], v[106:107] neg_lo:[0,0,1] neg_hi:[0,0,1]
	v_pk_fma_f32 v[62:63], v[86:87], v[62:63], v[106:107] op_sel_hi:[1,0,1]
	v_pk_mul_f32 v[72:73], v[88:89], v[108:109] op_sel:[1,0] op_sel_hi:[0,0]
	v_mov_b32_e32 v55, v57
	v_pk_add_f32 v[44:45], v[44:45], v[52:53]
	v_mov_b32_e32 v112, v69
	v_mov_b32_e32 v71, v63
	v_pk_fma_f32 v[58:59], v[88:89], v[64:65], v[72:73] neg_lo:[0,0,1] neg_hi:[0,0,1]
	v_pk_fma_f32 v[60:61], v[88:89], v[64:65], v[72:73] op_sel_hi:[1,0,1]
	v_pk_add_f32 v[44:45], v[44:45], v[54:55]
	v_pk_mul_f32 v[76:77], v[92:93], v[112:113] op_sel:[1,0] op_sel_hi:[0,0]
	v_mov_b32_e32 v59, v61
	v_pk_add_f32 v[44:45], v[44:45], v[70:71]
	v_pk_fma_f32 v[62:63], v[92:93], v[68:69], v[76:77] neg_lo:[0,0,1] neg_hi:[0,0,1]
	v_pk_fma_f32 v[64:65], v[92:93], v[68:69], v[76:77] op_sel_hi:[1,0,1]
	v_pk_add_f32 v[44:45], v[44:45], v[58:59]
	v_mov_b32_e32 v63, v65
	v_pk_add_f32 v[44:45], v[44:45], v[74:75]
	s_nop 0
	v_pk_add_f32 v[44:45], v[44:45], v[62:63]
	s_waitcnt vmcnt(0)
	v_pk_add_f32 v[44:45], v[94:95], v[44:45] neg_lo:[0,1] neg_hi:[0,1]
	scratch_store_dwordx2 off, v[44:45], off offset:64
	s_and_saveexec_b64 s[0:1], vcc
	s_cbranch_execz .LBB20_125
; %bb.124:
	scratch_load_dwordx2 v[44:45], off, off offset:56
	v_mov_b32_e32 v46, 0
	v_mov_b32_e32 v47, v46
	scratch_store_dwordx2 off, v[46:47], off offset:56
	s_waitcnt vmcnt(1)
	ds_write_b64 v1, v[44:45]
.LBB20_125:
	s_or_b64 exec, exec, s[0:1]
	s_waitcnt lgkmcnt(0)
	; wave barrier
	scratch_load_dwordx4 v[46:49], off, off offset:64
	scratch_load_dwordx4 v[50:53], off, off offset:80
	;; [unrolled: 1-line block ×6, first 2 shown]
	scratch_load_dwordx2 v[94:95], off, off offset:160
	scratch_load_dwordx2 v[96:97], off, off offset:56
	v_mov_b32_e32 v44, 0
	ds_read_b128 v[70:73], v44 offset:240
	ds_read_b128 v[74:77], v44 offset:256
	;; [unrolled: 1-line block ×6, first 2 shown]
	ds_read_b64 v[98:99], v44 offset:336
	v_cmp_lt_u32_e32 vcc, 6, v0
	s_waitcnt vmcnt(7) lgkmcnt(6)
	v_mul_f32_e32 v105, v72, v49
	v_mul_f32_e32 v45, v70, v47
	s_waitcnt vmcnt(5) lgkmcnt(4)
	v_mul_f32_e32 v103, v78, v55
	v_mul_f32_e32 v47, v71, v47
	v_mov_b32_e32 v104, v57
	s_waitcnt vmcnt(2) lgkmcnt(1)
	v_pk_mul_f32 v[114:115], v[90:91], v[66:67] op_sel:[1,1] op_sel_hi:[0,1]
	v_fmac_f32_e32 v105, v73, v48
	v_mul_f32_e32 v49, v73, v49
	v_mul_f32_e32 v55, v79, v55
	v_fmac_f32_e32 v45, v71, v46
	v_fmac_f32_e32 v103, v79, v54
	v_fma_f32 v79, v70, v46, -v47
	v_pk_mul_f32 v[46:47], v[80:81], v[104:105] op_sel:[1,0] op_sel_hi:[0,0]
	v_pk_fma_f32 v[70:71], v[90:91], v[66:67], v[114:115] neg_lo:[0,0,1] neg_hi:[0,0,1]
	v_pk_fma_f32 v[66:67], v[90:91], v[66:67], v[114:115] op_sel_hi:[1,0,1]
	v_mul_f32_e32 v109, v74, v51
	v_mul_f32_e32 v51, v75, v51
	v_fma_f32 v113, v72, v48, -v49
	v_fma_f32 v102, v78, v54, -v55
	v_add_f32_e32 v45, 0, v45
	v_add_f32_e32 v66, 0, v79
	v_pk_fma_f32 v[78:79], v[80:81], v[56:57], v[46:47] neg_lo:[0,0,1] neg_hi:[0,0,1]
	v_pk_fma_f32 v[46:47], v[80:81], v[56:57], v[46:47] op_sel_hi:[1,0,1]
	v_mul_f32_e32 v101, v76, v53
	v_mul_f32_e32 v53, v77, v53
	v_fmac_f32_e32 v109, v75, v50
	v_fma_f32 v117, v74, v50, -v51
	v_add_f32_e32 v45, v45, v105
	v_add_f32_e32 v46, v66, v113
	v_fmac_f32_e32 v101, v77, v52
	v_fma_f32 v100, v76, v52, -v53
	v_mov_b32_e32 v79, v47
	v_add_f32_e32 v47, v45, v109
	v_add_f32_e32 v46, v46, v117
	v_pk_mul_f32 v[106:107], v[82:83], v[58:59] op_sel:[1,1] op_sel_hi:[0,1]
	v_mov_b32_e32 v108, v61
	v_pk_add_f32 v[46:47], v[46:47], v[100:101]
	v_pk_fma_f32 v[48:49], v[82:83], v[58:59], v[106:107] neg_lo:[0,0,1] neg_hi:[0,0,1]
	v_pk_fma_f32 v[50:51], v[82:83], v[58:59], v[106:107] op_sel_hi:[1,0,1]
	v_pk_mul_f32 v[52:53], v[84:85], v[108:109] op_sel:[1,0] op_sel_hi:[0,0]
	v_pk_add_f32 v[46:47], v[46:47], v[102:103]
	v_pk_mul_f32 v[110:111], v[86:87], v[62:63] op_sel:[1,1] op_sel_hi:[0,1]
	v_mov_b32_e32 v112, v65
	v_mov_b32_e32 v49, v51
	v_pk_fma_f32 v[50:51], v[84:85], v[60:61], v[52:53] neg_lo:[0,0,1] neg_hi:[0,0,1]
	v_pk_fma_f32 v[52:53], v[84:85], v[60:61], v[52:53] op_sel_hi:[1,0,1]
	v_pk_add_f32 v[46:47], v[46:47], v[78:79]
	v_pk_fma_f32 v[54:55], v[86:87], v[62:63], v[110:111] neg_lo:[0,0,1] neg_hi:[0,0,1]
	v_pk_fma_f32 v[58:59], v[86:87], v[62:63], v[110:111] op_sel_hi:[1,0,1]
	v_pk_mul_f32 v[62:63], v[88:89], v[112:113] op_sel:[1,0] op_sel_hi:[0,0]
	v_mov_b32_e32 v51, v53
	v_pk_add_f32 v[46:47], v[46:47], v[48:49]
	v_mov_b32_e32 v116, v69
	v_mov_b32_e32 v55, v59
	v_pk_fma_f32 v[56:57], v[88:89], v[64:65], v[62:63] neg_lo:[0,0,1] neg_hi:[0,0,1]
	v_pk_fma_f32 v[58:59], v[88:89], v[64:65], v[62:63] op_sel_hi:[1,0,1]
	v_pk_add_f32 v[46:47], v[46:47], v[50:51]
	v_pk_mul_f32 v[72:73], v[92:93], v[116:117] op_sel:[1,0] op_sel_hi:[0,0]
	v_mov_b32_e32 v57, v59
	v_pk_add_f32 v[46:47], v[46:47], v[54:55]
	s_waitcnt vmcnt(1) lgkmcnt(0)
	v_pk_mul_f32 v[118:119], v[98:99], v[94:95] op_sel:[1,1] op_sel_hi:[0,1]
	v_mov_b32_e32 v71, v67
	v_pk_fma_f32 v[60:61], v[92:93], v[68:69], v[72:73] neg_lo:[0,0,1] neg_hi:[0,0,1]
	v_pk_fma_f32 v[62:63], v[92:93], v[68:69], v[72:73] op_sel_hi:[1,0,1]
	v_pk_add_f32 v[46:47], v[46:47], v[56:57]
	v_pk_fma_f32 v[74:75], v[98:99], v[94:95], v[118:119] neg_lo:[0,0,1] neg_hi:[0,0,1]
	v_pk_fma_f32 v[76:77], v[98:99], v[94:95], v[118:119] op_sel_hi:[1,0,1]
	v_mov_b32_e32 v61, v63
	v_pk_add_f32 v[46:47], v[46:47], v[70:71]
	v_mov_b32_e32 v75, v77
	v_pk_add_f32 v[46:47], v[46:47], v[60:61]
	s_nop 0
	v_pk_add_f32 v[46:47], v[46:47], v[74:75]
	s_waitcnt vmcnt(0)
	v_pk_add_f32 v[46:47], v[96:97], v[46:47] neg_lo:[0,1] neg_hi:[0,1]
	scratch_store_dwordx2 off, v[46:47], off offset:56
	s_and_saveexec_b64 s[0:1], vcc
	s_cbranch_execz .LBB20_127
; %bb.126:
	scratch_load_dwordx2 v[46:47], off, off offset:48
	v_mov_b32_e32 v45, v44
	scratch_store_dwordx2 off, v[44:45], off offset:48
	s_waitcnt vmcnt(1)
	ds_write_b64 v1, v[46:47]
.LBB20_127:
	s_or_b64 exec, exec, s[0:1]
	s_waitcnt lgkmcnt(0)
	; wave barrier
	scratch_load_dwordx4 v[46:49], off, off offset:56
	scratch_load_dwordx4 v[50:53], off, off offset:72
	scratch_load_dwordx4 v[54:57], off, off offset:88
	scratch_load_dwordx4 v[58:61], off, off offset:104
	scratch_load_dwordx4 v[62:65], off, off offset:120
	scratch_load_dwordx4 v[66:69], off, off offset:136
	scratch_load_dwordx4 v[70:73], off, off offset:152
	ds_read2_b64 v[74:77], v44 offset0:29 offset1:30
	ds_read2_b64 v[78:81], v44 offset0:31 offset1:32
	;; [unrolled: 1-line block ×6, first 2 shown]
	scratch_load_dwordx2 v[102:103], off, off offset:48
	ds_read2_b64 v[98:101], v44 offset0:41 offset1:42
	v_cmp_lt_u32_e32 vcc, 5, v0
	s_waitcnt vmcnt(7) lgkmcnt(6)
	v_mul_f32_e32 v109, v74, v47
	v_mul_f32_e32 v113, v76, v49
	s_waitcnt vmcnt(6) lgkmcnt(5)
	v_mul_f32_e32 v117, v78, v51
	v_mul_f32_e32 v121, v80, v53
	;; [unrolled: 3-line block ×3, first 2 shown]
	v_mul_f32_e32 v44, v75, v47
	v_mul_f32_e32 v47, v77, v49
	;; [unrolled: 1-line block ×6, first 2 shown]
	s_waitcnt vmcnt(4) lgkmcnt(3)
	v_pk_mul_f32 v[106:107], v[86:87], v[58:59] op_sel:[1,1] op_sel_hi:[0,1]
	v_mov_b32_e32 v108, v61
	s_waitcnt vmcnt(3) lgkmcnt(2)
	v_pk_mul_f32 v[110:111], v[90:91], v[62:63] op_sel:[1,1] op_sel_hi:[0,1]
	v_mov_b32_e32 v112, v65
	s_waitcnt vmcnt(1) lgkmcnt(0)
	v_pk_mul_f32 v[118:119], v[98:99], v[70:71] op_sel:[1,1] op_sel_hi:[0,1]
	v_fmac_f32_e32 v109, v75, v46
	v_fmac_f32_e32 v113, v77, v48
	;; [unrolled: 1-line block ×6, first 2 shown]
	v_fma_f32 v79, v74, v46, -v44
	v_fma_f32 v81, v76, v48, -v47
	;; [unrolled: 1-line block ×6, first 2 shown]
	v_pk_fma_f32 v[46:47], v[86:87], v[58:59], v[106:107] neg_lo:[0,0,1] neg_hi:[0,0,1]
	v_pk_fma_f32 v[48:49], v[86:87], v[58:59], v[106:107] op_sel_hi:[1,0,1]
	v_pk_mul_f32 v[50:51], v[88:89], v[108:109] op_sel:[1,0] op_sel_hi:[0,0]
	v_pk_fma_f32 v[52:53], v[90:91], v[62:63], v[110:111] neg_lo:[0,0,1] neg_hi:[0,0,1]
	v_pk_fma_f32 v[54:55], v[90:91], v[62:63], v[110:111] op_sel_hi:[1,0,1]
	v_pk_mul_f32 v[56:57], v[92:93], v[112:113] op_sel:[1,0] op_sel_hi:[0,0]
	v_pk_fma_f32 v[74:75], v[98:99], v[70:71], v[118:119] neg_lo:[0,0,1] neg_hi:[0,0,1]
	v_pk_fma_f32 v[70:71], v[98:99], v[70:71], v[118:119] op_sel_hi:[1,0,1]
	v_add_f32_e32 v79, 0, v79
	v_add_f32_e32 v70, 0, v109
	v_mov_b32_e32 v47, v49
	v_pk_fma_f32 v[48:49], v[88:89], v[60:61], v[50:51] neg_lo:[0,0,1] neg_hi:[0,0,1]
	v_pk_fma_f32 v[50:51], v[88:89], v[60:61], v[50:51] op_sel_hi:[1,0,1]
	v_mov_b32_e32 v53, v55
	v_pk_fma_f32 v[54:55], v[92:93], v[64:65], v[56:57] neg_lo:[0,0,1] neg_hi:[0,0,1]
	v_pk_fma_f32 v[56:57], v[92:93], v[64:65], v[56:57] op_sel_hi:[1,0,1]
	v_add_f32_e32 v50, v70, v113
	v_add_f32_e32 v56, v79, v81
	;; [unrolled: 1-line block ×4, first 2 shown]
	v_mov_b32_e32 v49, v51
	v_add_f32_e32 v51, v50, v121
	v_add_f32_e32 v50, v56, v80
	v_pk_add_f32 v[44:45], v[50:51], v[44:45]
	v_pk_mul_f32 v[114:115], v[94:95], v[66:67] op_sel:[1,1] op_sel_hi:[0,1]
	v_pk_add_f32 v[44:45], v[44:45], v[104:105]
	v_mov_b32_e32 v116, v69
	v_pk_add_f32 v[44:45], v[44:45], v[46:47]
	v_pk_fma_f32 v[58:59], v[94:95], v[66:67], v[114:115] neg_lo:[0,0,1] neg_hi:[0,0,1]
	v_pk_add_f32 v[44:45], v[44:45], v[48:49]
	v_pk_fma_f32 v[62:63], v[94:95], v[66:67], v[114:115] op_sel_hi:[1,0,1]
	v_pk_mul_f32 v[66:67], v[96:97], v[116:117] op_sel:[1,0] op_sel_hi:[0,0]
	v_mov_b32_e32 v55, v57
	v_pk_add_f32 v[44:45], v[44:45], v[52:53]
	v_mov_b32_e32 v120, v73
	v_mov_b32_e32 v59, v63
	v_pk_fma_f32 v[60:61], v[96:97], v[68:69], v[66:67] neg_lo:[0,0,1] neg_hi:[0,0,1]
	v_pk_fma_f32 v[62:63], v[96:97], v[68:69], v[66:67] op_sel_hi:[1,0,1]
	v_pk_add_f32 v[44:45], v[44:45], v[54:55]
	v_pk_mul_f32 v[76:77], v[100:101], v[120:121] op_sel:[1,0] op_sel_hi:[0,0]
	v_mov_b32_e32 v61, v63
	v_pk_add_f32 v[44:45], v[44:45], v[58:59]
	v_mov_b32_e32 v75, v71
	v_pk_fma_f32 v[64:65], v[100:101], v[72:73], v[76:77] neg_lo:[0,0,1] neg_hi:[0,0,1]
	v_pk_fma_f32 v[66:67], v[100:101], v[72:73], v[76:77] op_sel_hi:[1,0,1]
	v_pk_add_f32 v[44:45], v[44:45], v[60:61]
	v_mov_b32_e32 v65, v67
	v_pk_add_f32 v[44:45], v[44:45], v[74:75]
	s_nop 0
	v_pk_add_f32 v[44:45], v[44:45], v[64:65]
	s_waitcnt vmcnt(0)
	v_pk_add_f32 v[44:45], v[102:103], v[44:45] neg_lo:[0,1] neg_hi:[0,1]
	scratch_store_dwordx2 off, v[44:45], off offset:48
	s_and_saveexec_b64 s[0:1], vcc
	s_cbranch_execz .LBB20_129
; %bb.128:
	scratch_load_dwordx2 v[44:45], off, off offset:40
	v_mov_b32_e32 v46, 0
	v_mov_b32_e32 v47, v46
	scratch_store_dwordx2 off, v[46:47], off offset:40
	s_waitcnt vmcnt(1)
	ds_write_b64 v1, v[44:45]
.LBB20_129:
	s_or_b64 exec, exec, s[0:1]
	s_waitcnt lgkmcnt(0)
	; wave barrier
	scratch_load_dwordx4 v[46:49], off, off offset:48
	scratch_load_dwordx4 v[50:53], off, off offset:64
	;; [unrolled: 1-line block ×7, first 2 shown]
	scratch_load_dwordx2 v[102:103], off, off offset:160
	scratch_load_dwordx2 v[104:105], off, off offset:40
	v_mov_b32_e32 v44, 0
	ds_read_b128 v[74:77], v44 offset:224
	ds_read_b128 v[78:81], v44 offset:240
	;; [unrolled: 1-line block ×7, first 2 shown]
	ds_read_b64 v[106:107], v44 offset:336
	v_cmp_lt_u32_e32 vcc, 4, v0
	s_waitcnt vmcnt(8) lgkmcnt(7)
	v_mul_f32_e32 v113, v76, v49
	v_mul_f32_e32 v45, v74, v47
	s_waitcnt vmcnt(7) lgkmcnt(6)
	v_mul_f32_e32 v117, v78, v51
	s_waitcnt vmcnt(6) lgkmcnt(5)
	v_mul_f32_e32 v125, v82, v55
	v_mul_f32_e32 v109, v84, v57
	;; [unrolled: 1-line block ×5, first 2 shown]
	s_waitcnt vmcnt(5)
	v_mov_b32_e32 v112, v61
	s_waitcnt vmcnt(3) lgkmcnt(2)
	v_pk_mul_f32 v[118:119], v[94:95], v[66:67] op_sel:[1,1] op_sel_hi:[0,1]
	s_waitcnt vmcnt(2) lgkmcnt(1)
	v_pk_mul_f32 v[122:123], v[98:99], v[70:71] op_sel:[1,1] op_sel_hi:[0,1]
	v_fmac_f32_e32 v113, v77, v48
	v_mul_f32_e32 v49, v77, v49
	v_mul_f32_e32 v51, v79, v51
	v_fmac_f32_e32 v45, v75, v46
	v_fmac_f32_e32 v117, v79, v50
	;; [unrolled: 1-line block ×4, first 2 shown]
	v_fma_f32 v74, v74, v46, -v47
	v_fma_f32 v79, v82, v54, -v55
	;; [unrolled: 1-line block ×3, first 2 shown]
	v_pk_mul_f32 v[46:47], v[88:89], v[112:113] op_sel:[1,0] op_sel_hi:[0,0]
	v_pk_fma_f32 v[54:55], v[94:95], v[66:67], v[118:119] neg_lo:[0,0,1] neg_hi:[0,0,1]
	v_pk_fma_f32 v[56:57], v[94:95], v[66:67], v[118:119] op_sel_hi:[1,0,1]
	v_pk_fma_f32 v[66:67], v[98:99], v[70:71], v[122:123] op_sel_hi:[1,0,1]
	v_fma_f32 v76, v76, v48, -v49
	v_add_f32_e32 v45, 0, v45
	v_add_f32_e32 v66, 0, v74
	v_pk_fma_f32 v[74:75], v[88:89], v[60:61], v[46:47] neg_lo:[0,0,1] neg_hi:[0,0,1]
	v_pk_fma_f32 v[46:47], v[88:89], v[60:61], v[46:47] op_sel_hi:[1,0,1]
	v_mul_f32_e32 v121, v80, v53
	v_mul_f32_e32 v53, v81, v53
	v_fma_f32 v77, v78, v50, -v51
	v_add_f32_e32 v45, v45, v113
	v_add_f32_e32 v46, v66, v76
	v_fmac_f32_e32 v121, v81, v52
	v_fma_f32 v78, v80, v52, -v53
	v_add_f32_e32 v45, v45, v117
	v_add_f32_e32 v46, v46, v77
	;; [unrolled: 1-line block ×4, first 2 shown]
	v_mul_f32_e32 v111, v86, v59
	v_mul_f32_e32 v59, v87, v59
	v_mov_b32_e32 v75, v47
	v_add_f32_e32 v47, v45, v125
	v_add_f32_e32 v46, v46, v79
	v_pk_mul_f32 v[114:115], v[90:91], v[62:63] op_sel:[1,1] op_sel_hi:[0,1]
	v_mov_b32_e32 v116, v65
	v_fmac_f32_e32 v111, v87, v58
	v_fma_f32 v110, v86, v58, -v59
	v_pk_add_f32 v[46:47], v[46:47], v[108:109]
	v_pk_fma_f32 v[48:49], v[90:91], v[62:63], v[114:115] neg_lo:[0,0,1] neg_hi:[0,0,1]
	v_pk_fma_f32 v[50:51], v[90:91], v[62:63], v[114:115] op_sel_hi:[1,0,1]
	v_pk_mul_f32 v[52:53], v[92:93], v[116:117] op_sel:[1,0] op_sel_hi:[0,0]
	v_pk_add_f32 v[46:47], v[46:47], v[110:111]
	v_mov_b32_e32 v120, v69
	v_mov_b32_e32 v49, v51
	v_pk_fma_f32 v[50:51], v[92:93], v[64:65], v[52:53] neg_lo:[0,0,1] neg_hi:[0,0,1]
	v_pk_fma_f32 v[52:53], v[92:93], v[64:65], v[52:53] op_sel_hi:[1,0,1]
	v_pk_add_f32 v[46:47], v[46:47], v[74:75]
	v_pk_mul_f32 v[58:59], v[96:97], v[120:121] op_sel:[1,0] op_sel_hi:[0,0]
	v_mov_b32_e32 v51, v53
	v_pk_add_f32 v[46:47], v[46:47], v[48:49]
	v_mov_b32_e32 v124, v73
	v_mov_b32_e32 v55, v57
	v_pk_fma_f32 v[56:57], v[96:97], v[68:69], v[58:59] neg_lo:[0,0,1] neg_hi:[0,0,1]
	v_pk_fma_f32 v[58:59], v[96:97], v[68:69], v[58:59] op_sel_hi:[1,0,1]
	v_pk_add_f32 v[46:47], v[46:47], v[50:51]
	v_pk_fma_f32 v[62:63], v[98:99], v[70:71], v[122:123] neg_lo:[0,0,1] neg_hi:[0,0,1]
	v_pk_mul_f32 v[70:71], v[100:101], v[124:125] op_sel:[1,0] op_sel_hi:[0,0]
	v_mov_b32_e32 v57, v59
	v_pk_add_f32 v[46:47], v[46:47], v[54:55]
	v_mov_b32_e32 v63, v67
	v_pk_add_f32 v[46:47], v[46:47], v[56:57]
	v_pk_fma_f32 v[48:49], v[100:101], v[72:73], v[70:71] neg_lo:[0,0,1] neg_hi:[0,0,1]
	v_pk_fma_f32 v[50:51], v[100:101], v[72:73], v[70:71] op_sel_hi:[1,0,1]
	v_pk_add_f32 v[46:47], v[46:47], v[62:63]
	v_mov_b32_e32 v49, v51
	v_pk_add_f32 v[46:47], v[46:47], v[48:49]
	s_waitcnt vmcnt(1) lgkmcnt(0)
	v_pk_mul_f32 v[48:49], v[106:107], v[102:103] op_sel:[1,1] op_sel_hi:[0,1]
	v_pk_fma_f32 v[50:51], v[106:107], v[102:103], v[48:49] neg_lo:[0,0,1] neg_hi:[0,0,1]
	v_pk_fma_f32 v[48:49], v[106:107], v[102:103], v[48:49] op_sel_hi:[1,0,1]
	s_nop 0
	v_mov_b32_e32 v51, v49
	v_pk_add_f32 v[46:47], v[46:47], v[50:51]
	s_waitcnt vmcnt(0)
	v_pk_add_f32 v[46:47], v[104:105], v[46:47] neg_lo:[0,1] neg_hi:[0,1]
	scratch_store_dwordx2 off, v[46:47], off offset:40
	s_and_saveexec_b64 s[0:1], vcc
	s_cbranch_execz .LBB20_131
; %bb.130:
	scratch_load_dwordx2 v[46:47], off, off offset:32
	v_mov_b32_e32 v45, v44
	scratch_store_dwordx2 off, v[44:45], off offset:32
	s_waitcnt vmcnt(1)
	ds_write_b64 v1, v[46:47]
.LBB20_131:
	s_or_b64 exec, exec, s[0:1]
	s_waitcnt lgkmcnt(0)
	; wave barrier
	scratch_load_dwordx4 v[46:49], off, off offset:40
	scratch_load_dwordx4 v[50:53], off, off offset:56
	;; [unrolled: 1-line block ×7, first 2 shown]
	ds_read2_b64 v[74:77], v44 offset0:27 offset1:28
	ds_read2_b64 v[78:81], v44 offset0:29 offset1:30
	;; [unrolled: 1-line block ×4, first 2 shown]
	scratch_load_dwordx4 v[90:93], off, off offset:152
	ds_read2_b64 v[94:97], v44 offset0:35 offset1:36
	ds_read2_b64 v[98:101], v44 offset0:37 offset1:38
	;; [unrolled: 1-line block ×4, first 2 shown]
	scratch_load_dwordx2 v[44:45], off, off offset:32
	v_cmp_lt_u32_e32 vcc, 3, v0
	s_waitcnt vmcnt(8) lgkmcnt(7)
	v_mul_f32_e32 v117, v74, v47
	v_mul_f32_e32 v121, v76, v49
	s_waitcnt vmcnt(7) lgkmcnt(6)
	v_mul_f32_e32 v125, v78, v51
	v_mul_f32_e32 v126, v80, v53
	;; [unrolled: 3-line block ×3, first 2 shown]
	v_mul_f32_e32 v47, v75, v47
	v_mul_f32_e32 v49, v77, v49
	;; [unrolled: 1-line block ×6, first 2 shown]
	s_waitcnt vmcnt(4) lgkmcnt(3)
	v_pk_mul_f32 v[114:115], v[94:95], v[62:63] op_sel:[1,1] op_sel_hi:[0,1]
	v_mov_b32_e32 v116, v65
	s_waitcnt vmcnt(3) lgkmcnt(2)
	v_pk_mul_f32 v[118:119], v[98:99], v[66:67] op_sel:[1,1] op_sel_hi:[0,1]
	v_mov_b32_e32 v120, v69
	v_fmac_f32_e32 v117, v75, v46
	v_fmac_f32_e32 v121, v77, v48
	;; [unrolled: 1-line block ×6, first 2 shown]
	v_fma_f32 v74, v74, v46, -v47
	v_fma_f32 v75, v76, v48, -v49
	;; [unrolled: 1-line block ×6, first 2 shown]
	v_pk_fma_f32 v[46:47], v[94:95], v[62:63], v[114:115] neg_lo:[0,0,1] neg_hi:[0,0,1]
	v_pk_fma_f32 v[48:49], v[94:95], v[62:63], v[114:115] op_sel_hi:[1,0,1]
	v_pk_mul_f32 v[50:51], v[96:97], v[116:117] op_sel:[1,0] op_sel_hi:[0,0]
	v_pk_fma_f32 v[52:53], v[98:99], v[66:67], v[118:119] neg_lo:[0,0,1] neg_hi:[0,0,1]
	v_pk_fma_f32 v[54:55], v[98:99], v[66:67], v[118:119] op_sel_hi:[1,0,1]
	v_pk_mul_f32 v[56:57], v[100:101], v[120:121] op_sel:[1,0] op_sel_hi:[0,0]
	v_add_f32_e32 v66, 0, v117
	v_add_f32_e32 v67, 0, v74
	v_mov_b32_e32 v47, v49
	v_pk_fma_f32 v[48:49], v[96:97], v[64:65], v[50:51] neg_lo:[0,0,1] neg_hi:[0,0,1]
	v_pk_fma_f32 v[50:51], v[96:97], v[64:65], v[50:51] op_sel_hi:[1,0,1]
	v_mov_b32_e32 v53, v55
	v_pk_fma_f32 v[54:55], v[100:101], v[68:69], v[56:57] neg_lo:[0,0,1] neg_hi:[0,0,1]
	v_pk_fma_f32 v[56:57], v[100:101], v[68:69], v[56:57] op_sel_hi:[1,0,1]
	v_add_f32_e32 v50, v66, v121
	v_add_f32_e32 v56, v67, v75
	v_mov_b32_e32 v49, v51
	v_add_f32_e32 v50, v50, v125
	v_add_f32_e32 v51, v56, v76
	;; [unrolled: 1-line block ×4, first 2 shown]
	v_mul_f32_e32 v111, v86, v59
	v_mul_f32_e32 v59, v87, v59
	v_add_f32_e32 v50, v50, v127
	v_add_f32_e32 v56, v51, v78
	v_mul_f32_e32 v113, v88, v61
	v_mul_f32_e32 v61, v89, v61
	v_fmac_f32_e32 v111, v87, v58
	v_fma_f32 v110, v86, v58, -v59
	v_add_f32_e32 v51, v50, v128
	v_add_f32_e32 v50, v56, v79
	v_fmac_f32_e32 v113, v89, v60
	v_fma_f32 v112, v88, v60, -v61
	v_pk_add_f32 v[50:51], v[50:51], v[110:111]
	s_waitcnt vmcnt(2) lgkmcnt(1)
	v_pk_mul_f32 v[122:123], v[102:103], v[70:71] op_sel:[1,1] op_sel_hi:[0,1]
	v_mov_b32_e32 v124, v73
	v_pk_add_f32 v[50:51], v[50:51], v[112:113]
	v_pk_fma_f32 v[58:59], v[102:103], v[70:71], v[122:123] neg_lo:[0,0,1] neg_hi:[0,0,1]
	v_pk_fma_f32 v[60:61], v[102:103], v[70:71], v[122:123] op_sel_hi:[1,0,1]
	v_pk_mul_f32 v[62:63], v[104:105], v[124:125] op_sel:[1,0] op_sel_hi:[0,0]
	v_pk_add_f32 v[46:47], v[50:51], v[46:47]
	v_mov_b32_e32 v59, v61
	v_pk_fma_f32 v[60:61], v[104:105], v[72:73], v[62:63] neg_lo:[0,0,1] neg_hi:[0,0,1]
	v_pk_add_f32 v[46:47], v[46:47], v[48:49]
	v_pk_fma_f32 v[48:49], v[104:105], v[72:73], v[62:63] op_sel_hi:[1,0,1]
	v_mov_b32_e32 v55, v57
	v_pk_add_f32 v[46:47], v[46:47], v[52:53]
	v_mov_b32_e32 v61, v49
	s_waitcnt vmcnt(1) lgkmcnt(0)
	v_pk_mul_f32 v[48:49], v[106:107], v[90:91] op_sel:[1,1] op_sel_hi:[0,1]
	v_pk_add_f32 v[46:47], v[46:47], v[54:55]
	v_pk_fma_f32 v[50:51], v[106:107], v[90:91], v[48:49] neg_lo:[0,0,1] neg_hi:[0,0,1]
	v_pk_fma_f32 v[48:49], v[106:107], v[90:91], v[48:49] op_sel_hi:[1,0,1]
	v_pk_add_f32 v[46:47], v[46:47], v[58:59]
	v_mov_b32_e32 v48, v93
	v_pk_add_f32 v[46:47], v[46:47], v[60:61]
	v_mov_b32_e32 v51, v49
	v_pk_mul_f32 v[48:49], v[108:109], v[48:49] op_sel:[1,0] op_sel_hi:[0,0]
	v_pk_add_f32 v[46:47], v[46:47], v[50:51]
	v_pk_fma_f32 v[50:51], v[108:109], v[92:93], v[48:49] neg_lo:[0,0,1] neg_hi:[0,0,1]
	v_pk_fma_f32 v[48:49], v[108:109], v[92:93], v[48:49] op_sel_hi:[1,0,1]
	s_nop 0
	v_mov_b32_e32 v51, v49
	v_pk_add_f32 v[46:47], v[46:47], v[50:51]
	s_waitcnt vmcnt(0)
	v_pk_add_f32 v[44:45], v[44:45], v[46:47] neg_lo:[0,1] neg_hi:[0,1]
	scratch_store_dwordx2 off, v[44:45], off offset:32
	s_and_saveexec_b64 s[0:1], vcc
	s_cbranch_execz .LBB20_133
; %bb.132:
	scratch_load_dwordx2 v[44:45], off, off offset:24
	v_mov_b32_e32 v46, 0
	v_mov_b32_e32 v47, v46
	scratch_store_dwordx2 off, v[46:47], off offset:24
	s_waitcnt vmcnt(1)
	ds_write_b64 v1, v[44:45]
.LBB20_133:
	s_or_b64 exec, exec, s[0:1]
	v_mov_b32_e32 v44, 0
	s_waitcnt lgkmcnt(0)
	; wave barrier
	ds_read_b128 v[46:49], v44 offset:208
	ds_read_b128 v[50:53], v44 offset:224
	;; [unrolled: 1-line block ×4, first 2 shown]
	scratch_load_dwordx4 v[62:65], off, off offset:32
	scratch_load_dwordx4 v[82:85], off, off offset:96
	v_cmp_lt_u32_e32 vcc, 2, v0
	s_waitcnt vmcnt(1) lgkmcnt(3)
	v_mul_f32_e32 v45, v46, v63
	v_fmac_f32_e32 v45, v47, v62
	v_mul_f32_e32 v66, v48, v65
	v_add_f32_e32 v45, 0, v45
	v_fmac_f32_e32 v66, v49, v64
	v_add_f32_e32 v45, v45, v66
	scratch_load_dwordx4 v[66:69], off, off offset:48
	s_waitcnt vmcnt(0) lgkmcnt(2)
	v_mul_f32_e32 v70, v50, v67
	v_fmac_f32_e32 v70, v51, v66
	v_add_f32_e32 v45, v45, v70
	v_mul_f32_e32 v70, v52, v69
	v_fmac_f32_e32 v70, v53, v68
	v_add_f32_e32 v45, v45, v70
	scratch_load_dwordx4 v[70:73], off, off offset:64
	s_waitcnt vmcnt(0) lgkmcnt(1)
	v_mul_f32_e32 v74, v54, v71
	v_fmac_f32_e32 v74, v55, v70
	v_add_f32_e32 v45, v45, v74
	v_mul_f32_e32 v74, v56, v73
	v_fmac_f32_e32 v74, v57, v72
	v_add_f32_e32 v45, v45, v74
	scratch_load_dwordx4 v[74:77], off, off offset:80
	s_waitcnt vmcnt(0) lgkmcnt(0)
	v_mul_f32_e32 v78, v58, v75
	v_fmac_f32_e32 v78, v59, v74
	v_add_f32_e32 v99, v45, v78
	ds_read_b128 v[78:81], v44 offset:272
	scratch_load_dwordx4 v[86:89], off, off offset:112
	scratch_load_dwordx4 v[90:93], off, off offset:128
	;; [unrolled: 1-line block ×3, first 2 shown]
	scratch_load_dwordx2 v[104:105], off, off offset:160
	v_mul_f32_e32 v45, v47, v63
	v_fma_f32 v45, v46, v62, -v45
	v_mul_f32_e32 v46, v49, v65
	v_add_f32_e32 v45, 0, v45
	v_fma_f32 v46, v48, v64, -v46
	v_add_f32_e32 v45, v45, v46
	v_mul_f32_e32 v46, v51, v67
	v_fma_f32 v46, v50, v66, -v46
	v_add_f32_e32 v45, v45, v46
	v_mul_f32_e32 v46, v53, v69
	;; [unrolled: 3-line block ×5, first 2 shown]
	v_fma_f32 v46, v58, v74, -v46
	v_mul_f32_e32 v101, v60, v77
	v_add_f32_e32 v98, v45, v46
	v_mul_f32_e32 v45, v61, v77
	v_mov_b32_e32 v62, v85
	v_fmac_f32_e32 v101, v61, v76
	s_waitcnt lgkmcnt(0)
	v_mul_f32_e32 v103, v78, v83
	v_fma_f32 v100, v60, v76, -v45
	v_mul_f32_e32 v45, v79, v83
	ds_read_b128 v[46:49], v44 offset:288
	ds_read_b128 v[50:53], v44 offset:304
	;; [unrolled: 1-line block ×3, first 2 shown]
	ds_read_b64 v[58:59], v44 offset:336
	v_pk_mul_f32 v[62:63], v[80:81], v[62:63] op_sel:[1,0] op_sel_hi:[0,0]
	v_fmac_f32_e32 v103, v79, v82
	v_fma_f32 v102, v78, v82, -v45
	v_pk_add_f32 v[60:61], v[98:99], v[100:101]
	v_pk_fma_f32 v[64:65], v[80:81], v[84:85], v[62:63] neg_lo:[0,0,1] neg_hi:[0,0,1]
	v_pk_fma_f32 v[62:63], v[80:81], v[84:85], v[62:63] op_sel_hi:[1,0,1]
	v_pk_add_f32 v[60:61], v[60:61], v[102:103]
	v_mov_b32_e32 v65, v63
	v_pk_add_f32 v[60:61], v[60:61], v[64:65]
	s_waitcnt vmcnt(3) lgkmcnt(3)
	v_pk_mul_f32 v[62:63], v[46:47], v[86:87] op_sel:[1,1] op_sel_hi:[0,1]
	v_pk_fma_f32 v[64:65], v[46:47], v[86:87], v[62:63] neg_lo:[0,0,1] neg_hi:[0,0,1]
	v_pk_fma_f32 v[46:47], v[46:47], v[86:87], v[62:63] op_sel_hi:[1,0,1]
	s_nop 0
	v_mov_b32_e32 v65, v47
	v_pk_add_f32 v[46:47], v[60:61], v[64:65]
	v_mov_b32_e32 v60, v89
	v_pk_mul_f32 v[60:61], v[48:49], v[60:61] op_sel:[1,0] op_sel_hi:[0,0]
	v_pk_fma_f32 v[62:63], v[48:49], v[88:89], v[60:61] neg_lo:[0,0,1] neg_hi:[0,0,1]
	v_pk_fma_f32 v[48:49], v[48:49], v[88:89], v[60:61] op_sel_hi:[1,0,1]
	s_nop 0
	v_mov_b32_e32 v63, v49
	s_waitcnt vmcnt(2) lgkmcnt(2)
	v_pk_mul_f32 v[48:49], v[50:51], v[90:91] op_sel:[1,1] op_sel_hi:[0,1]
	v_pk_fma_f32 v[60:61], v[50:51], v[90:91], v[48:49] neg_lo:[0,0,1] neg_hi:[0,0,1]
	v_pk_fma_f32 v[48:49], v[50:51], v[90:91], v[48:49] op_sel_hi:[1,0,1]
	v_pk_add_f32 v[46:47], v[46:47], v[62:63]
	v_mov_b32_e32 v48, v93
	v_mov_b32_e32 v61, v49
	v_pk_mul_f32 v[48:49], v[52:53], v[48:49] op_sel:[1,0] op_sel_hi:[0,0]
	v_pk_fma_f32 v[50:51], v[52:53], v[92:93], v[48:49] neg_lo:[0,0,1] neg_hi:[0,0,1]
	v_pk_fma_f32 v[48:49], v[52:53], v[92:93], v[48:49] op_sel_hi:[1,0,1]
	v_pk_add_f32 v[46:47], v[46:47], v[60:61]
	v_mov_b32_e32 v51, v49
	s_waitcnt vmcnt(1) lgkmcnt(1)
	v_pk_mul_f32 v[48:49], v[54:55], v[94:95] op_sel:[1,1] op_sel_hi:[0,1]
	v_pk_add_f32 v[46:47], v[46:47], v[50:51]
	v_pk_fma_f32 v[50:51], v[54:55], v[94:95], v[48:49] neg_lo:[0,0,1] neg_hi:[0,0,1]
	v_pk_fma_f32 v[48:49], v[54:55], v[94:95], v[48:49] op_sel_hi:[1,0,1]
	s_nop 0
	v_mov_b32_e32 v48, v97
	v_mov_b32_e32 v51, v49
	v_pk_mul_f32 v[48:49], v[56:57], v[48:49] op_sel:[1,0] op_sel_hi:[0,0]
	v_pk_add_f32 v[46:47], v[46:47], v[50:51]
	v_pk_fma_f32 v[50:51], v[56:57], v[96:97], v[48:49] neg_lo:[0,0,1] neg_hi:[0,0,1]
	v_pk_fma_f32 v[48:49], v[56:57], v[96:97], v[48:49] op_sel_hi:[1,0,1]
	s_nop 0
	v_mov_b32_e32 v51, v49
	s_waitcnt vmcnt(0) lgkmcnt(0)
	v_pk_mul_f32 v[48:49], v[58:59], v[104:105] op_sel:[1,1] op_sel_hi:[0,1]
	v_pk_add_f32 v[46:47], v[46:47], v[50:51]
	v_pk_fma_f32 v[50:51], v[58:59], v[104:105], v[48:49] neg_lo:[0,0,1] neg_hi:[0,0,1]
	v_pk_fma_f32 v[48:49], v[58:59], v[104:105], v[48:49] op_sel_hi:[1,0,1]
	s_nop 0
	v_mov_b32_e32 v51, v49
	scratch_load_dwordx2 v[48:49], off, off offset:24
	v_pk_add_f32 v[46:47], v[46:47], v[50:51]
	s_waitcnt vmcnt(0)
	v_pk_add_f32 v[46:47], v[48:49], v[46:47] neg_lo:[0,1] neg_hi:[0,1]
	scratch_store_dwordx2 off, v[46:47], off offset:24
	s_and_saveexec_b64 s[0:1], vcc
	s_cbranch_execz .LBB20_135
; %bb.134:
	scratch_load_dwordx2 v[46:47], off, off offset:16
	v_mov_b32_e32 v45, v44
	scratch_store_dwordx2 off, v[44:45], off offset:16
	s_waitcnt vmcnt(1)
	ds_write_b64 v1, v[46:47]
.LBB20_135:
	s_or_b64 exec, exec, s[0:1]
	s_waitcnt lgkmcnt(0)
	; wave barrier
	scratch_load_dwordx4 v[50:53], off, off offset:24
	scratch_load_dwordx4 v[58:61], off, off offset:40
	;; [unrolled: 1-line block ×4, first 2 shown]
	ds_read2_b64 v[46:49], v44 offset0:25 offset1:26
	scratch_load_dwordx4 v[82:85], off, off offset:88
	v_cmp_lt_u32_e32 vcc, 1, v0
	s_waitcnt vmcnt(4) lgkmcnt(0)
	v_mul_f32_e32 v45, v46, v51
	v_fmac_f32_e32 v45, v47, v50
	v_mul_f32_e32 v54, v48, v53
	v_add_f32_e32 v45, 0, v45
	v_fmac_f32_e32 v54, v49, v52
	v_add_f32_e32 v45, v45, v54
	ds_read2_b64 v[54:57], v44 offset0:27 offset1:28
	s_waitcnt vmcnt(3) lgkmcnt(0)
	v_mul_f32_e32 v62, v54, v59
	v_fmac_f32_e32 v62, v55, v58
	v_add_f32_e32 v45, v45, v62
	v_mul_f32_e32 v62, v56, v61
	v_fmac_f32_e32 v62, v57, v60
	v_add_f32_e32 v45, v45, v62
	ds_read2_b64 v[62:65], v44 offset0:29 offset1:30
	s_waitcnt vmcnt(2) lgkmcnt(0)
	v_mul_f32_e32 v70, v62, v67
	v_fmac_f32_e32 v70, v63, v66
	v_add_f32_e32 v45, v45, v70
	v_mul_f32_e32 v70, v64, v69
	;; [unrolled: 8-line block ×3, first 2 shown]
	v_fmac_f32_e32 v78, v73, v76
	v_add_f32_e32 v103, v45, v78
	ds_read2_b64 v[78:81], v44 offset0:33 offset1:34
	scratch_load_dwordx4 v[86:89], off, off offset:104
	scratch_load_dwordx4 v[90:93], off, off offset:120
	;; [unrolled: 1-line block ×4, first 2 shown]
	v_mul_f32_e32 v45, v47, v51
	v_fma_f32 v45, v46, v50, -v45
	v_mul_f32_e32 v46, v49, v53
	v_add_f32_e32 v45, 0, v45
	v_fma_f32 v46, v48, v52, -v46
	v_add_f32_e32 v45, v45, v46
	v_mul_f32_e32 v46, v55, v59
	v_fma_f32 v46, v54, v58, -v46
	v_add_f32_e32 v45, v45, v46
	v_mul_f32_e32 v46, v57, v61
	;; [unrolled: 3-line block ×6, first 2 shown]
	v_fma_f32 v46, v72, v76, -v46
	v_add_f32_e32 v102, v45, v46
	ds_read2_b64 v[46:49], v44 offset0:35 offset1:36
	ds_read2_b64 v[50:53], v44 offset0:37 offset1:38
	;; [unrolled: 1-line block ×4, first 2 shown]
	s_waitcnt vmcnt(4) lgkmcnt(4)
	v_mul_f32_e32 v105, v78, v83
	v_mul_f32_e32 v45, v79, v83
	v_fmac_f32_e32 v105, v79, v82
	v_mul_f32_e32 v107, v80, v85
	v_fma_f32 v104, v78, v82, -v45
	v_mul_f32_e32 v45, v81, v85
	v_fmac_f32_e32 v107, v81, v84
	v_fma_f32 v106, v80, v84, -v45
	v_pk_add_f32 v[44:45], v[102:103], v[104:105]
	s_waitcnt vmcnt(3) lgkmcnt(3)
	v_pk_mul_f32 v[62:63], v[46:47], v[86:87] op_sel:[1,1] op_sel_hi:[0,1]
	v_pk_fma_f32 v[64:65], v[46:47], v[86:87], v[62:63] neg_lo:[0,0,1] neg_hi:[0,0,1]
	v_pk_fma_f32 v[46:47], v[46:47], v[86:87], v[62:63] op_sel_hi:[1,0,1]
	v_pk_add_f32 v[44:45], v[44:45], v[106:107]
	v_mov_b32_e32 v46, v89
	v_mov_b32_e32 v65, v47
	v_pk_mul_f32 v[46:47], v[48:49], v[46:47] op_sel:[1,0] op_sel_hi:[0,0]
	v_pk_fma_f32 v[62:63], v[48:49], v[88:89], v[46:47] neg_lo:[0,0,1] neg_hi:[0,0,1]
	v_pk_fma_f32 v[46:47], v[48:49], v[88:89], v[46:47] op_sel_hi:[1,0,1]
	v_pk_add_f32 v[44:45], v[44:45], v[64:65]
	v_mov_b32_e32 v63, v47
	s_waitcnt vmcnt(2) lgkmcnt(2)
	v_pk_mul_f32 v[46:47], v[50:51], v[90:91] op_sel:[1,1] op_sel_hi:[0,1]
	v_pk_fma_f32 v[48:49], v[50:51], v[90:91], v[46:47] neg_lo:[0,0,1] neg_hi:[0,0,1]
	v_pk_fma_f32 v[46:47], v[50:51], v[90:91], v[46:47] op_sel_hi:[1,0,1]
	v_pk_add_f32 v[44:45], v[44:45], v[62:63]
	v_mov_b32_e32 v46, v93
	v_mov_b32_e32 v49, v47
	v_pk_mul_f32 v[46:47], v[52:53], v[46:47] op_sel:[1,0] op_sel_hi:[0,0]
	v_pk_add_f32 v[44:45], v[44:45], v[48:49]
	v_pk_fma_f32 v[48:49], v[52:53], v[92:93], v[46:47] neg_lo:[0,0,1] neg_hi:[0,0,1]
	v_pk_fma_f32 v[46:47], v[52:53], v[92:93], v[46:47] op_sel_hi:[1,0,1]
	s_nop 0
	v_mov_b32_e32 v49, v47
	s_waitcnt vmcnt(1) lgkmcnt(1)
	v_pk_mul_f32 v[46:47], v[54:55], v[94:95] op_sel:[1,1] op_sel_hi:[0,1]
	v_pk_add_f32 v[44:45], v[44:45], v[48:49]
	v_pk_fma_f32 v[48:49], v[54:55], v[94:95], v[46:47] neg_lo:[0,0,1] neg_hi:[0,0,1]
	v_pk_fma_f32 v[46:47], v[54:55], v[94:95], v[46:47] op_sel_hi:[1,0,1]
	s_nop 0
	v_mov_b32_e32 v46, v97
	v_mov_b32_e32 v49, v47
	v_pk_mul_f32 v[46:47], v[56:57], v[46:47] op_sel:[1,0] op_sel_hi:[0,0]
	v_pk_add_f32 v[44:45], v[44:45], v[48:49]
	v_pk_fma_f32 v[48:49], v[56:57], v[96:97], v[46:47] neg_lo:[0,0,1] neg_hi:[0,0,1]
	v_pk_fma_f32 v[46:47], v[56:57], v[96:97], v[46:47] op_sel_hi:[1,0,1]
	s_nop 0
	v_mov_b32_e32 v49, v47
	s_waitcnt vmcnt(0) lgkmcnt(0)
	v_pk_mul_f32 v[46:47], v[58:59], v[98:99] op_sel:[1,1] op_sel_hi:[0,1]
	v_pk_add_f32 v[44:45], v[44:45], v[48:49]
	v_pk_fma_f32 v[48:49], v[58:59], v[98:99], v[46:47] neg_lo:[0,0,1] neg_hi:[0,0,1]
	v_pk_fma_f32 v[46:47], v[58:59], v[98:99], v[46:47] op_sel_hi:[1,0,1]
	s_nop 0
	v_mov_b32_e32 v46, v101
	v_mov_b32_e32 v49, v47
	v_pk_mul_f32 v[46:47], v[60:61], v[46:47] op_sel:[1,0] op_sel_hi:[0,0]
	v_pk_add_f32 v[44:45], v[44:45], v[48:49]
	v_pk_fma_f32 v[48:49], v[60:61], v[100:101], v[46:47] neg_lo:[0,0,1] neg_hi:[0,0,1]
	v_pk_fma_f32 v[46:47], v[60:61], v[100:101], v[46:47] op_sel_hi:[1,0,1]
	s_nop 0
	v_mov_b32_e32 v49, v47
	scratch_load_dwordx2 v[46:47], off, off offset:16
	v_pk_add_f32 v[44:45], v[44:45], v[48:49]
	s_waitcnt vmcnt(0)
	v_pk_add_f32 v[44:45], v[46:47], v[44:45] neg_lo:[0,1] neg_hi:[0,1]
	scratch_store_dwordx2 off, v[44:45], off offset:16
	s_and_saveexec_b64 s[0:1], vcc
	s_cbranch_execz .LBB20_137
; %bb.136:
	scratch_load_dwordx2 v[44:45], off, off offset:8
	v_mov_b32_e32 v46, 0
	v_mov_b32_e32 v47, v46
	scratch_store_dwordx2 off, v[46:47], off offset:8
	s_waitcnt vmcnt(1)
	ds_write_b64 v1, v[44:45]
.LBB20_137:
	s_or_b64 exec, exec, s[0:1]
	v_mov_b32_e32 v44, 0
	s_waitcnt lgkmcnt(0)
	; wave barrier
	ds_read_b128 v[46:49], v44 offset:192
	ds_read_b128 v[50:53], v44 offset:208
	;; [unrolled: 1-line block ×4, first 2 shown]
	scratch_load_dwordx4 v[62:65], off, off offset:16
	scratch_load_dwordx4 v[82:85], off, off offset:80
	v_cmp_ne_u32_e32 vcc, 0, v0
	scratch_load_dwordx4 v[90:93], off, off offset:96
	s_waitcnt vmcnt(2) lgkmcnt(3)
	v_mul_f32_e32 v45, v46, v63
	v_fmac_f32_e32 v45, v47, v62
	v_mul_f32_e32 v66, v48, v65
	v_add_f32_e32 v45, 0, v45
	v_fmac_f32_e32 v66, v49, v64
	v_add_f32_e32 v45, v45, v66
	scratch_load_dwordx4 v[66:69], off, off offset:32
	s_waitcnt vmcnt(0) lgkmcnt(2)
	v_mul_f32_e32 v70, v50, v67
	v_fmac_f32_e32 v70, v51, v66
	v_add_f32_e32 v45, v45, v70
	v_mul_f32_e32 v70, v52, v69
	v_fmac_f32_e32 v70, v53, v68
	v_add_f32_e32 v45, v45, v70
	scratch_load_dwordx4 v[70:73], off, off offset:48
	s_waitcnt vmcnt(0) lgkmcnt(1)
	v_mul_f32_e32 v74, v54, v71
	v_fmac_f32_e32 v74, v55, v70
	v_add_f32_e32 v45, v45, v74
	v_mul_f32_e32 v74, v56, v73
	;; [unrolled: 8-line block ×3, first 2 shown]
	v_fmac_f32_e32 v78, v61, v76
	v_add_f32_e32 v45, v45, v78
	ds_read_b128 v[78:81], v44 offset:256
	s_waitcnt lgkmcnt(0)
	v_mul_f32_e32 v86, v78, v83
	v_fmac_f32_e32 v86, v79, v82
	v_add_f32_e32 v107, v45, v86
	ds_read_b128 v[86:89], v44 offset:272
	scratch_load_dwordx4 v[94:97], off, off offset:112
	scratch_load_dwordx4 v[98:101], off, off offset:128
	;; [unrolled: 1-line block ×3, first 2 shown]
	scratch_load_dwordx2 v[112:113], off, off offset:160
	v_mul_f32_e32 v45, v47, v63
	v_fma_f32 v45, v46, v62, -v45
	v_mul_f32_e32 v46, v49, v65
	v_add_f32_e32 v45, 0, v45
	v_fma_f32 v46, v48, v64, -v46
	v_add_f32_e32 v45, v45, v46
	v_mul_f32_e32 v46, v51, v67
	v_fma_f32 v46, v50, v66, -v46
	v_add_f32_e32 v45, v45, v46
	v_mul_f32_e32 v46, v53, v69
	;; [unrolled: 3-line block ×7, first 2 shown]
	v_fma_f32 v46, v78, v82, -v46
	v_mul_f32_e32 v109, v80, v85
	v_add_f32_e32 v106, v45, v46
	v_mul_f32_e32 v45, v81, v85
	v_mov_b32_e32 v62, v93
	v_fmac_f32_e32 v109, v81, v84
	s_waitcnt lgkmcnt(0)
	v_mul_f32_e32 v111, v86, v91
	v_fma_f32 v108, v80, v84, -v45
	v_mul_f32_e32 v45, v87, v91
	ds_read_b128 v[46:49], v44 offset:288
	ds_read_b128 v[50:53], v44 offset:304
	;; [unrolled: 1-line block ×3, first 2 shown]
	ds_read_b64 v[58:59], v44 offset:336
	v_pk_mul_f32 v[62:63], v[88:89], v[62:63] op_sel:[1,0] op_sel_hi:[0,0]
	v_fmac_f32_e32 v111, v87, v90
	v_fma_f32 v110, v86, v90, -v45
	v_pk_add_f32 v[60:61], v[106:107], v[108:109]
	v_pk_fma_f32 v[64:65], v[88:89], v[92:93], v[62:63] neg_lo:[0,0,1] neg_hi:[0,0,1]
	v_pk_fma_f32 v[62:63], v[88:89], v[92:93], v[62:63] op_sel_hi:[1,0,1]
	v_pk_add_f32 v[60:61], v[60:61], v[110:111]
	v_mov_b32_e32 v65, v63
	v_pk_add_f32 v[60:61], v[60:61], v[64:65]
	s_waitcnt vmcnt(3) lgkmcnt(3)
	v_pk_mul_f32 v[62:63], v[46:47], v[94:95] op_sel:[1,1] op_sel_hi:[0,1]
	v_pk_fma_f32 v[64:65], v[46:47], v[94:95], v[62:63] neg_lo:[0,0,1] neg_hi:[0,0,1]
	v_pk_fma_f32 v[46:47], v[46:47], v[94:95], v[62:63] op_sel_hi:[1,0,1]
	s_nop 0
	v_mov_b32_e32 v65, v47
	v_pk_add_f32 v[46:47], v[60:61], v[64:65]
	v_mov_b32_e32 v60, v97
	v_pk_mul_f32 v[60:61], v[48:49], v[60:61] op_sel:[1,0] op_sel_hi:[0,0]
	v_pk_fma_f32 v[62:63], v[48:49], v[96:97], v[60:61] neg_lo:[0,0,1] neg_hi:[0,0,1]
	v_pk_fma_f32 v[48:49], v[48:49], v[96:97], v[60:61] op_sel_hi:[1,0,1]
	s_nop 0
	v_mov_b32_e32 v63, v49
	s_waitcnt vmcnt(2) lgkmcnt(2)
	v_pk_mul_f32 v[48:49], v[50:51], v[98:99] op_sel:[1,1] op_sel_hi:[0,1]
	v_pk_fma_f32 v[60:61], v[50:51], v[98:99], v[48:49] neg_lo:[0,0,1] neg_hi:[0,0,1]
	v_pk_fma_f32 v[48:49], v[50:51], v[98:99], v[48:49] op_sel_hi:[1,0,1]
	v_pk_add_f32 v[46:47], v[46:47], v[62:63]
	v_mov_b32_e32 v48, v101
	v_mov_b32_e32 v61, v49
	v_pk_mul_f32 v[48:49], v[52:53], v[48:49] op_sel:[1,0] op_sel_hi:[0,0]
	v_pk_fma_f32 v[50:51], v[52:53], v[100:101], v[48:49] neg_lo:[0,0,1] neg_hi:[0,0,1]
	v_pk_fma_f32 v[48:49], v[52:53], v[100:101], v[48:49] op_sel_hi:[1,0,1]
	v_pk_add_f32 v[46:47], v[46:47], v[60:61]
	v_mov_b32_e32 v51, v49
	s_waitcnt vmcnt(1) lgkmcnt(1)
	v_pk_mul_f32 v[48:49], v[54:55], v[102:103] op_sel:[1,1] op_sel_hi:[0,1]
	v_pk_add_f32 v[46:47], v[46:47], v[50:51]
	v_pk_fma_f32 v[50:51], v[54:55], v[102:103], v[48:49] neg_lo:[0,0,1] neg_hi:[0,0,1]
	v_pk_fma_f32 v[48:49], v[54:55], v[102:103], v[48:49] op_sel_hi:[1,0,1]
	s_nop 0
	v_mov_b32_e32 v48, v105
	v_mov_b32_e32 v51, v49
	v_pk_mul_f32 v[48:49], v[56:57], v[48:49] op_sel:[1,0] op_sel_hi:[0,0]
	v_pk_add_f32 v[46:47], v[46:47], v[50:51]
	v_pk_fma_f32 v[50:51], v[56:57], v[104:105], v[48:49] neg_lo:[0,0,1] neg_hi:[0,0,1]
	v_pk_fma_f32 v[48:49], v[56:57], v[104:105], v[48:49] op_sel_hi:[1,0,1]
	s_nop 0
	v_mov_b32_e32 v51, v49
	s_waitcnt vmcnt(0) lgkmcnt(0)
	v_pk_mul_f32 v[48:49], v[58:59], v[112:113] op_sel:[1,1] op_sel_hi:[0,1]
	v_pk_add_f32 v[46:47], v[46:47], v[50:51]
	v_pk_fma_f32 v[50:51], v[58:59], v[112:113], v[48:49] neg_lo:[0,0,1] neg_hi:[0,0,1]
	v_pk_fma_f32 v[48:49], v[58:59], v[112:113], v[48:49] op_sel_hi:[1,0,1]
	s_nop 0
	v_mov_b32_e32 v51, v49
	scratch_load_dwordx2 v[48:49], off, off offset:8
	v_pk_add_f32 v[46:47], v[46:47], v[50:51]
	s_waitcnt vmcnt(0)
	v_pk_add_f32 v[46:47], v[48:49], v[46:47] neg_lo:[0,1] neg_hi:[0,1]
	scratch_store_dwordx2 off, v[46:47], off offset:8
	s_and_saveexec_b64 s[0:1], vcc
	s_cbranch_execz .LBB20_139
; %bb.138:
	scratch_load_dwordx2 v[46:47], off, off
	v_mov_b32_e32 v45, v44
	scratch_store_dwordx2 off, v[44:45], off
	s_waitcnt vmcnt(1)
	ds_write_b64 v1, v[46:47]
.LBB20_139:
	s_or_b64 exec, exec, s[0:1]
	s_waitcnt lgkmcnt(0)
	; wave barrier
	scratch_load_dwordx4 v[50:53], off, off offset:8
	scratch_load_dwordx4 v[58:61], off, off offset:24
	;; [unrolled: 1-line block ×6, first 2 shown]
	ds_read2_b64 v[46:49], v44 offset0:23 offset1:24
	ds_read2_b64 v[54:57], v44 offset0:25 offset1:26
	;; [unrolled: 1-line block ×6, first 2 shown]
	scratch_load_dwordx4 v[94:97], off, off offset:104
	scratch_load_dwordx4 v[98:101], off, off offset:120
	;; [unrolled: 1-line block ×4, first 2 shown]
	s_and_b64 vcc, exec, s[18:19]
	s_waitcnt vmcnt(9) lgkmcnt(5)
	v_mul_f32_e32 v0, v46, v51
	v_fmac_f32_e32 v0, v47, v50
	v_mul_f32_e32 v1, v48, v53
	v_add_f32_e32 v0, 0, v0
	v_fmac_f32_e32 v1, v49, v52
	v_add_f32_e32 v0, v0, v1
	s_waitcnt vmcnt(8) lgkmcnt(4)
	v_mul_f32_e32 v1, v54, v59
	v_fmac_f32_e32 v1, v55, v58
	v_add_f32_e32 v0, v0, v1
	v_mul_f32_e32 v1, v56, v61
	v_fmac_f32_e32 v1, v57, v60
	v_add_f32_e32 v0, v0, v1
	s_waitcnt vmcnt(7) lgkmcnt(3)
	v_mul_f32_e32 v1, v62, v67
	v_fmac_f32_e32 v1, v63, v66
	v_add_f32_e32 v0, v0, v1
	v_mul_f32_e32 v1, v64, v69
	;; [unrolled: 7-line block ×4, first 2 shown]
	v_fmac_f32_e32 v1, v81, v84
	v_add_f32_e32 v1, v0, v1
	v_mul_f32_e32 v0, v47, v51
	v_fma_f32 v0, v46, v50, -v0
	v_mul_f32_e32 v45, v49, v53
	v_add_f32_e32 v0, 0, v0
	v_fma_f32 v45, v48, v52, -v45
	v_add_f32_e32 v0, v0, v45
	v_mul_f32_e32 v45, v55, v59
	v_fma_f32 v45, v54, v58, -v45
	v_add_f32_e32 v0, v0, v45
	v_mul_f32_e32 v45, v57, v61
	;; [unrolled: 3-line block ×8, first 2 shown]
	v_fma_f32 v45, v80, v84, -v45
	v_add_f32_e32 v0, v0, v45
	s_waitcnt vmcnt(4) lgkmcnt(0)
	v_mul_f32_e32 v45, v87, v91
	ds_read2_b64 v[46:49], v44 offset0:35 offset1:36
	ds_read2_b64 v[50:53], v44 offset0:37 offset1:38
	;; [unrolled: 1-line block ×4, first 2 shown]
	v_fma_f32 v110, v86, v90, -v45
	v_mul_f32_e32 v45, v89, v93
	v_fma_f32 v112, v88, v92, -v45
	s_waitcnt vmcnt(3) lgkmcnt(3)
	v_pk_mul_f32 v[44:45], v[46:47], v[94:95] op_sel:[1,1] op_sel_hi:[0,1]
	v_mul_f32_e32 v111, v86, v91
	v_pk_fma_f32 v[62:63], v[46:47], v[94:95], v[44:45] neg_lo:[0,0,1] neg_hi:[0,0,1]
	v_pk_fma_f32 v[44:45], v[46:47], v[94:95], v[44:45] op_sel_hi:[1,0,1]
	v_fmac_f32_e32 v111, v87, v90
	v_mul_f32_e32 v113, v88, v93
	v_mov_b32_e32 v44, v97
	v_fmac_f32_e32 v113, v89, v92
	v_pk_add_f32 v[0:1], v[0:1], v[110:111]
	v_mov_b32_e32 v63, v45
	v_pk_mul_f32 v[44:45], v[48:49], v[44:45] op_sel:[1,0] op_sel_hi:[0,0]
	v_pk_add_f32 v[0:1], v[0:1], v[112:113]
	v_pk_fma_f32 v[46:47], v[48:49], v[96:97], v[44:45] neg_lo:[0,0,1] neg_hi:[0,0,1]
	v_pk_fma_f32 v[44:45], v[48:49], v[96:97], v[44:45] op_sel_hi:[1,0,1]
	v_pk_add_f32 v[0:1], v[0:1], v[62:63]
	v_mov_b32_e32 v47, v45
	s_waitcnt vmcnt(2) lgkmcnt(2)
	v_pk_mul_f32 v[44:45], v[50:51], v[98:99] op_sel:[1,1] op_sel_hi:[0,1]
	v_pk_add_f32 v[0:1], v[0:1], v[46:47]
	v_pk_fma_f32 v[46:47], v[50:51], v[98:99], v[44:45] neg_lo:[0,0,1] neg_hi:[0,0,1]
	v_pk_fma_f32 v[44:45], v[50:51], v[98:99], v[44:45] op_sel_hi:[1,0,1]
	s_nop 0
	v_mov_b32_e32 v44, v101
	v_mov_b32_e32 v47, v45
	v_pk_mul_f32 v[44:45], v[52:53], v[44:45] op_sel:[1,0] op_sel_hi:[0,0]
	v_pk_add_f32 v[0:1], v[0:1], v[46:47]
	v_pk_fma_f32 v[46:47], v[52:53], v[100:101], v[44:45] neg_lo:[0,0,1] neg_hi:[0,0,1]
	v_pk_fma_f32 v[44:45], v[52:53], v[100:101], v[44:45] op_sel_hi:[1,0,1]
	s_nop 0
	v_mov_b32_e32 v47, v45
	s_waitcnt vmcnt(1) lgkmcnt(1)
	v_pk_mul_f32 v[44:45], v[54:55], v[102:103] op_sel:[1,1] op_sel_hi:[0,1]
	v_pk_add_f32 v[0:1], v[0:1], v[46:47]
	v_pk_fma_f32 v[46:47], v[54:55], v[102:103], v[44:45] neg_lo:[0,0,1] neg_hi:[0,0,1]
	v_pk_fma_f32 v[44:45], v[54:55], v[102:103], v[44:45] op_sel_hi:[1,0,1]
	s_nop 0
	v_mov_b32_e32 v44, v105
	v_mov_b32_e32 v47, v45
	v_pk_mul_f32 v[44:45], v[56:57], v[44:45] op_sel:[1,0] op_sel_hi:[0,0]
	v_pk_add_f32 v[0:1], v[0:1], v[46:47]
	v_pk_fma_f32 v[46:47], v[56:57], v[104:105], v[44:45] neg_lo:[0,0,1] neg_hi:[0,0,1]
	v_pk_fma_f32 v[44:45], v[56:57], v[104:105], v[44:45] op_sel_hi:[1,0,1]
	s_nop 0
	v_mov_b32_e32 v47, v45
	s_waitcnt vmcnt(0) lgkmcnt(0)
	v_pk_mul_f32 v[44:45], v[58:59], v[106:107] op_sel:[1,1] op_sel_hi:[0,1]
	v_pk_add_f32 v[0:1], v[0:1], v[46:47]
	v_pk_fma_f32 v[46:47], v[58:59], v[106:107], v[44:45] neg_lo:[0,0,1] neg_hi:[0,0,1]
	v_pk_fma_f32 v[44:45], v[58:59], v[106:107], v[44:45] op_sel_hi:[1,0,1]
	s_nop 0
	v_mov_b32_e32 v44, v109
	v_mov_b32_e32 v47, v45
	v_pk_mul_f32 v[44:45], v[60:61], v[44:45] op_sel:[1,0] op_sel_hi:[0,0]
	v_pk_add_f32 v[0:1], v[0:1], v[46:47]
	v_pk_fma_f32 v[46:47], v[60:61], v[108:109], v[44:45] neg_lo:[0,0,1] neg_hi:[0,0,1]
	v_pk_fma_f32 v[44:45], v[60:61], v[108:109], v[44:45] op_sel_hi:[1,0,1]
	s_nop 0
	v_mov_b32_e32 v47, v45
	scratch_load_dwordx2 v[44:45], off, off
	v_pk_add_f32 v[0:1], v[0:1], v[46:47]
	s_waitcnt vmcnt(0)
	v_pk_add_f32 v[0:1], v[44:45], v[0:1] neg_lo:[0,1] neg_hi:[0,1]
	scratch_store_dwordx2 off, v[0:1], off
	s_cbranch_vccz .LBB20_180
; %bb.140:
	v_mov_b32_e32 v0, 0
	global_load_dword v1, v0, s[16:17] offset:76
	s_waitcnt vmcnt(0)
	v_readfirstlane_b32 s0, v1
	s_add_i32 s0, s0, -1
	s_cmp_lg_u32 s0, 19
	s_cbranch_scc0 .LBB20_142
; %bb.141:
	s_lshl_b32 s0, s0, 3
	s_nop 0
	scratch_load_dwordx2 v[44:45], off, s0
	scratch_load_dwordx2 v[46:47], off, off offset:152
	s_waitcnt vmcnt(1)
	scratch_store_dwordx2 off, v[44:45], off offset:152
	s_waitcnt vmcnt(1)
	scratch_store_dwordx2 off, v[46:47], s0
.LBB20_142:
	global_load_dword v0, v0, s[16:17] offset:72
	s_waitcnt vmcnt(0)
	v_readfirstlane_b32 s0, v0
	s_add_i32 s0, s0, -1
	s_cmp_eq_u32 s0, 18
	s_cbranch_scc1 .LBB20_144
; %bb.143:
	s_lshl_b32 s0, s0, 3
	s_nop 0
	scratch_load_dwordx2 v[0:1], off, s0
	scratch_load_dwordx2 v[44:45], off, off offset:144
	s_waitcnt vmcnt(1)
	scratch_store_dwordx2 off, v[0:1], off offset:144
	s_waitcnt vmcnt(1)
	scratch_store_dwordx2 off, v[44:45], s0
.LBB20_144:
	v_mov_b32_e32 v0, 0
	global_load_dword v1, v0, s[16:17] offset:68
	s_waitcnt vmcnt(0)
	v_readfirstlane_b32 s0, v1
	s_add_i32 s0, s0, -1
	s_cmp_eq_u32 s0, 17
	s_cbranch_scc1 .LBB20_146
; %bb.145:
	s_lshl_b32 s0, s0, 3
	s_nop 0
	scratch_load_dwordx2 v[44:45], off, s0
	scratch_load_dwordx2 v[46:47], off, off offset:136
	s_waitcnt vmcnt(1)
	scratch_store_dwordx2 off, v[44:45], off offset:136
	s_waitcnt vmcnt(1)
	scratch_store_dwordx2 off, v[46:47], s0
.LBB20_146:
	global_load_dword v0, v0, s[16:17] offset:64
	s_waitcnt vmcnt(0)
	v_readfirstlane_b32 s0, v0
	s_add_i32 s0, s0, -1
	s_cmp_eq_u32 s0, 16
	s_cbranch_scc1 .LBB20_148
; %bb.147:
	s_lshl_b32 s0, s0, 3
	s_nop 0
	scratch_load_dwordx2 v[0:1], off, s0
	scratch_load_dwordx2 v[44:45], off, off offset:128
	s_waitcnt vmcnt(1)
	scratch_store_dwordx2 off, v[0:1], off offset:128
	s_waitcnt vmcnt(1)
	scratch_store_dwordx2 off, v[44:45], s0
.LBB20_148:
	v_mov_b32_e32 v0, 0
	global_load_dword v1, v0, s[16:17] offset:60
	s_waitcnt vmcnt(0)
	v_readfirstlane_b32 s0, v1
	s_add_i32 s0, s0, -1
	s_cmp_eq_u32 s0, 15
	s_cbranch_scc1 .LBB20_150
; %bb.149:
	s_lshl_b32 s0, s0, 3
	s_nop 0
	scratch_load_dwordx2 v[44:45], off, s0
	scratch_load_dwordx2 v[46:47], off, off offset:120
	s_waitcnt vmcnt(1)
	scratch_store_dwordx2 off, v[44:45], off offset:120
	s_waitcnt vmcnt(1)
	scratch_store_dwordx2 off, v[46:47], s0
.LBB20_150:
	;; [unrolled: 33-line block ×9, first 2 shown]
	global_load_dword v44, v0, s[16:17]
	s_nop 0
	scratch_load_dwordx2 v[0:1], off, off
	s_waitcnt vmcnt(1)
	v_readfirstlane_b32 s0, v44
	s_add_i32 s0, s0, -1
	s_cmp_eq_u32 s0, 0
	s_cbranch_scc1 .LBB20_180
; %bb.179:
	s_lshl_b32 s0, s0, 3
	s_nop 0
	scratch_load_dwordx2 v[44:45], off, s0
	s_waitcnt vmcnt(0)
	scratch_store_dwordx2 off, v[44:45], off
	scratch_store_dwordx2 off, v[0:1], s0
	scratch_load_dwordx2 v[0:1], off, off
.LBB20_180:
	s_nop 0
	scratch_load_dwordx4 v[44:47], off, off offset:8
	scratch_load_dwordx4 v[48:51], off, off offset:24
	;; [unrolled: 1-line block ×10, first 2 shown]
	s_waitcnt vmcnt(10)
	global_store_dwordx2 v[2:3], v[0:1], off
	s_waitcnt vmcnt(10)
	global_store_dwordx2 v[4:5], v[44:45], off
	global_store_dwordx2 v[6:7], v[46:47], off
	s_waitcnt vmcnt(11)
	global_store_dwordx2 v[8:9], v[48:49], off
	;; [unrolled: 3-line block ×10, first 2 shown]
	global_store_dwordx2 v[42:43], v[82:83], off
	s_endpgm
	.section	.rodata,"a",@progbits
	.p2align	6, 0x0
	.amdhsa_kernel _ZN9rocsolver6v33100L18getri_kernel_smallILi21E19rocblas_complex_numIfEPS3_EEvT1_iilPiilS6_bb
		.amdhsa_group_segment_fixed_size 344
		.amdhsa_private_segment_fixed_size 176
		.amdhsa_kernarg_size 60
		.amdhsa_user_sgpr_count 2
		.amdhsa_user_sgpr_dispatch_ptr 0
		.amdhsa_user_sgpr_queue_ptr 0
		.amdhsa_user_sgpr_kernarg_segment_ptr 1
		.amdhsa_user_sgpr_dispatch_id 0
		.amdhsa_user_sgpr_kernarg_preload_length 0
		.amdhsa_user_sgpr_kernarg_preload_offset 0
		.amdhsa_user_sgpr_private_segment_size 0
		.amdhsa_uses_dynamic_stack 0
		.amdhsa_enable_private_segment 1
		.amdhsa_system_sgpr_workgroup_id_x 1
		.amdhsa_system_sgpr_workgroup_id_y 0
		.amdhsa_system_sgpr_workgroup_id_z 0
		.amdhsa_system_sgpr_workgroup_info 0
		.amdhsa_system_vgpr_workitem_id 0
		.amdhsa_next_free_vgpr 129
		.amdhsa_next_free_sgpr 20
		.amdhsa_accum_offset 132
		.amdhsa_reserve_vcc 1
		.amdhsa_float_round_mode_32 0
		.amdhsa_float_round_mode_16_64 0
		.amdhsa_float_denorm_mode_32 3
		.amdhsa_float_denorm_mode_16_64 3
		.amdhsa_dx10_clamp 1
		.amdhsa_ieee_mode 1
		.amdhsa_fp16_overflow 0
		.amdhsa_tg_split 0
		.amdhsa_exception_fp_ieee_invalid_op 0
		.amdhsa_exception_fp_denorm_src 0
		.amdhsa_exception_fp_ieee_div_zero 0
		.amdhsa_exception_fp_ieee_overflow 0
		.amdhsa_exception_fp_ieee_underflow 0
		.amdhsa_exception_fp_ieee_inexact 0
		.amdhsa_exception_int_div_zero 0
	.end_amdhsa_kernel
	.section	.text._ZN9rocsolver6v33100L18getri_kernel_smallILi21E19rocblas_complex_numIfEPS3_EEvT1_iilPiilS6_bb,"axG",@progbits,_ZN9rocsolver6v33100L18getri_kernel_smallILi21E19rocblas_complex_numIfEPS3_EEvT1_iilPiilS6_bb,comdat
.Lfunc_end20:
	.size	_ZN9rocsolver6v33100L18getri_kernel_smallILi21E19rocblas_complex_numIfEPS3_EEvT1_iilPiilS6_bb, .Lfunc_end20-_ZN9rocsolver6v33100L18getri_kernel_smallILi21E19rocblas_complex_numIfEPS3_EEvT1_iilPiilS6_bb
                                        ; -- End function
	.set _ZN9rocsolver6v33100L18getri_kernel_smallILi21E19rocblas_complex_numIfEPS3_EEvT1_iilPiilS6_bb.num_vgpr, 129
	.set _ZN9rocsolver6v33100L18getri_kernel_smallILi21E19rocblas_complex_numIfEPS3_EEvT1_iilPiilS6_bb.num_agpr, 0
	.set _ZN9rocsolver6v33100L18getri_kernel_smallILi21E19rocblas_complex_numIfEPS3_EEvT1_iilPiilS6_bb.numbered_sgpr, 20
	.set _ZN9rocsolver6v33100L18getri_kernel_smallILi21E19rocblas_complex_numIfEPS3_EEvT1_iilPiilS6_bb.num_named_barrier, 0
	.set _ZN9rocsolver6v33100L18getri_kernel_smallILi21E19rocblas_complex_numIfEPS3_EEvT1_iilPiilS6_bb.private_seg_size, 176
	.set _ZN9rocsolver6v33100L18getri_kernel_smallILi21E19rocblas_complex_numIfEPS3_EEvT1_iilPiilS6_bb.uses_vcc, 1
	.set _ZN9rocsolver6v33100L18getri_kernel_smallILi21E19rocblas_complex_numIfEPS3_EEvT1_iilPiilS6_bb.uses_flat_scratch, 0
	.set _ZN9rocsolver6v33100L18getri_kernel_smallILi21E19rocblas_complex_numIfEPS3_EEvT1_iilPiilS6_bb.has_dyn_sized_stack, 0
	.set _ZN9rocsolver6v33100L18getri_kernel_smallILi21E19rocblas_complex_numIfEPS3_EEvT1_iilPiilS6_bb.has_recursion, 0
	.set _ZN9rocsolver6v33100L18getri_kernel_smallILi21E19rocblas_complex_numIfEPS3_EEvT1_iilPiilS6_bb.has_indirect_call, 0
	.section	.AMDGPU.csdata,"",@progbits
; Kernel info:
; codeLenInByte = 18896
; TotalNumSgprs: 26
; NumVgprs: 129
; NumAgprs: 0
; TotalNumVgprs: 129
; ScratchSize: 176
; MemoryBound: 0
; FloatMode: 240
; IeeeMode: 1
; LDSByteSize: 344 bytes/workgroup (compile time only)
; SGPRBlocks: 3
; VGPRBlocks: 16
; NumSGPRsForWavesPerEU: 26
; NumVGPRsForWavesPerEU: 129
; AccumOffset: 132
; Occupancy: 3
; WaveLimiterHint : 1
; COMPUTE_PGM_RSRC2:SCRATCH_EN: 1
; COMPUTE_PGM_RSRC2:USER_SGPR: 2
; COMPUTE_PGM_RSRC2:TRAP_HANDLER: 0
; COMPUTE_PGM_RSRC2:TGID_X_EN: 1
; COMPUTE_PGM_RSRC2:TGID_Y_EN: 0
; COMPUTE_PGM_RSRC2:TGID_Z_EN: 0
; COMPUTE_PGM_RSRC2:TIDIG_COMP_CNT: 0
; COMPUTE_PGM_RSRC3_GFX90A:ACCUM_OFFSET: 32
; COMPUTE_PGM_RSRC3_GFX90A:TG_SPLIT: 0
	.section	.text._ZN9rocsolver6v33100L18getri_kernel_smallILi22E19rocblas_complex_numIfEPS3_EEvT1_iilPiilS6_bb,"axG",@progbits,_ZN9rocsolver6v33100L18getri_kernel_smallILi22E19rocblas_complex_numIfEPS3_EEvT1_iilPiilS6_bb,comdat
	.globl	_ZN9rocsolver6v33100L18getri_kernel_smallILi22E19rocblas_complex_numIfEPS3_EEvT1_iilPiilS6_bb ; -- Begin function _ZN9rocsolver6v33100L18getri_kernel_smallILi22E19rocblas_complex_numIfEPS3_EEvT1_iilPiilS6_bb
	.p2align	8
	.type	_ZN9rocsolver6v33100L18getri_kernel_smallILi22E19rocblas_complex_numIfEPS3_EEvT1_iilPiilS6_bb,@function
_ZN9rocsolver6v33100L18getri_kernel_smallILi22E19rocblas_complex_numIfEPS3_EEvT1_iilPiilS6_bb: ; @_ZN9rocsolver6v33100L18getri_kernel_smallILi22E19rocblas_complex_numIfEPS3_EEvT1_iilPiilS6_bb
; %bb.0:
	v_cmp_gt_u32_e32 vcc, 22, v0
	s_and_saveexec_b64 s[4:5], vcc
	s_cbranch_execz .LBB21_102
; %bb.1:
	s_load_dword s8, s[0:1], 0x38
	s_load_dwordx4 s[12:15], s[0:1], 0x10
	s_load_dwordx4 s[4:7], s[0:1], 0x28
                                        ; implicit-def: $sgpr16_sgpr17
	s_waitcnt lgkmcnt(0)
	s_bitcmp1_b32 s8, 8
	s_cselect_b64 s[18:19], -1, 0
	s_ashr_i32 s3, s2, 31
	s_bfe_u32 s8, s8, 0x10008
	s_cmp_eq_u32 s8, 0
	s_cbranch_scc1 .LBB21_3
; %bb.2:
	s_load_dword s8, s[0:1], 0x20
	s_mul_i32 s9, s4, s3
	s_mul_hi_u32 s10, s4, s2
	s_mul_i32 s5, s5, s2
	s_add_i32 s10, s10, s9
	s_add_i32 s5, s10, s5
	s_mul_i32 s4, s4, s2
	s_waitcnt lgkmcnt(0)
	s_ashr_i32 s9, s8, 31
	s_lshl_b64 s[4:5], s[4:5], 2
	s_add_u32 s10, s14, s4
	s_addc_u32 s11, s15, s5
	s_lshl_b64 s[4:5], s[8:9], 2
	s_add_u32 s16, s10, s4
	s_addc_u32 s17, s11, s5
.LBB21_3:
	s_load_dwordx4 s[8:11], s[0:1], 0x0
	s_load_dword s4, s[0:1], 0x38
	s_mul_i32 s5, s12, s3
	s_mul_hi_u32 s14, s12, s2
	s_add_i32 s5, s14, s5
	s_waitcnt lgkmcnt(0)
	s_ashr_i32 s1, s10, 31
	s_mov_b32 s0, s10
	s_mul_i32 s10, s13, s2
	s_add_i32 s13, s5, s10
	s_mul_i32 s12, s12, s2
	s_lshl_b64 s[12:13], s[12:13], 3
	s_add_u32 s5, s8, s12
	s_addc_u32 s8, s9, s13
	s_lshl_b64 s[0:1], s[0:1], 3
	s_add_u32 s0, s5, s0
	s_addc_u32 s1, s8, s1
	s_add_i32 s5, s11, s11
	v_add_u32_e32 v8, s5, v0
	v_add_u32_e32 v10, s11, v8
	v_add_u32_e32 v12, s11, v10
	v_add_u32_e32 v14, s11, v12
	v_add_u32_e32 v16, s11, v14
	v_add_u32_e32 v18, s11, v16
	v_add_u32_e32 v20, s11, v18
	v_add_u32_e32 v22, s11, v20
	v_add_u32_e32 v24, s11, v22
	v_add_u32_e32 v26, s11, v24
	v_add_u32_e32 v28, s11, v26
	v_add_u32_e32 v30, s11, v28
	v_add_u32_e32 v32, s11, v30
	v_add_u32_e32 v34, s11, v32
	v_add_u32_e32 v36, s11, v34
	v_add_u32_e32 v38, s11, v36
	v_add_u32_e32 v40, s11, v38
	v_lshlrev_b32_e32 v46, 3, v0
	v_mov_b32_e32 v47, 0
	v_add_u32_e32 v42, s11, v40
	v_lshl_add_u64 v[2:3], s[0:1], 0, v[46:47]
	s_ashr_i32 s9, s11, 31
	s_mov_b32 s8, s11
	v_ashrrev_i32_e32 v9, 31, v8
	v_ashrrev_i32_e32 v11, 31, v10
	;; [unrolled: 1-line block ×16, first 2 shown]
	v_add_u32_e32 v44, s11, v42
	v_lshl_add_u64 v[4:5], s[8:9], 3, v[2:3]
	v_lshl_add_u64 v[6:7], v[8:9], 3, s[0:1]
	;; [unrolled: 1-line block ×17, first 2 shown]
	v_ashrrev_i32_e32 v41, 31, v40
	v_ashrrev_i32_e32 v43, 31, v42
	;; [unrolled: 1-line block ×3, first 2 shown]
	global_load_dwordx2 v[48:49], v46, s[0:1]
	global_load_dwordx2 v[50:51], v[4:5], off
	global_load_dwordx2 v[52:53], v[6:7], off
	;; [unrolled: 1-line block ×16, first 2 shown]
	v_lshl_add_u64 v[38:39], v[40:41], 3, s[0:1]
	v_lshl_add_u64 v[40:41], v[42:43], 3, s[0:1]
	;; [unrolled: 1-line block ×3, first 2 shown]
	global_load_dwordx2 v[82:83], v[36:37], off
	global_load_dwordx2 v[84:85], v[38:39], off
	;; [unrolled: 1-line block ×4, first 2 shown]
	v_add_u32_e32 v44, s11, v44
	v_ashrrev_i32_e32 v45, 31, v44
	v_lshl_add_u64 v[44:45], v[44:45], 3, s[0:1]
	global_load_dwordx2 v[90:91], v[44:45], off
	s_bitcmp0_b32 s4, 0
	s_mov_b64 s[4:5], -1
	s_waitcnt vmcnt(20)
	scratch_store_dwordx4 off, v[48:51], off
	s_waitcnt vmcnt(19)
	scratch_store_dwordx4 off, v[52:55], off offset:16
	s_waitcnt vmcnt(18)
	scratch_store_dwordx4 off, v[56:59], off offset:32
	;; [unrolled: 2-line block ×10, first 2 shown]
	s_cbranch_scc1 .LBB21_100
; %bb.4:
	v_cmp_eq_u32_e64 s[0:1], 0, v0
	s_and_saveexec_b64 s[4:5], s[0:1]
; %bb.5:
	v_mov_b32_e32 v1, 0
	ds_write_b32 v1, v1 offset:352
; %bb.6:
	s_or_b64 exec, exec, s[4:5]
	s_waitcnt lgkmcnt(0)
	; wave barrier
	scratch_load_dwordx2 v[48:49], v46, off
	s_waitcnt vmcnt(0)
	v_cmp_eq_f32_e32 vcc, 0, v48
	v_cmp_eq_f32_e64 s[4:5], 0, v49
	s_and_b64 s[4:5], vcc, s[4:5]
	s_and_saveexec_b64 s[8:9], s[4:5]
	s_cbranch_execz .LBB21_10
; %bb.7:
	v_mov_b32_e32 v1, 0
	ds_read_b32 v48, v1 offset:352
	v_add_u32_e32 v47, 1, v0
	s_waitcnt lgkmcnt(0)
	v_readfirstlane_b32 s4, v48
	s_cmp_eq_u32 s4, 0
	s_cselect_b64 s[10:11], -1, 0
	v_cmp_gt_i32_e32 vcc, s4, v47
	s_or_b64 s[10:11], s[10:11], vcc
	s_and_b64 exec, exec, s[10:11]
	s_cbranch_execz .LBB21_10
; %bb.8:
	s_mov_b64 s[10:11], 0
	v_mov_b32_e32 v48, s4
.LBB21_9:                               ; =>This Inner Loop Header: Depth=1
	ds_cmpst_rtn_b32 v48, v1, v48, v47 offset:352
	s_waitcnt lgkmcnt(0)
	v_cmp_ne_u32_e32 vcc, 0, v48
	v_cmp_le_i32_e64 s[4:5], v48, v47
	s_and_b64 s[4:5], vcc, s[4:5]
	s_and_b64 s[4:5], exec, s[4:5]
	s_or_b64 s[10:11], s[4:5], s[10:11]
	s_andn2_b64 exec, exec, s[10:11]
	s_cbranch_execnz .LBB21_9
.LBB21_10:
	s_or_b64 exec, exec, s[8:9]
	v_mov_b32_e32 v47, 0
	; wave barrier
	ds_read_b32 v1, v47 offset:352
	s_and_saveexec_b64 s[4:5], s[0:1]
	s_cbranch_execz .LBB21_12
; %bb.11:
	s_lshl_b64 s[8:9], s[2:3], 2
	s_add_u32 s8, s6, s8
	s_addc_u32 s9, s7, s9
	s_waitcnt lgkmcnt(0)
	global_store_dword v47, v1, s[8:9]
.LBB21_12:
	s_or_b64 exec, exec, s[4:5]
	s_waitcnt lgkmcnt(0)
	v_cmp_ne_u32_e32 vcc, 0, v1
	s_mov_b64 s[4:5], 0
	s_cbranch_vccnz .LBB21_100
; %bb.13:
	v_mov_b32_e32 v47, v46
	scratch_load_dwordx2 v[48:49], v47, off
                                        ; implicit-def: $vgpr51
                                        ; implicit-def: $vgpr52
	s_waitcnt vmcnt(0)
	v_cmp_ngt_f32_e64 s[4:5], |v48|, |v49|
	s_and_saveexec_b64 s[8:9], s[4:5]
	s_xor_b64 s[4:5], exec, s[8:9]
	s_cbranch_execz .LBB21_15
; %bb.14:
	v_div_scale_f32 v1, s[8:9], v49, v49, v48
	v_rcp_f32_e32 v50, v1
	v_div_scale_f32 v51, vcc, v48, v49, v48
	v_fma_f32 v52, -v1, v50, 1.0
	v_fmac_f32_e32 v50, v52, v50
	v_mul_f32_e32 v52, v51, v50
	v_fma_f32 v53, -v1, v52, v51
	v_fmac_f32_e32 v52, v53, v50
	v_fma_f32 v1, -v1, v52, v51
	v_div_fmas_f32 v1, v1, v50, v52
	v_div_fixup_f32 v1, v1, v49, v48
	v_fmac_f32_e32 v49, v48, v1
	v_div_scale_f32 v48, s[8:9], v49, v49, -1.0
	v_rcp_f32_e32 v50, v48
	s_nop 0
	v_fma_f32 v51, -v48, v50, 1.0
	v_fmac_f32_e32 v50, v51, v50
	v_div_scale_f32 v51, vcc, -1.0, v49, -1.0
	v_mul_f32_e32 v52, v51, v50
	v_fma_f32 v53, -v48, v52, v51
	v_fmac_f32_e32 v52, v53, v50
	v_fma_f32 v48, -v48, v52, v51
	v_div_fmas_f32 v48, v48, v50, v52
	v_div_fixup_f32 v51, v48, v49, -1.0
	v_mul_f32_e32 v52, v1, v51
	v_xor_b32_e32 v50, 0x80000000, v52
                                        ; implicit-def: $vgpr48_vgpr49
.LBB21_15:
	s_andn2_saveexec_b64 s[4:5], s[4:5]
	s_cbranch_execz .LBB21_17
; %bb.16:
	v_div_scale_f32 v1, s[8:9], v48, v48, v49
	v_rcp_f32_e32 v50, v1
	v_div_scale_f32 v51, vcc, v49, v48, v49
	v_fma_f32 v52, -v1, v50, 1.0
	v_fmac_f32_e32 v50, v52, v50
	v_mul_f32_e32 v52, v51, v50
	v_fma_f32 v53, -v1, v52, v51
	v_fmac_f32_e32 v52, v53, v50
	v_fma_f32 v1, -v1, v52, v51
	v_div_fmas_f32 v1, v1, v50, v52
	v_div_fixup_f32 v1, v1, v48, v49
	v_fmac_f32_e32 v48, v49, v1
	v_div_scale_f32 v49, s[8:9], v48, v48, 1.0
	v_rcp_f32_e32 v50, v49
	s_nop 0
	v_fma_f32 v51, -v49, v50, 1.0
	v_fmac_f32_e32 v50, v51, v50
	v_div_scale_f32 v51, vcc, 1.0, v48, 1.0
	v_mul_f32_e32 v52, v51, v50
	v_fma_f32 v53, -v49, v52, v51
	v_fmac_f32_e32 v52, v53, v50
	v_fma_f32 v49, -v49, v52, v51
	v_div_fmas_f32 v49, v49, v50, v52
	v_div_fixup_f32 v50, v49, v48, 1.0
	v_xor_b32_e32 v52, 0x80000000, v50
	v_mul_f32_e64 v51, v1, -v50
.LBB21_17:
	s_or_b64 exec, exec, s[4:5]
	scratch_store_dwordx2 v47, v[50:51], off
	scratch_load_dwordx2 v[48:49], off, off offset:8
	v_xor_b32_e32 v53, 0x80000000, v51
	v_add_u32_e32 v1, 0xb0, v46
	s_waitcnt vmcnt(0)
	ds_write2_b64 v46, v[52:53], v[48:49] offset1:22
	s_waitcnt lgkmcnt(0)
	; wave barrier
	s_and_saveexec_b64 s[4:5], s[0:1]
	s_cbranch_execz .LBB21_19
; %bb.18:
	scratch_load_dwordx2 v[48:49], v47, off
	ds_read_b64 v[50:51], v1
	v_mov_b32_e32 v52, 0
	ds_read_b64 v[52:53], v52 offset:8
	s_waitcnt vmcnt(0) lgkmcnt(1)
	v_pk_mul_f32 v[54:55], v[50:51], v[48:49] op_sel:[1,1] op_sel_hi:[0,1]
	v_pk_fma_f32 v[56:57], v[50:51], v[48:49], v[54:55] neg_lo:[0,0,1] neg_hi:[0,0,1]
	v_pk_fma_f32 v[48:49], v[50:51], v[48:49], v[54:55] op_sel_hi:[1,0,1]
	s_nop 0
	v_mov_b32_e32 v57, v49
	v_pk_add_f32 v[48:49], v[56:57], 0 op_sel_hi:[1,0]
	s_waitcnt lgkmcnt(0)
	v_pk_mul_f32 v[50:51], v[48:49], v[52:53] op_sel:[1,1] op_sel_hi:[0,1]
	v_pk_fma_f32 v[54:55], v[48:49], v[52:53], v[50:51] neg_lo:[0,0,1] neg_hi:[0,0,1]
	v_pk_fma_f32 v[48:49], v[48:49], v[52:53], v[50:51] op_sel_hi:[1,0,1]
	s_nop 0
	v_mov_b32_e32 v55, v49
	scratch_store_dwordx2 off, v[54:55], off offset:8
.LBB21_19:
	s_or_b64 exec, exec, s[4:5]
	; wave barrier
	scratch_load_dwordx2 v[48:49], off, off offset:16
	v_cmp_gt_u32_e32 vcc, 2, v0
	s_waitcnt vmcnt(0)
	ds_write_b64 v1, v[48:49]
	s_waitcnt lgkmcnt(0)
	; wave barrier
	s_and_saveexec_b64 s[4:5], vcc
	s_cbranch_execz .LBB21_23
; %bb.20:
	scratch_load_dwordx2 v[48:49], v47, off
	ds_read_b64 v[50:51], v1
	s_waitcnt vmcnt(0) lgkmcnt(0)
	v_pk_mul_f32 v[52:53], v[50:51], v[48:49] op_sel:[1,1] op_sel_hi:[0,1]
	v_pk_fma_f32 v[54:55], v[50:51], v[48:49], v[52:53] neg_lo:[0,0,1] neg_hi:[0,0,1]
	v_pk_fma_f32 v[48:49], v[50:51], v[48:49], v[52:53] op_sel_hi:[1,0,1]
	s_nop 0
	v_mov_b32_e32 v55, v49
	v_pk_add_f32 v[48:49], v[54:55], 0 op_sel_hi:[1,0]
	s_and_saveexec_b64 s[8:9], s[0:1]
	s_cbranch_execz .LBB21_22
; %bb.21:
	scratch_load_dwordx2 v[50:51], off, off offset:8
	v_mov_b32_e32 v47, 0
	ds_read_b64 v[52:53], v47 offset:184
	s_waitcnt vmcnt(0) lgkmcnt(0)
	v_pk_mul_f32 v[54:55], v[52:53], v[50:51] op_sel:[1,1] op_sel_hi:[0,1]
	v_pk_fma_f32 v[56:57], v[52:53], v[50:51], v[54:55] neg_lo:[0,0,1] neg_hi:[0,0,1]
	v_pk_fma_f32 v[50:51], v[52:53], v[50:51], v[54:55] op_sel_hi:[1,0,1]
	s_nop 0
	v_mov_b32_e32 v57, v51
	v_pk_add_f32 v[48:49], v[48:49], v[56:57]
.LBB21_22:
	s_or_b64 exec, exec, s[8:9]
	v_mov_b32_e32 v47, 0
	ds_read_b64 v[50:51], v47 offset:16
	s_waitcnt lgkmcnt(0)
	v_pk_mul_f32 v[52:53], v[48:49], v[50:51] op_sel:[1,1] op_sel_hi:[0,1]
	v_pk_fma_f32 v[54:55], v[48:49], v[50:51], v[52:53] neg_lo:[0,0,1] neg_hi:[0,0,1]
	v_pk_fma_f32 v[48:49], v[48:49], v[50:51], v[52:53] op_sel_hi:[1,0,1]
	s_nop 0
	v_mov_b32_e32 v55, v49
	scratch_store_dwordx2 off, v[54:55], off offset:16
.LBB21_23:
	s_or_b64 exec, exec, s[4:5]
	; wave barrier
	scratch_load_dwordx2 v[48:49], off, off offset:24
	v_cmp_gt_u32_e32 vcc, 3, v0
	v_add_u32_e32 v50, -1, v0
	s_waitcnt vmcnt(0)
	ds_write_b64 v1, v[48:49]
	s_waitcnt lgkmcnt(0)
	; wave barrier
	s_and_saveexec_b64 s[0:1], vcc
	s_cbranch_execz .LBB21_27
; %bb.24:
	v_mov_b32_e32 v48, 0
	v_add_u32_e32 v47, -1, v0
	v_add_u32_e32 v51, 0xb0, v46
	v_mov_b32_e32 v52, v46
	s_mov_b64 s[4:5], 0
	v_mov_b32_e32 v49, v48
.LBB21_25:                              ; =>This Inner Loop Header: Depth=1
	scratch_load_dwordx2 v[54:55], v52, off
	ds_read_b64 v[56:57], v51
	v_add_u32_e32 v47, 1, v47
	v_cmp_lt_u32_e32 vcc, 1, v47
	v_add_u32_e32 v51, 8, v51
	v_add_u32_e32 v52, 8, v52
	s_or_b64 s[4:5], vcc, s[4:5]
	s_waitcnt vmcnt(0) lgkmcnt(0)
	v_pk_mul_f32 v[58:59], v[56:57], v[54:55] op_sel:[1,1] op_sel_hi:[0,1]
	v_pk_fma_f32 v[60:61], v[56:57], v[54:55], v[58:59] neg_lo:[0,0,1] neg_hi:[0,0,1]
	v_pk_fma_f32 v[54:55], v[56:57], v[54:55], v[58:59] op_sel_hi:[1,0,1]
	s_nop 0
	v_mov_b32_e32 v61, v55
	v_pk_add_f32 v[48:49], v[48:49], v[60:61]
	s_andn2_b64 exec, exec, s[4:5]
	s_cbranch_execnz .LBB21_25
; %bb.26:
	s_or_b64 exec, exec, s[4:5]
	v_mov_b32_e32 v47, 0
	ds_read_b64 v[52:53], v47 offset:24
	s_waitcnt lgkmcnt(0)
	v_pk_mul_f32 v[54:55], v[48:49], v[52:53] op_sel:[1,1] op_sel_hi:[0,1]
	v_pk_fma_f32 v[56:57], v[48:49], v[52:53], v[54:55] neg_lo:[0,0,1] neg_hi:[0,0,1]
	v_pk_fma_f32 v[48:49], v[48:49], v[52:53], v[54:55] op_sel_hi:[1,0,1]
	s_nop 0
	v_mov_b32_e32 v57, v49
	scratch_store_dwordx2 off, v[56:57], off offset:24
.LBB21_27:
	s_or_b64 exec, exec, s[0:1]
	; wave barrier
	scratch_load_dwordx2 v[48:49], off, off offset:32
	v_cmp_gt_u32_e32 vcc, 4, v0
	s_waitcnt vmcnt(0)
	ds_write_b64 v1, v[48:49]
	s_waitcnt lgkmcnt(0)
	; wave barrier
	s_and_saveexec_b64 s[0:1], vcc
	s_cbranch_execz .LBB21_31
; %bb.28:
	v_mov_b32_e32 v48, 0
	v_add_u32_e32 v47, -1, v0
	v_add_u32_e32 v51, 0xb0, v46
	v_mov_b32_e32 v52, v46
	s_mov_b64 s[4:5], 0
	v_mov_b32_e32 v49, v48
.LBB21_29:                              ; =>This Inner Loop Header: Depth=1
	scratch_load_dwordx2 v[54:55], v52, off
	ds_read_b64 v[56:57], v51
	v_add_u32_e32 v47, 1, v47
	v_cmp_lt_u32_e32 vcc, 2, v47
	v_add_u32_e32 v51, 8, v51
	v_add_u32_e32 v52, 8, v52
	s_or_b64 s[4:5], vcc, s[4:5]
	s_waitcnt vmcnt(0) lgkmcnt(0)
	v_pk_mul_f32 v[58:59], v[56:57], v[54:55] op_sel:[1,1] op_sel_hi:[0,1]
	v_pk_fma_f32 v[60:61], v[56:57], v[54:55], v[58:59] neg_lo:[0,0,1] neg_hi:[0,0,1]
	v_pk_fma_f32 v[54:55], v[56:57], v[54:55], v[58:59] op_sel_hi:[1,0,1]
	s_nop 0
	v_mov_b32_e32 v61, v55
	v_pk_add_f32 v[48:49], v[48:49], v[60:61]
	s_andn2_b64 exec, exec, s[4:5]
	s_cbranch_execnz .LBB21_29
; %bb.30:
	s_or_b64 exec, exec, s[4:5]
	v_mov_b32_e32 v47, 0
	ds_read_b64 v[52:53], v47 offset:32
	s_waitcnt lgkmcnt(0)
	v_pk_mul_f32 v[54:55], v[48:49], v[52:53] op_sel:[1,1] op_sel_hi:[0,1]
	v_pk_fma_f32 v[56:57], v[48:49], v[52:53], v[54:55] neg_lo:[0,0,1] neg_hi:[0,0,1]
	v_pk_fma_f32 v[48:49], v[48:49], v[52:53], v[54:55] op_sel_hi:[1,0,1]
	s_nop 0
	v_mov_b32_e32 v57, v49
	scratch_store_dwordx2 off, v[56:57], off offset:32
.LBB21_31:
	s_or_b64 exec, exec, s[0:1]
	; wave barrier
	scratch_load_dwordx2 v[48:49], off, off offset:40
	v_cmp_gt_u32_e32 vcc, 5, v0
	;; [unrolled: 46-line block ×17, first 2 shown]
	s_waitcnt vmcnt(0)
	ds_write_b64 v1, v[48:49]
	s_waitcnt lgkmcnt(0)
	; wave barrier
	s_and_saveexec_b64 s[0:1], vcc
	s_cbranch_execz .LBB21_95
; %bb.92:
	v_mov_b32_e32 v48, 0
	v_add_u32_e32 v47, -1, v0
	v_add_u32_e32 v51, 0xb0, v46
	v_mov_b32_e32 v52, v46
	s_mov_b64 s[4:5], 0
	v_mov_b32_e32 v49, v48
.LBB21_93:                              ; =>This Inner Loop Header: Depth=1
	scratch_load_dwordx2 v[54:55], v52, off
	ds_read_b64 v[56:57], v51
	v_add_u32_e32 v47, 1, v47
	v_cmp_lt_u32_e32 vcc, 18, v47
	v_add_u32_e32 v51, 8, v51
	v_add_u32_e32 v52, 8, v52
	s_or_b64 s[4:5], vcc, s[4:5]
	s_waitcnt vmcnt(0) lgkmcnt(0)
	v_pk_mul_f32 v[58:59], v[56:57], v[54:55] op_sel:[1,1] op_sel_hi:[0,1]
	v_pk_fma_f32 v[60:61], v[56:57], v[54:55], v[58:59] neg_lo:[0,0,1] neg_hi:[0,0,1]
	v_pk_fma_f32 v[54:55], v[56:57], v[54:55], v[58:59] op_sel_hi:[1,0,1]
	s_nop 0
	v_mov_b32_e32 v61, v55
	v_pk_add_f32 v[48:49], v[48:49], v[60:61]
	s_andn2_b64 exec, exec, s[4:5]
	s_cbranch_execnz .LBB21_93
; %bb.94:
	s_or_b64 exec, exec, s[4:5]
	v_mov_b32_e32 v47, 0
	ds_read_b64 v[52:53], v47 offset:160
	s_waitcnt lgkmcnt(0)
	v_pk_mul_f32 v[54:55], v[48:49], v[52:53] op_sel:[1,1] op_sel_hi:[0,1]
	v_pk_fma_f32 v[56:57], v[48:49], v[52:53], v[54:55] neg_lo:[0,0,1] neg_hi:[0,0,1]
	v_pk_fma_f32 v[48:49], v[48:49], v[52:53], v[54:55] op_sel_hi:[1,0,1]
	s_nop 0
	v_mov_b32_e32 v57, v49
	scratch_store_dwordx2 off, v[56:57], off offset:160
.LBB21_95:
	s_or_b64 exec, exec, s[0:1]
	; wave barrier
	scratch_load_dwordx2 v[48:49], off, off offset:168
	v_cmp_ne_u32_e32 vcc, 21, v0
	s_waitcnt vmcnt(0)
	ds_write_b64 v1, v[48:49]
	s_waitcnt lgkmcnt(0)
	; wave barrier
	s_and_saveexec_b64 s[0:1], vcc
	s_cbranch_execz .LBB21_99
; %bb.96:
	v_add_u32_e32 v1, 0xb0, v46
	v_mov_b32_e32 v48, v46
	v_mov_b32_e32 v46, 0
	s_mov_b64 s[4:5], 0
	v_mov_b32_e32 v47, v46
.LBB21_97:                              ; =>This Inner Loop Header: Depth=1
	scratch_load_dwordx2 v[52:53], v48, off
	ds_read_b64 v[54:55], v1
	v_add_u32_e32 v50, 1, v50
	v_cmp_lt_u32_e32 vcc, 19, v50
	v_add_u32_e32 v1, 8, v1
	v_add_u32_e32 v48, 8, v48
	s_or_b64 s[4:5], vcc, s[4:5]
	s_waitcnt vmcnt(0) lgkmcnt(0)
	v_pk_mul_f32 v[56:57], v[54:55], v[52:53] op_sel:[1,1] op_sel_hi:[0,1]
	v_pk_fma_f32 v[58:59], v[54:55], v[52:53], v[56:57] neg_lo:[0,0,1] neg_hi:[0,0,1]
	v_pk_fma_f32 v[52:53], v[54:55], v[52:53], v[56:57] op_sel_hi:[1,0,1]
	s_nop 0
	v_mov_b32_e32 v59, v53
	v_pk_add_f32 v[46:47], v[46:47], v[58:59]
	s_andn2_b64 exec, exec, s[4:5]
	s_cbranch_execnz .LBB21_97
; %bb.98:
	s_or_b64 exec, exec, s[4:5]
	v_mov_b32_e32 v1, 0
	ds_read_b64 v[48:49], v1 offset:168
	s_waitcnt lgkmcnt(0)
	v_pk_mul_f32 v[50:51], v[46:47], v[48:49] op_sel:[1,1] op_sel_hi:[0,1]
	v_pk_fma_f32 v[52:53], v[46:47], v[48:49], v[50:51] neg_lo:[0,0,1] neg_hi:[0,0,1]
	v_pk_fma_f32 v[46:47], v[46:47], v[48:49], v[50:51] op_sel_hi:[1,0,1]
	s_nop 0
	v_mov_b32_e32 v53, v47
	scratch_store_dwordx2 off, v[52:53], off offset:168
.LBB21_99:
	s_or_b64 exec, exec, s[0:1]
	s_mov_b64 s[4:5], -1
	; wave barrier
.LBB21_100:
	s_and_b64 vcc, exec, s[4:5]
	s_cbranch_vccz .LBB21_102
; %bb.101:
	s_lshl_b64 s[0:1], s[2:3], 2
	s_add_u32 s0, s6, s0
	s_addc_u32 s1, s7, s1
	v_mov_b32_e32 v1, 0
	global_load_dword v1, v1, s[0:1]
	s_waitcnt vmcnt(0)
	v_cmp_ne_u32_e32 vcc, 0, v1
	s_cbranch_vccz .LBB21_103
.LBB21_102:
	s_endpgm
.LBB21_103:
	v_mov_b32_e32 v1, 0xb0
	v_lshl_add_u32 v1, v0, 3, v1
	v_cmp_eq_u32_e32 vcc, 21, v0
	s_and_saveexec_b64 s[0:1], vcc
	s_cbranch_execz .LBB21_105
; %bb.104:
	scratch_load_dwordx2 v[46:47], off, off offset:160
	v_mov_b32_e32 v48, 0
	v_mov_b32_e32 v49, v48
	scratch_store_dwordx2 off, v[48:49], off offset:160
	s_waitcnt vmcnt(1)
	ds_write_b64 v1, v[46:47]
.LBB21_105:
	s_or_b64 exec, exec, s[0:1]
	s_waitcnt lgkmcnt(0)
	; wave barrier
	scratch_load_dwordx2 v[48:49], off, off offset:168
	scratch_load_dwordx2 v[50:51], off, off offset:160
	v_mov_b32_e32 v46, 0
	ds_read_b64 v[52:53], v46 offset:344
	v_cmp_lt_u32_e32 vcc, 19, v0
	s_waitcnt vmcnt(1) lgkmcnt(0)
	v_pk_mul_f32 v[54:55], v[52:53], v[48:49] op_sel:[1,1] op_sel_hi:[0,1]
	v_pk_fma_f32 v[56:57], v[52:53], v[48:49], v[54:55] neg_lo:[0,0,1] neg_hi:[0,0,1]
	v_pk_fma_f32 v[48:49], v[52:53], v[48:49], v[54:55] op_sel_hi:[1,0,1]
	s_nop 0
	v_mov_b32_e32 v57, v49
	v_pk_add_f32 v[48:49], v[56:57], 0 op_sel_hi:[1,0]
	s_waitcnt vmcnt(0)
	v_pk_add_f32 v[48:49], v[50:51], v[48:49] neg_lo:[0,1] neg_hi:[0,1]
	scratch_store_dwordx2 off, v[48:49], off offset:160
	s_and_saveexec_b64 s[0:1], vcc
	s_cbranch_execz .LBB21_107
; %bb.106:
	scratch_load_dwordx2 v[48:49], off, off offset:152
	v_mov_b32_e32 v47, v46
	scratch_store_dwordx2 off, v[46:47], off offset:152
	s_waitcnt vmcnt(1)
	ds_write_b64 v1, v[48:49]
.LBB21_107:
	s_or_b64 exec, exec, s[0:1]
	s_waitcnt lgkmcnt(0)
	; wave barrier
	scratch_load_dwordx4 v[48:51], off, off offset:160
	scratch_load_dwordx2 v[56:57], off, off offset:152
	ds_read_b128 v[52:55], v46 offset:336
	v_cmp_lt_u32_e32 vcc, 18, v0
	s_waitcnt vmcnt(1) lgkmcnt(0)
	v_pk_mul_f32 v[46:47], v[52:53], v[48:49] op_sel:[1,1] op_sel_hi:[0,1]
	v_mov_b32_e32 v58, v51
	v_pk_fma_f32 v[60:61], v[52:53], v[48:49], v[46:47] neg_lo:[0,0,1] neg_hi:[0,0,1]
	v_pk_fma_f32 v[46:47], v[52:53], v[48:49], v[46:47] op_sel_hi:[1,0,1]
	v_pk_mul_f32 v[48:49], v[54:55], v[58:59] op_sel:[1,0] op_sel_hi:[0,0]
	v_mov_b32_e32 v61, v47
	v_pk_fma_f32 v[46:47], v[54:55], v[50:51], v[48:49] neg_lo:[0,0,1] neg_hi:[0,0,1]
	v_pk_fma_f32 v[48:49], v[54:55], v[50:51], v[48:49] op_sel_hi:[1,0,1]
	v_pk_add_f32 v[50:51], v[60:61], 0 op_sel_hi:[1,0]
	v_mov_b32_e32 v47, v49
	v_pk_add_f32 v[46:47], v[50:51], v[46:47]
	s_waitcnt vmcnt(0)
	v_pk_add_f32 v[46:47], v[56:57], v[46:47] neg_lo:[0,1] neg_hi:[0,1]
	scratch_store_dwordx2 off, v[46:47], off offset:152
	s_and_saveexec_b64 s[0:1], vcc
	s_cbranch_execz .LBB21_109
; %bb.108:
	scratch_load_dwordx2 v[46:47], off, off offset:144
	v_mov_b32_e32 v48, 0
	v_mov_b32_e32 v49, v48
	scratch_store_dwordx2 off, v[48:49], off offset:144
	s_waitcnt vmcnt(1)
	ds_write_b64 v1, v[46:47]
.LBB21_109:
	s_or_b64 exec, exec, s[0:1]
	s_waitcnt lgkmcnt(0)
	; wave barrier
	scratch_load_dwordx4 v[48:51], off, off offset:152
	scratch_load_dwordx2 v[56:57], off, off offset:168
	scratch_load_dwordx2 v[58:59], off, off offset:144
	v_mov_b32_e32 v46, 0
	ds_read2_b64 v[52:55], v46 offset0:41 offset1:42
	ds_read_b64 v[60:61], v46 offset:344
	v_cmp_lt_u32_e32 vcc, 17, v0
	s_waitcnt vmcnt(2) lgkmcnt(1)
	v_pk_mul_f32 v[62:63], v[52:53], v[48:49] op_sel:[1,1] op_sel_hi:[0,1]
	v_mov_b32_e32 v64, v51
	v_pk_fma_f32 v[68:69], v[52:53], v[48:49], v[62:63] neg_lo:[0,0,1] neg_hi:[0,0,1]
	v_pk_fma_f32 v[48:49], v[52:53], v[48:49], v[62:63] op_sel_hi:[1,0,1]
	v_pk_mul_f32 v[52:53], v[54:55], v[64:65] op_sel:[1,0] op_sel_hi:[0,0]
	s_waitcnt vmcnt(1) lgkmcnt(0)
	v_pk_mul_f32 v[66:67], v[60:61], v[56:57] op_sel:[1,1] op_sel_hi:[0,1]
	v_mov_b32_e32 v69, v49
	v_pk_fma_f32 v[48:49], v[54:55], v[50:51], v[52:53] neg_lo:[0,0,1] neg_hi:[0,0,1]
	v_pk_fma_f32 v[50:51], v[54:55], v[50:51], v[52:53] op_sel_hi:[1,0,1]
	v_pk_fma_f32 v[62:63], v[60:61], v[56:57], v[66:67] neg_lo:[0,0,1] neg_hi:[0,0,1]
	v_pk_fma_f32 v[56:57], v[60:61], v[56:57], v[66:67] op_sel_hi:[1,0,1]
	v_pk_add_f32 v[52:53], v[68:69], 0 op_sel_hi:[1,0]
	v_mov_b32_e32 v49, v51
	v_mov_b32_e32 v63, v57
	v_pk_add_f32 v[48:49], v[52:53], v[48:49]
	s_nop 0
	v_pk_add_f32 v[48:49], v[48:49], v[62:63]
	s_waitcnt vmcnt(0)
	v_pk_add_f32 v[48:49], v[58:59], v[48:49] neg_lo:[0,1] neg_hi:[0,1]
	scratch_store_dwordx2 off, v[48:49], off offset:144
	s_and_saveexec_b64 s[0:1], vcc
	s_cbranch_execz .LBB21_111
; %bb.110:
	scratch_load_dwordx2 v[48:49], off, off offset:136
	v_mov_b32_e32 v47, v46
	scratch_store_dwordx2 off, v[46:47], off offset:136
	s_waitcnt vmcnt(1)
	ds_write_b64 v1, v[48:49]
.LBB21_111:
	s_or_b64 exec, exec, s[0:1]
	s_waitcnt lgkmcnt(0)
	; wave barrier
	scratch_load_dwordx4 v[48:51], off, off offset:144
	scratch_load_dwordx4 v[52:55], off, off offset:160
	scratch_load_dwordx2 v[64:65], off, off offset:136
	ds_read_b128 v[56:59], v46 offset:320
	ds_read_b128 v[60:63], v46 offset:336
	v_cmp_lt_u32_e32 vcc, 16, v0
	s_waitcnt vmcnt(2) lgkmcnt(1)
	v_pk_mul_f32 v[46:47], v[56:57], v[48:49] op_sel:[1,1] op_sel_hi:[0,1]
	v_mov_b32_e32 v66, v51
	s_waitcnt vmcnt(1) lgkmcnt(0)
	v_pk_mul_f32 v[68:69], v[60:61], v[52:53] op_sel:[1,1] op_sel_hi:[0,1]
	v_mov_b32_e32 v70, v55
	v_pk_fma_f32 v[72:73], v[56:57], v[48:49], v[46:47] neg_lo:[0,0,1] neg_hi:[0,0,1]
	v_pk_fma_f32 v[46:47], v[56:57], v[48:49], v[46:47] op_sel_hi:[1,0,1]
	v_pk_mul_f32 v[48:49], v[58:59], v[66:67] op_sel:[1,0] op_sel_hi:[0,0]
	v_pk_fma_f32 v[56:57], v[60:61], v[52:53], v[68:69] neg_lo:[0,0,1] neg_hi:[0,0,1]
	v_pk_fma_f32 v[52:53], v[60:61], v[52:53], v[68:69] op_sel_hi:[1,0,1]
	v_pk_mul_f32 v[60:61], v[62:63], v[70:71] op_sel:[1,0] op_sel_hi:[0,0]
	v_mov_b32_e32 v73, v47
	v_pk_fma_f32 v[46:47], v[58:59], v[50:51], v[48:49] neg_lo:[0,0,1] neg_hi:[0,0,1]
	v_pk_fma_f32 v[48:49], v[58:59], v[50:51], v[48:49] op_sel_hi:[1,0,1]
	v_mov_b32_e32 v57, v53
	v_pk_fma_f32 v[50:51], v[62:63], v[54:55], v[60:61] neg_lo:[0,0,1] neg_hi:[0,0,1]
	v_pk_fma_f32 v[52:53], v[62:63], v[54:55], v[60:61] op_sel_hi:[1,0,1]
	v_pk_add_f32 v[54:55], v[72:73], 0 op_sel_hi:[1,0]
	v_mov_b32_e32 v47, v49
	v_pk_add_f32 v[46:47], v[54:55], v[46:47]
	v_mov_b32_e32 v51, v53
	v_pk_add_f32 v[46:47], v[46:47], v[56:57]
	s_nop 0
	v_pk_add_f32 v[46:47], v[46:47], v[50:51]
	s_waitcnt vmcnt(0)
	v_pk_add_f32 v[46:47], v[64:65], v[46:47] neg_lo:[0,1] neg_hi:[0,1]
	scratch_store_dwordx2 off, v[46:47], off offset:136
	s_and_saveexec_b64 s[0:1], vcc
	s_cbranch_execz .LBB21_113
; %bb.112:
	scratch_load_dwordx2 v[46:47], off, off offset:128
	v_mov_b32_e32 v48, 0
	v_mov_b32_e32 v49, v48
	scratch_store_dwordx2 off, v[48:49], off offset:128
	s_waitcnt vmcnt(1)
	ds_write_b64 v1, v[46:47]
.LBB21_113:
	s_or_b64 exec, exec, s[0:1]
	s_waitcnt lgkmcnt(0)
	; wave barrier
	scratch_load_dwordx4 v[48:51], off, off offset:136
	scratch_load_dwordx4 v[52:55], off, off offset:152
	scratch_load_dwordx2 v[64:65], off, off offset:168
	scratch_load_dwordx2 v[66:67], off, off offset:128
	v_mov_b32_e32 v46, 0
	ds_read2_b64 v[56:59], v46 offset0:39 offset1:40
	ds_read2_b64 v[60:63], v46 offset0:41 offset1:42
	ds_read_b64 v[68:69], v46 offset:344
	v_cmp_lt_u32_e32 vcc, 15, v0
	s_waitcnt vmcnt(3) lgkmcnt(2)
	v_pk_mul_f32 v[70:71], v[56:57], v[48:49] op_sel:[1,1] op_sel_hi:[0,1]
	v_mov_b32_e32 v72, v51
	v_pk_fma_f32 v[80:81], v[56:57], v[48:49], v[70:71] neg_lo:[0,0,1] neg_hi:[0,0,1]
	v_pk_fma_f32 v[48:49], v[56:57], v[48:49], v[70:71] op_sel_hi:[1,0,1]
	v_pk_mul_f32 v[56:57], v[58:59], v[72:73] op_sel:[1,0] op_sel_hi:[0,0]
	s_waitcnt vmcnt(2) lgkmcnt(1)
	v_pk_mul_f32 v[74:75], v[60:61], v[52:53] op_sel:[1,1] op_sel_hi:[0,1]
	v_mov_b32_e32 v76, v55
	v_mov_b32_e32 v81, v49
	v_pk_fma_f32 v[48:49], v[58:59], v[50:51], v[56:57] neg_lo:[0,0,1] neg_hi:[0,0,1]
	v_pk_fma_f32 v[50:51], v[58:59], v[50:51], v[56:57] op_sel_hi:[1,0,1]
	v_pk_fma_f32 v[70:71], v[60:61], v[52:53], v[74:75] neg_lo:[0,0,1] neg_hi:[0,0,1]
	v_pk_fma_f32 v[52:53], v[60:61], v[52:53], v[74:75] op_sel_hi:[1,0,1]
	v_pk_mul_f32 v[60:61], v[62:63], v[76:77] op_sel:[1,0] op_sel_hi:[0,0]
	v_pk_add_f32 v[56:57], v[80:81], 0 op_sel_hi:[1,0]
	v_mov_b32_e32 v49, v51
	s_waitcnt vmcnt(1) lgkmcnt(0)
	v_pk_mul_f32 v[78:79], v[68:69], v[64:65] op_sel:[1,1] op_sel_hi:[0,1]
	v_mov_b32_e32 v71, v53
	v_pk_fma_f32 v[52:53], v[62:63], v[54:55], v[60:61] neg_lo:[0,0,1] neg_hi:[0,0,1]
	v_pk_fma_f32 v[54:55], v[62:63], v[54:55], v[60:61] op_sel_hi:[1,0,1]
	v_pk_add_f32 v[48:49], v[56:57], v[48:49]
	v_pk_fma_f32 v[72:73], v[68:69], v[64:65], v[78:79] neg_lo:[0,0,1] neg_hi:[0,0,1]
	v_pk_fma_f32 v[64:65], v[68:69], v[64:65], v[78:79] op_sel_hi:[1,0,1]
	v_mov_b32_e32 v53, v55
	v_pk_add_f32 v[48:49], v[48:49], v[70:71]
	v_mov_b32_e32 v73, v65
	v_pk_add_f32 v[48:49], v[48:49], v[52:53]
	s_nop 0
	v_pk_add_f32 v[48:49], v[48:49], v[72:73]
	s_waitcnt vmcnt(0)
	v_pk_add_f32 v[48:49], v[66:67], v[48:49] neg_lo:[0,1] neg_hi:[0,1]
	scratch_store_dwordx2 off, v[48:49], off offset:128
	s_and_saveexec_b64 s[0:1], vcc
	s_cbranch_execz .LBB21_115
; %bb.114:
	scratch_load_dwordx2 v[48:49], off, off offset:120
	v_mov_b32_e32 v47, v46
	scratch_store_dwordx2 off, v[46:47], off offset:120
	s_waitcnt vmcnt(1)
	ds_write_b64 v1, v[48:49]
.LBB21_115:
	s_or_b64 exec, exec, s[0:1]
	s_waitcnt lgkmcnt(0)
	; wave barrier
	scratch_load_dwordx4 v[48:51], off, off offset:128
	scratch_load_dwordx4 v[52:55], off, off offset:144
	;; [unrolled: 1-line block ×3, first 2 shown]
	scratch_load_dwordx2 v[72:73], off, off offset:120
	ds_read_b128 v[60:63], v46 offset:304
	ds_read_b128 v[64:67], v46 offset:320
	;; [unrolled: 1-line block ×3, first 2 shown]
	v_cmp_lt_u32_e32 vcc, 14, v0
	s_waitcnt vmcnt(3) lgkmcnt(2)
	v_pk_mul_f32 v[46:47], v[60:61], v[48:49] op_sel:[1,1] op_sel_hi:[0,1]
	v_mov_b32_e32 v74, v51
	s_waitcnt vmcnt(2) lgkmcnt(1)
	v_pk_mul_f32 v[76:77], v[64:65], v[52:53] op_sel:[1,1] op_sel_hi:[0,1]
	v_mov_b32_e32 v78, v55
	;; [unrolled: 3-line block ×3, first 2 shown]
	v_pk_fma_f32 v[84:85], v[60:61], v[48:49], v[46:47] neg_lo:[0,0,1] neg_hi:[0,0,1]
	v_pk_fma_f32 v[46:47], v[60:61], v[48:49], v[46:47] op_sel_hi:[1,0,1]
	v_pk_mul_f32 v[48:49], v[62:63], v[74:75] op_sel:[1,0] op_sel_hi:[0,0]
	v_pk_fma_f32 v[60:61], v[64:65], v[52:53], v[76:77] neg_lo:[0,0,1] neg_hi:[0,0,1]
	v_pk_fma_f32 v[52:53], v[64:65], v[52:53], v[76:77] op_sel_hi:[1,0,1]
	v_pk_mul_f32 v[64:65], v[66:67], v[78:79] op_sel:[1,0] op_sel_hi:[0,0]
	;; [unrolled: 3-line block ×3, first 2 shown]
	v_mov_b32_e32 v85, v47
	v_pk_fma_f32 v[46:47], v[62:63], v[50:51], v[48:49] neg_lo:[0,0,1] neg_hi:[0,0,1]
	v_pk_fma_f32 v[48:49], v[62:63], v[50:51], v[48:49] op_sel_hi:[1,0,1]
	v_mov_b32_e32 v61, v53
	v_pk_fma_f32 v[50:51], v[66:67], v[54:55], v[64:65] neg_lo:[0,0,1] neg_hi:[0,0,1]
	v_pk_fma_f32 v[52:53], v[66:67], v[54:55], v[64:65] op_sel_hi:[1,0,1]
	;; [unrolled: 3-line block ×3, first 2 shown]
	v_pk_add_f32 v[58:59], v[84:85], 0 op_sel_hi:[1,0]
	v_mov_b32_e32 v47, v49
	v_pk_add_f32 v[46:47], v[58:59], v[46:47]
	v_mov_b32_e32 v51, v53
	v_pk_add_f32 v[46:47], v[46:47], v[60:61]
	v_mov_b32_e32 v55, v57
	v_pk_add_f32 v[46:47], v[46:47], v[50:51]
	s_nop 0
	v_pk_add_f32 v[46:47], v[46:47], v[74:75]
	s_nop 0
	v_pk_add_f32 v[46:47], v[46:47], v[54:55]
	s_waitcnt vmcnt(0)
	v_pk_add_f32 v[46:47], v[72:73], v[46:47] neg_lo:[0,1] neg_hi:[0,1]
	scratch_store_dwordx2 off, v[46:47], off offset:120
	s_and_saveexec_b64 s[0:1], vcc
	s_cbranch_execz .LBB21_117
; %bb.116:
	scratch_load_dwordx2 v[46:47], off, off offset:112
	v_mov_b32_e32 v48, 0
	v_mov_b32_e32 v49, v48
	scratch_store_dwordx2 off, v[48:49], off offset:112
	s_waitcnt vmcnt(1)
	ds_write_b64 v1, v[46:47]
.LBB21_117:
	s_or_b64 exec, exec, s[0:1]
	s_waitcnt lgkmcnt(0)
	; wave barrier
	scratch_load_dwordx4 v[48:51], off, off offset:120
	scratch_load_dwordx4 v[52:55], off, off offset:136
	;; [unrolled: 1-line block ×3, first 2 shown]
	scratch_load_dwordx2 v[72:73], off, off offset:168
	scratch_load_dwordx2 v[74:75], off, off offset:112
	v_mov_b32_e32 v46, 0
	ds_read2_b64 v[60:63], v46 offset0:37 offset1:38
	ds_read2_b64 v[64:67], v46 offset0:39 offset1:40
	;; [unrolled: 1-line block ×3, first 2 shown]
	ds_read_b64 v[76:77], v46 offset:344
	v_cmp_lt_u32_e32 vcc, 13, v0
	s_waitcnt vmcnt(4) lgkmcnt(3)
	v_pk_mul_f32 v[78:79], v[60:61], v[48:49] op_sel:[1,1] op_sel_hi:[0,1]
	v_mov_b32_e32 v80, v51
	v_pk_fma_f32 v[92:93], v[60:61], v[48:49], v[78:79] neg_lo:[0,0,1] neg_hi:[0,0,1]
	v_pk_fma_f32 v[48:49], v[60:61], v[48:49], v[78:79] op_sel_hi:[1,0,1]
	v_pk_mul_f32 v[60:61], v[62:63], v[80:81] op_sel:[1,0] op_sel_hi:[0,0]
	s_waitcnt vmcnt(3) lgkmcnt(2)
	v_pk_mul_f32 v[82:83], v[64:65], v[52:53] op_sel:[1,1] op_sel_hi:[0,1]
	v_mov_b32_e32 v84, v55
	v_mov_b32_e32 v93, v49
	v_pk_fma_f32 v[48:49], v[62:63], v[50:51], v[60:61] neg_lo:[0,0,1] neg_hi:[0,0,1]
	v_pk_fma_f32 v[50:51], v[62:63], v[50:51], v[60:61] op_sel_hi:[1,0,1]
	v_pk_fma_f32 v[78:79], v[64:65], v[52:53], v[82:83] neg_lo:[0,0,1] neg_hi:[0,0,1]
	v_pk_fma_f32 v[52:53], v[64:65], v[52:53], v[82:83] op_sel_hi:[1,0,1]
	v_pk_mul_f32 v[64:65], v[66:67], v[84:85] op_sel:[1,0] op_sel_hi:[0,0]
	v_pk_add_f32 v[60:61], v[92:93], 0 op_sel_hi:[1,0]
	v_mov_b32_e32 v49, v51
	s_waitcnt vmcnt(2) lgkmcnt(1)
	v_pk_mul_f32 v[86:87], v[68:69], v[56:57] op_sel:[1,1] op_sel_hi:[0,1]
	v_mov_b32_e32 v88, v59
	v_mov_b32_e32 v79, v53
	v_pk_fma_f32 v[52:53], v[66:67], v[54:55], v[64:65] neg_lo:[0,0,1] neg_hi:[0,0,1]
	v_pk_fma_f32 v[54:55], v[66:67], v[54:55], v[64:65] op_sel_hi:[1,0,1]
	v_pk_add_f32 v[48:49], v[60:61], v[48:49]
	v_pk_fma_f32 v[80:81], v[68:69], v[56:57], v[86:87] neg_lo:[0,0,1] neg_hi:[0,0,1]
	v_pk_fma_f32 v[56:57], v[68:69], v[56:57], v[86:87] op_sel_hi:[1,0,1]
	v_pk_mul_f32 v[68:69], v[70:71], v[88:89] op_sel:[1,0] op_sel_hi:[0,0]
	v_mov_b32_e32 v53, v55
	v_pk_add_f32 v[48:49], v[48:49], v[78:79]
	s_waitcnt vmcnt(1) lgkmcnt(0)
	v_pk_mul_f32 v[90:91], v[76:77], v[72:73] op_sel:[1,1] op_sel_hi:[0,1]
	v_mov_b32_e32 v81, v57
	v_pk_fma_f32 v[56:57], v[70:71], v[58:59], v[68:69] neg_lo:[0,0,1] neg_hi:[0,0,1]
	v_pk_fma_f32 v[58:59], v[70:71], v[58:59], v[68:69] op_sel_hi:[1,0,1]
	v_pk_add_f32 v[48:49], v[48:49], v[52:53]
	v_pk_fma_f32 v[82:83], v[76:77], v[72:73], v[90:91] neg_lo:[0,0,1] neg_hi:[0,0,1]
	v_pk_fma_f32 v[72:73], v[76:77], v[72:73], v[90:91] op_sel_hi:[1,0,1]
	v_mov_b32_e32 v57, v59
	v_pk_add_f32 v[48:49], v[48:49], v[80:81]
	v_mov_b32_e32 v83, v73
	v_pk_add_f32 v[48:49], v[48:49], v[56:57]
	s_nop 0
	v_pk_add_f32 v[48:49], v[48:49], v[82:83]
	s_waitcnt vmcnt(0)
	v_pk_add_f32 v[48:49], v[74:75], v[48:49] neg_lo:[0,1] neg_hi:[0,1]
	scratch_store_dwordx2 off, v[48:49], off offset:112
	s_and_saveexec_b64 s[0:1], vcc
	s_cbranch_execz .LBB21_119
; %bb.118:
	scratch_load_dwordx2 v[48:49], off, off offset:104
	v_mov_b32_e32 v47, v46
	scratch_store_dwordx2 off, v[46:47], off offset:104
	s_waitcnt vmcnt(1)
	ds_write_b64 v1, v[48:49]
.LBB21_119:
	s_or_b64 exec, exec, s[0:1]
	s_waitcnt lgkmcnt(0)
	; wave barrier
	scratch_load_dwordx4 v[48:51], off, off offset:112
	scratch_load_dwordx4 v[52:55], off, off offset:128
	;; [unrolled: 1-line block ×4, first 2 shown]
	scratch_load_dwordx2 v[80:81], off, off offset:104
	ds_read_b128 v[64:67], v46 offset:288
	ds_read_b128 v[68:71], v46 offset:304
	;; [unrolled: 1-line block ×4, first 2 shown]
	v_cmp_lt_u32_e32 vcc, 12, v0
	s_waitcnt vmcnt(4) lgkmcnt(3)
	v_pk_mul_f32 v[46:47], v[64:65], v[48:49] op_sel:[1,1] op_sel_hi:[0,1]
	v_mov_b32_e32 v82, v51
	s_waitcnt vmcnt(3) lgkmcnt(2)
	v_pk_mul_f32 v[84:85], v[68:69], v[52:53] op_sel:[1,1] op_sel_hi:[0,1]
	v_mov_b32_e32 v86, v55
	;; [unrolled: 3-line block ×4, first 2 shown]
	v_pk_fma_f32 v[96:97], v[64:65], v[48:49], v[46:47] neg_lo:[0,0,1] neg_hi:[0,0,1]
	v_pk_fma_f32 v[46:47], v[64:65], v[48:49], v[46:47] op_sel_hi:[1,0,1]
	v_pk_mul_f32 v[48:49], v[66:67], v[82:83] op_sel:[1,0] op_sel_hi:[0,0]
	v_pk_fma_f32 v[64:65], v[68:69], v[52:53], v[84:85] neg_lo:[0,0,1] neg_hi:[0,0,1]
	v_pk_fma_f32 v[52:53], v[68:69], v[52:53], v[84:85] op_sel_hi:[1,0,1]
	v_pk_mul_f32 v[68:69], v[70:71], v[86:87] op_sel:[1,0] op_sel_hi:[0,0]
	;; [unrolled: 3-line block ×4, first 2 shown]
	v_mov_b32_e32 v97, v47
	v_pk_fma_f32 v[46:47], v[66:67], v[50:51], v[48:49] neg_lo:[0,0,1] neg_hi:[0,0,1]
	v_pk_fma_f32 v[48:49], v[66:67], v[50:51], v[48:49] op_sel_hi:[1,0,1]
	v_mov_b32_e32 v65, v53
	v_pk_fma_f32 v[50:51], v[70:71], v[54:55], v[68:69] neg_lo:[0,0,1] neg_hi:[0,0,1]
	v_pk_fma_f32 v[52:53], v[70:71], v[54:55], v[68:69] op_sel_hi:[1,0,1]
	;; [unrolled: 3-line block ×4, first 2 shown]
	v_pk_add_f32 v[62:63], v[96:97], 0 op_sel_hi:[1,0]
	v_mov_b32_e32 v47, v49
	v_pk_add_f32 v[46:47], v[62:63], v[46:47]
	v_mov_b32_e32 v51, v53
	v_pk_add_f32 v[46:47], v[46:47], v[64:65]
	;; [unrolled: 2-line block ×4, first 2 shown]
	s_nop 0
	v_pk_add_f32 v[46:47], v[46:47], v[54:55]
	s_nop 0
	v_pk_add_f32 v[46:47], v[46:47], v[84:85]
	;; [unrolled: 2-line block ×3, first 2 shown]
	s_waitcnt vmcnt(0)
	v_pk_add_f32 v[46:47], v[80:81], v[46:47] neg_lo:[0,1] neg_hi:[0,1]
	scratch_store_dwordx2 off, v[46:47], off offset:104
	s_and_saveexec_b64 s[0:1], vcc
	s_cbranch_execz .LBB21_121
; %bb.120:
	scratch_load_dwordx2 v[46:47], off, off offset:96
	v_mov_b32_e32 v48, 0
	v_mov_b32_e32 v49, v48
	scratch_store_dwordx2 off, v[48:49], off offset:96
	s_waitcnt vmcnt(1)
	ds_write_b64 v1, v[46:47]
.LBB21_121:
	s_or_b64 exec, exec, s[0:1]
	s_waitcnt lgkmcnt(0)
	; wave barrier
	scratch_load_dwordx4 v[48:51], off, off offset:104
	scratch_load_dwordx4 v[52:55], off, off offset:120
	;; [unrolled: 1-line block ×4, first 2 shown]
	scratch_load_dwordx2 v[80:81], off, off offset:168
	scratch_load_dwordx2 v[82:83], off, off offset:96
	v_mov_b32_e32 v46, 0
	ds_read2_b64 v[64:67], v46 offset0:35 offset1:36
	ds_read2_b64 v[68:71], v46 offset0:37 offset1:38
	;; [unrolled: 1-line block ×4, first 2 shown]
	ds_read_b64 v[84:85], v46 offset:344
	v_cmp_lt_u32_e32 vcc, 11, v0
	s_waitcnt vmcnt(5) lgkmcnt(4)
	v_mul_f32_e32 v87, v64, v49
	v_mul_f32_e32 v47, v65, v49
	v_mov_b32_e32 v88, v51
	s_waitcnt vmcnt(4) lgkmcnt(3)
	v_pk_mul_f32 v[90:91], v[68:69], v[52:53] op_sel:[1,1] op_sel_hi:[0,1]
	v_mov_b32_e32 v92, v55
	s_waitcnt vmcnt(1) lgkmcnt(0)
	v_pk_mul_f32 v[102:103], v[84:85], v[80:81] op_sel:[1,1] op_sel_hi:[0,1]
	v_fmac_f32_e32 v87, v65, v48
	v_fma_f32 v86, v64, v48, -v47
	v_pk_mul_f32 v[48:49], v[66:67], v[88:89] op_sel:[1,0] op_sel_hi:[0,0]
	v_pk_fma_f32 v[64:65], v[68:69], v[52:53], v[90:91] neg_lo:[0,0,1] neg_hi:[0,0,1]
	v_pk_fma_f32 v[52:53], v[68:69], v[52:53], v[90:91] op_sel_hi:[1,0,1]
	v_pk_mul_f32 v[68:69], v[70:71], v[92:93] op_sel:[1,0] op_sel_hi:[0,0]
	v_pk_fma_f32 v[92:93], v[84:85], v[80:81], v[102:103] neg_lo:[0,0,1] neg_hi:[0,0,1]
	v_pk_fma_f32 v[80:81], v[84:85], v[80:81], v[102:103] op_sel_hi:[1,0,1]
	v_pk_add_f32 v[84:85], v[86:87], 0 op_sel_hi:[1,0]
	v_pk_fma_f32 v[86:87], v[66:67], v[50:51], v[48:49] neg_lo:[0,0,1] neg_hi:[0,0,1]
	v_pk_fma_f32 v[48:49], v[66:67], v[50:51], v[48:49] op_sel_hi:[1,0,1]
	v_pk_mul_f32 v[94:95], v[72:73], v[56:57] op_sel:[1,1] op_sel_hi:[0,1]
	v_mov_b32_e32 v87, v49
	v_mov_b32_e32 v96, v59
	;; [unrolled: 1-line block ×3, first 2 shown]
	v_pk_fma_f32 v[50:51], v[70:71], v[54:55], v[68:69] neg_lo:[0,0,1] neg_hi:[0,0,1]
	v_pk_fma_f32 v[52:53], v[70:71], v[54:55], v[68:69] op_sel_hi:[1,0,1]
	v_pk_add_f32 v[48:49], v[84:85], v[86:87]
	v_pk_fma_f32 v[88:89], v[72:73], v[56:57], v[94:95] neg_lo:[0,0,1] neg_hi:[0,0,1]
	v_pk_fma_f32 v[56:57], v[72:73], v[56:57], v[94:95] op_sel_hi:[1,0,1]
	v_pk_mul_f32 v[72:73], v[74:75], v[96:97] op_sel:[1,0] op_sel_hi:[0,0]
	v_mov_b32_e32 v51, v53
	v_pk_add_f32 v[48:49], v[48:49], v[64:65]
	v_pk_mul_f32 v[98:99], v[76:77], v[60:61] op_sel:[1,1] op_sel_hi:[0,1]
	v_mov_b32_e32 v100, v63
	v_mov_b32_e32 v89, v57
	v_pk_fma_f32 v[54:55], v[74:75], v[58:59], v[72:73] neg_lo:[0,0,1] neg_hi:[0,0,1]
	v_pk_fma_f32 v[56:57], v[74:75], v[58:59], v[72:73] op_sel_hi:[1,0,1]
	v_pk_add_f32 v[48:49], v[48:49], v[50:51]
	v_pk_fma_f32 v[90:91], v[76:77], v[60:61], v[98:99] neg_lo:[0,0,1] neg_hi:[0,0,1]
	v_pk_fma_f32 v[60:61], v[76:77], v[60:61], v[98:99] op_sel_hi:[1,0,1]
	v_pk_mul_f32 v[76:77], v[78:79], v[100:101] op_sel:[1,0] op_sel_hi:[0,0]
	v_mov_b32_e32 v55, v57
	v_pk_add_f32 v[48:49], v[48:49], v[88:89]
	v_mov_b32_e32 v91, v61
	v_pk_fma_f32 v[58:59], v[78:79], v[62:63], v[76:77] neg_lo:[0,0,1] neg_hi:[0,0,1]
	v_pk_fma_f32 v[60:61], v[78:79], v[62:63], v[76:77] op_sel_hi:[1,0,1]
	v_pk_add_f32 v[48:49], v[48:49], v[54:55]
	v_mov_b32_e32 v59, v61
	v_pk_add_f32 v[48:49], v[48:49], v[90:91]
	v_mov_b32_e32 v93, v81
	v_pk_add_f32 v[48:49], v[48:49], v[58:59]
	s_nop 0
	v_pk_add_f32 v[48:49], v[48:49], v[92:93]
	s_waitcnt vmcnt(0)
	v_pk_add_f32 v[48:49], v[82:83], v[48:49] neg_lo:[0,1] neg_hi:[0,1]
	scratch_store_dwordx2 off, v[48:49], off offset:96
	s_and_saveexec_b64 s[0:1], vcc
	s_cbranch_execz .LBB21_123
; %bb.122:
	scratch_load_dwordx2 v[48:49], off, off offset:88
	v_mov_b32_e32 v47, v46
	scratch_store_dwordx2 off, v[46:47], off offset:88
	s_waitcnt vmcnt(1)
	ds_write_b64 v1, v[48:49]
.LBB21_123:
	s_or_b64 exec, exec, s[0:1]
	s_waitcnt lgkmcnt(0)
	; wave barrier
	scratch_load_dwordx4 v[48:51], off, off offset:96
	scratch_load_dwordx4 v[52:55], off, off offset:112
	;; [unrolled: 1-line block ×5, first 2 shown]
	scratch_load_dwordx2 v[88:89], off, off offset:88
	ds_read_b128 v[68:71], v46 offset:272
	ds_read_b128 v[72:75], v46 offset:288
	;; [unrolled: 1-line block ×5, first 2 shown]
	v_cmp_lt_u32_e32 vcc, 10, v0
	s_waitcnt vmcnt(5) lgkmcnt(4)
	v_mul_f32_e32 v47, v68, v49
	v_mul_f32_e32 v46, v69, v49
	;; [unrolled: 1-line block ×4, first 2 shown]
	s_waitcnt vmcnt(4) lgkmcnt(3)
	v_pk_mul_f32 v[92:93], v[72:73], v[52:53] op_sel:[1,1] op_sel_hi:[0,1]
	v_mov_b32_e32 v94, v55
	v_fmac_f32_e32 v47, v69, v48
	v_fma_f32 v46, v68, v48, -v46
	v_fmac_f32_e32 v91, v71, v50
	v_fma_f32 v90, v70, v50, -v49
	v_pk_fma_f32 v[48:49], v[72:73], v[52:53], v[92:93] neg_lo:[0,0,1] neg_hi:[0,0,1]
	v_pk_fma_f32 v[50:51], v[72:73], v[52:53], v[92:93] op_sel_hi:[1,0,1]
	v_pk_mul_f32 v[52:53], v[74:75], v[94:95] op_sel:[1,0] op_sel_hi:[0,0]
	v_pk_add_f32 v[46:47], v[46:47], 0 op_sel_hi:[1,0]
	s_waitcnt vmcnt(3) lgkmcnt(2)
	v_pk_mul_f32 v[96:97], v[76:77], v[56:57] op_sel:[1,1] op_sel_hi:[0,1]
	v_mov_b32_e32 v98, v59
	v_mov_b32_e32 v49, v51
	v_pk_fma_f32 v[50:51], v[74:75], v[54:55], v[52:53] neg_lo:[0,0,1] neg_hi:[0,0,1]
	v_pk_fma_f32 v[52:53], v[74:75], v[54:55], v[52:53] op_sel_hi:[1,0,1]
	v_pk_add_f32 v[46:47], v[46:47], v[90:91]
	v_pk_fma_f32 v[68:69], v[76:77], v[56:57], v[96:97] neg_lo:[0,0,1] neg_hi:[0,0,1]
	v_pk_fma_f32 v[56:57], v[76:77], v[56:57], v[96:97] op_sel_hi:[1,0,1]
	v_pk_mul_f32 v[70:71], v[78:79], v[98:99] op_sel:[1,0] op_sel_hi:[0,0]
	v_mov_b32_e32 v51, v53
	v_pk_add_f32 v[46:47], v[46:47], v[48:49]
	s_waitcnt vmcnt(2) lgkmcnt(1)
	v_pk_mul_f32 v[100:101], v[80:81], v[60:61] op_sel:[1,1] op_sel_hi:[0,1]
	v_mov_b32_e32 v102, v63
	v_mov_b32_e32 v69, v57
	v_pk_fma_f32 v[54:55], v[78:79], v[58:59], v[70:71] neg_lo:[0,0,1] neg_hi:[0,0,1]
	v_pk_fma_f32 v[56:57], v[78:79], v[58:59], v[70:71] op_sel_hi:[1,0,1]
	v_pk_add_f32 v[46:47], v[46:47], v[50:51]
	v_pk_fma_f32 v[72:73], v[80:81], v[60:61], v[100:101] neg_lo:[0,0,1] neg_hi:[0,0,1]
	v_pk_fma_f32 v[60:61], v[80:81], v[60:61], v[100:101] op_sel_hi:[1,0,1]
	v_pk_mul_f32 v[76:77], v[82:83], v[102:103] op_sel:[1,0] op_sel_hi:[0,0]
	v_mov_b32_e32 v55, v57
	v_pk_add_f32 v[46:47], v[46:47], v[68:69]
	;; [unrolled: 12-line block ×3, first 2 shown]
	v_mov_b32_e32 v81, v65
	v_pk_fma_f32 v[62:63], v[86:87], v[66:67], v[84:85] neg_lo:[0,0,1] neg_hi:[0,0,1]
	v_pk_fma_f32 v[64:65], v[86:87], v[66:67], v[84:85] op_sel_hi:[1,0,1]
	v_pk_add_f32 v[46:47], v[46:47], v[58:59]
	v_mov_b32_e32 v63, v65
	v_pk_add_f32 v[46:47], v[46:47], v[80:81]
	s_nop 0
	v_pk_add_f32 v[46:47], v[46:47], v[62:63]
	s_waitcnt vmcnt(0)
	v_pk_add_f32 v[46:47], v[88:89], v[46:47] neg_lo:[0,1] neg_hi:[0,1]
	scratch_store_dwordx2 off, v[46:47], off offset:88
	s_and_saveexec_b64 s[0:1], vcc
	s_cbranch_execz .LBB21_125
; %bb.124:
	scratch_load_dwordx2 v[46:47], off, off offset:80
	v_mov_b32_e32 v48, 0
	v_mov_b32_e32 v49, v48
	scratch_store_dwordx2 off, v[48:49], off offset:80
	s_waitcnt vmcnt(1)
	ds_write_b64 v1, v[46:47]
.LBB21_125:
	s_or_b64 exec, exec, s[0:1]
	s_waitcnt lgkmcnt(0)
	; wave barrier
	scratch_load_dwordx4 v[48:51], off, off offset:88
	scratch_load_dwordx4 v[52:55], off, off offset:104
	scratch_load_dwordx4 v[56:59], off, off offset:120
	scratch_load_dwordx4 v[60:63], off, off offset:136
	scratch_load_dwordx4 v[64:67], off, off offset:152
	scratch_load_dwordx2 v[88:89], off, off offset:168
	scratch_load_dwordx2 v[90:91], off, off offset:80
	v_mov_b32_e32 v46, 0
	ds_read2_b64 v[68:71], v46 offset0:33 offset1:34
	ds_read2_b64 v[72:75], v46 offset0:35 offset1:36
	;; [unrolled: 1-line block ×5, first 2 shown]
	ds_read_b64 v[92:93], v46 offset:344
	v_cmp_lt_u32_e32 vcc, 9, v0
	s_waitcnt vmcnt(6) lgkmcnt(5)
	v_mul_f32_e32 v47, v68, v49
	v_mul_f32_e32 v49, v69, v49
	v_mul_f32_e32 v95, v70, v51
	s_waitcnt vmcnt(5) lgkmcnt(4)
	v_mul_f32_e32 v97, v72, v53
	v_mul_f32_e32 v51, v71, v51
	;; [unrolled: 1-line block ×3, first 2 shown]
	v_mov_b32_e32 v98, v55
	s_waitcnt vmcnt(3) lgkmcnt(2)
	v_pk_mul_f32 v[104:105], v[80:81], v[60:61] op_sel:[1,1] op_sel_hi:[0,1]
	s_waitcnt vmcnt(2) lgkmcnt(1)
	v_pk_mul_f32 v[108:109], v[84:85], v[64:65] op_sel:[1,1] op_sel_hi:[0,1]
	;; [unrolled: 2-line block ×3, first 2 shown]
	v_fmac_f32_e32 v47, v69, v48
	v_fma_f32 v99, v68, v48, -v49
	v_fmac_f32_e32 v95, v71, v50
	v_fmac_f32_e32 v97, v73, v52
	v_fma_f32 v94, v70, v50, -v51
	v_fma_f32 v96, v72, v52, -v53
	v_pk_mul_f32 v[48:49], v[74:75], v[98:99] op_sel:[1,0] op_sel_hi:[0,0]
	v_pk_fma_f32 v[68:69], v[80:81], v[60:61], v[104:105] neg_lo:[0,0,1] neg_hi:[0,0,1]
	v_pk_fma_f32 v[60:61], v[80:81], v[60:61], v[104:105] op_sel_hi:[1,0,1]
	v_pk_fma_f32 v[72:73], v[84:85], v[64:65], v[108:109] neg_lo:[0,0,1] neg_hi:[0,0,1]
	v_pk_fma_f32 v[64:65], v[84:85], v[64:65], v[108:109] op_sel_hi:[1,0,1]
	;; [unrolled: 2-line block ×3, first 2 shown]
	v_add_f32_e32 v89, 0, v47
	v_add_f32_e32 v88, 0, v99
	v_pk_mul_f32 v[100:101], v[76:77], v[56:57] op_sel:[1,1] op_sel_hi:[0,1]
	v_mov_b32_e32 v102, v59
	v_pk_fma_f32 v[92:93], v[74:75], v[54:55], v[48:49] neg_lo:[0,0,1] neg_hi:[0,0,1]
	v_pk_fma_f32 v[48:49], v[74:75], v[54:55], v[48:49] op_sel_hi:[1,0,1]
	v_mov_b32_e32 v73, v65
	v_pk_add_f32 v[64:65], v[88:89], v[94:95]
	v_pk_fma_f32 v[50:51], v[76:77], v[56:57], v[100:101] neg_lo:[0,0,1] neg_hi:[0,0,1]
	v_pk_fma_f32 v[52:53], v[76:77], v[56:57], v[100:101] op_sel_hi:[1,0,1]
	v_pk_mul_f32 v[56:57], v[78:79], v[102:103] op_sel:[1,0] op_sel_hi:[0,0]
	v_mov_b32_e32 v93, v49
	v_pk_add_f32 v[48:49], v[64:65], v[96:97]
	v_mov_b32_e32 v106, v63
	v_mov_b32_e32 v51, v53
	v_pk_fma_f32 v[52:53], v[78:79], v[58:59], v[56:57] neg_lo:[0,0,1] neg_hi:[0,0,1]
	v_pk_fma_f32 v[54:55], v[78:79], v[58:59], v[56:57] op_sel_hi:[1,0,1]
	v_pk_add_f32 v[48:49], v[48:49], v[92:93]
	v_pk_mul_f32 v[70:71], v[82:83], v[106:107] op_sel:[1,0] op_sel_hi:[0,0]
	v_mov_b32_e32 v53, v55
	v_pk_add_f32 v[48:49], v[48:49], v[50:51]
	v_mov_b32_e32 v110, v67
	v_mov_b32_e32 v69, v61
	v_pk_fma_f32 v[56:57], v[82:83], v[62:63], v[70:71] neg_lo:[0,0,1] neg_hi:[0,0,1]
	v_pk_fma_f32 v[58:59], v[82:83], v[62:63], v[70:71] op_sel_hi:[1,0,1]
	v_pk_add_f32 v[48:49], v[48:49], v[52:53]
	v_pk_mul_f32 v[76:77], v[86:87], v[110:111] op_sel:[1,0] op_sel_hi:[0,0]
	v_mov_b32_e32 v57, v59
	v_pk_add_f32 v[48:49], v[48:49], v[68:69]
	v_pk_fma_f32 v[60:61], v[86:87], v[66:67], v[76:77] neg_lo:[0,0,1] neg_hi:[0,0,1]
	v_pk_fma_f32 v[62:63], v[86:87], v[66:67], v[76:77] op_sel_hi:[1,0,1]
	v_pk_add_f32 v[48:49], v[48:49], v[56:57]
	v_mov_b32_e32 v61, v63
	v_pk_add_f32 v[48:49], v[48:49], v[72:73]
	v_mov_b32_e32 v81, v85
	v_pk_add_f32 v[48:49], v[48:49], v[60:61]
	s_nop 0
	v_pk_add_f32 v[48:49], v[48:49], v[80:81]
	s_waitcnt vmcnt(0)
	v_pk_add_f32 v[48:49], v[90:91], v[48:49] neg_lo:[0,1] neg_hi:[0,1]
	scratch_store_dwordx2 off, v[48:49], off offset:80
	s_and_saveexec_b64 s[0:1], vcc
	s_cbranch_execz .LBB21_127
; %bb.126:
	scratch_load_dwordx2 v[48:49], off, off offset:72
	v_mov_b32_e32 v47, v46
	scratch_store_dwordx2 off, v[46:47], off offset:72
	s_waitcnt vmcnt(1)
	ds_write_b64 v1, v[48:49]
.LBB21_127:
	s_or_b64 exec, exec, s[0:1]
	s_waitcnt lgkmcnt(0)
	; wave barrier
	scratch_load_dwordx4 v[48:51], off, off offset:80
	scratch_load_dwordx4 v[52:55], off, off offset:96
	;; [unrolled: 1-line block ×6, first 2 shown]
	scratch_load_dwordx2 v[96:97], off, off offset:72
	ds_read_b128 v[72:75], v46 offset:256
	ds_read_b128 v[76:79], v46 offset:272
	;; [unrolled: 1-line block ×6, first 2 shown]
	v_cmp_lt_u32_e32 vcc, 8, v0
	s_waitcnt vmcnt(6) lgkmcnt(5)
	v_mul_f32_e32 v103, v72, v49
	v_mul_f32_e32 v107, v74, v51
	s_waitcnt vmcnt(5) lgkmcnt(4)
	v_mul_f32_e32 v47, v76, v53
	v_mul_f32_e32 v46, v73, v49
	;; [unrolled: 1-line block ×4, first 2 shown]
	s_waitcnt vmcnt(1) lgkmcnt(0)
	v_pk_mul_f32 v[112:113], v[92:93], v[68:69] op_sel:[1,1] op_sel_hi:[0,1]
	v_pk_mul_f32 v[100:101], v[80:81], v[56:57] op_sel:[1,1] op_sel_hi:[0,1]
	v_fmac_f32_e32 v103, v73, v48
	v_fmac_f32_e32 v47, v77, v52
	v_fma_f32 v111, v72, v48, -v46
	v_fma_f32 v46, v76, v52, -v51
	v_pk_fma_f32 v[76:77], v[92:93], v[68:69], v[112:113] neg_lo:[0,0,1] neg_hi:[0,0,1]
	v_pk_fma_f32 v[68:69], v[92:93], v[68:69], v[112:113] op_sel_hi:[1,0,1]
	v_fmac_f32_e32 v107, v75, v50
	v_fma_f32 v115, v74, v50, -v49
	v_pk_fma_f32 v[48:49], v[80:81], v[56:57], v[100:101] neg_lo:[0,0,1] neg_hi:[0,0,1]
	v_pk_fma_f32 v[50:51], v[80:81], v[56:57], v[100:101] op_sel_hi:[1,0,1]
	v_add_f32_e32 v68, 0, v103
	v_add_f32_e32 v80, 0, v111
	v_mul_f32_e32 v99, v78, v55
	v_mul_f32_e32 v53, v79, v55
	v_mov_b32_e32 v102, v59
	v_mov_b32_e32 v77, v69
	v_add_f32_e32 v69, v68, v107
	v_add_f32_e32 v68, v80, v115
	v_fmac_f32_e32 v99, v79, v54
	v_fma_f32 v98, v78, v54, -v53
	v_pk_mul_f32 v[52:53], v[82:83], v[102:103] op_sel:[1,0] op_sel_hi:[0,0]
	v_pk_add_f32 v[46:47], v[68:69], v[46:47]
	v_pk_mul_f32 v[104:105], v[84:85], v[60:61] op_sel:[1,1] op_sel_hi:[0,1]
	v_mov_b32_e32 v106, v63
	v_mov_b32_e32 v49, v51
	v_pk_fma_f32 v[50:51], v[82:83], v[58:59], v[52:53] neg_lo:[0,0,1] neg_hi:[0,0,1]
	v_pk_fma_f32 v[52:53], v[82:83], v[58:59], v[52:53] op_sel_hi:[1,0,1]
	v_pk_add_f32 v[46:47], v[46:47], v[98:99]
	v_pk_fma_f32 v[54:55], v[84:85], v[60:61], v[104:105] neg_lo:[0,0,1] neg_hi:[0,0,1]
	v_pk_fma_f32 v[56:57], v[84:85], v[60:61], v[104:105] op_sel_hi:[1,0,1]
	v_pk_mul_f32 v[60:61], v[86:87], v[106:107] op_sel:[1,0] op_sel_hi:[0,0]
	v_mov_b32_e32 v51, v53
	v_pk_add_f32 v[46:47], v[46:47], v[48:49]
	v_pk_mul_f32 v[108:109], v[88:89], v[64:65] op_sel:[1,1] op_sel_hi:[0,1]
	v_mov_b32_e32 v110, v67
	v_mov_b32_e32 v55, v57
	v_pk_fma_f32 v[56:57], v[86:87], v[62:63], v[60:61] neg_lo:[0,0,1] neg_hi:[0,0,1]
	v_pk_fma_f32 v[58:59], v[86:87], v[62:63], v[60:61] op_sel_hi:[1,0,1]
	v_pk_add_f32 v[46:47], v[46:47], v[50:51]
	v_pk_fma_f32 v[72:73], v[88:89], v[64:65], v[108:109] neg_lo:[0,0,1] neg_hi:[0,0,1]
	v_pk_fma_f32 v[64:65], v[88:89], v[64:65], v[108:109] op_sel_hi:[1,0,1]
	v_pk_mul_f32 v[74:75], v[90:91], v[110:111] op_sel:[1,0] op_sel_hi:[0,0]
	v_mov_b32_e32 v57, v59
	v_pk_add_f32 v[46:47], v[46:47], v[54:55]
	v_mov_b32_e32 v114, v71
	v_mov_b32_e32 v73, v65
	v_pk_fma_f32 v[60:61], v[90:91], v[66:67], v[74:75] neg_lo:[0,0,1] neg_hi:[0,0,1]
	v_pk_fma_f32 v[62:63], v[90:91], v[66:67], v[74:75] op_sel_hi:[1,0,1]
	v_pk_add_f32 v[46:47], v[46:47], v[56:57]
	v_pk_mul_f32 v[78:79], v[94:95], v[114:115] op_sel:[1,0] op_sel_hi:[0,0]
	v_mov_b32_e32 v61, v63
	v_pk_add_f32 v[46:47], v[46:47], v[72:73]
	v_pk_fma_f32 v[64:65], v[94:95], v[70:71], v[78:79] neg_lo:[0,0,1] neg_hi:[0,0,1]
	v_pk_fma_f32 v[66:67], v[94:95], v[70:71], v[78:79] op_sel_hi:[1,0,1]
	v_pk_add_f32 v[46:47], v[46:47], v[60:61]
	v_mov_b32_e32 v65, v67
	v_pk_add_f32 v[46:47], v[46:47], v[76:77]
	s_nop 0
	v_pk_add_f32 v[46:47], v[46:47], v[64:65]
	s_waitcnt vmcnt(0)
	v_pk_add_f32 v[46:47], v[96:97], v[46:47] neg_lo:[0,1] neg_hi:[0,1]
	scratch_store_dwordx2 off, v[46:47], off offset:72
	s_and_saveexec_b64 s[0:1], vcc
	s_cbranch_execz .LBB21_129
; %bb.128:
	scratch_load_dwordx2 v[46:47], off, off offset:64
	v_mov_b32_e32 v48, 0
	v_mov_b32_e32 v49, v48
	scratch_store_dwordx2 off, v[48:49], off offset:64
	s_waitcnt vmcnt(1)
	ds_write_b64 v1, v[46:47]
.LBB21_129:
	s_or_b64 exec, exec, s[0:1]
	s_waitcnt lgkmcnt(0)
	; wave barrier
	scratch_load_dwordx4 v[48:51], off, off offset:72
	scratch_load_dwordx4 v[52:55], off, off offset:88
	;; [unrolled: 1-line block ×6, first 2 shown]
	scratch_load_dwordx2 v[96:97], off, off offset:168
	scratch_load_dwordx2 v[98:99], off, off offset:64
	v_mov_b32_e32 v46, 0
	ds_read2_b64 v[72:75], v46 offset0:31 offset1:32
	ds_read2_b64 v[76:79], v46 offset0:33 offset1:34
	;; [unrolled: 1-line block ×6, first 2 shown]
	ds_read_b64 v[100:101], v46 offset:344
	v_cmp_lt_u32_e32 vcc, 7, v0
	s_waitcnt vmcnt(7) lgkmcnt(6)
	v_mul_f32_e32 v107, v74, v51
	v_mul_f32_e32 v47, v72, v49
	s_waitcnt vmcnt(5) lgkmcnt(4)
	v_mul_f32_e32 v105, v80, v57
	v_mul_f32_e32 v49, v73, v49
	v_mov_b32_e32 v106, v59
	s_waitcnt vmcnt(2) lgkmcnt(1)
	v_pk_mul_f32 v[116:117], v[92:93], v[68:69] op_sel:[1,1] op_sel_hi:[0,1]
	v_fmac_f32_e32 v107, v75, v50
	v_mul_f32_e32 v51, v75, v51
	v_mul_f32_e32 v57, v81, v57
	v_fmac_f32_e32 v47, v73, v48
	v_fmac_f32_e32 v105, v81, v56
	v_fma_f32 v81, v72, v48, -v49
	v_pk_mul_f32 v[48:49], v[82:83], v[106:107] op_sel:[1,0] op_sel_hi:[0,0]
	v_pk_fma_f32 v[72:73], v[92:93], v[68:69], v[116:117] neg_lo:[0,0,1] neg_hi:[0,0,1]
	v_pk_fma_f32 v[68:69], v[92:93], v[68:69], v[116:117] op_sel_hi:[1,0,1]
	v_mul_f32_e32 v111, v76, v53
	v_mul_f32_e32 v53, v77, v53
	v_fma_f32 v115, v74, v50, -v51
	v_fma_f32 v104, v80, v56, -v57
	v_add_f32_e32 v47, 0, v47
	v_add_f32_e32 v68, 0, v81
	v_pk_fma_f32 v[80:81], v[82:83], v[58:59], v[48:49] neg_lo:[0,0,1] neg_hi:[0,0,1]
	v_pk_fma_f32 v[48:49], v[82:83], v[58:59], v[48:49] op_sel_hi:[1,0,1]
	v_mul_f32_e32 v103, v78, v55
	v_mul_f32_e32 v55, v79, v55
	v_fmac_f32_e32 v111, v77, v52
	v_fma_f32 v119, v76, v52, -v53
	v_add_f32_e32 v47, v47, v107
	v_add_f32_e32 v48, v68, v115
	v_fmac_f32_e32 v103, v79, v54
	v_fma_f32 v102, v78, v54, -v55
	v_mov_b32_e32 v81, v49
	v_add_f32_e32 v49, v47, v111
	v_add_f32_e32 v48, v48, v119
	v_pk_mul_f32 v[108:109], v[84:85], v[60:61] op_sel:[1,1] op_sel_hi:[0,1]
	v_mov_b32_e32 v110, v63
	v_pk_add_f32 v[48:49], v[48:49], v[102:103]
	v_pk_fma_f32 v[50:51], v[84:85], v[60:61], v[108:109] neg_lo:[0,0,1] neg_hi:[0,0,1]
	v_pk_fma_f32 v[52:53], v[84:85], v[60:61], v[108:109] op_sel_hi:[1,0,1]
	v_pk_mul_f32 v[54:55], v[86:87], v[110:111] op_sel:[1,0] op_sel_hi:[0,0]
	v_pk_add_f32 v[48:49], v[48:49], v[104:105]
	v_pk_mul_f32 v[112:113], v[88:89], v[64:65] op_sel:[1,1] op_sel_hi:[0,1]
	v_mov_b32_e32 v114, v67
	v_mov_b32_e32 v51, v53
	v_pk_fma_f32 v[52:53], v[86:87], v[62:63], v[54:55] neg_lo:[0,0,1] neg_hi:[0,0,1]
	v_pk_fma_f32 v[54:55], v[86:87], v[62:63], v[54:55] op_sel_hi:[1,0,1]
	v_pk_add_f32 v[48:49], v[48:49], v[80:81]
	v_pk_fma_f32 v[56:57], v[88:89], v[64:65], v[112:113] neg_lo:[0,0,1] neg_hi:[0,0,1]
	v_pk_fma_f32 v[60:61], v[88:89], v[64:65], v[112:113] op_sel_hi:[1,0,1]
	v_pk_mul_f32 v[64:65], v[90:91], v[114:115] op_sel:[1,0] op_sel_hi:[0,0]
	v_mov_b32_e32 v53, v55
	v_pk_add_f32 v[48:49], v[48:49], v[50:51]
	v_mov_b32_e32 v118, v71
	v_mov_b32_e32 v57, v61
	v_pk_fma_f32 v[58:59], v[90:91], v[66:67], v[64:65] neg_lo:[0,0,1] neg_hi:[0,0,1]
	v_pk_fma_f32 v[60:61], v[90:91], v[66:67], v[64:65] op_sel_hi:[1,0,1]
	v_pk_add_f32 v[48:49], v[48:49], v[52:53]
	v_pk_mul_f32 v[74:75], v[94:95], v[118:119] op_sel:[1,0] op_sel_hi:[0,0]
	v_mov_b32_e32 v59, v61
	v_pk_add_f32 v[48:49], v[48:49], v[56:57]
	s_waitcnt vmcnt(1) lgkmcnt(0)
	v_pk_mul_f32 v[120:121], v[100:101], v[96:97] op_sel:[1,1] op_sel_hi:[0,1]
	v_mov_b32_e32 v73, v69
	v_pk_fma_f32 v[62:63], v[94:95], v[70:71], v[74:75] neg_lo:[0,0,1] neg_hi:[0,0,1]
	v_pk_fma_f32 v[64:65], v[94:95], v[70:71], v[74:75] op_sel_hi:[1,0,1]
	v_pk_add_f32 v[48:49], v[48:49], v[58:59]
	v_pk_fma_f32 v[76:77], v[100:101], v[96:97], v[120:121] neg_lo:[0,0,1] neg_hi:[0,0,1]
	v_pk_fma_f32 v[78:79], v[100:101], v[96:97], v[120:121] op_sel_hi:[1,0,1]
	v_mov_b32_e32 v63, v65
	v_pk_add_f32 v[48:49], v[48:49], v[72:73]
	v_mov_b32_e32 v77, v79
	v_pk_add_f32 v[48:49], v[48:49], v[62:63]
	s_nop 0
	v_pk_add_f32 v[48:49], v[48:49], v[76:77]
	s_waitcnt vmcnt(0)
	v_pk_add_f32 v[48:49], v[98:99], v[48:49] neg_lo:[0,1] neg_hi:[0,1]
	scratch_store_dwordx2 off, v[48:49], off offset:64
	s_and_saveexec_b64 s[0:1], vcc
	s_cbranch_execz .LBB21_131
; %bb.130:
	scratch_load_dwordx2 v[48:49], off, off offset:56
	v_mov_b32_e32 v47, v46
	scratch_store_dwordx2 off, v[46:47], off offset:56
	s_waitcnt vmcnt(1)
	ds_write_b64 v1, v[48:49]
.LBB21_131:
	s_or_b64 exec, exec, s[0:1]
	s_waitcnt lgkmcnt(0)
	; wave barrier
	scratch_load_dwordx4 v[48:51], off, off offset:64
	scratch_load_dwordx4 v[52:55], off, off offset:80
	;; [unrolled: 1-line block ×7, first 2 shown]
	ds_read_b128 v[76:79], v46 offset:240
	ds_read_b128 v[80:83], v46 offset:256
	;; [unrolled: 1-line block ×6, first 2 shown]
	scratch_load_dwordx2 v[104:105], off, off offset:56
	ds_read_b128 v[100:103], v46 offset:336
	v_cmp_lt_u32_e32 vcc, 6, v0
	s_waitcnt vmcnt(7) lgkmcnt(6)
	v_mul_f32_e32 v111, v76, v49
	v_mul_f32_e32 v115, v78, v51
	s_waitcnt vmcnt(6) lgkmcnt(5)
	v_mul_f32_e32 v119, v80, v53
	v_mul_f32_e32 v123, v82, v55
	;; [unrolled: 3-line block ×3, first 2 shown]
	v_mul_f32_e32 v46, v77, v49
	v_mul_f32_e32 v49, v79, v51
	;; [unrolled: 1-line block ×6, first 2 shown]
	s_waitcnt vmcnt(4) lgkmcnt(3)
	v_pk_mul_f32 v[108:109], v[88:89], v[60:61] op_sel:[1,1] op_sel_hi:[0,1]
	v_mov_b32_e32 v110, v63
	s_waitcnt vmcnt(3) lgkmcnt(2)
	v_pk_mul_f32 v[112:113], v[92:93], v[64:65] op_sel:[1,1] op_sel_hi:[0,1]
	v_mov_b32_e32 v114, v67
	s_waitcnt vmcnt(1) lgkmcnt(0)
	v_pk_mul_f32 v[120:121], v[100:101], v[72:73] op_sel:[1,1] op_sel_hi:[0,1]
	v_fmac_f32_e32 v111, v77, v48
	v_fmac_f32_e32 v115, v79, v50
	;; [unrolled: 1-line block ×6, first 2 shown]
	v_fma_f32 v81, v76, v48, -v46
	v_fma_f32 v83, v78, v50, -v49
	;; [unrolled: 1-line block ×6, first 2 shown]
	v_pk_fma_f32 v[48:49], v[88:89], v[60:61], v[108:109] neg_lo:[0,0,1] neg_hi:[0,0,1]
	v_pk_fma_f32 v[50:51], v[88:89], v[60:61], v[108:109] op_sel_hi:[1,0,1]
	v_pk_mul_f32 v[52:53], v[90:91], v[110:111] op_sel:[1,0] op_sel_hi:[0,0]
	v_pk_fma_f32 v[54:55], v[92:93], v[64:65], v[112:113] neg_lo:[0,0,1] neg_hi:[0,0,1]
	v_pk_fma_f32 v[56:57], v[92:93], v[64:65], v[112:113] op_sel_hi:[1,0,1]
	v_pk_mul_f32 v[58:59], v[94:95], v[114:115] op_sel:[1,0] op_sel_hi:[0,0]
	v_pk_fma_f32 v[76:77], v[100:101], v[72:73], v[120:121] neg_lo:[0,0,1] neg_hi:[0,0,1]
	v_pk_fma_f32 v[72:73], v[100:101], v[72:73], v[120:121] op_sel_hi:[1,0,1]
	v_add_f32_e32 v81, 0, v81
	v_add_f32_e32 v72, 0, v111
	v_mov_b32_e32 v49, v51
	v_pk_fma_f32 v[50:51], v[90:91], v[62:63], v[52:53] neg_lo:[0,0,1] neg_hi:[0,0,1]
	v_pk_fma_f32 v[52:53], v[90:91], v[62:63], v[52:53] op_sel_hi:[1,0,1]
	v_mov_b32_e32 v55, v57
	v_pk_fma_f32 v[56:57], v[94:95], v[66:67], v[58:59] neg_lo:[0,0,1] neg_hi:[0,0,1]
	v_pk_fma_f32 v[58:59], v[94:95], v[66:67], v[58:59] op_sel_hi:[1,0,1]
	v_add_f32_e32 v52, v72, v115
	v_add_f32_e32 v58, v81, v83
	;; [unrolled: 1-line block ×4, first 2 shown]
	v_mov_b32_e32 v51, v53
	v_add_f32_e32 v53, v52, v123
	v_add_f32_e32 v52, v58, v82
	v_pk_add_f32 v[46:47], v[52:53], v[46:47]
	v_pk_mul_f32 v[116:117], v[96:97], v[68:69] op_sel:[1,1] op_sel_hi:[0,1]
	v_pk_add_f32 v[46:47], v[46:47], v[106:107]
	v_mov_b32_e32 v118, v71
	v_pk_add_f32 v[46:47], v[46:47], v[48:49]
	v_pk_fma_f32 v[60:61], v[96:97], v[68:69], v[116:117] neg_lo:[0,0,1] neg_hi:[0,0,1]
	v_pk_add_f32 v[46:47], v[46:47], v[50:51]
	v_pk_fma_f32 v[64:65], v[96:97], v[68:69], v[116:117] op_sel_hi:[1,0,1]
	v_pk_mul_f32 v[68:69], v[98:99], v[118:119] op_sel:[1,0] op_sel_hi:[0,0]
	v_mov_b32_e32 v57, v59
	v_pk_add_f32 v[46:47], v[46:47], v[54:55]
	v_mov_b32_e32 v122, v75
	v_mov_b32_e32 v61, v65
	v_pk_fma_f32 v[62:63], v[98:99], v[70:71], v[68:69] neg_lo:[0,0,1] neg_hi:[0,0,1]
	v_pk_fma_f32 v[64:65], v[98:99], v[70:71], v[68:69] op_sel_hi:[1,0,1]
	v_pk_add_f32 v[46:47], v[46:47], v[56:57]
	v_pk_mul_f32 v[78:79], v[102:103], v[122:123] op_sel:[1,0] op_sel_hi:[0,0]
	v_mov_b32_e32 v63, v65
	v_pk_add_f32 v[46:47], v[46:47], v[60:61]
	v_mov_b32_e32 v77, v73
	v_pk_fma_f32 v[66:67], v[102:103], v[74:75], v[78:79] neg_lo:[0,0,1] neg_hi:[0,0,1]
	v_pk_fma_f32 v[68:69], v[102:103], v[74:75], v[78:79] op_sel_hi:[1,0,1]
	v_pk_add_f32 v[46:47], v[46:47], v[62:63]
	v_mov_b32_e32 v67, v69
	v_pk_add_f32 v[46:47], v[46:47], v[76:77]
	s_nop 0
	v_pk_add_f32 v[46:47], v[46:47], v[66:67]
	s_waitcnt vmcnt(0)
	v_pk_add_f32 v[46:47], v[104:105], v[46:47] neg_lo:[0,1] neg_hi:[0,1]
	scratch_store_dwordx2 off, v[46:47], off offset:56
	s_and_saveexec_b64 s[0:1], vcc
	s_cbranch_execz .LBB21_133
; %bb.132:
	scratch_load_dwordx2 v[46:47], off, off offset:48
	v_mov_b32_e32 v48, 0
	v_mov_b32_e32 v49, v48
	scratch_store_dwordx2 off, v[48:49], off offset:48
	s_waitcnt vmcnt(1)
	ds_write_b64 v1, v[46:47]
.LBB21_133:
	s_or_b64 exec, exec, s[0:1]
	s_waitcnt lgkmcnt(0)
	; wave barrier
	scratch_load_dwordx4 v[48:51], off, off offset:56
	scratch_load_dwordx4 v[52:55], off, off offset:72
	;; [unrolled: 1-line block ×7, first 2 shown]
	scratch_load_dwordx2 v[104:105], off, off offset:168
	scratch_load_dwordx2 v[106:107], off, off offset:48
	v_mov_b32_e32 v46, 0
	ds_read2_b64 v[76:79], v46 offset0:29 offset1:30
	ds_read2_b64 v[80:83], v46 offset0:31 offset1:32
	;; [unrolled: 1-line block ×7, first 2 shown]
	ds_read_b64 v[108:109], v46 offset:344
	v_cmp_lt_u32_e32 vcc, 5, v0
	s_waitcnt vmcnt(8) lgkmcnt(7)
	v_mul_f32_e32 v115, v78, v51
	v_mul_f32_e32 v47, v76, v49
	s_waitcnt vmcnt(7) lgkmcnt(6)
	v_mul_f32_e32 v119, v80, v53
	s_waitcnt vmcnt(6) lgkmcnt(5)
	v_mul_f32_e32 v127, v84, v57
	v_mul_f32_e32 v111, v86, v59
	;; [unrolled: 1-line block ×5, first 2 shown]
	s_waitcnt vmcnt(5)
	v_mov_b32_e32 v114, v63
	s_waitcnt vmcnt(3) lgkmcnt(2)
	v_pk_mul_f32 v[120:121], v[96:97], v[68:69] op_sel:[1,1] op_sel_hi:[0,1]
	s_waitcnt vmcnt(2) lgkmcnt(1)
	v_pk_mul_f32 v[124:125], v[100:101], v[72:73] op_sel:[1,1] op_sel_hi:[0,1]
	v_fmac_f32_e32 v115, v79, v50
	v_mul_f32_e32 v51, v79, v51
	v_mul_f32_e32 v53, v81, v53
	v_fmac_f32_e32 v47, v77, v48
	v_fmac_f32_e32 v119, v81, v52
	v_fmac_f32_e32 v127, v85, v56
	v_fmac_f32_e32 v111, v87, v58
	v_fma_f32 v76, v76, v48, -v49
	v_fma_f32 v81, v84, v56, -v57
	;; [unrolled: 1-line block ×3, first 2 shown]
	v_pk_mul_f32 v[48:49], v[90:91], v[114:115] op_sel:[1,0] op_sel_hi:[0,0]
	v_pk_fma_f32 v[56:57], v[96:97], v[68:69], v[120:121] neg_lo:[0,0,1] neg_hi:[0,0,1]
	v_pk_fma_f32 v[58:59], v[96:97], v[68:69], v[120:121] op_sel_hi:[1,0,1]
	v_pk_fma_f32 v[68:69], v[100:101], v[72:73], v[124:125] op_sel_hi:[1,0,1]
	v_fma_f32 v78, v78, v50, -v51
	v_add_f32_e32 v47, 0, v47
	v_add_f32_e32 v68, 0, v76
	v_pk_fma_f32 v[76:77], v[90:91], v[62:63], v[48:49] neg_lo:[0,0,1] neg_hi:[0,0,1]
	v_pk_fma_f32 v[48:49], v[90:91], v[62:63], v[48:49] op_sel_hi:[1,0,1]
	v_mul_f32_e32 v123, v82, v55
	v_mul_f32_e32 v55, v83, v55
	v_fma_f32 v79, v80, v52, -v53
	v_add_f32_e32 v47, v47, v115
	v_add_f32_e32 v48, v68, v78
	v_fmac_f32_e32 v123, v83, v54
	v_fma_f32 v80, v82, v54, -v55
	v_add_f32_e32 v47, v47, v119
	v_add_f32_e32 v48, v48, v79
	;; [unrolled: 1-line block ×4, first 2 shown]
	v_mul_f32_e32 v113, v88, v61
	v_mul_f32_e32 v61, v89, v61
	v_mov_b32_e32 v77, v49
	v_add_f32_e32 v49, v47, v127
	v_add_f32_e32 v48, v48, v81
	v_pk_mul_f32 v[116:117], v[92:93], v[64:65] op_sel:[1,1] op_sel_hi:[0,1]
	v_mov_b32_e32 v118, v67
	v_fmac_f32_e32 v113, v89, v60
	v_fma_f32 v112, v88, v60, -v61
	v_pk_add_f32 v[48:49], v[48:49], v[110:111]
	v_pk_fma_f32 v[50:51], v[92:93], v[64:65], v[116:117] neg_lo:[0,0,1] neg_hi:[0,0,1]
	v_pk_fma_f32 v[52:53], v[92:93], v[64:65], v[116:117] op_sel_hi:[1,0,1]
	v_pk_mul_f32 v[54:55], v[94:95], v[118:119] op_sel:[1,0] op_sel_hi:[0,0]
	v_pk_add_f32 v[48:49], v[48:49], v[112:113]
	v_mov_b32_e32 v122, v71
	v_mov_b32_e32 v51, v53
	v_pk_fma_f32 v[52:53], v[94:95], v[66:67], v[54:55] neg_lo:[0,0,1] neg_hi:[0,0,1]
	v_pk_fma_f32 v[54:55], v[94:95], v[66:67], v[54:55] op_sel_hi:[1,0,1]
	v_pk_add_f32 v[48:49], v[48:49], v[76:77]
	v_pk_mul_f32 v[60:61], v[98:99], v[122:123] op_sel:[1,0] op_sel_hi:[0,0]
	v_mov_b32_e32 v53, v55
	v_pk_add_f32 v[48:49], v[48:49], v[50:51]
	v_mov_b32_e32 v126, v75
	v_mov_b32_e32 v57, v59
	v_pk_fma_f32 v[58:59], v[98:99], v[70:71], v[60:61] neg_lo:[0,0,1] neg_hi:[0,0,1]
	v_pk_fma_f32 v[60:61], v[98:99], v[70:71], v[60:61] op_sel_hi:[1,0,1]
	v_pk_add_f32 v[48:49], v[48:49], v[52:53]
	v_pk_fma_f32 v[64:65], v[100:101], v[72:73], v[124:125] neg_lo:[0,0,1] neg_hi:[0,0,1]
	v_pk_mul_f32 v[72:73], v[102:103], v[126:127] op_sel:[1,0] op_sel_hi:[0,0]
	v_mov_b32_e32 v59, v61
	v_pk_add_f32 v[48:49], v[48:49], v[56:57]
	v_mov_b32_e32 v65, v69
	v_pk_add_f32 v[48:49], v[48:49], v[58:59]
	v_pk_fma_f32 v[50:51], v[102:103], v[74:75], v[72:73] neg_lo:[0,0,1] neg_hi:[0,0,1]
	v_pk_fma_f32 v[52:53], v[102:103], v[74:75], v[72:73] op_sel_hi:[1,0,1]
	v_pk_add_f32 v[48:49], v[48:49], v[64:65]
	v_mov_b32_e32 v51, v53
	v_pk_add_f32 v[48:49], v[48:49], v[50:51]
	s_waitcnt vmcnt(1) lgkmcnt(0)
	v_pk_mul_f32 v[50:51], v[108:109], v[104:105] op_sel:[1,1] op_sel_hi:[0,1]
	v_pk_fma_f32 v[52:53], v[108:109], v[104:105], v[50:51] neg_lo:[0,0,1] neg_hi:[0,0,1]
	v_pk_fma_f32 v[50:51], v[108:109], v[104:105], v[50:51] op_sel_hi:[1,0,1]
	s_nop 0
	v_mov_b32_e32 v53, v51
	v_pk_add_f32 v[48:49], v[48:49], v[52:53]
	s_waitcnt vmcnt(0)
	v_pk_add_f32 v[48:49], v[106:107], v[48:49] neg_lo:[0,1] neg_hi:[0,1]
	scratch_store_dwordx2 off, v[48:49], off offset:48
	s_and_saveexec_b64 s[0:1], vcc
	s_cbranch_execz .LBB21_135
; %bb.134:
	scratch_load_dwordx2 v[48:49], off, off offset:40
	v_mov_b32_e32 v47, v46
	scratch_store_dwordx2 off, v[46:47], off offset:40
	s_waitcnt vmcnt(1)
	ds_write_b64 v1, v[48:49]
.LBB21_135:
	s_or_b64 exec, exec, s[0:1]
	s_waitcnt lgkmcnt(0)
	; wave barrier
	ds_read_b128 v[48:51], v46 offset:224
	ds_read_b128 v[52:55], v46 offset:240
	;; [unrolled: 1-line block ×4, first 2 shown]
	scratch_load_dwordx4 v[64:67], off, off offset:48
	v_cmp_lt_u32_e32 vcc, 4, v0
	s_waitcnt vmcnt(0) lgkmcnt(3)
	v_mul_f32_e32 v47, v48, v65
	v_fmac_f32_e32 v47, v49, v64
	v_mul_f32_e32 v68, v50, v67
	v_add_f32_e32 v47, 0, v47
	v_fmac_f32_e32 v68, v51, v66
	v_add_f32_e32 v47, v47, v68
	scratch_load_dwordx4 v[68:71], off, off offset:64
	s_waitcnt vmcnt(0) lgkmcnt(2)
	v_mul_f32_e32 v72, v52, v69
	v_fmac_f32_e32 v72, v53, v68
	v_add_f32_e32 v47, v47, v72
	v_mul_f32_e32 v72, v54, v71
	v_fmac_f32_e32 v72, v55, v70
	v_add_f32_e32 v47, v47, v72
	scratch_load_dwordx4 v[72:75], off, off offset:80
	s_waitcnt vmcnt(0) lgkmcnt(1)
	v_mul_f32_e32 v76, v56, v73
	v_fmac_f32_e32 v76, v57, v72
	v_add_f32_e32 v47, v47, v76
	v_mul_f32_e32 v76, v58, v75
	v_fmac_f32_e32 v76, v59, v74
	v_add_f32_e32 v97, v47, v76
	scratch_load_dwordx4 v[76:79], off, off offset:96
	scratch_load_dwordx4 v[80:83], off, off offset:112
	;; [unrolled: 1-line block ×5, first 2 shown]
	v_mul_f32_e32 v47, v49, v65
	v_fma_f32 v47, v48, v64, -v47
	v_mul_f32_e32 v48, v51, v67
	v_add_f32_e32 v47, 0, v47
	v_fma_f32 v48, v50, v66, -v48
	v_add_f32_e32 v47, v47, v48
	v_mul_f32_e32 v48, v53, v69
	v_fma_f32 v48, v52, v68, -v48
	v_add_f32_e32 v47, v47, v48
	v_mul_f32_e32 v48, v55, v71
	;; [unrolled: 3-line block ×4, first 2 shown]
	v_fma_f32 v48, v58, v74, -v48
	v_add_f32_e32 v96, v47, v48
	s_waitcnt vmcnt(4) lgkmcnt(0)
	v_mul_f32_e32 v47, v61, v77
	v_mul_f32_e32 v99, v60, v77
	;; [unrolled: 1-line block ×3, first 2 shown]
	v_fma_f32 v98, v60, v76, -v47
	v_mul_f32_e32 v47, v63, v79
	v_fmac_f32_e32 v99, v61, v76
	v_fmac_f32_e32 v101, v63, v78
	v_fma_f32 v100, v62, v78, -v47
	ds_read_b128 v[48:51], v46 offset:288
	ds_read_b128 v[52:55], v46 offset:304
	;; [unrolled: 1-line block ×4, first 2 shown]
	v_pk_add_f32 v[46:47], v[96:97], v[98:99]
	s_waitcnt vmcnt(3) lgkmcnt(3)
	v_pk_mul_f32 v[64:65], v[48:49], v[80:81] op_sel:[1,1] op_sel_hi:[0,1]
	v_pk_fma_f32 v[66:67], v[48:49], v[80:81], v[64:65] neg_lo:[0,0,1] neg_hi:[0,0,1]
	v_pk_fma_f32 v[48:49], v[48:49], v[80:81], v[64:65] op_sel_hi:[1,0,1]
	v_pk_add_f32 v[46:47], v[46:47], v[100:101]
	v_mov_b32_e32 v48, v83
	v_mov_b32_e32 v67, v49
	v_pk_mul_f32 v[48:49], v[50:51], v[48:49] op_sel:[1,0] op_sel_hi:[0,0]
	v_pk_fma_f32 v[64:65], v[50:51], v[82:83], v[48:49] neg_lo:[0,0,1] neg_hi:[0,0,1]
	v_pk_fma_f32 v[48:49], v[50:51], v[82:83], v[48:49] op_sel_hi:[1,0,1]
	v_pk_add_f32 v[46:47], v[46:47], v[66:67]
	v_mov_b32_e32 v65, v49
	s_waitcnt vmcnt(2) lgkmcnt(2)
	v_pk_mul_f32 v[48:49], v[52:53], v[84:85] op_sel:[1,1] op_sel_hi:[0,1]
	v_pk_fma_f32 v[50:51], v[52:53], v[84:85], v[48:49] neg_lo:[0,0,1] neg_hi:[0,0,1]
	v_pk_fma_f32 v[48:49], v[52:53], v[84:85], v[48:49] op_sel_hi:[1,0,1]
	v_pk_add_f32 v[46:47], v[46:47], v[64:65]
	v_mov_b32_e32 v48, v87
	v_mov_b32_e32 v51, v49
	v_pk_mul_f32 v[48:49], v[54:55], v[48:49] op_sel:[1,0] op_sel_hi:[0,0]
	v_pk_add_f32 v[46:47], v[46:47], v[50:51]
	v_pk_fma_f32 v[50:51], v[54:55], v[86:87], v[48:49] neg_lo:[0,0,1] neg_hi:[0,0,1]
	v_pk_fma_f32 v[48:49], v[54:55], v[86:87], v[48:49] op_sel_hi:[1,0,1]
	s_nop 0
	v_mov_b32_e32 v51, v49
	s_waitcnt vmcnt(1) lgkmcnt(1)
	v_pk_mul_f32 v[48:49], v[56:57], v[88:89] op_sel:[1,1] op_sel_hi:[0,1]
	v_pk_add_f32 v[46:47], v[46:47], v[50:51]
	v_pk_fma_f32 v[50:51], v[56:57], v[88:89], v[48:49] neg_lo:[0,0,1] neg_hi:[0,0,1]
	v_pk_fma_f32 v[48:49], v[56:57], v[88:89], v[48:49] op_sel_hi:[1,0,1]
	s_nop 0
	v_mov_b32_e32 v48, v91
	v_mov_b32_e32 v51, v49
	v_pk_mul_f32 v[48:49], v[58:59], v[48:49] op_sel:[1,0] op_sel_hi:[0,0]
	v_pk_add_f32 v[46:47], v[46:47], v[50:51]
	v_pk_fma_f32 v[50:51], v[58:59], v[90:91], v[48:49] neg_lo:[0,0,1] neg_hi:[0,0,1]
	v_pk_fma_f32 v[48:49], v[58:59], v[90:91], v[48:49] op_sel_hi:[1,0,1]
	s_nop 0
	v_mov_b32_e32 v51, v49
	s_waitcnt vmcnt(0) lgkmcnt(0)
	v_pk_mul_f32 v[48:49], v[60:61], v[92:93] op_sel:[1,1] op_sel_hi:[0,1]
	v_pk_add_f32 v[46:47], v[46:47], v[50:51]
	v_pk_fma_f32 v[50:51], v[60:61], v[92:93], v[48:49] neg_lo:[0,0,1] neg_hi:[0,0,1]
	v_pk_fma_f32 v[48:49], v[60:61], v[92:93], v[48:49] op_sel_hi:[1,0,1]
	s_nop 0
	v_mov_b32_e32 v48, v95
	v_mov_b32_e32 v51, v49
	v_pk_mul_f32 v[48:49], v[62:63], v[48:49] op_sel:[1,0] op_sel_hi:[0,0]
	v_pk_add_f32 v[46:47], v[46:47], v[50:51]
	v_pk_fma_f32 v[50:51], v[62:63], v[94:95], v[48:49] neg_lo:[0,0,1] neg_hi:[0,0,1]
	v_pk_fma_f32 v[48:49], v[62:63], v[94:95], v[48:49] op_sel_hi:[1,0,1]
	s_nop 0
	v_mov_b32_e32 v51, v49
	scratch_load_dwordx2 v[48:49], off, off offset:40
	v_pk_add_f32 v[46:47], v[46:47], v[50:51]
	s_waitcnt vmcnt(0)
	v_pk_add_f32 v[46:47], v[48:49], v[46:47] neg_lo:[0,1] neg_hi:[0,1]
	scratch_store_dwordx2 off, v[46:47], off offset:40
	s_and_saveexec_b64 s[0:1], vcc
	s_cbranch_execz .LBB21_137
; %bb.136:
	scratch_load_dwordx2 v[46:47], off, off offset:32
	v_mov_b32_e32 v48, 0
	v_mov_b32_e32 v49, v48
	scratch_store_dwordx2 off, v[48:49], off offset:32
	s_waitcnt vmcnt(1)
	ds_write_b64 v1, v[46:47]
.LBB21_137:
	s_or_b64 exec, exec, s[0:1]
	s_waitcnt lgkmcnt(0)
	; wave barrier
	scratch_load_dwordx4 v[52:55], off, off offset:40
	scratch_load_dwordx4 v[60:63], off, off offset:56
	;; [unrolled: 1-line block ×4, first 2 shown]
	v_mov_b32_e32 v46, 0
	ds_read2_b64 v[48:51], v46 offset0:27 offset1:28
	scratch_load_dwordx4 v[84:87], off, off offset:104
	v_cmp_lt_u32_e32 vcc, 3, v0
	s_waitcnt vmcnt(4) lgkmcnt(0)
	v_mul_f32_e32 v47, v48, v53
	v_fmac_f32_e32 v47, v49, v52
	v_mul_f32_e32 v56, v50, v55
	v_add_f32_e32 v47, 0, v47
	v_fmac_f32_e32 v56, v51, v54
	v_add_f32_e32 v47, v47, v56
	ds_read2_b64 v[56:59], v46 offset0:29 offset1:30
	s_waitcnt vmcnt(3) lgkmcnt(0)
	v_mul_f32_e32 v64, v56, v61
	v_fmac_f32_e32 v64, v57, v60
	v_add_f32_e32 v47, v47, v64
	v_mul_f32_e32 v64, v58, v63
	v_fmac_f32_e32 v64, v59, v62
	v_add_f32_e32 v47, v47, v64
	ds_read2_b64 v[64:67], v46 offset0:31 offset1:32
	s_waitcnt vmcnt(2) lgkmcnt(0)
	v_mul_f32_e32 v72, v64, v69
	v_fmac_f32_e32 v72, v65, v68
	v_add_f32_e32 v47, v47, v72
	v_mul_f32_e32 v72, v66, v71
	v_fmac_f32_e32 v72, v67, v70
	v_add_f32_e32 v47, v47, v72
	ds_read2_b64 v[72:75], v46 offset0:33 offset1:34
	s_waitcnt vmcnt(1) lgkmcnt(0)
	v_mul_f32_e32 v80, v72, v77
	v_fmac_f32_e32 v80, v73, v76
	v_add_f32_e32 v101, v47, v80
	ds_read2_b64 v[80:83], v46 offset0:35 offset1:36
	scratch_load_dwordx4 v[88:91], off, off offset:120
	scratch_load_dwordx4 v[92:95], off, off offset:136
	;; [unrolled: 1-line block ×3, first 2 shown]
	scratch_load_dwordx2 v[106:107], off, off offset:168
	v_mul_f32_e32 v47, v49, v53
	v_fma_f32 v47, v48, v52, -v47
	v_mul_f32_e32 v48, v51, v55
	v_add_f32_e32 v47, 0, v47
	v_fma_f32 v48, v50, v54, -v48
	v_add_f32_e32 v47, v47, v48
	v_mul_f32_e32 v48, v57, v61
	v_fma_f32 v48, v56, v60, -v48
	v_add_f32_e32 v47, v47, v48
	v_mul_f32_e32 v48, v59, v63
	v_fma_f32 v48, v58, v62, -v48
	v_add_f32_e32 v47, v47, v48
	v_mul_f32_e32 v48, v65, v69
	v_fma_f32 v48, v64, v68, -v48
	v_add_f32_e32 v47, v47, v48
	v_mul_f32_e32 v48, v67, v71
	v_fma_f32 v48, v66, v70, -v48
	v_add_f32_e32 v47, v47, v48
	v_mul_f32_e32 v48, v73, v77
	v_fma_f32 v48, v72, v76, -v48
	v_mul_f32_e32 v103, v74, v79
	v_add_f32_e32 v100, v47, v48
	v_mul_f32_e32 v47, v75, v79
	s_waitcnt vmcnt(4)
	v_mov_b32_e32 v64, v87
	v_fmac_f32_e32 v103, v75, v78
	s_waitcnt lgkmcnt(0)
	v_mul_f32_e32 v105, v80, v85
	v_fma_f32 v102, v74, v78, -v47
	v_mul_f32_e32 v47, v81, v85
	ds_read2_b64 v[48:51], v46 offset0:37 offset1:38
	ds_read2_b64 v[52:55], v46 offset0:39 offset1:40
	;; [unrolled: 1-line block ×3, first 2 shown]
	ds_read_b64 v[60:61], v46 offset:344
	v_pk_mul_f32 v[64:65], v[82:83], v[64:65] op_sel:[1,0] op_sel_hi:[0,0]
	v_fmac_f32_e32 v105, v81, v84
	v_fma_f32 v104, v80, v84, -v47
	v_pk_add_f32 v[62:63], v[100:101], v[102:103]
	v_pk_fma_f32 v[66:67], v[82:83], v[86:87], v[64:65] neg_lo:[0,0,1] neg_hi:[0,0,1]
	v_pk_fma_f32 v[64:65], v[82:83], v[86:87], v[64:65] op_sel_hi:[1,0,1]
	v_pk_add_f32 v[62:63], v[62:63], v[104:105]
	v_mov_b32_e32 v67, v65
	v_pk_add_f32 v[62:63], v[62:63], v[66:67]
	s_waitcnt vmcnt(3) lgkmcnt(3)
	v_pk_mul_f32 v[64:65], v[48:49], v[88:89] op_sel:[1,1] op_sel_hi:[0,1]
	v_pk_fma_f32 v[66:67], v[48:49], v[88:89], v[64:65] neg_lo:[0,0,1] neg_hi:[0,0,1]
	v_pk_fma_f32 v[48:49], v[48:49], v[88:89], v[64:65] op_sel_hi:[1,0,1]
	s_nop 0
	v_mov_b32_e32 v67, v49
	v_pk_add_f32 v[48:49], v[62:63], v[66:67]
	v_mov_b32_e32 v62, v91
	v_pk_mul_f32 v[62:63], v[50:51], v[62:63] op_sel:[1,0] op_sel_hi:[0,0]
	v_pk_fma_f32 v[64:65], v[50:51], v[90:91], v[62:63] neg_lo:[0,0,1] neg_hi:[0,0,1]
	v_pk_fma_f32 v[50:51], v[50:51], v[90:91], v[62:63] op_sel_hi:[1,0,1]
	s_nop 0
	v_mov_b32_e32 v65, v51
	s_waitcnt vmcnt(2) lgkmcnt(2)
	v_pk_mul_f32 v[50:51], v[52:53], v[92:93] op_sel:[1,1] op_sel_hi:[0,1]
	v_pk_fma_f32 v[62:63], v[52:53], v[92:93], v[50:51] neg_lo:[0,0,1] neg_hi:[0,0,1]
	v_pk_fma_f32 v[50:51], v[52:53], v[92:93], v[50:51] op_sel_hi:[1,0,1]
	v_pk_add_f32 v[48:49], v[48:49], v[64:65]
	v_mov_b32_e32 v50, v95
	v_mov_b32_e32 v63, v51
	v_pk_mul_f32 v[50:51], v[54:55], v[50:51] op_sel:[1,0] op_sel_hi:[0,0]
	v_pk_fma_f32 v[52:53], v[54:55], v[94:95], v[50:51] neg_lo:[0,0,1] neg_hi:[0,0,1]
	v_pk_fma_f32 v[50:51], v[54:55], v[94:95], v[50:51] op_sel_hi:[1,0,1]
	v_pk_add_f32 v[48:49], v[48:49], v[62:63]
	v_mov_b32_e32 v53, v51
	s_waitcnt vmcnt(1) lgkmcnt(1)
	v_pk_mul_f32 v[50:51], v[56:57], v[96:97] op_sel:[1,1] op_sel_hi:[0,1]
	v_pk_add_f32 v[48:49], v[48:49], v[52:53]
	v_pk_fma_f32 v[52:53], v[56:57], v[96:97], v[50:51] neg_lo:[0,0,1] neg_hi:[0,0,1]
	v_pk_fma_f32 v[50:51], v[56:57], v[96:97], v[50:51] op_sel_hi:[1,0,1]
	s_nop 0
	v_mov_b32_e32 v50, v99
	v_mov_b32_e32 v53, v51
	v_pk_mul_f32 v[50:51], v[58:59], v[50:51] op_sel:[1,0] op_sel_hi:[0,0]
	v_pk_add_f32 v[48:49], v[48:49], v[52:53]
	v_pk_fma_f32 v[52:53], v[58:59], v[98:99], v[50:51] neg_lo:[0,0,1] neg_hi:[0,0,1]
	v_pk_fma_f32 v[50:51], v[58:59], v[98:99], v[50:51] op_sel_hi:[1,0,1]
	s_nop 0
	v_mov_b32_e32 v53, v51
	s_waitcnt vmcnt(0) lgkmcnt(0)
	v_pk_mul_f32 v[50:51], v[60:61], v[106:107] op_sel:[1,1] op_sel_hi:[0,1]
	v_pk_add_f32 v[48:49], v[48:49], v[52:53]
	v_pk_fma_f32 v[52:53], v[60:61], v[106:107], v[50:51] neg_lo:[0,0,1] neg_hi:[0,0,1]
	v_pk_fma_f32 v[50:51], v[60:61], v[106:107], v[50:51] op_sel_hi:[1,0,1]
	s_nop 0
	v_mov_b32_e32 v53, v51
	scratch_load_dwordx2 v[50:51], off, off offset:32
	v_pk_add_f32 v[48:49], v[48:49], v[52:53]
	s_waitcnt vmcnt(0)
	v_pk_add_f32 v[48:49], v[50:51], v[48:49] neg_lo:[0,1] neg_hi:[0,1]
	scratch_store_dwordx2 off, v[48:49], off offset:32
	s_and_saveexec_b64 s[0:1], vcc
	s_cbranch_execz .LBB21_139
; %bb.138:
	scratch_load_dwordx2 v[48:49], off, off offset:24
	v_mov_b32_e32 v47, v46
	scratch_store_dwordx2 off, v[46:47], off offset:24
	s_waitcnt vmcnt(1)
	ds_write_b64 v1, v[48:49]
.LBB21_139:
	s_or_b64 exec, exec, s[0:1]
	s_waitcnt lgkmcnt(0)
	; wave barrier
	ds_read_b128 v[48:51], v46 offset:208
	ds_read_b128 v[52:55], v46 offset:224
	;; [unrolled: 1-line block ×4, first 2 shown]
	scratch_load_dwordx4 v[64:67], off, off offset:32
	scratch_load_dwordx4 v[84:87], off, off offset:96
	v_cmp_lt_u32_e32 vcc, 2, v0
	s_waitcnt vmcnt(1) lgkmcnt(3)
	v_mul_f32_e32 v47, v48, v65
	v_fmac_f32_e32 v47, v49, v64
	v_mul_f32_e32 v68, v50, v67
	v_add_f32_e32 v47, 0, v47
	v_fmac_f32_e32 v68, v51, v66
	v_add_f32_e32 v47, v47, v68
	scratch_load_dwordx4 v[68:71], off, off offset:48
	s_waitcnt vmcnt(0) lgkmcnt(2)
	v_mul_f32_e32 v72, v52, v69
	v_fmac_f32_e32 v72, v53, v68
	v_add_f32_e32 v47, v47, v72
	v_mul_f32_e32 v72, v54, v71
	v_fmac_f32_e32 v72, v55, v70
	v_add_f32_e32 v47, v47, v72
	scratch_load_dwordx4 v[72:75], off, off offset:64
	s_waitcnt vmcnt(0) lgkmcnt(1)
	v_mul_f32_e32 v76, v56, v73
	v_fmac_f32_e32 v76, v57, v72
	v_add_f32_e32 v47, v47, v76
	v_mul_f32_e32 v76, v58, v75
	;; [unrolled: 8-line block ×3, first 2 shown]
	v_fmac_f32_e32 v80, v63, v78
	v_add_f32_e32 v105, v47, v80
	ds_read_b128 v[80:83], v46 offset:272
	scratch_load_dwordx4 v[88:91], off, off offset:112
	scratch_load_dwordx4 v[92:95], off, off offset:128
	;; [unrolled: 1-line block ×4, first 2 shown]
	v_mul_f32_e32 v47, v49, v65
	v_fma_f32 v47, v48, v64, -v47
	v_mul_f32_e32 v48, v51, v67
	v_add_f32_e32 v47, 0, v47
	v_fma_f32 v48, v50, v66, -v48
	v_add_f32_e32 v47, v47, v48
	v_mul_f32_e32 v48, v53, v69
	v_fma_f32 v48, v52, v68, -v48
	v_add_f32_e32 v47, v47, v48
	v_mul_f32_e32 v48, v55, v71
	v_fma_f32 v48, v54, v70, -v48
	v_add_f32_e32 v47, v47, v48
	v_mul_f32_e32 v48, v57, v73
	v_fma_f32 v48, v56, v72, -v48
	v_add_f32_e32 v47, v47, v48
	v_mul_f32_e32 v48, v59, v75
	v_fma_f32 v48, v58, v74, -v48
	v_add_f32_e32 v47, v47, v48
	v_mul_f32_e32 v48, v61, v77
	v_fma_f32 v48, v60, v76, -v48
	v_add_f32_e32 v47, v47, v48
	v_mul_f32_e32 v48, v63, v79
	v_fma_f32 v48, v62, v78, -v48
	v_add_f32_e32 v104, v47, v48
	ds_read_b128 v[48:51], v46 offset:288
	ds_read_b128 v[52:55], v46 offset:304
	;; [unrolled: 1-line block ×4, first 2 shown]
	s_waitcnt lgkmcnt(4)
	v_mul_f32_e32 v107, v80, v85
	v_mul_f32_e32 v47, v81, v85
	v_fmac_f32_e32 v107, v81, v84
	v_mul_f32_e32 v109, v82, v87
	v_fma_f32 v106, v80, v84, -v47
	v_mul_f32_e32 v47, v83, v87
	v_fmac_f32_e32 v109, v83, v86
	v_fma_f32 v108, v82, v86, -v47
	v_pk_add_f32 v[46:47], v[104:105], v[106:107]
	s_waitcnt vmcnt(3) lgkmcnt(3)
	v_pk_mul_f32 v[64:65], v[48:49], v[88:89] op_sel:[1,1] op_sel_hi:[0,1]
	v_pk_fma_f32 v[66:67], v[48:49], v[88:89], v[64:65] neg_lo:[0,0,1] neg_hi:[0,0,1]
	v_pk_fma_f32 v[48:49], v[48:49], v[88:89], v[64:65] op_sel_hi:[1,0,1]
	v_pk_add_f32 v[46:47], v[46:47], v[108:109]
	v_mov_b32_e32 v48, v91
	v_mov_b32_e32 v67, v49
	v_pk_mul_f32 v[48:49], v[50:51], v[48:49] op_sel:[1,0] op_sel_hi:[0,0]
	v_pk_fma_f32 v[64:65], v[50:51], v[90:91], v[48:49] neg_lo:[0,0,1] neg_hi:[0,0,1]
	v_pk_fma_f32 v[48:49], v[50:51], v[90:91], v[48:49] op_sel_hi:[1,0,1]
	v_pk_add_f32 v[46:47], v[46:47], v[66:67]
	v_mov_b32_e32 v65, v49
	s_waitcnt vmcnt(2) lgkmcnt(2)
	v_pk_mul_f32 v[48:49], v[52:53], v[92:93] op_sel:[1,1] op_sel_hi:[0,1]
	v_pk_fma_f32 v[50:51], v[52:53], v[92:93], v[48:49] neg_lo:[0,0,1] neg_hi:[0,0,1]
	v_pk_fma_f32 v[48:49], v[52:53], v[92:93], v[48:49] op_sel_hi:[1,0,1]
	v_pk_add_f32 v[46:47], v[46:47], v[64:65]
	v_mov_b32_e32 v48, v95
	v_mov_b32_e32 v51, v49
	v_pk_mul_f32 v[48:49], v[54:55], v[48:49] op_sel:[1,0] op_sel_hi:[0,0]
	v_pk_add_f32 v[46:47], v[46:47], v[50:51]
	v_pk_fma_f32 v[50:51], v[54:55], v[94:95], v[48:49] neg_lo:[0,0,1] neg_hi:[0,0,1]
	v_pk_fma_f32 v[48:49], v[54:55], v[94:95], v[48:49] op_sel_hi:[1,0,1]
	s_nop 0
	v_mov_b32_e32 v51, v49
	s_waitcnt vmcnt(1) lgkmcnt(1)
	v_pk_mul_f32 v[48:49], v[56:57], v[96:97] op_sel:[1,1] op_sel_hi:[0,1]
	v_pk_add_f32 v[46:47], v[46:47], v[50:51]
	v_pk_fma_f32 v[50:51], v[56:57], v[96:97], v[48:49] neg_lo:[0,0,1] neg_hi:[0,0,1]
	v_pk_fma_f32 v[48:49], v[56:57], v[96:97], v[48:49] op_sel_hi:[1,0,1]
	s_nop 0
	v_mov_b32_e32 v48, v99
	v_mov_b32_e32 v51, v49
	v_pk_mul_f32 v[48:49], v[58:59], v[48:49] op_sel:[1,0] op_sel_hi:[0,0]
	v_pk_add_f32 v[46:47], v[46:47], v[50:51]
	v_pk_fma_f32 v[50:51], v[58:59], v[98:99], v[48:49] neg_lo:[0,0,1] neg_hi:[0,0,1]
	v_pk_fma_f32 v[48:49], v[58:59], v[98:99], v[48:49] op_sel_hi:[1,0,1]
	s_nop 0
	v_mov_b32_e32 v51, v49
	s_waitcnt vmcnt(0) lgkmcnt(0)
	v_pk_mul_f32 v[48:49], v[60:61], v[100:101] op_sel:[1,1] op_sel_hi:[0,1]
	v_pk_add_f32 v[46:47], v[46:47], v[50:51]
	v_pk_fma_f32 v[50:51], v[60:61], v[100:101], v[48:49] neg_lo:[0,0,1] neg_hi:[0,0,1]
	v_pk_fma_f32 v[48:49], v[60:61], v[100:101], v[48:49] op_sel_hi:[1,0,1]
	s_nop 0
	v_mov_b32_e32 v48, v103
	v_mov_b32_e32 v51, v49
	v_pk_mul_f32 v[48:49], v[62:63], v[48:49] op_sel:[1,0] op_sel_hi:[0,0]
	v_pk_add_f32 v[46:47], v[46:47], v[50:51]
	v_pk_fma_f32 v[50:51], v[62:63], v[102:103], v[48:49] neg_lo:[0,0,1] neg_hi:[0,0,1]
	v_pk_fma_f32 v[48:49], v[62:63], v[102:103], v[48:49] op_sel_hi:[1,0,1]
	s_nop 0
	v_mov_b32_e32 v51, v49
	scratch_load_dwordx2 v[48:49], off, off offset:24
	v_pk_add_f32 v[46:47], v[46:47], v[50:51]
	s_waitcnt vmcnt(0)
	v_pk_add_f32 v[46:47], v[48:49], v[46:47] neg_lo:[0,1] neg_hi:[0,1]
	scratch_store_dwordx2 off, v[46:47], off offset:24
	s_and_saveexec_b64 s[0:1], vcc
	s_cbranch_execz .LBB21_141
; %bb.140:
	scratch_load_dwordx2 v[46:47], off, off offset:16
	v_mov_b32_e32 v48, 0
	v_mov_b32_e32 v49, v48
	scratch_store_dwordx2 off, v[48:49], off offset:16
	s_waitcnt vmcnt(1)
	ds_write_b64 v1, v[46:47]
.LBB21_141:
	s_or_b64 exec, exec, s[0:1]
	s_waitcnt lgkmcnt(0)
	; wave barrier
	scratch_load_dwordx4 v[52:55], off, off offset:24
	scratch_load_dwordx4 v[60:63], off, off offset:40
	;; [unrolled: 1-line block ×6, first 2 shown]
	v_mov_b32_e32 v46, 0
	ds_read2_b64 v[48:51], v46 offset0:25 offset1:26
	v_cmp_lt_u32_e32 vcc, 1, v0
	s_waitcnt vmcnt(5) lgkmcnt(0)
	v_mul_f32_e32 v47, v48, v53
	v_fmac_f32_e32 v47, v49, v52
	v_mul_f32_e32 v56, v50, v55
	v_add_f32_e32 v47, 0, v47
	v_fmac_f32_e32 v56, v51, v54
	v_add_f32_e32 v47, v47, v56
	ds_read2_b64 v[56:59], v46 offset0:27 offset1:28
	s_waitcnt vmcnt(4) lgkmcnt(0)
	v_mul_f32_e32 v64, v56, v61
	v_fmac_f32_e32 v64, v57, v60
	v_add_f32_e32 v47, v47, v64
	v_mul_f32_e32 v64, v58, v63
	v_fmac_f32_e32 v64, v59, v62
	v_add_f32_e32 v47, v47, v64
	ds_read2_b64 v[64:67], v46 offset0:29 offset1:30
	s_waitcnt vmcnt(3) lgkmcnt(0)
	v_mul_f32_e32 v72, v64, v69
	v_fmac_f32_e32 v72, v65, v68
	v_add_f32_e32 v47, v47, v72
	v_mul_f32_e32 v72, v66, v71
	;; [unrolled: 8-line block ×3, first 2 shown]
	v_fmac_f32_e32 v80, v75, v78
	v_add_f32_e32 v47, v47, v80
	ds_read2_b64 v[80:83], v46 offset0:33 offset1:34
	s_waitcnt vmcnt(1) lgkmcnt(0)
	v_mul_f32_e32 v88, v80, v85
	v_fmac_f32_e32 v88, v81, v84
	v_add_f32_e32 v109, v47, v88
	ds_read2_b64 v[88:91], v46 offset0:35 offset1:36
	scratch_load_dwordx4 v[96:99], off, off offset:120
	scratch_load_dwordx4 v[100:103], off, off offset:136
	;; [unrolled: 1-line block ×3, first 2 shown]
	scratch_load_dwordx2 v[114:115], off, off offset:168
	v_mul_f32_e32 v47, v49, v53
	v_fma_f32 v47, v48, v52, -v47
	v_mul_f32_e32 v48, v51, v55
	v_add_f32_e32 v47, 0, v47
	v_fma_f32 v48, v50, v54, -v48
	v_add_f32_e32 v47, v47, v48
	v_mul_f32_e32 v48, v57, v61
	v_fma_f32 v48, v56, v60, -v48
	v_add_f32_e32 v47, v47, v48
	v_mul_f32_e32 v48, v59, v63
	;; [unrolled: 3-line block ×7, first 2 shown]
	v_fma_f32 v48, v80, v84, -v48
	v_mul_f32_e32 v111, v82, v87
	v_add_f32_e32 v108, v47, v48
	v_mul_f32_e32 v47, v83, v87
	s_waitcnt vmcnt(4)
	v_mov_b32_e32 v64, v95
	v_fmac_f32_e32 v111, v83, v86
	s_waitcnt lgkmcnt(0)
	v_mul_f32_e32 v113, v88, v93
	v_fma_f32 v110, v82, v86, -v47
	v_mul_f32_e32 v47, v89, v93
	ds_read2_b64 v[48:51], v46 offset0:37 offset1:38
	ds_read2_b64 v[52:55], v46 offset0:39 offset1:40
	;; [unrolled: 1-line block ×3, first 2 shown]
	ds_read_b64 v[60:61], v46 offset:344
	v_pk_mul_f32 v[64:65], v[90:91], v[64:65] op_sel:[1,0] op_sel_hi:[0,0]
	v_fmac_f32_e32 v113, v89, v92
	v_fma_f32 v112, v88, v92, -v47
	v_pk_add_f32 v[62:63], v[108:109], v[110:111]
	v_pk_fma_f32 v[66:67], v[90:91], v[94:95], v[64:65] neg_lo:[0,0,1] neg_hi:[0,0,1]
	v_pk_fma_f32 v[64:65], v[90:91], v[94:95], v[64:65] op_sel_hi:[1,0,1]
	v_pk_add_f32 v[62:63], v[62:63], v[112:113]
	v_mov_b32_e32 v67, v65
	v_pk_add_f32 v[62:63], v[62:63], v[66:67]
	s_waitcnt vmcnt(3) lgkmcnt(3)
	v_pk_mul_f32 v[64:65], v[48:49], v[96:97] op_sel:[1,1] op_sel_hi:[0,1]
	v_pk_fma_f32 v[66:67], v[48:49], v[96:97], v[64:65] neg_lo:[0,0,1] neg_hi:[0,0,1]
	v_pk_fma_f32 v[48:49], v[48:49], v[96:97], v[64:65] op_sel_hi:[1,0,1]
	s_nop 0
	v_mov_b32_e32 v67, v49
	v_pk_add_f32 v[48:49], v[62:63], v[66:67]
	v_mov_b32_e32 v62, v99
	v_pk_mul_f32 v[62:63], v[50:51], v[62:63] op_sel:[1,0] op_sel_hi:[0,0]
	v_pk_fma_f32 v[64:65], v[50:51], v[98:99], v[62:63] neg_lo:[0,0,1] neg_hi:[0,0,1]
	v_pk_fma_f32 v[50:51], v[50:51], v[98:99], v[62:63] op_sel_hi:[1,0,1]
	s_nop 0
	v_mov_b32_e32 v65, v51
	s_waitcnt vmcnt(2) lgkmcnt(2)
	v_pk_mul_f32 v[50:51], v[52:53], v[100:101] op_sel:[1,1] op_sel_hi:[0,1]
	v_pk_fma_f32 v[62:63], v[52:53], v[100:101], v[50:51] neg_lo:[0,0,1] neg_hi:[0,0,1]
	v_pk_fma_f32 v[50:51], v[52:53], v[100:101], v[50:51] op_sel_hi:[1,0,1]
	v_pk_add_f32 v[48:49], v[48:49], v[64:65]
	v_mov_b32_e32 v50, v103
	v_mov_b32_e32 v63, v51
	v_pk_mul_f32 v[50:51], v[54:55], v[50:51] op_sel:[1,0] op_sel_hi:[0,0]
	v_pk_fma_f32 v[52:53], v[54:55], v[102:103], v[50:51] neg_lo:[0,0,1] neg_hi:[0,0,1]
	v_pk_fma_f32 v[50:51], v[54:55], v[102:103], v[50:51] op_sel_hi:[1,0,1]
	v_pk_add_f32 v[48:49], v[48:49], v[62:63]
	v_mov_b32_e32 v53, v51
	s_waitcnt vmcnt(1) lgkmcnt(1)
	v_pk_mul_f32 v[50:51], v[56:57], v[104:105] op_sel:[1,1] op_sel_hi:[0,1]
	v_pk_add_f32 v[48:49], v[48:49], v[52:53]
	v_pk_fma_f32 v[52:53], v[56:57], v[104:105], v[50:51] neg_lo:[0,0,1] neg_hi:[0,0,1]
	v_pk_fma_f32 v[50:51], v[56:57], v[104:105], v[50:51] op_sel_hi:[1,0,1]
	s_nop 0
	v_mov_b32_e32 v50, v107
	v_mov_b32_e32 v53, v51
	v_pk_mul_f32 v[50:51], v[58:59], v[50:51] op_sel:[1,0] op_sel_hi:[0,0]
	v_pk_add_f32 v[48:49], v[48:49], v[52:53]
	v_pk_fma_f32 v[52:53], v[58:59], v[106:107], v[50:51] neg_lo:[0,0,1] neg_hi:[0,0,1]
	v_pk_fma_f32 v[50:51], v[58:59], v[106:107], v[50:51] op_sel_hi:[1,0,1]
	s_nop 0
	v_mov_b32_e32 v53, v51
	s_waitcnt vmcnt(0) lgkmcnt(0)
	v_pk_mul_f32 v[50:51], v[60:61], v[114:115] op_sel:[1,1] op_sel_hi:[0,1]
	v_pk_add_f32 v[48:49], v[48:49], v[52:53]
	v_pk_fma_f32 v[52:53], v[60:61], v[114:115], v[50:51] neg_lo:[0,0,1] neg_hi:[0,0,1]
	v_pk_fma_f32 v[50:51], v[60:61], v[114:115], v[50:51] op_sel_hi:[1,0,1]
	s_nop 0
	v_mov_b32_e32 v53, v51
	scratch_load_dwordx2 v[50:51], off, off offset:16
	v_pk_add_f32 v[48:49], v[48:49], v[52:53]
	s_waitcnt vmcnt(0)
	v_pk_add_f32 v[48:49], v[50:51], v[48:49] neg_lo:[0,1] neg_hi:[0,1]
	scratch_store_dwordx2 off, v[48:49], off offset:16
	s_and_saveexec_b64 s[0:1], vcc
	s_cbranch_execz .LBB21_143
; %bb.142:
	scratch_load_dwordx2 v[48:49], off, off offset:8
	v_mov_b32_e32 v47, v46
	scratch_store_dwordx2 off, v[46:47], off offset:8
	s_waitcnt vmcnt(1)
	ds_write_b64 v1, v[48:49]
.LBB21_143:
	s_or_b64 exec, exec, s[0:1]
	s_waitcnt lgkmcnt(0)
	; wave barrier
	ds_read_b128 v[48:51], v46 offset:192
	ds_read_b128 v[52:55], v46 offset:208
	;; [unrolled: 1-line block ×4, first 2 shown]
	scratch_load_dwordx4 v[64:67], off, off offset:16
	scratch_load_dwordx4 v[84:87], off, off offset:80
	v_cmp_ne_u32_e32 vcc, 0, v0
	scratch_load_dwordx4 v[92:95], off, off offset:96
	s_waitcnt vmcnt(2) lgkmcnt(3)
	v_mul_f32_e32 v47, v48, v65
	v_fmac_f32_e32 v47, v49, v64
	v_mul_f32_e32 v68, v50, v67
	v_add_f32_e32 v47, 0, v47
	v_fmac_f32_e32 v68, v51, v66
	v_add_f32_e32 v47, v47, v68
	scratch_load_dwordx4 v[68:71], off, off offset:32
	s_waitcnt vmcnt(0) lgkmcnt(2)
	v_mul_f32_e32 v72, v52, v69
	v_fmac_f32_e32 v72, v53, v68
	v_add_f32_e32 v47, v47, v72
	v_mul_f32_e32 v72, v54, v71
	v_fmac_f32_e32 v72, v55, v70
	v_add_f32_e32 v47, v47, v72
	scratch_load_dwordx4 v[72:75], off, off offset:48
	s_waitcnt vmcnt(0) lgkmcnt(1)
	v_mul_f32_e32 v76, v56, v73
	v_fmac_f32_e32 v76, v57, v72
	v_add_f32_e32 v47, v47, v76
	v_mul_f32_e32 v76, v58, v75
	;; [unrolled: 8-line block ×3, first 2 shown]
	v_fmac_f32_e32 v80, v63, v78
	v_add_f32_e32 v47, v47, v80
	ds_read_b128 v[80:83], v46 offset:256
	s_waitcnt lgkmcnt(0)
	v_mul_f32_e32 v88, v80, v85
	v_fmac_f32_e32 v88, v81, v84
	v_add_f32_e32 v47, v47, v88
	v_mul_f32_e32 v88, v82, v87
	v_fmac_f32_e32 v88, v83, v86
	v_add_f32_e32 v113, v47, v88
	ds_read_b128 v[88:91], v46 offset:272
	scratch_load_dwordx4 v[96:99], off, off offset:112
	scratch_load_dwordx4 v[100:103], off, off offset:128
	;; [unrolled: 1-line block ×4, first 2 shown]
	v_mul_f32_e32 v47, v49, v65
	v_fma_f32 v47, v48, v64, -v47
	v_mul_f32_e32 v48, v51, v67
	v_add_f32_e32 v47, 0, v47
	v_fma_f32 v48, v50, v66, -v48
	v_add_f32_e32 v47, v47, v48
	v_mul_f32_e32 v48, v53, v69
	v_fma_f32 v48, v52, v68, -v48
	v_add_f32_e32 v47, v47, v48
	v_mul_f32_e32 v48, v55, v71
	;; [unrolled: 3-line block ×8, first 2 shown]
	v_fma_f32 v48, v82, v86, -v48
	v_add_f32_e32 v112, v47, v48
	ds_read_b128 v[48:51], v46 offset:288
	ds_read_b128 v[52:55], v46 offset:304
	;; [unrolled: 1-line block ×4, first 2 shown]
	s_waitcnt lgkmcnt(4)
	v_mul_f32_e32 v115, v88, v93
	v_mul_f32_e32 v47, v89, v93
	v_fmac_f32_e32 v115, v89, v92
	v_mul_f32_e32 v117, v90, v95
	v_fma_f32 v114, v88, v92, -v47
	v_mul_f32_e32 v47, v91, v95
	v_fmac_f32_e32 v117, v91, v94
	v_fma_f32 v116, v90, v94, -v47
	v_pk_add_f32 v[46:47], v[112:113], v[114:115]
	s_waitcnt vmcnt(3) lgkmcnt(3)
	v_pk_mul_f32 v[64:65], v[48:49], v[96:97] op_sel:[1,1] op_sel_hi:[0,1]
	v_pk_fma_f32 v[66:67], v[48:49], v[96:97], v[64:65] neg_lo:[0,0,1] neg_hi:[0,0,1]
	v_pk_fma_f32 v[48:49], v[48:49], v[96:97], v[64:65] op_sel_hi:[1,0,1]
	v_pk_add_f32 v[46:47], v[46:47], v[116:117]
	v_mov_b32_e32 v48, v99
	v_mov_b32_e32 v67, v49
	v_pk_mul_f32 v[48:49], v[50:51], v[48:49] op_sel:[1,0] op_sel_hi:[0,0]
	v_pk_fma_f32 v[64:65], v[50:51], v[98:99], v[48:49] neg_lo:[0,0,1] neg_hi:[0,0,1]
	v_pk_fma_f32 v[48:49], v[50:51], v[98:99], v[48:49] op_sel_hi:[1,0,1]
	v_pk_add_f32 v[46:47], v[46:47], v[66:67]
	v_mov_b32_e32 v65, v49
	s_waitcnt vmcnt(2) lgkmcnt(2)
	v_pk_mul_f32 v[48:49], v[52:53], v[100:101] op_sel:[1,1] op_sel_hi:[0,1]
	v_pk_fma_f32 v[50:51], v[52:53], v[100:101], v[48:49] neg_lo:[0,0,1] neg_hi:[0,0,1]
	v_pk_fma_f32 v[48:49], v[52:53], v[100:101], v[48:49] op_sel_hi:[1,0,1]
	v_pk_add_f32 v[46:47], v[46:47], v[64:65]
	v_mov_b32_e32 v48, v103
	v_mov_b32_e32 v51, v49
	v_pk_mul_f32 v[48:49], v[54:55], v[48:49] op_sel:[1,0] op_sel_hi:[0,0]
	v_pk_add_f32 v[46:47], v[46:47], v[50:51]
	v_pk_fma_f32 v[50:51], v[54:55], v[102:103], v[48:49] neg_lo:[0,0,1] neg_hi:[0,0,1]
	v_pk_fma_f32 v[48:49], v[54:55], v[102:103], v[48:49] op_sel_hi:[1,0,1]
	s_nop 0
	v_mov_b32_e32 v51, v49
	s_waitcnt vmcnt(1) lgkmcnt(1)
	v_pk_mul_f32 v[48:49], v[56:57], v[104:105] op_sel:[1,1] op_sel_hi:[0,1]
	v_pk_add_f32 v[46:47], v[46:47], v[50:51]
	v_pk_fma_f32 v[50:51], v[56:57], v[104:105], v[48:49] neg_lo:[0,0,1] neg_hi:[0,0,1]
	v_pk_fma_f32 v[48:49], v[56:57], v[104:105], v[48:49] op_sel_hi:[1,0,1]
	s_nop 0
	v_mov_b32_e32 v48, v107
	v_mov_b32_e32 v51, v49
	v_pk_mul_f32 v[48:49], v[58:59], v[48:49] op_sel:[1,0] op_sel_hi:[0,0]
	v_pk_add_f32 v[46:47], v[46:47], v[50:51]
	v_pk_fma_f32 v[50:51], v[58:59], v[106:107], v[48:49] neg_lo:[0,0,1] neg_hi:[0,0,1]
	v_pk_fma_f32 v[48:49], v[58:59], v[106:107], v[48:49] op_sel_hi:[1,0,1]
	s_nop 0
	v_mov_b32_e32 v51, v49
	s_waitcnt vmcnt(0) lgkmcnt(0)
	v_pk_mul_f32 v[48:49], v[60:61], v[108:109] op_sel:[1,1] op_sel_hi:[0,1]
	v_pk_add_f32 v[46:47], v[46:47], v[50:51]
	v_pk_fma_f32 v[50:51], v[60:61], v[108:109], v[48:49] neg_lo:[0,0,1] neg_hi:[0,0,1]
	v_pk_fma_f32 v[48:49], v[60:61], v[108:109], v[48:49] op_sel_hi:[1,0,1]
	s_nop 0
	v_mov_b32_e32 v48, v111
	v_mov_b32_e32 v51, v49
	v_pk_mul_f32 v[48:49], v[62:63], v[48:49] op_sel:[1,0] op_sel_hi:[0,0]
	v_pk_add_f32 v[46:47], v[46:47], v[50:51]
	v_pk_fma_f32 v[50:51], v[62:63], v[110:111], v[48:49] neg_lo:[0,0,1] neg_hi:[0,0,1]
	v_pk_fma_f32 v[48:49], v[62:63], v[110:111], v[48:49] op_sel_hi:[1,0,1]
	s_nop 0
	v_mov_b32_e32 v51, v49
	scratch_load_dwordx2 v[48:49], off, off offset:8
	v_pk_add_f32 v[46:47], v[46:47], v[50:51]
	s_waitcnt vmcnt(0)
	v_pk_add_f32 v[46:47], v[48:49], v[46:47] neg_lo:[0,1] neg_hi:[0,1]
	scratch_store_dwordx2 off, v[46:47], off offset:8
	s_and_saveexec_b64 s[0:1], vcc
	s_cbranch_execz .LBB21_145
; %bb.144:
	scratch_load_dwordx2 v[46:47], off, off
	v_mov_b32_e32 v48, 0
	v_mov_b32_e32 v49, v48
	scratch_store_dwordx2 off, v[48:49], off
	s_waitcnt vmcnt(1)
	ds_write_b64 v1, v[46:47]
.LBB21_145:
	s_or_b64 exec, exec, s[0:1]
	s_waitcnt lgkmcnt(0)
	; wave barrier
	scratch_load_dwordx4 v[52:55], off, off offset:8
	scratch_load_dwordx4 v[60:63], off, off offset:24
	;; [unrolled: 1-line block ×7, first 2 shown]
	v_mov_b32_e32 v46, 0
	ds_read2_b64 v[48:51], v46 offset0:23 offset1:24
	ds_read2_b64 v[56:59], v46 offset0:25 offset1:26
	;; [unrolled: 1-line block ×7, first 2 shown]
	scratch_load_dwordx4 v[104:107], off, off offset:120
	scratch_load_dwordx4 v[108:111], off, off offset:136
	;; [unrolled: 1-line block ×3, first 2 shown]
	scratch_load_dwordx2 v[120:121], off, off offset:168
	s_and_b64 vcc, exec, s[18:19]
	s_waitcnt vmcnt(10) lgkmcnt(6)
	v_mul_f32_e32 v0, v48, v53
	v_fmac_f32_e32 v0, v49, v52
	v_mul_f32_e32 v1, v50, v55
	v_add_f32_e32 v0, 0, v0
	v_fmac_f32_e32 v1, v51, v54
	v_add_f32_e32 v0, v0, v1
	s_waitcnt vmcnt(9) lgkmcnt(5)
	v_mul_f32_e32 v1, v56, v61
	v_fmac_f32_e32 v1, v57, v60
	v_add_f32_e32 v0, v0, v1
	v_mul_f32_e32 v1, v58, v63
	v_fmac_f32_e32 v1, v59, v62
	v_add_f32_e32 v0, v0, v1
	s_waitcnt vmcnt(8) lgkmcnt(4)
	v_mul_f32_e32 v1, v64, v69
	v_fmac_f32_e32 v1, v65, v68
	v_add_f32_e32 v0, v0, v1
	v_mul_f32_e32 v1, v66, v71
	;; [unrolled: 7-line block ×5, first 2 shown]
	v_fma_f32 v0, v48, v52, -v0
	v_mul_f32_e32 v47, v51, v55
	v_add_f32_e32 v0, 0, v0
	v_fma_f32 v47, v50, v54, -v47
	v_add_f32_e32 v0, v0, v47
	v_mul_f32_e32 v47, v57, v61
	v_fma_f32 v47, v56, v60, -v47
	v_add_f32_e32 v0, v0, v47
	v_mul_f32_e32 v47, v59, v63
	;; [unrolled: 3-line block ×9, first 2 shown]
	v_fma_f32 v47, v88, v92, -v47
	v_mul_f32_e32 v117, v90, v95
	v_add_f32_e32 v0, v0, v47
	v_mul_f32_e32 v47, v91, v95
	s_waitcnt vmcnt(4)
	v_mov_b32_e32 v62, v103
	v_fmac_f32_e32 v117, v91, v94
	s_waitcnt lgkmcnt(0)
	v_mul_f32_e32 v119, v96, v101
	v_fma_f32 v116, v90, v94, -v47
	v_mul_f32_e32 v47, v97, v101
	ds_read2_b64 v[48:51], v46 offset0:37 offset1:38
	ds_read2_b64 v[52:55], v46 offset0:39 offset1:40
	;; [unrolled: 1-line block ×3, first 2 shown]
	ds_read_b64 v[60:61], v46 offset:344
	v_pk_mul_f32 v[62:63], v[98:99], v[62:63] op_sel:[1,0] op_sel_hi:[0,0]
	v_fmac_f32_e32 v119, v97, v100
	v_fma_f32 v118, v96, v100, -v47
	v_pk_add_f32 v[0:1], v[0:1], v[116:117]
	v_pk_fma_f32 v[64:65], v[98:99], v[102:103], v[62:63] neg_lo:[0,0,1] neg_hi:[0,0,1]
	v_pk_fma_f32 v[62:63], v[98:99], v[102:103], v[62:63] op_sel_hi:[1,0,1]
	v_pk_add_f32 v[0:1], v[0:1], v[118:119]
	v_mov_b32_e32 v65, v63
	s_waitcnt vmcnt(3) lgkmcnt(3)
	v_pk_mul_f32 v[62:63], v[48:49], v[104:105] op_sel:[1,1] op_sel_hi:[0,1]
	v_pk_add_f32 v[0:1], v[0:1], v[64:65]
	v_pk_fma_f32 v[64:65], v[48:49], v[104:105], v[62:63] neg_lo:[0,0,1] neg_hi:[0,0,1]
	v_pk_fma_f32 v[48:49], v[48:49], v[104:105], v[62:63] op_sel_hi:[1,0,1]
	s_nop 0
	v_mov_b32_e32 v48, v107
	v_mov_b32_e32 v65, v49
	v_pk_mul_f32 v[48:49], v[50:51], v[48:49] op_sel:[1,0] op_sel_hi:[0,0]
	v_pk_fma_f32 v[62:63], v[50:51], v[106:107], v[48:49] neg_lo:[0,0,1] neg_hi:[0,0,1]
	v_pk_fma_f32 v[48:49], v[50:51], v[106:107], v[48:49] op_sel_hi:[1,0,1]
	v_pk_add_f32 v[0:1], v[0:1], v[64:65]
	v_mov_b32_e32 v63, v49
	s_waitcnt vmcnt(2) lgkmcnt(2)
	v_pk_mul_f32 v[48:49], v[52:53], v[108:109] op_sel:[1,1] op_sel_hi:[0,1]
	v_pk_fma_f32 v[50:51], v[52:53], v[108:109], v[48:49] neg_lo:[0,0,1] neg_hi:[0,0,1]
	v_pk_fma_f32 v[48:49], v[52:53], v[108:109], v[48:49] op_sel_hi:[1,0,1]
	v_pk_add_f32 v[0:1], v[0:1], v[62:63]
	v_mov_b32_e32 v48, v111
	v_mov_b32_e32 v51, v49
	v_pk_mul_f32 v[48:49], v[54:55], v[48:49] op_sel:[1,0] op_sel_hi:[0,0]
	v_pk_add_f32 v[0:1], v[0:1], v[50:51]
	v_pk_fma_f32 v[50:51], v[54:55], v[110:111], v[48:49] neg_lo:[0,0,1] neg_hi:[0,0,1]
	v_pk_fma_f32 v[48:49], v[54:55], v[110:111], v[48:49] op_sel_hi:[1,0,1]
	s_nop 0
	v_mov_b32_e32 v51, v49
	s_waitcnt vmcnt(1) lgkmcnt(1)
	v_pk_mul_f32 v[48:49], v[56:57], v[112:113] op_sel:[1,1] op_sel_hi:[0,1]
	v_pk_add_f32 v[0:1], v[0:1], v[50:51]
	v_pk_fma_f32 v[50:51], v[56:57], v[112:113], v[48:49] neg_lo:[0,0,1] neg_hi:[0,0,1]
	v_pk_fma_f32 v[48:49], v[56:57], v[112:113], v[48:49] op_sel_hi:[1,0,1]
	s_nop 0
	v_mov_b32_e32 v48, v115
	v_mov_b32_e32 v51, v49
	v_pk_mul_f32 v[48:49], v[58:59], v[48:49] op_sel:[1,0] op_sel_hi:[0,0]
	v_pk_add_f32 v[0:1], v[0:1], v[50:51]
	v_pk_fma_f32 v[50:51], v[58:59], v[114:115], v[48:49] neg_lo:[0,0,1] neg_hi:[0,0,1]
	v_pk_fma_f32 v[48:49], v[58:59], v[114:115], v[48:49] op_sel_hi:[1,0,1]
	s_nop 0
	v_mov_b32_e32 v51, v49
	s_waitcnt vmcnt(0) lgkmcnt(0)
	v_pk_mul_f32 v[48:49], v[60:61], v[120:121] op_sel:[1,1] op_sel_hi:[0,1]
	v_pk_add_f32 v[0:1], v[0:1], v[50:51]
	v_pk_fma_f32 v[50:51], v[60:61], v[120:121], v[48:49] neg_lo:[0,0,1] neg_hi:[0,0,1]
	v_pk_fma_f32 v[48:49], v[60:61], v[120:121], v[48:49] op_sel_hi:[1,0,1]
	s_nop 0
	v_mov_b32_e32 v51, v49
	scratch_load_dwordx2 v[48:49], off, off
	v_pk_add_f32 v[0:1], v[0:1], v[50:51]
	s_waitcnt vmcnt(0)
	v_pk_add_f32 v[0:1], v[48:49], v[0:1] neg_lo:[0,1] neg_hi:[0,1]
	scratch_store_dwordx2 off, v[0:1], off
	s_cbranch_vccz .LBB21_188
; %bb.146:
	global_load_dword v0, v46, s[16:17] offset:80
	s_waitcnt vmcnt(0)
	v_readfirstlane_b32 s0, v0
	s_add_i32 s0, s0, -1
	s_cmp_lg_u32 s0, 20
	s_cbranch_scc0 .LBB21_148
; %bb.147:
	s_lshl_b32 s0, s0, 3
	s_nop 0
	scratch_load_dwordx2 v[0:1], off, s0
	scratch_load_dwordx2 v[46:47], off, off offset:160
	s_waitcnt vmcnt(1)
	scratch_store_dwordx2 off, v[0:1], off offset:160
	s_waitcnt vmcnt(1)
	scratch_store_dwordx2 off, v[46:47], s0
.LBB21_148:
	v_mov_b32_e32 v0, 0
	global_load_dword v1, v0, s[16:17] offset:76
	s_waitcnt vmcnt(0)
	v_readfirstlane_b32 s0, v1
	s_add_i32 s0, s0, -1
	s_cmp_eq_u32 s0, 19
	s_cbranch_scc1 .LBB21_150
; %bb.149:
	s_lshl_b32 s0, s0, 3
	s_nop 0
	scratch_load_dwordx2 v[46:47], off, s0
	scratch_load_dwordx2 v[48:49], off, off offset:152
	s_waitcnt vmcnt(1)
	scratch_store_dwordx2 off, v[46:47], off offset:152
	s_waitcnt vmcnt(1)
	scratch_store_dwordx2 off, v[48:49], s0
.LBB21_150:
	global_load_dword v0, v0, s[16:17] offset:72
	s_waitcnt vmcnt(0)
	v_readfirstlane_b32 s0, v0
	s_add_i32 s0, s0, -1
	s_cmp_eq_u32 s0, 18
	s_cbranch_scc1 .LBB21_152
; %bb.151:
	s_lshl_b32 s0, s0, 3
	s_nop 0
	scratch_load_dwordx2 v[0:1], off, s0
	scratch_load_dwordx2 v[46:47], off, off offset:144
	s_waitcnt vmcnt(1)
	scratch_store_dwordx2 off, v[0:1], off offset:144
	s_waitcnt vmcnt(1)
	scratch_store_dwordx2 off, v[46:47], s0
.LBB21_152:
	v_mov_b32_e32 v0, 0
	global_load_dword v1, v0, s[16:17] offset:68
	s_waitcnt vmcnt(0)
	v_readfirstlane_b32 s0, v1
	s_add_i32 s0, s0, -1
	s_cmp_eq_u32 s0, 17
	s_cbranch_scc1 .LBB21_154
; %bb.153:
	s_lshl_b32 s0, s0, 3
	s_nop 0
	scratch_load_dwordx2 v[46:47], off, s0
	scratch_load_dwordx2 v[48:49], off, off offset:136
	s_waitcnt vmcnt(1)
	scratch_store_dwordx2 off, v[46:47], off offset:136
	s_waitcnt vmcnt(1)
	scratch_store_dwordx2 off, v[48:49], s0
.LBB21_154:
	global_load_dword v0, v0, s[16:17] offset:64
	s_waitcnt vmcnt(0)
	v_readfirstlane_b32 s0, v0
	s_add_i32 s0, s0, -1
	s_cmp_eq_u32 s0, 16
	s_cbranch_scc1 .LBB21_156
; %bb.155:
	s_lshl_b32 s0, s0, 3
	s_nop 0
	scratch_load_dwordx2 v[0:1], off, s0
	scratch_load_dwordx2 v[46:47], off, off offset:128
	s_waitcnt vmcnt(1)
	scratch_store_dwordx2 off, v[0:1], off offset:128
	s_waitcnt vmcnt(1)
	scratch_store_dwordx2 off, v[46:47], s0
.LBB21_156:
	;; [unrolled: 33-line block ×9, first 2 shown]
	v_mov_b32_e32 v0, 0
	global_load_dword v1, v0, s[16:17] offset:4
	s_waitcnt vmcnt(0)
	v_readfirstlane_b32 s0, v1
	s_add_i32 s0, s0, -1
	s_cmp_eq_u32 s0, 1
	s_cbranch_scc1 .LBB21_186
; %bb.185:
	s_lshl_b32 s0, s0, 3
	s_nop 0
	scratch_load_dwordx2 v[46:47], off, s0
	scratch_load_dwordx2 v[48:49], off, off offset:8
	s_waitcnt vmcnt(1)
	scratch_store_dwordx2 off, v[46:47], off offset:8
	s_waitcnt vmcnt(1)
	scratch_store_dwordx2 off, v[48:49], s0
.LBB21_186:
	global_load_dword v46, v0, s[16:17]
	s_nop 0
	scratch_load_dwordx2 v[0:1], off, off
	s_waitcnt vmcnt(1)
	v_readfirstlane_b32 s0, v46
	s_add_i32 s0, s0, -1
	s_cmp_eq_u32 s0, 0
	s_cbranch_scc1 .LBB21_188
; %bb.187:
	s_lshl_b32 s0, s0, 3
	s_nop 0
	scratch_load_dwordx2 v[46:47], off, s0
	s_waitcnt vmcnt(0)
	scratch_store_dwordx2 off, v[46:47], off
	scratch_store_dwordx2 off, v[0:1], s0
	scratch_load_dwordx2 v[0:1], off, off
.LBB21_188:
	s_nop 0
	scratch_load_dwordx4 v[48:51], off, off offset:8
	scratch_load_dwordx4 v[52:55], off, off offset:24
	;; [unrolled: 1-line block ×10, first 2 shown]
	scratch_load_dwordx2 v[46:47], off, off offset:168
	s_waitcnt vmcnt(11)
	global_store_dwordx2 v[2:3], v[0:1], off
	s_waitcnt vmcnt(11)
	global_store_dwordx2 v[4:5], v[48:49], off
	global_store_dwordx2 v[6:7], v[50:51], off
	s_waitcnt vmcnt(12)
	global_store_dwordx2 v[8:9], v[52:53], off
	global_store_dwordx2 v[10:11], v[54:55], off
	s_waitcnt vmcnt(13)
	global_store_dwordx2 v[12:13], v[56:57], off
	global_store_dwordx2 v[14:15], v[58:59], off
	s_waitcnt vmcnt(14)
	global_store_dwordx2 v[16:17], v[60:61], off
	global_store_dwordx2 v[18:19], v[62:63], off
	s_waitcnt vmcnt(15)
	global_store_dwordx2 v[20:21], v[64:65], off
	global_store_dwordx2 v[22:23], v[66:67], off
	s_waitcnt vmcnt(16)
	global_store_dwordx2 v[24:25], v[68:69], off
	global_store_dwordx2 v[26:27], v[70:71], off
	s_waitcnt vmcnt(17)
	global_store_dwordx2 v[28:29], v[72:73], off
	global_store_dwordx2 v[30:31], v[74:75], off
	s_waitcnt vmcnt(18)
	global_store_dwordx2 v[32:33], v[76:77], off
	global_store_dwordx2 v[34:35], v[78:79], off
	s_waitcnt vmcnt(19)
	global_store_dwordx2 v[36:37], v[80:81], off
	global_store_dwordx2 v[38:39], v[82:83], off
	s_waitcnt vmcnt(20)
	global_store_dwordx2 v[40:41], v[84:85], off
	global_store_dwordx2 v[42:43], v[86:87], off
	s_waitcnt vmcnt(21)
	global_store_dwordx2 v[44:45], v[46:47], off
	s_endpgm
	.section	.rodata,"a",@progbits
	.p2align	6, 0x0
	.amdhsa_kernel _ZN9rocsolver6v33100L18getri_kernel_smallILi22E19rocblas_complex_numIfEPS3_EEvT1_iilPiilS6_bb
		.amdhsa_group_segment_fixed_size 356
		.amdhsa_private_segment_fixed_size 192
		.amdhsa_kernarg_size 60
		.amdhsa_user_sgpr_count 2
		.amdhsa_user_sgpr_dispatch_ptr 0
		.amdhsa_user_sgpr_queue_ptr 0
		.amdhsa_user_sgpr_kernarg_segment_ptr 1
		.amdhsa_user_sgpr_dispatch_id 0
		.amdhsa_user_sgpr_kernarg_preload_length 0
		.amdhsa_user_sgpr_kernarg_preload_offset 0
		.amdhsa_user_sgpr_private_segment_size 0
		.amdhsa_uses_dynamic_stack 0
		.amdhsa_enable_private_segment 1
		.amdhsa_system_sgpr_workgroup_id_x 1
		.amdhsa_system_sgpr_workgroup_id_y 0
		.amdhsa_system_sgpr_workgroup_id_z 0
		.amdhsa_system_sgpr_workgroup_info 0
		.amdhsa_system_vgpr_workitem_id 0
		.amdhsa_next_free_vgpr 128
		.amdhsa_next_free_sgpr 20
		.amdhsa_accum_offset 128
		.amdhsa_reserve_vcc 1
		.amdhsa_float_round_mode_32 0
		.amdhsa_float_round_mode_16_64 0
		.amdhsa_float_denorm_mode_32 3
		.amdhsa_float_denorm_mode_16_64 3
		.amdhsa_dx10_clamp 1
		.amdhsa_ieee_mode 1
		.amdhsa_fp16_overflow 0
		.amdhsa_tg_split 0
		.amdhsa_exception_fp_ieee_invalid_op 0
		.amdhsa_exception_fp_denorm_src 0
		.amdhsa_exception_fp_ieee_div_zero 0
		.amdhsa_exception_fp_ieee_overflow 0
		.amdhsa_exception_fp_ieee_underflow 0
		.amdhsa_exception_fp_ieee_inexact 0
		.amdhsa_exception_int_div_zero 0
	.end_amdhsa_kernel
	.section	.text._ZN9rocsolver6v33100L18getri_kernel_smallILi22E19rocblas_complex_numIfEPS3_EEvT1_iilPiilS6_bb,"axG",@progbits,_ZN9rocsolver6v33100L18getri_kernel_smallILi22E19rocblas_complex_numIfEPS3_EEvT1_iilPiilS6_bb,comdat
.Lfunc_end21:
	.size	_ZN9rocsolver6v33100L18getri_kernel_smallILi22E19rocblas_complex_numIfEPS3_EEvT1_iilPiilS6_bb, .Lfunc_end21-_ZN9rocsolver6v33100L18getri_kernel_smallILi22E19rocblas_complex_numIfEPS3_EEvT1_iilPiilS6_bb
                                        ; -- End function
	.set _ZN9rocsolver6v33100L18getri_kernel_smallILi22E19rocblas_complex_numIfEPS3_EEvT1_iilPiilS6_bb.num_vgpr, 128
	.set _ZN9rocsolver6v33100L18getri_kernel_smallILi22E19rocblas_complex_numIfEPS3_EEvT1_iilPiilS6_bb.num_agpr, 0
	.set _ZN9rocsolver6v33100L18getri_kernel_smallILi22E19rocblas_complex_numIfEPS3_EEvT1_iilPiilS6_bb.numbered_sgpr, 20
	.set _ZN9rocsolver6v33100L18getri_kernel_smallILi22E19rocblas_complex_numIfEPS3_EEvT1_iilPiilS6_bb.num_named_barrier, 0
	.set _ZN9rocsolver6v33100L18getri_kernel_smallILi22E19rocblas_complex_numIfEPS3_EEvT1_iilPiilS6_bb.private_seg_size, 192
	.set _ZN9rocsolver6v33100L18getri_kernel_smallILi22E19rocblas_complex_numIfEPS3_EEvT1_iilPiilS6_bb.uses_vcc, 1
	.set _ZN9rocsolver6v33100L18getri_kernel_smallILi22E19rocblas_complex_numIfEPS3_EEvT1_iilPiilS6_bb.uses_flat_scratch, 0
	.set _ZN9rocsolver6v33100L18getri_kernel_smallILi22E19rocblas_complex_numIfEPS3_EEvT1_iilPiilS6_bb.has_dyn_sized_stack, 0
	.set _ZN9rocsolver6v33100L18getri_kernel_smallILi22E19rocblas_complex_numIfEPS3_EEvT1_iilPiilS6_bb.has_recursion, 0
	.set _ZN9rocsolver6v33100L18getri_kernel_smallILi22E19rocblas_complex_numIfEPS3_EEvT1_iilPiilS6_bb.has_indirect_call, 0
	.section	.AMDGPU.csdata,"",@progbits
; Kernel info:
; codeLenInByte = 20256
; TotalNumSgprs: 26
; NumVgprs: 128
; NumAgprs: 0
; TotalNumVgprs: 128
; ScratchSize: 192
; MemoryBound: 0
; FloatMode: 240
; IeeeMode: 1
; LDSByteSize: 356 bytes/workgroup (compile time only)
; SGPRBlocks: 3
; VGPRBlocks: 15
; NumSGPRsForWavesPerEU: 26
; NumVGPRsForWavesPerEU: 128
; AccumOffset: 128
; Occupancy: 4
; WaveLimiterHint : 1
; COMPUTE_PGM_RSRC2:SCRATCH_EN: 1
; COMPUTE_PGM_RSRC2:USER_SGPR: 2
; COMPUTE_PGM_RSRC2:TRAP_HANDLER: 0
; COMPUTE_PGM_RSRC2:TGID_X_EN: 1
; COMPUTE_PGM_RSRC2:TGID_Y_EN: 0
; COMPUTE_PGM_RSRC2:TGID_Z_EN: 0
; COMPUTE_PGM_RSRC2:TIDIG_COMP_CNT: 0
; COMPUTE_PGM_RSRC3_GFX90A:ACCUM_OFFSET: 31
; COMPUTE_PGM_RSRC3_GFX90A:TG_SPLIT: 0
	.section	.text._ZN9rocsolver6v33100L18getri_kernel_smallILi23E19rocblas_complex_numIfEPS3_EEvT1_iilPiilS6_bb,"axG",@progbits,_ZN9rocsolver6v33100L18getri_kernel_smallILi23E19rocblas_complex_numIfEPS3_EEvT1_iilPiilS6_bb,comdat
	.globl	_ZN9rocsolver6v33100L18getri_kernel_smallILi23E19rocblas_complex_numIfEPS3_EEvT1_iilPiilS6_bb ; -- Begin function _ZN9rocsolver6v33100L18getri_kernel_smallILi23E19rocblas_complex_numIfEPS3_EEvT1_iilPiilS6_bb
	.p2align	8
	.type	_ZN9rocsolver6v33100L18getri_kernel_smallILi23E19rocblas_complex_numIfEPS3_EEvT1_iilPiilS6_bb,@function
_ZN9rocsolver6v33100L18getri_kernel_smallILi23E19rocblas_complex_numIfEPS3_EEvT1_iilPiilS6_bb: ; @_ZN9rocsolver6v33100L18getri_kernel_smallILi23E19rocblas_complex_numIfEPS3_EEvT1_iilPiilS6_bb
; %bb.0:
	v_cmp_gt_u32_e32 vcc, 23, v0
	s_and_saveexec_b64 s[4:5], vcc
	s_cbranch_execz .LBB22_106
; %bb.1:
	s_load_dword s8, s[0:1], 0x38
	s_load_dwordx4 s[12:15], s[0:1], 0x10
	s_load_dwordx4 s[4:7], s[0:1], 0x28
                                        ; implicit-def: $sgpr16_sgpr17
	s_waitcnt lgkmcnt(0)
	s_bitcmp1_b32 s8, 8
	s_cselect_b64 s[18:19], -1, 0
	s_ashr_i32 s3, s2, 31
	s_bfe_u32 s8, s8, 0x10008
	s_cmp_eq_u32 s8, 0
	s_cbranch_scc1 .LBB22_3
; %bb.2:
	s_load_dword s8, s[0:1], 0x20
	s_mul_i32 s9, s4, s3
	s_mul_hi_u32 s10, s4, s2
	s_mul_i32 s5, s5, s2
	s_add_i32 s10, s10, s9
	s_add_i32 s5, s10, s5
	s_mul_i32 s4, s4, s2
	s_waitcnt lgkmcnt(0)
	s_ashr_i32 s9, s8, 31
	s_lshl_b64 s[4:5], s[4:5], 2
	s_add_u32 s10, s14, s4
	s_addc_u32 s11, s15, s5
	s_lshl_b64 s[4:5], s[8:9], 2
	s_add_u32 s16, s10, s4
	s_addc_u32 s17, s11, s5
.LBB22_3:
	s_load_dwordx4 s[8:11], s[0:1], 0x0
	s_load_dword s4, s[0:1], 0x38
	s_mul_i32 s5, s12, s3
	s_mul_hi_u32 s14, s12, s2
	s_add_i32 s5, s14, s5
	s_waitcnt lgkmcnt(0)
	s_ashr_i32 s1, s10, 31
	s_mov_b32 s0, s10
	s_mul_i32 s10, s13, s2
	s_add_i32 s13, s5, s10
	s_mul_i32 s12, s12, s2
	s_lshl_b64 s[12:13], s[12:13], 3
	s_add_u32 s5, s8, s12
	s_addc_u32 s8, s9, s13
	s_lshl_b64 s[0:1], s[0:1], 3
	s_add_u32 s0, s5, s0
	s_addc_u32 s1, s8, s1
	s_add_i32 s5, s11, s11
	v_add_u32_e32 v8, s5, v0
	v_add_u32_e32 v10, s11, v8
	;; [unrolled: 1-line block ×20, first 2 shown]
	v_lshlrev_b32_e32 v48, 3, v0
	v_mov_b32_e32 v49, 0
	v_ashrrev_i32_e32 v9, 31, v8
	v_ashrrev_i32_e32 v11, 31, v10
	;; [unrolled: 1-line block ×20, first 2 shown]
	v_lshl_add_u64 v[2:3], s[0:1], 0, v[48:49]
	s_ashr_i32 s9, s11, 31
	s_mov_b32 s8, s11
	v_lshl_add_u64 v[6:7], v[8:9], 3, s[0:1]
	v_lshl_add_u64 v[8:9], v[10:11], 3, s[0:1]
	v_lshl_add_u64 v[10:11], v[12:13], 3, s[0:1]
	v_lshl_add_u64 v[12:13], v[14:15], 3, s[0:1]
	v_lshl_add_u64 v[14:15], v[16:17], 3, s[0:1]
	v_lshl_add_u64 v[16:17], v[18:19], 3, s[0:1]
	v_lshl_add_u64 v[18:19], v[20:21], 3, s[0:1]
	v_lshl_add_u64 v[20:21], v[22:23], 3, s[0:1]
	v_lshl_add_u64 v[22:23], v[24:25], 3, s[0:1]
	v_lshl_add_u64 v[24:25], v[26:27], 3, s[0:1]
	v_lshl_add_u64 v[26:27], v[28:29], 3, s[0:1]
	v_lshl_add_u64 v[28:29], v[30:31], 3, s[0:1]
	v_lshl_add_u64 v[30:31], v[32:33], 3, s[0:1]
	v_lshl_add_u64 v[32:33], v[34:35], 3, s[0:1]
	v_lshl_add_u64 v[34:35], v[36:37], 3, s[0:1]
	v_lshl_add_u64 v[36:37], v[38:39], 3, s[0:1]
	v_lshl_add_u64 v[38:39], v[40:41], 3, s[0:1]
	v_lshl_add_u64 v[40:41], v[42:43], 3, s[0:1]
	v_lshl_add_u64 v[42:43], v[44:45], 3, s[0:1]
	v_lshl_add_u64 v[44:45], v[46:47], 3, s[0:1]
	v_add_u32_e32 v46, s11, v46
	v_lshl_add_u64 v[4:5], s[8:9], 3, v[2:3]
	v_ashrrev_i32_e32 v47, 31, v46
	global_load_dwordx2 v[52:53], v48, s[0:1]
	global_load_dwordx2 v[54:55], v[4:5], off
	global_load_dwordx2 v[56:57], v[6:7], off
	;; [unrolled: 1-line block ×20, first 2 shown]
	v_lshl_add_u64 v[46:47], v[46:47], 3, s[0:1]
	global_load_dwordx2 v[94:95], v[44:45], off
	global_load_dwordx2 v[50:51], v[46:47], off
	s_bitcmp0_b32 s4, 0
	s_mov_b64 s[4:5], -1
	s_waitcnt vmcnt(21)
	scratch_store_dwordx4 off, v[52:55], off
	s_waitcnt vmcnt(20)
	scratch_store_dwordx4 off, v[56:59], off offset:16
	s_waitcnt vmcnt(19)
	scratch_store_dwordx4 off, v[60:63], off offset:32
	s_waitcnt vmcnt(18)
	scratch_store_dwordx4 off, v[64:67], off offset:48
	s_waitcnt vmcnt(17)
	scratch_store_dwordx4 off, v[68:71], off offset:64
	s_waitcnt vmcnt(16)
	scratch_store_dwordx4 off, v[72:75], off offset:80
	s_waitcnt vmcnt(15)
	scratch_store_dwordx4 off, v[76:79], off offset:96
	s_waitcnt vmcnt(14)
	scratch_store_dwordx4 off, v[80:83], off offset:112
	s_waitcnt vmcnt(13)
	scratch_store_dwordx4 off, v[84:87], off offset:128
	s_waitcnt vmcnt(12)
	scratch_store_dwordx4 off, v[88:91], off offset:144
	s_waitcnt vmcnt(11)
	scratch_store_dwordx4 off, v[92:95], off offset:160
	s_waitcnt vmcnt(11)
	scratch_store_dwordx2 off, v[50:51], off offset:176
	s_cbranch_scc1 .LBB22_104
; %bb.4:
	v_cmp_eq_u32_e64 s[0:1], 0, v0
	s_and_saveexec_b64 s[4:5], s[0:1]
; %bb.5:
	v_mov_b32_e32 v1, 0
	ds_write_b32 v1, v1 offset:184
; %bb.6:
	s_or_b64 exec, exec, s[4:5]
	s_waitcnt lgkmcnt(0)
	; wave barrier
	scratch_load_dwordx2 v[50:51], v48, off
	s_waitcnt vmcnt(0)
	v_cmp_eq_f32_e32 vcc, 0, v50
	v_cmp_eq_f32_e64 s[4:5], 0, v51
	s_and_b64 s[4:5], vcc, s[4:5]
	s_and_saveexec_b64 s[8:9], s[4:5]
	s_cbranch_execz .LBB22_10
; %bb.7:
	v_mov_b32_e32 v1, 0
	ds_read_b32 v50, v1 offset:184
	v_add_u32_e32 v49, 1, v0
	s_waitcnt lgkmcnt(0)
	v_readfirstlane_b32 s4, v50
	s_cmp_eq_u32 s4, 0
	s_cselect_b64 s[10:11], -1, 0
	v_cmp_gt_i32_e32 vcc, s4, v49
	s_or_b64 s[10:11], s[10:11], vcc
	s_and_b64 exec, exec, s[10:11]
	s_cbranch_execz .LBB22_10
; %bb.8:
	s_mov_b64 s[10:11], 0
	v_mov_b32_e32 v50, s4
.LBB22_9:                               ; =>This Inner Loop Header: Depth=1
	ds_cmpst_rtn_b32 v50, v1, v50, v49 offset:184
	s_waitcnt lgkmcnt(0)
	v_cmp_ne_u32_e32 vcc, 0, v50
	v_cmp_le_i32_e64 s[4:5], v50, v49
	s_and_b64 s[4:5], vcc, s[4:5]
	s_and_b64 s[4:5], exec, s[4:5]
	s_or_b64 s[10:11], s[4:5], s[10:11]
	s_andn2_b64 exec, exec, s[10:11]
	s_cbranch_execnz .LBB22_9
.LBB22_10:
	s_or_b64 exec, exec, s[8:9]
	v_mov_b32_e32 v49, 0
	; wave barrier
	ds_read_b32 v1, v49 offset:184
	s_and_saveexec_b64 s[4:5], s[0:1]
	s_cbranch_execz .LBB22_12
; %bb.11:
	s_lshl_b64 s[8:9], s[2:3], 2
	s_add_u32 s8, s6, s8
	s_addc_u32 s9, s7, s9
	s_waitcnt lgkmcnt(0)
	global_store_dword v49, v1, s[8:9]
.LBB22_12:
	s_or_b64 exec, exec, s[4:5]
	s_waitcnt lgkmcnt(0)
	v_cmp_ne_u32_e32 vcc, 0, v1
	s_mov_b64 s[4:5], 0
	s_cbranch_vccnz .LBB22_104
; %bb.13:
	v_mov_b32_e32 v49, v48
	scratch_load_dwordx2 v[50:51], v49, off
                                        ; implicit-def: $vgpr53
                                        ; implicit-def: $vgpr54
	s_waitcnt vmcnt(0)
	v_cmp_ngt_f32_e64 s[4:5], |v50|, |v51|
	s_and_saveexec_b64 s[8:9], s[4:5]
	s_xor_b64 s[4:5], exec, s[8:9]
	s_cbranch_execz .LBB22_15
; %bb.14:
	v_div_scale_f32 v1, s[8:9], v51, v51, v50
	v_rcp_f32_e32 v52, v1
	v_div_scale_f32 v53, vcc, v50, v51, v50
	v_fma_f32 v54, -v1, v52, 1.0
	v_fmac_f32_e32 v52, v54, v52
	v_mul_f32_e32 v54, v53, v52
	v_fma_f32 v55, -v1, v54, v53
	v_fmac_f32_e32 v54, v55, v52
	v_fma_f32 v1, -v1, v54, v53
	v_div_fmas_f32 v1, v1, v52, v54
	v_div_fixup_f32 v1, v1, v51, v50
	v_fmac_f32_e32 v51, v50, v1
	v_div_scale_f32 v50, s[8:9], v51, v51, -1.0
	v_rcp_f32_e32 v52, v50
	s_nop 0
	v_fma_f32 v53, -v50, v52, 1.0
	v_fmac_f32_e32 v52, v53, v52
	v_div_scale_f32 v53, vcc, -1.0, v51, -1.0
	v_mul_f32_e32 v54, v53, v52
	v_fma_f32 v55, -v50, v54, v53
	v_fmac_f32_e32 v54, v55, v52
	v_fma_f32 v50, -v50, v54, v53
	v_div_fmas_f32 v50, v50, v52, v54
	v_div_fixup_f32 v53, v50, v51, -1.0
	v_mul_f32_e32 v54, v1, v53
	v_xor_b32_e32 v52, 0x80000000, v54
                                        ; implicit-def: $vgpr50_vgpr51
.LBB22_15:
	s_andn2_saveexec_b64 s[4:5], s[4:5]
	s_cbranch_execz .LBB22_17
; %bb.16:
	v_div_scale_f32 v1, s[8:9], v50, v50, v51
	v_rcp_f32_e32 v52, v1
	v_div_scale_f32 v53, vcc, v51, v50, v51
	v_fma_f32 v54, -v1, v52, 1.0
	v_fmac_f32_e32 v52, v54, v52
	v_mul_f32_e32 v54, v53, v52
	v_fma_f32 v55, -v1, v54, v53
	v_fmac_f32_e32 v54, v55, v52
	v_fma_f32 v1, -v1, v54, v53
	v_div_fmas_f32 v1, v1, v52, v54
	v_div_fixup_f32 v1, v1, v50, v51
	v_fmac_f32_e32 v50, v51, v1
	v_div_scale_f32 v51, s[8:9], v50, v50, 1.0
	v_rcp_f32_e32 v52, v51
	s_nop 0
	v_fma_f32 v53, -v51, v52, 1.0
	v_fmac_f32_e32 v52, v53, v52
	v_div_scale_f32 v53, vcc, 1.0, v50, 1.0
	v_mul_f32_e32 v54, v53, v52
	v_fma_f32 v55, -v51, v54, v53
	v_fmac_f32_e32 v54, v55, v52
	v_fma_f32 v51, -v51, v54, v53
	v_div_fmas_f32 v51, v51, v52, v54
	v_div_fixup_f32 v52, v51, v50, 1.0
	v_xor_b32_e32 v54, 0x80000000, v52
	v_mul_f32_e64 v53, v1, -v52
.LBB22_17:
	s_or_b64 exec, exec, s[4:5]
	scratch_store_dwordx2 v49, v[52:53], off
	scratch_load_dwordx2 v[50:51], off, off offset:8
	v_xor_b32_e32 v55, 0x80000000, v53
	v_add_u32_e32 v1, 0xc0, v48
	s_waitcnt vmcnt(0)
	ds_write2_b64 v48, v[54:55], v[50:51] offset1:24
	s_waitcnt lgkmcnt(0)
	; wave barrier
	s_and_saveexec_b64 s[4:5], s[0:1]
	s_cbranch_execz .LBB22_19
; %bb.18:
	scratch_load_dwordx2 v[50:51], v49, off
	ds_read_b64 v[52:53], v1
	v_mov_b32_e32 v54, 0
	ds_read_b64 v[54:55], v54 offset:8
	s_waitcnt vmcnt(0) lgkmcnt(1)
	v_pk_mul_f32 v[56:57], v[52:53], v[50:51] op_sel:[1,1] op_sel_hi:[0,1]
	v_pk_fma_f32 v[58:59], v[52:53], v[50:51], v[56:57] neg_lo:[0,0,1] neg_hi:[0,0,1]
	v_pk_fma_f32 v[50:51], v[52:53], v[50:51], v[56:57] op_sel_hi:[1,0,1]
	s_nop 0
	v_mov_b32_e32 v59, v51
	v_pk_add_f32 v[50:51], v[58:59], 0 op_sel_hi:[1,0]
	s_waitcnt lgkmcnt(0)
	v_pk_mul_f32 v[52:53], v[50:51], v[54:55] op_sel:[1,1] op_sel_hi:[0,1]
	v_pk_fma_f32 v[56:57], v[50:51], v[54:55], v[52:53] neg_lo:[0,0,1] neg_hi:[0,0,1]
	v_pk_fma_f32 v[50:51], v[50:51], v[54:55], v[52:53] op_sel_hi:[1,0,1]
	s_nop 0
	v_mov_b32_e32 v57, v51
	scratch_store_dwordx2 off, v[56:57], off offset:8
.LBB22_19:
	s_or_b64 exec, exec, s[4:5]
	; wave barrier
	scratch_load_dwordx2 v[50:51], off, off offset:16
	v_cmp_gt_u32_e32 vcc, 2, v0
	s_waitcnt vmcnt(0)
	ds_write_b64 v1, v[50:51]
	s_waitcnt lgkmcnt(0)
	; wave barrier
	s_and_saveexec_b64 s[4:5], vcc
	s_cbranch_execz .LBB22_23
; %bb.20:
	scratch_load_dwordx2 v[50:51], v49, off
	ds_read_b64 v[52:53], v1
	s_waitcnt vmcnt(0) lgkmcnt(0)
	v_pk_mul_f32 v[54:55], v[52:53], v[50:51] op_sel:[1,1] op_sel_hi:[0,1]
	v_pk_fma_f32 v[56:57], v[52:53], v[50:51], v[54:55] neg_lo:[0,0,1] neg_hi:[0,0,1]
	v_pk_fma_f32 v[50:51], v[52:53], v[50:51], v[54:55] op_sel_hi:[1,0,1]
	s_nop 0
	v_mov_b32_e32 v57, v51
	v_pk_add_f32 v[50:51], v[56:57], 0 op_sel_hi:[1,0]
	s_and_saveexec_b64 s[8:9], s[0:1]
	s_cbranch_execz .LBB22_22
; %bb.21:
	scratch_load_dwordx2 v[52:53], off, off offset:8
	v_mov_b32_e32 v49, 0
	ds_read_b64 v[54:55], v49 offset:200
	s_waitcnt vmcnt(0) lgkmcnt(0)
	v_pk_mul_f32 v[56:57], v[54:55], v[52:53] op_sel:[1,1] op_sel_hi:[0,1]
	v_pk_fma_f32 v[58:59], v[54:55], v[52:53], v[56:57] neg_lo:[0,0,1] neg_hi:[0,0,1]
	v_pk_fma_f32 v[52:53], v[54:55], v[52:53], v[56:57] op_sel_hi:[1,0,1]
	s_nop 0
	v_mov_b32_e32 v59, v53
	v_pk_add_f32 v[50:51], v[50:51], v[58:59]
.LBB22_22:
	s_or_b64 exec, exec, s[8:9]
	v_mov_b32_e32 v49, 0
	ds_read_b64 v[52:53], v49 offset:16
	s_waitcnt lgkmcnt(0)
	v_pk_mul_f32 v[54:55], v[50:51], v[52:53] op_sel:[1,1] op_sel_hi:[0,1]
	v_pk_fma_f32 v[56:57], v[50:51], v[52:53], v[54:55] neg_lo:[0,0,1] neg_hi:[0,0,1]
	v_pk_fma_f32 v[50:51], v[50:51], v[52:53], v[54:55] op_sel_hi:[1,0,1]
	s_nop 0
	v_mov_b32_e32 v57, v51
	scratch_store_dwordx2 off, v[56:57], off offset:16
.LBB22_23:
	s_or_b64 exec, exec, s[4:5]
	; wave barrier
	scratch_load_dwordx2 v[50:51], off, off offset:24
	v_cmp_gt_u32_e32 vcc, 3, v0
	v_add_u32_e32 v52, -1, v0
	s_waitcnt vmcnt(0)
	ds_write_b64 v1, v[50:51]
	s_waitcnt lgkmcnt(0)
	; wave barrier
	s_and_saveexec_b64 s[0:1], vcc
	s_cbranch_execz .LBB22_27
; %bb.24:
	v_mov_b32_e32 v50, 0
	v_add_u32_e32 v49, -1, v0
	v_add_u32_e32 v53, 0xc0, v48
	v_mov_b32_e32 v54, v48
	s_mov_b64 s[4:5], 0
	v_mov_b32_e32 v51, v50
.LBB22_25:                              ; =>This Inner Loop Header: Depth=1
	scratch_load_dwordx2 v[56:57], v54, off
	ds_read_b64 v[58:59], v53
	v_add_u32_e32 v49, 1, v49
	v_cmp_lt_u32_e32 vcc, 1, v49
	v_add_u32_e32 v53, 8, v53
	v_add_u32_e32 v54, 8, v54
	s_or_b64 s[4:5], vcc, s[4:5]
	s_waitcnt vmcnt(0) lgkmcnt(0)
	v_pk_mul_f32 v[60:61], v[58:59], v[56:57] op_sel:[1,1] op_sel_hi:[0,1]
	v_pk_fma_f32 v[62:63], v[58:59], v[56:57], v[60:61] neg_lo:[0,0,1] neg_hi:[0,0,1]
	v_pk_fma_f32 v[56:57], v[58:59], v[56:57], v[60:61] op_sel_hi:[1,0,1]
	s_nop 0
	v_mov_b32_e32 v63, v57
	v_pk_add_f32 v[50:51], v[50:51], v[62:63]
	s_andn2_b64 exec, exec, s[4:5]
	s_cbranch_execnz .LBB22_25
; %bb.26:
	s_or_b64 exec, exec, s[4:5]
	v_mov_b32_e32 v49, 0
	ds_read_b64 v[54:55], v49 offset:24
	s_waitcnt lgkmcnt(0)
	v_pk_mul_f32 v[56:57], v[50:51], v[54:55] op_sel:[1,1] op_sel_hi:[0,1]
	v_pk_fma_f32 v[58:59], v[50:51], v[54:55], v[56:57] neg_lo:[0,0,1] neg_hi:[0,0,1]
	v_pk_fma_f32 v[50:51], v[50:51], v[54:55], v[56:57] op_sel_hi:[1,0,1]
	s_nop 0
	v_mov_b32_e32 v59, v51
	scratch_store_dwordx2 off, v[58:59], off offset:24
.LBB22_27:
	s_or_b64 exec, exec, s[0:1]
	; wave barrier
	scratch_load_dwordx2 v[50:51], off, off offset:32
	v_cmp_gt_u32_e32 vcc, 4, v0
	s_waitcnt vmcnt(0)
	ds_write_b64 v1, v[50:51]
	s_waitcnt lgkmcnt(0)
	; wave barrier
	s_and_saveexec_b64 s[0:1], vcc
	s_cbranch_execz .LBB22_31
; %bb.28:
	v_mov_b32_e32 v50, 0
	v_add_u32_e32 v49, -1, v0
	v_add_u32_e32 v53, 0xc0, v48
	v_mov_b32_e32 v54, v48
	s_mov_b64 s[4:5], 0
	v_mov_b32_e32 v51, v50
.LBB22_29:                              ; =>This Inner Loop Header: Depth=1
	scratch_load_dwordx2 v[56:57], v54, off
	ds_read_b64 v[58:59], v53
	v_add_u32_e32 v49, 1, v49
	v_cmp_lt_u32_e32 vcc, 2, v49
	v_add_u32_e32 v53, 8, v53
	v_add_u32_e32 v54, 8, v54
	s_or_b64 s[4:5], vcc, s[4:5]
	s_waitcnt vmcnt(0) lgkmcnt(0)
	v_pk_mul_f32 v[60:61], v[58:59], v[56:57] op_sel:[1,1] op_sel_hi:[0,1]
	v_pk_fma_f32 v[62:63], v[58:59], v[56:57], v[60:61] neg_lo:[0,0,1] neg_hi:[0,0,1]
	v_pk_fma_f32 v[56:57], v[58:59], v[56:57], v[60:61] op_sel_hi:[1,0,1]
	s_nop 0
	v_mov_b32_e32 v63, v57
	v_pk_add_f32 v[50:51], v[50:51], v[62:63]
	s_andn2_b64 exec, exec, s[4:5]
	s_cbranch_execnz .LBB22_29
; %bb.30:
	s_or_b64 exec, exec, s[4:5]
	v_mov_b32_e32 v49, 0
	ds_read_b64 v[54:55], v49 offset:32
	s_waitcnt lgkmcnt(0)
	v_pk_mul_f32 v[56:57], v[50:51], v[54:55] op_sel:[1,1] op_sel_hi:[0,1]
	v_pk_fma_f32 v[58:59], v[50:51], v[54:55], v[56:57] neg_lo:[0,0,1] neg_hi:[0,0,1]
	v_pk_fma_f32 v[50:51], v[50:51], v[54:55], v[56:57] op_sel_hi:[1,0,1]
	s_nop 0
	v_mov_b32_e32 v59, v51
	scratch_store_dwordx2 off, v[58:59], off offset:32
.LBB22_31:
	s_or_b64 exec, exec, s[0:1]
	; wave barrier
	scratch_load_dwordx2 v[50:51], off, off offset:40
	v_cmp_gt_u32_e32 vcc, 5, v0
	;; [unrolled: 46-line block ×18, first 2 shown]
	s_waitcnt vmcnt(0)
	ds_write_b64 v1, v[50:51]
	s_waitcnt lgkmcnt(0)
	; wave barrier
	s_and_saveexec_b64 s[0:1], vcc
	s_cbranch_execz .LBB22_99
; %bb.96:
	v_mov_b32_e32 v50, 0
	v_add_u32_e32 v49, -1, v0
	v_add_u32_e32 v53, 0xc0, v48
	v_mov_b32_e32 v54, v48
	s_mov_b64 s[4:5], 0
	v_mov_b32_e32 v51, v50
.LBB22_97:                              ; =>This Inner Loop Header: Depth=1
	scratch_load_dwordx2 v[56:57], v54, off
	ds_read_b64 v[58:59], v53
	v_add_u32_e32 v49, 1, v49
	v_cmp_lt_u32_e32 vcc, 19, v49
	v_add_u32_e32 v53, 8, v53
	v_add_u32_e32 v54, 8, v54
	s_or_b64 s[4:5], vcc, s[4:5]
	s_waitcnt vmcnt(0) lgkmcnt(0)
	v_pk_mul_f32 v[60:61], v[58:59], v[56:57] op_sel:[1,1] op_sel_hi:[0,1]
	v_pk_fma_f32 v[62:63], v[58:59], v[56:57], v[60:61] neg_lo:[0,0,1] neg_hi:[0,0,1]
	v_pk_fma_f32 v[56:57], v[58:59], v[56:57], v[60:61] op_sel_hi:[1,0,1]
	s_nop 0
	v_mov_b32_e32 v63, v57
	v_pk_add_f32 v[50:51], v[50:51], v[62:63]
	s_andn2_b64 exec, exec, s[4:5]
	s_cbranch_execnz .LBB22_97
; %bb.98:
	s_or_b64 exec, exec, s[4:5]
	v_mov_b32_e32 v49, 0
	ds_read_b64 v[54:55], v49 offset:168
	s_waitcnt lgkmcnt(0)
	v_pk_mul_f32 v[56:57], v[50:51], v[54:55] op_sel:[1,1] op_sel_hi:[0,1]
	v_pk_fma_f32 v[58:59], v[50:51], v[54:55], v[56:57] neg_lo:[0,0,1] neg_hi:[0,0,1]
	v_pk_fma_f32 v[50:51], v[50:51], v[54:55], v[56:57] op_sel_hi:[1,0,1]
	s_nop 0
	v_mov_b32_e32 v59, v51
	scratch_store_dwordx2 off, v[58:59], off offset:168
.LBB22_99:
	s_or_b64 exec, exec, s[0:1]
	; wave barrier
	scratch_load_dwordx2 v[50:51], off, off offset:176
	v_cmp_ne_u32_e32 vcc, 22, v0
	s_waitcnt vmcnt(0)
	ds_write_b64 v1, v[50:51]
	s_waitcnt lgkmcnt(0)
	; wave barrier
	s_and_saveexec_b64 s[0:1], vcc
	s_cbranch_execz .LBB22_103
; %bb.100:
	v_add_u32_e32 v1, 0xc0, v48
	v_mov_b32_e32 v50, v48
	v_mov_b32_e32 v48, 0
	s_mov_b64 s[4:5], 0
	v_mov_b32_e32 v49, v48
.LBB22_101:                             ; =>This Inner Loop Header: Depth=1
	scratch_load_dwordx2 v[54:55], v50, off
	ds_read_b64 v[56:57], v1
	v_add_u32_e32 v52, 1, v52
	v_cmp_lt_u32_e32 vcc, 20, v52
	v_add_u32_e32 v1, 8, v1
	v_add_u32_e32 v50, 8, v50
	s_or_b64 s[4:5], vcc, s[4:5]
	s_waitcnt vmcnt(0) lgkmcnt(0)
	v_pk_mul_f32 v[58:59], v[56:57], v[54:55] op_sel:[1,1] op_sel_hi:[0,1]
	v_pk_fma_f32 v[60:61], v[56:57], v[54:55], v[58:59] neg_lo:[0,0,1] neg_hi:[0,0,1]
	v_pk_fma_f32 v[54:55], v[56:57], v[54:55], v[58:59] op_sel_hi:[1,0,1]
	s_nop 0
	v_mov_b32_e32 v61, v55
	v_pk_add_f32 v[48:49], v[48:49], v[60:61]
	s_andn2_b64 exec, exec, s[4:5]
	s_cbranch_execnz .LBB22_101
; %bb.102:
	s_or_b64 exec, exec, s[4:5]
	v_mov_b32_e32 v1, 0
	ds_read_b64 v[50:51], v1 offset:176
	s_waitcnt lgkmcnt(0)
	v_pk_mul_f32 v[52:53], v[48:49], v[50:51] op_sel:[1,1] op_sel_hi:[0,1]
	v_pk_fma_f32 v[54:55], v[48:49], v[50:51], v[52:53] neg_lo:[0,0,1] neg_hi:[0,0,1]
	v_pk_fma_f32 v[48:49], v[48:49], v[50:51], v[52:53] op_sel_hi:[1,0,1]
	s_nop 0
	v_mov_b32_e32 v55, v49
	scratch_store_dwordx2 off, v[54:55], off offset:176
.LBB22_103:
	s_or_b64 exec, exec, s[0:1]
	s_mov_b64 s[4:5], -1
	; wave barrier
.LBB22_104:
	s_and_b64 vcc, exec, s[4:5]
	s_cbranch_vccz .LBB22_106
; %bb.105:
	s_lshl_b64 s[0:1], s[2:3], 2
	s_add_u32 s0, s6, s0
	s_addc_u32 s1, s7, s1
	v_mov_b32_e32 v1, 0
	global_load_dword v1, v1, s[0:1]
	s_waitcnt vmcnt(0)
	v_cmp_ne_u32_e32 vcc, 0, v1
	s_cbranch_vccz .LBB22_107
.LBB22_106:
	s_endpgm
.LBB22_107:
	v_mov_b32_e32 v1, 0xc0
	v_lshl_add_u32 v1, v0, 3, v1
	v_cmp_eq_u32_e32 vcc, 22, v0
	s_and_saveexec_b64 s[0:1], vcc
	s_cbranch_execz .LBB22_109
; %bb.108:
	scratch_load_dwordx2 v[48:49], off, off offset:168
	v_mov_b32_e32 v50, 0
	v_mov_b32_e32 v51, v50
	scratch_store_dwordx2 off, v[50:51], off offset:168
	s_waitcnt vmcnt(1)
	ds_write_b64 v1, v[48:49]
.LBB22_109:
	s_or_b64 exec, exec, s[0:1]
	s_waitcnt lgkmcnt(0)
	; wave barrier
	scratch_load_dwordx2 v[50:51], off, off offset:176
	scratch_load_dwordx2 v[52:53], off, off offset:168
	v_mov_b32_e32 v48, 0
	ds_read_b64 v[54:55], v48 offset:368
	v_cmp_lt_u32_e32 vcc, 20, v0
	s_waitcnt vmcnt(1) lgkmcnt(0)
	v_pk_mul_f32 v[56:57], v[54:55], v[50:51] op_sel:[1,1] op_sel_hi:[0,1]
	v_pk_fma_f32 v[58:59], v[54:55], v[50:51], v[56:57] neg_lo:[0,0,1] neg_hi:[0,0,1]
	v_pk_fma_f32 v[50:51], v[54:55], v[50:51], v[56:57] op_sel_hi:[1,0,1]
	s_nop 0
	v_mov_b32_e32 v59, v51
	v_pk_add_f32 v[50:51], v[58:59], 0 op_sel_hi:[1,0]
	s_waitcnt vmcnt(0)
	v_pk_add_f32 v[50:51], v[52:53], v[50:51] neg_lo:[0,1] neg_hi:[0,1]
	scratch_store_dwordx2 off, v[50:51], off offset:168
	s_and_saveexec_b64 s[0:1], vcc
	s_cbranch_execz .LBB22_111
; %bb.110:
	scratch_load_dwordx2 v[50:51], off, off offset:160
	v_mov_b32_e32 v49, v48
	scratch_store_dwordx2 off, v[48:49], off offset:160
	s_waitcnt vmcnt(1)
	ds_write_b64 v1, v[50:51]
.LBB22_111:
	s_or_b64 exec, exec, s[0:1]
	s_waitcnt lgkmcnt(0)
	; wave barrier
	scratch_load_dwordx4 v[50:53], off, off offset:168
	scratch_load_dwordx2 v[58:59], off, off offset:160
	ds_read2_b64 v[54:57], v48 offset0:45 offset1:46
	v_cmp_lt_u32_e32 vcc, 19, v0
	s_waitcnt vmcnt(1) lgkmcnt(0)
	v_pk_mul_f32 v[48:49], v[54:55], v[50:51] op_sel:[1,1] op_sel_hi:[0,1]
	v_mov_b32_e32 v60, v53
	v_pk_fma_f32 v[62:63], v[54:55], v[50:51], v[48:49] neg_lo:[0,0,1] neg_hi:[0,0,1]
	v_pk_fma_f32 v[48:49], v[54:55], v[50:51], v[48:49] op_sel_hi:[1,0,1]
	v_pk_mul_f32 v[50:51], v[56:57], v[60:61] op_sel:[1,0] op_sel_hi:[0,0]
	v_mov_b32_e32 v63, v49
	v_pk_fma_f32 v[48:49], v[56:57], v[52:53], v[50:51] neg_lo:[0,0,1] neg_hi:[0,0,1]
	v_pk_fma_f32 v[50:51], v[56:57], v[52:53], v[50:51] op_sel_hi:[1,0,1]
	v_pk_add_f32 v[52:53], v[62:63], 0 op_sel_hi:[1,0]
	v_mov_b32_e32 v49, v51
	v_pk_add_f32 v[48:49], v[52:53], v[48:49]
	s_waitcnt vmcnt(0)
	v_pk_add_f32 v[48:49], v[58:59], v[48:49] neg_lo:[0,1] neg_hi:[0,1]
	scratch_store_dwordx2 off, v[48:49], off offset:160
	s_and_saveexec_b64 s[0:1], vcc
	s_cbranch_execz .LBB22_113
; %bb.112:
	scratch_load_dwordx2 v[48:49], off, off offset:152
	v_mov_b32_e32 v50, 0
	v_mov_b32_e32 v51, v50
	scratch_store_dwordx2 off, v[50:51], off offset:152
	s_waitcnt vmcnt(1)
	ds_write_b64 v1, v[48:49]
.LBB22_113:
	s_or_b64 exec, exec, s[0:1]
	s_waitcnt lgkmcnt(0)
	; wave barrier
	scratch_load_dwordx4 v[50:53], off, off offset:160
	scratch_load_dwordx2 v[58:59], off, off offset:176
	scratch_load_dwordx2 v[60:61], off, off offset:152
	v_mov_b32_e32 v48, 0
	ds_read_b128 v[54:57], v48 offset:352
	ds_read_b64 v[62:63], v48 offset:368
	v_cmp_lt_u32_e32 vcc, 18, v0
	s_waitcnt vmcnt(2) lgkmcnt(1)
	v_pk_mul_f32 v[64:65], v[54:55], v[50:51] op_sel:[1,1] op_sel_hi:[0,1]
	v_mov_b32_e32 v66, v53
	v_pk_fma_f32 v[70:71], v[54:55], v[50:51], v[64:65] neg_lo:[0,0,1] neg_hi:[0,0,1]
	v_pk_fma_f32 v[50:51], v[54:55], v[50:51], v[64:65] op_sel_hi:[1,0,1]
	v_pk_mul_f32 v[54:55], v[56:57], v[66:67] op_sel:[1,0] op_sel_hi:[0,0]
	s_waitcnt vmcnt(1) lgkmcnt(0)
	v_pk_mul_f32 v[68:69], v[62:63], v[58:59] op_sel:[1,1] op_sel_hi:[0,1]
	v_mov_b32_e32 v71, v51
	v_pk_fma_f32 v[50:51], v[56:57], v[52:53], v[54:55] neg_lo:[0,0,1] neg_hi:[0,0,1]
	v_pk_fma_f32 v[52:53], v[56:57], v[52:53], v[54:55] op_sel_hi:[1,0,1]
	v_pk_fma_f32 v[64:65], v[62:63], v[58:59], v[68:69] neg_lo:[0,0,1] neg_hi:[0,0,1]
	v_pk_fma_f32 v[58:59], v[62:63], v[58:59], v[68:69] op_sel_hi:[1,0,1]
	v_pk_add_f32 v[54:55], v[70:71], 0 op_sel_hi:[1,0]
	v_mov_b32_e32 v51, v53
	v_mov_b32_e32 v65, v59
	v_pk_add_f32 v[50:51], v[54:55], v[50:51]
	s_nop 0
	v_pk_add_f32 v[50:51], v[50:51], v[64:65]
	s_waitcnt vmcnt(0)
	v_pk_add_f32 v[50:51], v[60:61], v[50:51] neg_lo:[0,1] neg_hi:[0,1]
	scratch_store_dwordx2 off, v[50:51], off offset:152
	s_and_saveexec_b64 s[0:1], vcc
	s_cbranch_execz .LBB22_115
; %bb.114:
	scratch_load_dwordx2 v[50:51], off, off offset:144
	v_mov_b32_e32 v49, v48
	scratch_store_dwordx2 off, v[48:49], off offset:144
	s_waitcnt vmcnt(1)
	ds_write_b64 v1, v[50:51]
.LBB22_115:
	s_or_b64 exec, exec, s[0:1]
	s_waitcnt lgkmcnt(0)
	; wave barrier
	scratch_load_dwordx4 v[50:53], off, off offset:152
	scratch_load_dwordx4 v[54:57], off, off offset:168
	scratch_load_dwordx2 v[66:67], off, off offset:144
	ds_read2_b64 v[58:61], v48 offset0:43 offset1:44
	ds_read2_b64 v[62:65], v48 offset0:45 offset1:46
	v_cmp_lt_u32_e32 vcc, 17, v0
	s_waitcnt vmcnt(2) lgkmcnt(1)
	v_pk_mul_f32 v[48:49], v[58:59], v[50:51] op_sel:[1,1] op_sel_hi:[0,1]
	v_mov_b32_e32 v68, v53
	s_waitcnt vmcnt(1) lgkmcnt(0)
	v_pk_mul_f32 v[70:71], v[62:63], v[54:55] op_sel:[1,1] op_sel_hi:[0,1]
	v_mov_b32_e32 v72, v57
	v_pk_fma_f32 v[74:75], v[58:59], v[50:51], v[48:49] neg_lo:[0,0,1] neg_hi:[0,0,1]
	v_pk_fma_f32 v[48:49], v[58:59], v[50:51], v[48:49] op_sel_hi:[1,0,1]
	v_pk_mul_f32 v[50:51], v[60:61], v[68:69] op_sel:[1,0] op_sel_hi:[0,0]
	v_pk_fma_f32 v[58:59], v[62:63], v[54:55], v[70:71] neg_lo:[0,0,1] neg_hi:[0,0,1]
	v_pk_fma_f32 v[54:55], v[62:63], v[54:55], v[70:71] op_sel_hi:[1,0,1]
	v_pk_mul_f32 v[62:63], v[64:65], v[72:73] op_sel:[1,0] op_sel_hi:[0,0]
	v_mov_b32_e32 v75, v49
	v_pk_fma_f32 v[48:49], v[60:61], v[52:53], v[50:51] neg_lo:[0,0,1] neg_hi:[0,0,1]
	v_pk_fma_f32 v[50:51], v[60:61], v[52:53], v[50:51] op_sel_hi:[1,0,1]
	v_mov_b32_e32 v59, v55
	v_pk_fma_f32 v[52:53], v[64:65], v[56:57], v[62:63] neg_lo:[0,0,1] neg_hi:[0,0,1]
	v_pk_fma_f32 v[54:55], v[64:65], v[56:57], v[62:63] op_sel_hi:[1,0,1]
	v_pk_add_f32 v[56:57], v[74:75], 0 op_sel_hi:[1,0]
	v_mov_b32_e32 v49, v51
	v_pk_add_f32 v[48:49], v[56:57], v[48:49]
	v_mov_b32_e32 v53, v55
	v_pk_add_f32 v[48:49], v[48:49], v[58:59]
	s_nop 0
	v_pk_add_f32 v[48:49], v[48:49], v[52:53]
	s_waitcnt vmcnt(0)
	v_pk_add_f32 v[48:49], v[66:67], v[48:49] neg_lo:[0,1] neg_hi:[0,1]
	scratch_store_dwordx2 off, v[48:49], off offset:144
	s_and_saveexec_b64 s[0:1], vcc
	s_cbranch_execz .LBB22_117
; %bb.116:
	scratch_load_dwordx2 v[48:49], off, off offset:136
	v_mov_b32_e32 v50, 0
	v_mov_b32_e32 v51, v50
	scratch_store_dwordx2 off, v[50:51], off offset:136
	s_waitcnt vmcnt(1)
	ds_write_b64 v1, v[48:49]
.LBB22_117:
	s_or_b64 exec, exec, s[0:1]
	s_waitcnt lgkmcnt(0)
	; wave barrier
	scratch_load_dwordx4 v[50:53], off, off offset:144
	scratch_load_dwordx4 v[54:57], off, off offset:160
	scratch_load_dwordx2 v[66:67], off, off offset:176
	scratch_load_dwordx2 v[68:69], off, off offset:136
	v_mov_b32_e32 v48, 0
	ds_read_b128 v[58:61], v48 offset:336
	ds_read_b128 v[62:65], v48 offset:352
	ds_read_b64 v[70:71], v48 offset:368
	v_cmp_lt_u32_e32 vcc, 16, v0
	s_waitcnt vmcnt(3) lgkmcnt(2)
	v_pk_mul_f32 v[72:73], v[58:59], v[50:51] op_sel:[1,1] op_sel_hi:[0,1]
	v_mov_b32_e32 v74, v53
	v_pk_fma_f32 v[82:83], v[58:59], v[50:51], v[72:73] neg_lo:[0,0,1] neg_hi:[0,0,1]
	v_pk_fma_f32 v[50:51], v[58:59], v[50:51], v[72:73] op_sel_hi:[1,0,1]
	v_pk_mul_f32 v[58:59], v[60:61], v[74:75] op_sel:[1,0] op_sel_hi:[0,0]
	s_waitcnt vmcnt(2) lgkmcnt(1)
	v_pk_mul_f32 v[76:77], v[62:63], v[54:55] op_sel:[1,1] op_sel_hi:[0,1]
	v_mov_b32_e32 v78, v57
	v_mov_b32_e32 v83, v51
	v_pk_fma_f32 v[50:51], v[60:61], v[52:53], v[58:59] neg_lo:[0,0,1] neg_hi:[0,0,1]
	v_pk_fma_f32 v[52:53], v[60:61], v[52:53], v[58:59] op_sel_hi:[1,0,1]
	v_pk_fma_f32 v[72:73], v[62:63], v[54:55], v[76:77] neg_lo:[0,0,1] neg_hi:[0,0,1]
	v_pk_fma_f32 v[54:55], v[62:63], v[54:55], v[76:77] op_sel_hi:[1,0,1]
	v_pk_mul_f32 v[62:63], v[64:65], v[78:79] op_sel:[1,0] op_sel_hi:[0,0]
	v_pk_add_f32 v[58:59], v[82:83], 0 op_sel_hi:[1,0]
	v_mov_b32_e32 v51, v53
	s_waitcnt vmcnt(1) lgkmcnt(0)
	v_pk_mul_f32 v[80:81], v[70:71], v[66:67] op_sel:[1,1] op_sel_hi:[0,1]
	v_mov_b32_e32 v73, v55
	v_pk_fma_f32 v[54:55], v[64:65], v[56:57], v[62:63] neg_lo:[0,0,1] neg_hi:[0,0,1]
	v_pk_fma_f32 v[56:57], v[64:65], v[56:57], v[62:63] op_sel_hi:[1,0,1]
	v_pk_add_f32 v[50:51], v[58:59], v[50:51]
	v_pk_fma_f32 v[74:75], v[70:71], v[66:67], v[80:81] neg_lo:[0,0,1] neg_hi:[0,0,1]
	v_pk_fma_f32 v[66:67], v[70:71], v[66:67], v[80:81] op_sel_hi:[1,0,1]
	v_mov_b32_e32 v55, v57
	v_pk_add_f32 v[50:51], v[50:51], v[72:73]
	v_mov_b32_e32 v75, v67
	v_pk_add_f32 v[50:51], v[50:51], v[54:55]
	s_nop 0
	v_pk_add_f32 v[50:51], v[50:51], v[74:75]
	s_waitcnt vmcnt(0)
	v_pk_add_f32 v[50:51], v[68:69], v[50:51] neg_lo:[0,1] neg_hi:[0,1]
	scratch_store_dwordx2 off, v[50:51], off offset:136
	s_and_saveexec_b64 s[0:1], vcc
	s_cbranch_execz .LBB22_119
; %bb.118:
	scratch_load_dwordx2 v[50:51], off, off offset:128
	v_mov_b32_e32 v49, v48
	scratch_store_dwordx2 off, v[48:49], off offset:128
	s_waitcnt vmcnt(1)
	ds_write_b64 v1, v[50:51]
.LBB22_119:
	s_or_b64 exec, exec, s[0:1]
	s_waitcnt lgkmcnt(0)
	; wave barrier
	scratch_load_dwordx4 v[50:53], off, off offset:136
	scratch_load_dwordx4 v[54:57], off, off offset:152
	;; [unrolled: 1-line block ×3, first 2 shown]
	scratch_load_dwordx2 v[74:75], off, off offset:128
	ds_read2_b64 v[62:65], v48 offset0:41 offset1:42
	ds_read2_b64 v[66:69], v48 offset0:43 offset1:44
	;; [unrolled: 1-line block ×3, first 2 shown]
	v_cmp_lt_u32_e32 vcc, 15, v0
	s_waitcnt vmcnt(3) lgkmcnt(2)
	v_pk_mul_f32 v[48:49], v[62:63], v[50:51] op_sel:[1,1] op_sel_hi:[0,1]
	v_mov_b32_e32 v76, v53
	s_waitcnt vmcnt(2) lgkmcnt(1)
	v_pk_mul_f32 v[78:79], v[66:67], v[54:55] op_sel:[1,1] op_sel_hi:[0,1]
	v_mov_b32_e32 v80, v57
	;; [unrolled: 3-line block ×3, first 2 shown]
	v_pk_fma_f32 v[86:87], v[62:63], v[50:51], v[48:49] neg_lo:[0,0,1] neg_hi:[0,0,1]
	v_pk_fma_f32 v[48:49], v[62:63], v[50:51], v[48:49] op_sel_hi:[1,0,1]
	v_pk_mul_f32 v[50:51], v[64:65], v[76:77] op_sel:[1,0] op_sel_hi:[0,0]
	v_pk_fma_f32 v[62:63], v[66:67], v[54:55], v[78:79] neg_lo:[0,0,1] neg_hi:[0,0,1]
	v_pk_fma_f32 v[54:55], v[66:67], v[54:55], v[78:79] op_sel_hi:[1,0,1]
	v_pk_mul_f32 v[66:67], v[68:69], v[80:81] op_sel:[1,0] op_sel_hi:[0,0]
	;; [unrolled: 3-line block ×3, first 2 shown]
	v_mov_b32_e32 v87, v49
	v_pk_fma_f32 v[48:49], v[64:65], v[52:53], v[50:51] neg_lo:[0,0,1] neg_hi:[0,0,1]
	v_pk_fma_f32 v[50:51], v[64:65], v[52:53], v[50:51] op_sel_hi:[1,0,1]
	v_mov_b32_e32 v63, v55
	v_pk_fma_f32 v[52:53], v[68:69], v[56:57], v[66:67] neg_lo:[0,0,1] neg_hi:[0,0,1]
	v_pk_fma_f32 v[54:55], v[68:69], v[56:57], v[66:67] op_sel_hi:[1,0,1]
	;; [unrolled: 3-line block ×3, first 2 shown]
	v_pk_add_f32 v[60:61], v[86:87], 0 op_sel_hi:[1,0]
	v_mov_b32_e32 v49, v51
	v_pk_add_f32 v[48:49], v[60:61], v[48:49]
	v_mov_b32_e32 v53, v55
	v_pk_add_f32 v[48:49], v[48:49], v[62:63]
	;; [unrolled: 2-line block ×3, first 2 shown]
	s_nop 0
	v_pk_add_f32 v[48:49], v[48:49], v[76:77]
	s_nop 0
	v_pk_add_f32 v[48:49], v[48:49], v[56:57]
	s_waitcnt vmcnt(0)
	v_pk_add_f32 v[48:49], v[74:75], v[48:49] neg_lo:[0,1] neg_hi:[0,1]
	scratch_store_dwordx2 off, v[48:49], off offset:128
	s_and_saveexec_b64 s[0:1], vcc
	s_cbranch_execz .LBB22_121
; %bb.120:
	scratch_load_dwordx2 v[48:49], off, off offset:120
	v_mov_b32_e32 v50, 0
	v_mov_b32_e32 v51, v50
	scratch_store_dwordx2 off, v[50:51], off offset:120
	s_waitcnt vmcnt(1)
	ds_write_b64 v1, v[48:49]
.LBB22_121:
	s_or_b64 exec, exec, s[0:1]
	s_waitcnt lgkmcnt(0)
	; wave barrier
	scratch_load_dwordx4 v[50:53], off, off offset:128
	scratch_load_dwordx4 v[54:57], off, off offset:144
	;; [unrolled: 1-line block ×3, first 2 shown]
	scratch_load_dwordx2 v[74:75], off, off offset:176
	scratch_load_dwordx2 v[76:77], off, off offset:120
	v_mov_b32_e32 v48, 0
	ds_read_b128 v[62:65], v48 offset:320
	ds_read_b128 v[66:69], v48 offset:336
	;; [unrolled: 1-line block ×3, first 2 shown]
	ds_read_b64 v[78:79], v48 offset:368
	v_cmp_lt_u32_e32 vcc, 14, v0
	s_waitcnt vmcnt(4) lgkmcnt(3)
	v_pk_mul_f32 v[80:81], v[62:63], v[50:51] op_sel:[1,1] op_sel_hi:[0,1]
	v_mov_b32_e32 v82, v53
	v_pk_fma_f32 v[94:95], v[62:63], v[50:51], v[80:81] neg_lo:[0,0,1] neg_hi:[0,0,1]
	v_pk_fma_f32 v[50:51], v[62:63], v[50:51], v[80:81] op_sel_hi:[1,0,1]
	v_pk_mul_f32 v[62:63], v[64:65], v[82:83] op_sel:[1,0] op_sel_hi:[0,0]
	s_waitcnt vmcnt(3) lgkmcnt(2)
	v_pk_mul_f32 v[84:85], v[66:67], v[54:55] op_sel:[1,1] op_sel_hi:[0,1]
	v_mov_b32_e32 v86, v57
	v_mov_b32_e32 v95, v51
	v_pk_fma_f32 v[50:51], v[64:65], v[52:53], v[62:63] neg_lo:[0,0,1] neg_hi:[0,0,1]
	v_pk_fma_f32 v[52:53], v[64:65], v[52:53], v[62:63] op_sel_hi:[1,0,1]
	v_pk_fma_f32 v[80:81], v[66:67], v[54:55], v[84:85] neg_lo:[0,0,1] neg_hi:[0,0,1]
	v_pk_fma_f32 v[54:55], v[66:67], v[54:55], v[84:85] op_sel_hi:[1,0,1]
	v_pk_mul_f32 v[66:67], v[68:69], v[86:87] op_sel:[1,0] op_sel_hi:[0,0]
	v_pk_add_f32 v[62:63], v[94:95], 0 op_sel_hi:[1,0]
	v_mov_b32_e32 v51, v53
	s_waitcnt vmcnt(2) lgkmcnt(1)
	v_pk_mul_f32 v[88:89], v[70:71], v[58:59] op_sel:[1,1] op_sel_hi:[0,1]
	v_mov_b32_e32 v90, v61
	v_mov_b32_e32 v81, v55
	v_pk_fma_f32 v[54:55], v[68:69], v[56:57], v[66:67] neg_lo:[0,0,1] neg_hi:[0,0,1]
	v_pk_fma_f32 v[56:57], v[68:69], v[56:57], v[66:67] op_sel_hi:[1,0,1]
	v_pk_add_f32 v[50:51], v[62:63], v[50:51]
	v_pk_fma_f32 v[82:83], v[70:71], v[58:59], v[88:89] neg_lo:[0,0,1] neg_hi:[0,0,1]
	v_pk_fma_f32 v[58:59], v[70:71], v[58:59], v[88:89] op_sel_hi:[1,0,1]
	v_pk_mul_f32 v[70:71], v[72:73], v[90:91] op_sel:[1,0] op_sel_hi:[0,0]
	v_mov_b32_e32 v55, v57
	v_pk_add_f32 v[50:51], v[50:51], v[80:81]
	s_waitcnt vmcnt(1) lgkmcnt(0)
	v_pk_mul_f32 v[92:93], v[78:79], v[74:75] op_sel:[1,1] op_sel_hi:[0,1]
	v_mov_b32_e32 v83, v59
	v_pk_fma_f32 v[58:59], v[72:73], v[60:61], v[70:71] neg_lo:[0,0,1] neg_hi:[0,0,1]
	v_pk_fma_f32 v[60:61], v[72:73], v[60:61], v[70:71] op_sel_hi:[1,0,1]
	v_pk_add_f32 v[50:51], v[50:51], v[54:55]
	v_pk_fma_f32 v[84:85], v[78:79], v[74:75], v[92:93] neg_lo:[0,0,1] neg_hi:[0,0,1]
	v_pk_fma_f32 v[74:75], v[78:79], v[74:75], v[92:93] op_sel_hi:[1,0,1]
	v_mov_b32_e32 v59, v61
	v_pk_add_f32 v[50:51], v[50:51], v[82:83]
	v_mov_b32_e32 v85, v75
	v_pk_add_f32 v[50:51], v[50:51], v[58:59]
	s_nop 0
	v_pk_add_f32 v[50:51], v[50:51], v[84:85]
	s_waitcnt vmcnt(0)
	v_pk_add_f32 v[50:51], v[76:77], v[50:51] neg_lo:[0,1] neg_hi:[0,1]
	scratch_store_dwordx2 off, v[50:51], off offset:120
	s_and_saveexec_b64 s[0:1], vcc
	s_cbranch_execz .LBB22_123
; %bb.122:
	scratch_load_dwordx2 v[50:51], off, off offset:112
	v_mov_b32_e32 v49, v48
	scratch_store_dwordx2 off, v[48:49], off offset:112
	s_waitcnt vmcnt(1)
	ds_write_b64 v1, v[50:51]
.LBB22_123:
	s_or_b64 exec, exec, s[0:1]
	s_waitcnt lgkmcnt(0)
	; wave barrier
	scratch_load_dwordx4 v[50:53], off, off offset:120
	scratch_load_dwordx4 v[54:57], off, off offset:136
	scratch_load_dwordx4 v[58:61], off, off offset:152
	scratch_load_dwordx4 v[62:65], off, off offset:168
	scratch_load_dwordx2 v[82:83], off, off offset:112
	ds_read2_b64 v[66:69], v48 offset0:39 offset1:40
	ds_read2_b64 v[70:73], v48 offset0:41 offset1:42
	;; [unrolled: 1-line block ×4, first 2 shown]
	v_cmp_lt_u32_e32 vcc, 13, v0
	s_waitcnt vmcnt(4) lgkmcnt(3)
	v_pk_mul_f32 v[48:49], v[66:67], v[50:51] op_sel:[1,1] op_sel_hi:[0,1]
	v_mov_b32_e32 v84, v53
	s_waitcnt vmcnt(3) lgkmcnt(2)
	v_pk_mul_f32 v[86:87], v[70:71], v[54:55] op_sel:[1,1] op_sel_hi:[0,1]
	v_mov_b32_e32 v88, v57
	;; [unrolled: 3-line block ×4, first 2 shown]
	v_pk_fma_f32 v[98:99], v[66:67], v[50:51], v[48:49] neg_lo:[0,0,1] neg_hi:[0,0,1]
	v_pk_fma_f32 v[48:49], v[66:67], v[50:51], v[48:49] op_sel_hi:[1,0,1]
	v_pk_mul_f32 v[50:51], v[68:69], v[84:85] op_sel:[1,0] op_sel_hi:[0,0]
	v_pk_fma_f32 v[66:67], v[70:71], v[54:55], v[86:87] neg_lo:[0,0,1] neg_hi:[0,0,1]
	v_pk_fma_f32 v[54:55], v[70:71], v[54:55], v[86:87] op_sel_hi:[1,0,1]
	v_pk_mul_f32 v[70:71], v[72:73], v[88:89] op_sel:[1,0] op_sel_hi:[0,0]
	;; [unrolled: 3-line block ×4, first 2 shown]
	v_mov_b32_e32 v99, v49
	v_pk_fma_f32 v[48:49], v[68:69], v[52:53], v[50:51] neg_lo:[0,0,1] neg_hi:[0,0,1]
	v_pk_fma_f32 v[50:51], v[68:69], v[52:53], v[50:51] op_sel_hi:[1,0,1]
	v_mov_b32_e32 v67, v55
	v_pk_fma_f32 v[52:53], v[72:73], v[56:57], v[70:71] neg_lo:[0,0,1] neg_hi:[0,0,1]
	v_pk_fma_f32 v[54:55], v[72:73], v[56:57], v[70:71] op_sel_hi:[1,0,1]
	v_mov_b32_e32 v85, v59
	v_pk_fma_f32 v[56:57], v[76:77], v[60:61], v[74:75] neg_lo:[0,0,1] neg_hi:[0,0,1]
	v_pk_fma_f32 v[58:59], v[76:77], v[60:61], v[74:75] op_sel_hi:[1,0,1]
	v_mov_b32_e32 v87, v63
	v_pk_fma_f32 v[60:61], v[80:81], v[64:65], v[78:79] neg_lo:[0,0,1] neg_hi:[0,0,1]
	v_pk_fma_f32 v[62:63], v[80:81], v[64:65], v[78:79] op_sel_hi:[1,0,1]
	v_pk_add_f32 v[64:65], v[98:99], 0 op_sel_hi:[1,0]
	v_mov_b32_e32 v49, v51
	v_pk_add_f32 v[48:49], v[64:65], v[48:49]
	v_mov_b32_e32 v53, v55
	v_pk_add_f32 v[48:49], v[48:49], v[66:67]
	;; [unrolled: 2-line block ×4, first 2 shown]
	s_nop 0
	v_pk_add_f32 v[48:49], v[48:49], v[56:57]
	s_nop 0
	v_pk_add_f32 v[48:49], v[48:49], v[86:87]
	;; [unrolled: 2-line block ×3, first 2 shown]
	s_waitcnt vmcnt(0)
	v_pk_add_f32 v[48:49], v[82:83], v[48:49] neg_lo:[0,1] neg_hi:[0,1]
	scratch_store_dwordx2 off, v[48:49], off offset:112
	s_and_saveexec_b64 s[0:1], vcc
	s_cbranch_execz .LBB22_125
; %bb.124:
	scratch_load_dwordx2 v[48:49], off, off offset:104
	v_mov_b32_e32 v50, 0
	v_mov_b32_e32 v51, v50
	scratch_store_dwordx2 off, v[50:51], off offset:104
	s_waitcnt vmcnt(1)
	ds_write_b64 v1, v[48:49]
.LBB22_125:
	s_or_b64 exec, exec, s[0:1]
	s_waitcnt lgkmcnt(0)
	; wave barrier
	scratch_load_dwordx4 v[50:53], off, off offset:112
	scratch_load_dwordx4 v[54:57], off, off offset:128
	;; [unrolled: 1-line block ×4, first 2 shown]
	scratch_load_dwordx2 v[82:83], off, off offset:176
	scratch_load_dwordx2 v[84:85], off, off offset:104
	v_mov_b32_e32 v48, 0
	ds_read_b128 v[66:69], v48 offset:304
	ds_read_b128 v[70:73], v48 offset:320
	ds_read_b128 v[74:77], v48 offset:336
	ds_read_b128 v[78:81], v48 offset:352
	ds_read_b64 v[86:87], v48 offset:368
	v_cmp_lt_u32_e32 vcc, 12, v0
	s_waitcnt vmcnt(5) lgkmcnt(4)
	v_mul_f32_e32 v89, v66, v51
	v_mul_f32_e32 v49, v67, v51
	v_mov_b32_e32 v90, v53
	s_waitcnt vmcnt(4) lgkmcnt(3)
	v_pk_mul_f32 v[92:93], v[70:71], v[54:55] op_sel:[1,1] op_sel_hi:[0,1]
	v_mov_b32_e32 v94, v57
	s_waitcnt vmcnt(1) lgkmcnt(0)
	v_pk_mul_f32 v[104:105], v[86:87], v[82:83] op_sel:[1,1] op_sel_hi:[0,1]
	v_fmac_f32_e32 v89, v67, v50
	v_fma_f32 v88, v66, v50, -v49
	v_pk_mul_f32 v[50:51], v[68:69], v[90:91] op_sel:[1,0] op_sel_hi:[0,0]
	v_pk_fma_f32 v[66:67], v[70:71], v[54:55], v[92:93] neg_lo:[0,0,1] neg_hi:[0,0,1]
	v_pk_fma_f32 v[54:55], v[70:71], v[54:55], v[92:93] op_sel_hi:[1,0,1]
	v_pk_mul_f32 v[70:71], v[72:73], v[94:95] op_sel:[1,0] op_sel_hi:[0,0]
	v_pk_fma_f32 v[94:95], v[86:87], v[82:83], v[104:105] neg_lo:[0,0,1] neg_hi:[0,0,1]
	v_pk_fma_f32 v[82:83], v[86:87], v[82:83], v[104:105] op_sel_hi:[1,0,1]
	v_pk_add_f32 v[86:87], v[88:89], 0 op_sel_hi:[1,0]
	v_pk_fma_f32 v[88:89], v[68:69], v[52:53], v[50:51] neg_lo:[0,0,1] neg_hi:[0,0,1]
	v_pk_fma_f32 v[50:51], v[68:69], v[52:53], v[50:51] op_sel_hi:[1,0,1]
	v_pk_mul_f32 v[96:97], v[74:75], v[58:59] op_sel:[1,1] op_sel_hi:[0,1]
	v_mov_b32_e32 v89, v51
	v_mov_b32_e32 v98, v61
	;; [unrolled: 1-line block ×3, first 2 shown]
	v_pk_fma_f32 v[52:53], v[72:73], v[56:57], v[70:71] neg_lo:[0,0,1] neg_hi:[0,0,1]
	v_pk_fma_f32 v[54:55], v[72:73], v[56:57], v[70:71] op_sel_hi:[1,0,1]
	v_pk_add_f32 v[50:51], v[86:87], v[88:89]
	v_pk_fma_f32 v[90:91], v[74:75], v[58:59], v[96:97] neg_lo:[0,0,1] neg_hi:[0,0,1]
	v_pk_fma_f32 v[58:59], v[74:75], v[58:59], v[96:97] op_sel_hi:[1,0,1]
	v_pk_mul_f32 v[74:75], v[76:77], v[98:99] op_sel:[1,0] op_sel_hi:[0,0]
	v_mov_b32_e32 v53, v55
	v_pk_add_f32 v[50:51], v[50:51], v[66:67]
	v_pk_mul_f32 v[100:101], v[78:79], v[62:63] op_sel:[1,1] op_sel_hi:[0,1]
	v_mov_b32_e32 v102, v65
	v_mov_b32_e32 v91, v59
	v_pk_fma_f32 v[56:57], v[76:77], v[60:61], v[74:75] neg_lo:[0,0,1] neg_hi:[0,0,1]
	v_pk_fma_f32 v[58:59], v[76:77], v[60:61], v[74:75] op_sel_hi:[1,0,1]
	v_pk_add_f32 v[50:51], v[50:51], v[52:53]
	v_pk_fma_f32 v[92:93], v[78:79], v[62:63], v[100:101] neg_lo:[0,0,1] neg_hi:[0,0,1]
	v_pk_fma_f32 v[62:63], v[78:79], v[62:63], v[100:101] op_sel_hi:[1,0,1]
	v_pk_mul_f32 v[78:79], v[80:81], v[102:103] op_sel:[1,0] op_sel_hi:[0,0]
	v_mov_b32_e32 v57, v59
	v_pk_add_f32 v[50:51], v[50:51], v[90:91]
	v_mov_b32_e32 v93, v63
	v_pk_fma_f32 v[60:61], v[80:81], v[64:65], v[78:79] neg_lo:[0,0,1] neg_hi:[0,0,1]
	v_pk_fma_f32 v[62:63], v[80:81], v[64:65], v[78:79] op_sel_hi:[1,0,1]
	v_pk_add_f32 v[50:51], v[50:51], v[56:57]
	v_mov_b32_e32 v61, v63
	v_pk_add_f32 v[50:51], v[50:51], v[92:93]
	v_mov_b32_e32 v95, v83
	v_pk_add_f32 v[50:51], v[50:51], v[60:61]
	s_nop 0
	v_pk_add_f32 v[50:51], v[50:51], v[94:95]
	s_waitcnt vmcnt(0)
	v_pk_add_f32 v[50:51], v[84:85], v[50:51] neg_lo:[0,1] neg_hi:[0,1]
	scratch_store_dwordx2 off, v[50:51], off offset:104
	s_and_saveexec_b64 s[0:1], vcc
	s_cbranch_execz .LBB22_127
; %bb.126:
	scratch_load_dwordx2 v[50:51], off, off offset:96
	v_mov_b32_e32 v49, v48
	scratch_store_dwordx2 off, v[48:49], off offset:96
	s_waitcnt vmcnt(1)
	ds_write_b64 v1, v[50:51]
.LBB22_127:
	s_or_b64 exec, exec, s[0:1]
	s_waitcnt lgkmcnt(0)
	; wave barrier
	scratch_load_dwordx4 v[50:53], off, off offset:104
	scratch_load_dwordx4 v[54:57], off, off offset:120
	scratch_load_dwordx4 v[58:61], off, off offset:136
	scratch_load_dwordx4 v[62:65], off, off offset:152
	scratch_load_dwordx4 v[66:69], off, off offset:168
	scratch_load_dwordx2 v[90:91], off, off offset:96
	ds_read2_b64 v[70:73], v48 offset0:37 offset1:38
	ds_read2_b64 v[74:77], v48 offset0:39 offset1:40
	;; [unrolled: 1-line block ×5, first 2 shown]
	v_cmp_lt_u32_e32 vcc, 11, v0
	s_waitcnt vmcnt(5) lgkmcnt(4)
	v_mul_f32_e32 v49, v70, v51
	v_mul_f32_e32 v48, v71, v51
	;; [unrolled: 1-line block ×4, first 2 shown]
	s_waitcnt vmcnt(4) lgkmcnt(3)
	v_pk_mul_f32 v[94:95], v[74:75], v[54:55] op_sel:[1,1] op_sel_hi:[0,1]
	v_mov_b32_e32 v96, v57
	v_fmac_f32_e32 v49, v71, v50
	v_fma_f32 v48, v70, v50, -v48
	v_fmac_f32_e32 v93, v73, v52
	v_fma_f32 v92, v72, v52, -v51
	v_pk_fma_f32 v[50:51], v[74:75], v[54:55], v[94:95] neg_lo:[0,0,1] neg_hi:[0,0,1]
	v_pk_fma_f32 v[52:53], v[74:75], v[54:55], v[94:95] op_sel_hi:[1,0,1]
	v_pk_mul_f32 v[54:55], v[76:77], v[96:97] op_sel:[1,0] op_sel_hi:[0,0]
	v_pk_add_f32 v[48:49], v[48:49], 0 op_sel_hi:[1,0]
	s_waitcnt vmcnt(3) lgkmcnt(2)
	v_pk_mul_f32 v[98:99], v[78:79], v[58:59] op_sel:[1,1] op_sel_hi:[0,1]
	v_mov_b32_e32 v100, v61
	v_mov_b32_e32 v51, v53
	v_pk_fma_f32 v[52:53], v[76:77], v[56:57], v[54:55] neg_lo:[0,0,1] neg_hi:[0,0,1]
	v_pk_fma_f32 v[54:55], v[76:77], v[56:57], v[54:55] op_sel_hi:[1,0,1]
	v_pk_add_f32 v[48:49], v[48:49], v[92:93]
	v_pk_fma_f32 v[70:71], v[78:79], v[58:59], v[98:99] neg_lo:[0,0,1] neg_hi:[0,0,1]
	v_pk_fma_f32 v[58:59], v[78:79], v[58:59], v[98:99] op_sel_hi:[1,0,1]
	v_pk_mul_f32 v[72:73], v[80:81], v[100:101] op_sel:[1,0] op_sel_hi:[0,0]
	v_mov_b32_e32 v53, v55
	v_pk_add_f32 v[48:49], v[48:49], v[50:51]
	s_waitcnt vmcnt(2) lgkmcnt(1)
	v_pk_mul_f32 v[102:103], v[82:83], v[62:63] op_sel:[1,1] op_sel_hi:[0,1]
	v_mov_b32_e32 v104, v65
	v_mov_b32_e32 v71, v59
	v_pk_fma_f32 v[56:57], v[80:81], v[60:61], v[72:73] neg_lo:[0,0,1] neg_hi:[0,0,1]
	v_pk_fma_f32 v[58:59], v[80:81], v[60:61], v[72:73] op_sel_hi:[1,0,1]
	v_pk_add_f32 v[48:49], v[48:49], v[52:53]
	v_pk_fma_f32 v[74:75], v[82:83], v[62:63], v[102:103] neg_lo:[0,0,1] neg_hi:[0,0,1]
	v_pk_fma_f32 v[62:63], v[82:83], v[62:63], v[102:103] op_sel_hi:[1,0,1]
	v_pk_mul_f32 v[78:79], v[84:85], v[104:105] op_sel:[1,0] op_sel_hi:[0,0]
	v_mov_b32_e32 v57, v59
	v_pk_add_f32 v[48:49], v[48:49], v[70:71]
	;; [unrolled: 12-line block ×3, first 2 shown]
	v_mov_b32_e32 v83, v67
	v_pk_fma_f32 v[64:65], v[88:89], v[68:69], v[86:87] neg_lo:[0,0,1] neg_hi:[0,0,1]
	v_pk_fma_f32 v[66:67], v[88:89], v[68:69], v[86:87] op_sel_hi:[1,0,1]
	v_pk_add_f32 v[48:49], v[48:49], v[60:61]
	v_mov_b32_e32 v65, v67
	v_pk_add_f32 v[48:49], v[48:49], v[82:83]
	s_nop 0
	v_pk_add_f32 v[48:49], v[48:49], v[64:65]
	s_waitcnt vmcnt(0)
	v_pk_add_f32 v[48:49], v[90:91], v[48:49] neg_lo:[0,1] neg_hi:[0,1]
	scratch_store_dwordx2 off, v[48:49], off offset:96
	s_and_saveexec_b64 s[0:1], vcc
	s_cbranch_execz .LBB22_129
; %bb.128:
	scratch_load_dwordx2 v[48:49], off, off offset:88
	v_mov_b32_e32 v50, 0
	v_mov_b32_e32 v51, v50
	scratch_store_dwordx2 off, v[50:51], off offset:88
	s_waitcnt vmcnt(1)
	ds_write_b64 v1, v[48:49]
.LBB22_129:
	s_or_b64 exec, exec, s[0:1]
	s_waitcnt lgkmcnt(0)
	; wave barrier
	scratch_load_dwordx4 v[50:53], off, off offset:96
	scratch_load_dwordx4 v[54:57], off, off offset:112
	;; [unrolled: 1-line block ×5, first 2 shown]
	scratch_load_dwordx2 v[90:91], off, off offset:176
	scratch_load_dwordx2 v[92:93], off, off offset:88
	v_mov_b32_e32 v48, 0
	ds_read_b128 v[70:73], v48 offset:288
	ds_read_b128 v[74:77], v48 offset:304
	;; [unrolled: 1-line block ×5, first 2 shown]
	ds_read_b64 v[94:95], v48 offset:368
	v_cmp_lt_u32_e32 vcc, 10, v0
	s_waitcnt vmcnt(6) lgkmcnt(5)
	v_mul_f32_e32 v49, v70, v51
	v_mul_f32_e32 v51, v71, v51
	;; [unrolled: 1-line block ×3, first 2 shown]
	s_waitcnt vmcnt(5) lgkmcnt(4)
	v_mul_f32_e32 v99, v74, v55
	v_mul_f32_e32 v53, v73, v53
	v_mul_f32_e32 v55, v75, v55
	v_mov_b32_e32 v100, v57
	s_waitcnt vmcnt(3) lgkmcnt(2)
	v_pk_mul_f32 v[106:107], v[82:83], v[62:63] op_sel:[1,1] op_sel_hi:[0,1]
	s_waitcnt vmcnt(2) lgkmcnt(1)
	v_pk_mul_f32 v[110:111], v[86:87], v[66:67] op_sel:[1,1] op_sel_hi:[0,1]
	;; [unrolled: 2-line block ×3, first 2 shown]
	v_fmac_f32_e32 v49, v71, v50
	v_fma_f32 v101, v70, v50, -v51
	v_fmac_f32_e32 v97, v73, v52
	v_fmac_f32_e32 v99, v75, v54
	v_fma_f32 v96, v72, v52, -v53
	v_fma_f32 v98, v74, v54, -v55
	v_pk_mul_f32 v[50:51], v[76:77], v[100:101] op_sel:[1,0] op_sel_hi:[0,0]
	v_pk_fma_f32 v[70:71], v[82:83], v[62:63], v[106:107] neg_lo:[0,0,1] neg_hi:[0,0,1]
	v_pk_fma_f32 v[62:63], v[82:83], v[62:63], v[106:107] op_sel_hi:[1,0,1]
	v_pk_fma_f32 v[74:75], v[86:87], v[66:67], v[110:111] neg_lo:[0,0,1] neg_hi:[0,0,1]
	v_pk_fma_f32 v[66:67], v[86:87], v[66:67], v[110:111] op_sel_hi:[1,0,1]
	;; [unrolled: 2-line block ×3, first 2 shown]
	v_add_f32_e32 v91, 0, v49
	v_add_f32_e32 v90, 0, v101
	v_pk_mul_f32 v[102:103], v[78:79], v[58:59] op_sel:[1,1] op_sel_hi:[0,1]
	v_mov_b32_e32 v104, v61
	v_pk_fma_f32 v[94:95], v[76:77], v[56:57], v[50:51] neg_lo:[0,0,1] neg_hi:[0,0,1]
	v_pk_fma_f32 v[50:51], v[76:77], v[56:57], v[50:51] op_sel_hi:[1,0,1]
	v_mov_b32_e32 v75, v67
	v_pk_add_f32 v[66:67], v[90:91], v[96:97]
	v_pk_fma_f32 v[52:53], v[78:79], v[58:59], v[102:103] neg_lo:[0,0,1] neg_hi:[0,0,1]
	v_pk_fma_f32 v[54:55], v[78:79], v[58:59], v[102:103] op_sel_hi:[1,0,1]
	v_pk_mul_f32 v[58:59], v[80:81], v[104:105] op_sel:[1,0] op_sel_hi:[0,0]
	v_mov_b32_e32 v95, v51
	v_pk_add_f32 v[50:51], v[66:67], v[98:99]
	v_mov_b32_e32 v108, v65
	v_mov_b32_e32 v53, v55
	v_pk_fma_f32 v[54:55], v[80:81], v[60:61], v[58:59] neg_lo:[0,0,1] neg_hi:[0,0,1]
	v_pk_fma_f32 v[56:57], v[80:81], v[60:61], v[58:59] op_sel_hi:[1,0,1]
	v_pk_add_f32 v[50:51], v[50:51], v[94:95]
	v_pk_mul_f32 v[72:73], v[84:85], v[108:109] op_sel:[1,0] op_sel_hi:[0,0]
	v_mov_b32_e32 v55, v57
	v_pk_add_f32 v[50:51], v[50:51], v[52:53]
	v_mov_b32_e32 v112, v69
	v_mov_b32_e32 v71, v63
	v_pk_fma_f32 v[58:59], v[84:85], v[64:65], v[72:73] neg_lo:[0,0,1] neg_hi:[0,0,1]
	v_pk_fma_f32 v[60:61], v[84:85], v[64:65], v[72:73] op_sel_hi:[1,0,1]
	v_pk_add_f32 v[50:51], v[50:51], v[54:55]
	v_pk_mul_f32 v[78:79], v[88:89], v[112:113] op_sel:[1,0] op_sel_hi:[0,0]
	v_mov_b32_e32 v59, v61
	v_pk_add_f32 v[50:51], v[50:51], v[70:71]
	v_pk_fma_f32 v[62:63], v[88:89], v[68:69], v[78:79] neg_lo:[0,0,1] neg_hi:[0,0,1]
	v_pk_fma_f32 v[64:65], v[88:89], v[68:69], v[78:79] op_sel_hi:[1,0,1]
	v_pk_add_f32 v[50:51], v[50:51], v[58:59]
	v_mov_b32_e32 v63, v65
	v_pk_add_f32 v[50:51], v[50:51], v[74:75]
	v_mov_b32_e32 v83, v87
	v_pk_add_f32 v[50:51], v[50:51], v[62:63]
	s_nop 0
	v_pk_add_f32 v[50:51], v[50:51], v[82:83]
	s_waitcnt vmcnt(0)
	v_pk_add_f32 v[50:51], v[92:93], v[50:51] neg_lo:[0,1] neg_hi:[0,1]
	scratch_store_dwordx2 off, v[50:51], off offset:88
	s_and_saveexec_b64 s[0:1], vcc
	s_cbranch_execz .LBB22_131
; %bb.130:
	scratch_load_dwordx2 v[50:51], off, off offset:80
	v_mov_b32_e32 v49, v48
	scratch_store_dwordx2 off, v[48:49], off offset:80
	s_waitcnt vmcnt(1)
	ds_write_b64 v1, v[50:51]
.LBB22_131:
	s_or_b64 exec, exec, s[0:1]
	s_waitcnt lgkmcnt(0)
	; wave barrier
	scratch_load_dwordx4 v[50:53], off, off offset:88
	scratch_load_dwordx4 v[54:57], off, off offset:104
	;; [unrolled: 1-line block ×6, first 2 shown]
	scratch_load_dwordx2 v[98:99], off, off offset:80
	ds_read2_b64 v[74:77], v48 offset0:35 offset1:36
	ds_read2_b64 v[78:81], v48 offset0:37 offset1:38
	;; [unrolled: 1-line block ×6, first 2 shown]
	v_cmp_lt_u32_e32 vcc, 9, v0
	s_waitcnt vmcnt(6) lgkmcnt(5)
	v_mul_f32_e32 v105, v74, v51
	v_mul_f32_e32 v109, v76, v53
	s_waitcnt vmcnt(5) lgkmcnt(4)
	v_mul_f32_e32 v49, v78, v55
	v_mul_f32_e32 v48, v75, v51
	;; [unrolled: 1-line block ×4, first 2 shown]
	s_waitcnt vmcnt(1) lgkmcnt(0)
	v_pk_mul_f32 v[114:115], v[94:95], v[70:71] op_sel:[1,1] op_sel_hi:[0,1]
	v_pk_mul_f32 v[102:103], v[82:83], v[58:59] op_sel:[1,1] op_sel_hi:[0,1]
	v_fmac_f32_e32 v105, v75, v50
	v_fmac_f32_e32 v49, v79, v54
	v_fma_f32 v113, v74, v50, -v48
	v_fma_f32 v48, v78, v54, -v53
	v_pk_fma_f32 v[78:79], v[94:95], v[70:71], v[114:115] neg_lo:[0,0,1] neg_hi:[0,0,1]
	v_pk_fma_f32 v[70:71], v[94:95], v[70:71], v[114:115] op_sel_hi:[1,0,1]
	v_fmac_f32_e32 v109, v77, v52
	v_fma_f32 v117, v76, v52, -v51
	v_pk_fma_f32 v[50:51], v[82:83], v[58:59], v[102:103] neg_lo:[0,0,1] neg_hi:[0,0,1]
	v_pk_fma_f32 v[52:53], v[82:83], v[58:59], v[102:103] op_sel_hi:[1,0,1]
	v_add_f32_e32 v70, 0, v105
	v_add_f32_e32 v82, 0, v113
	v_mul_f32_e32 v101, v80, v57
	v_mul_f32_e32 v55, v81, v57
	v_mov_b32_e32 v104, v61
	v_mov_b32_e32 v79, v71
	v_add_f32_e32 v71, v70, v109
	v_add_f32_e32 v70, v82, v117
	v_fmac_f32_e32 v101, v81, v56
	v_fma_f32 v100, v80, v56, -v55
	v_pk_mul_f32 v[54:55], v[84:85], v[104:105] op_sel:[1,0] op_sel_hi:[0,0]
	v_pk_add_f32 v[48:49], v[70:71], v[48:49]
	v_pk_mul_f32 v[106:107], v[86:87], v[62:63] op_sel:[1,1] op_sel_hi:[0,1]
	v_mov_b32_e32 v108, v65
	v_mov_b32_e32 v51, v53
	v_pk_fma_f32 v[52:53], v[84:85], v[60:61], v[54:55] neg_lo:[0,0,1] neg_hi:[0,0,1]
	v_pk_fma_f32 v[54:55], v[84:85], v[60:61], v[54:55] op_sel_hi:[1,0,1]
	v_pk_add_f32 v[48:49], v[48:49], v[100:101]
	v_pk_fma_f32 v[56:57], v[86:87], v[62:63], v[106:107] neg_lo:[0,0,1] neg_hi:[0,0,1]
	v_pk_fma_f32 v[58:59], v[86:87], v[62:63], v[106:107] op_sel_hi:[1,0,1]
	v_pk_mul_f32 v[62:63], v[88:89], v[108:109] op_sel:[1,0] op_sel_hi:[0,0]
	v_mov_b32_e32 v53, v55
	v_pk_add_f32 v[48:49], v[48:49], v[50:51]
	v_pk_mul_f32 v[110:111], v[90:91], v[66:67] op_sel:[1,1] op_sel_hi:[0,1]
	v_mov_b32_e32 v112, v69
	v_mov_b32_e32 v57, v59
	v_pk_fma_f32 v[58:59], v[88:89], v[64:65], v[62:63] neg_lo:[0,0,1] neg_hi:[0,0,1]
	v_pk_fma_f32 v[60:61], v[88:89], v[64:65], v[62:63] op_sel_hi:[1,0,1]
	v_pk_add_f32 v[48:49], v[48:49], v[52:53]
	v_pk_fma_f32 v[74:75], v[90:91], v[66:67], v[110:111] neg_lo:[0,0,1] neg_hi:[0,0,1]
	v_pk_fma_f32 v[66:67], v[90:91], v[66:67], v[110:111] op_sel_hi:[1,0,1]
	v_pk_mul_f32 v[76:77], v[92:93], v[112:113] op_sel:[1,0] op_sel_hi:[0,0]
	v_mov_b32_e32 v59, v61
	v_pk_add_f32 v[48:49], v[48:49], v[56:57]
	v_mov_b32_e32 v116, v73
	v_mov_b32_e32 v75, v67
	v_pk_fma_f32 v[62:63], v[92:93], v[68:69], v[76:77] neg_lo:[0,0,1] neg_hi:[0,0,1]
	v_pk_fma_f32 v[64:65], v[92:93], v[68:69], v[76:77] op_sel_hi:[1,0,1]
	v_pk_add_f32 v[48:49], v[48:49], v[58:59]
	v_pk_mul_f32 v[80:81], v[96:97], v[116:117] op_sel:[1,0] op_sel_hi:[0,0]
	v_mov_b32_e32 v63, v65
	v_pk_add_f32 v[48:49], v[48:49], v[74:75]
	v_pk_fma_f32 v[66:67], v[96:97], v[72:73], v[80:81] neg_lo:[0,0,1] neg_hi:[0,0,1]
	v_pk_fma_f32 v[68:69], v[96:97], v[72:73], v[80:81] op_sel_hi:[1,0,1]
	v_pk_add_f32 v[48:49], v[48:49], v[62:63]
	v_mov_b32_e32 v67, v69
	v_pk_add_f32 v[48:49], v[48:49], v[78:79]
	s_nop 0
	v_pk_add_f32 v[48:49], v[48:49], v[66:67]
	s_waitcnt vmcnt(0)
	v_pk_add_f32 v[48:49], v[98:99], v[48:49] neg_lo:[0,1] neg_hi:[0,1]
	scratch_store_dwordx2 off, v[48:49], off offset:80
	s_and_saveexec_b64 s[0:1], vcc
	s_cbranch_execz .LBB22_133
; %bb.132:
	scratch_load_dwordx2 v[48:49], off, off offset:72
	v_mov_b32_e32 v50, 0
	v_mov_b32_e32 v51, v50
	scratch_store_dwordx2 off, v[50:51], off offset:72
	s_waitcnt vmcnt(1)
	ds_write_b64 v1, v[48:49]
.LBB22_133:
	s_or_b64 exec, exec, s[0:1]
	s_waitcnt lgkmcnt(0)
	; wave barrier
	scratch_load_dwordx4 v[50:53], off, off offset:80
	scratch_load_dwordx4 v[54:57], off, off offset:96
	;; [unrolled: 1-line block ×6, first 2 shown]
	scratch_load_dwordx2 v[98:99], off, off offset:176
	scratch_load_dwordx2 v[100:101], off, off offset:72
	v_mov_b32_e32 v48, 0
	ds_read_b128 v[74:77], v48 offset:272
	ds_read_b128 v[78:81], v48 offset:288
	;; [unrolled: 1-line block ×6, first 2 shown]
	ds_read_b64 v[102:103], v48 offset:368
	v_cmp_lt_u32_e32 vcc, 8, v0
	s_waitcnt vmcnt(7) lgkmcnt(6)
	v_mul_f32_e32 v109, v76, v53
	v_mul_f32_e32 v49, v74, v51
	s_waitcnt vmcnt(5) lgkmcnt(4)
	v_mul_f32_e32 v107, v82, v59
	v_mul_f32_e32 v51, v75, v51
	v_mov_b32_e32 v108, v61
	s_waitcnt vmcnt(2) lgkmcnt(1)
	v_pk_mul_f32 v[118:119], v[94:95], v[70:71] op_sel:[1,1] op_sel_hi:[0,1]
	v_fmac_f32_e32 v109, v77, v52
	v_mul_f32_e32 v53, v77, v53
	v_mul_f32_e32 v59, v83, v59
	v_fmac_f32_e32 v49, v75, v50
	v_fmac_f32_e32 v107, v83, v58
	v_fma_f32 v83, v74, v50, -v51
	v_pk_mul_f32 v[50:51], v[84:85], v[108:109] op_sel:[1,0] op_sel_hi:[0,0]
	v_pk_fma_f32 v[74:75], v[94:95], v[70:71], v[118:119] neg_lo:[0,0,1] neg_hi:[0,0,1]
	v_pk_fma_f32 v[70:71], v[94:95], v[70:71], v[118:119] op_sel_hi:[1,0,1]
	v_mul_f32_e32 v113, v78, v55
	v_mul_f32_e32 v55, v79, v55
	v_fma_f32 v117, v76, v52, -v53
	v_fma_f32 v106, v82, v58, -v59
	v_add_f32_e32 v49, 0, v49
	v_add_f32_e32 v70, 0, v83
	v_pk_fma_f32 v[82:83], v[84:85], v[60:61], v[50:51] neg_lo:[0,0,1] neg_hi:[0,0,1]
	v_pk_fma_f32 v[50:51], v[84:85], v[60:61], v[50:51] op_sel_hi:[1,0,1]
	v_mul_f32_e32 v105, v80, v57
	v_mul_f32_e32 v57, v81, v57
	v_fmac_f32_e32 v113, v79, v54
	v_fma_f32 v121, v78, v54, -v55
	v_add_f32_e32 v49, v49, v109
	v_add_f32_e32 v50, v70, v117
	v_fmac_f32_e32 v105, v81, v56
	v_fma_f32 v104, v80, v56, -v57
	v_mov_b32_e32 v83, v51
	v_add_f32_e32 v51, v49, v113
	v_add_f32_e32 v50, v50, v121
	v_pk_mul_f32 v[110:111], v[86:87], v[62:63] op_sel:[1,1] op_sel_hi:[0,1]
	v_mov_b32_e32 v112, v65
	v_pk_add_f32 v[50:51], v[50:51], v[104:105]
	v_pk_fma_f32 v[52:53], v[86:87], v[62:63], v[110:111] neg_lo:[0,0,1] neg_hi:[0,0,1]
	v_pk_fma_f32 v[54:55], v[86:87], v[62:63], v[110:111] op_sel_hi:[1,0,1]
	v_pk_mul_f32 v[56:57], v[88:89], v[112:113] op_sel:[1,0] op_sel_hi:[0,0]
	v_pk_add_f32 v[50:51], v[50:51], v[106:107]
	v_pk_mul_f32 v[114:115], v[90:91], v[66:67] op_sel:[1,1] op_sel_hi:[0,1]
	v_mov_b32_e32 v116, v69
	v_mov_b32_e32 v53, v55
	v_pk_fma_f32 v[54:55], v[88:89], v[64:65], v[56:57] neg_lo:[0,0,1] neg_hi:[0,0,1]
	v_pk_fma_f32 v[56:57], v[88:89], v[64:65], v[56:57] op_sel_hi:[1,0,1]
	v_pk_add_f32 v[50:51], v[50:51], v[82:83]
	v_pk_fma_f32 v[58:59], v[90:91], v[66:67], v[114:115] neg_lo:[0,0,1] neg_hi:[0,0,1]
	v_pk_fma_f32 v[62:63], v[90:91], v[66:67], v[114:115] op_sel_hi:[1,0,1]
	v_pk_mul_f32 v[66:67], v[92:93], v[116:117] op_sel:[1,0] op_sel_hi:[0,0]
	v_mov_b32_e32 v55, v57
	v_pk_add_f32 v[50:51], v[50:51], v[52:53]
	v_mov_b32_e32 v120, v73
	v_mov_b32_e32 v59, v63
	v_pk_fma_f32 v[60:61], v[92:93], v[68:69], v[66:67] neg_lo:[0,0,1] neg_hi:[0,0,1]
	v_pk_fma_f32 v[62:63], v[92:93], v[68:69], v[66:67] op_sel_hi:[1,0,1]
	v_pk_add_f32 v[50:51], v[50:51], v[54:55]
	v_pk_mul_f32 v[76:77], v[96:97], v[120:121] op_sel:[1,0] op_sel_hi:[0,0]
	v_mov_b32_e32 v61, v63
	v_pk_add_f32 v[50:51], v[50:51], v[58:59]
	s_waitcnt vmcnt(1) lgkmcnt(0)
	v_pk_mul_f32 v[122:123], v[102:103], v[98:99] op_sel:[1,1] op_sel_hi:[0,1]
	v_mov_b32_e32 v75, v71
	v_pk_fma_f32 v[64:65], v[96:97], v[72:73], v[76:77] neg_lo:[0,0,1] neg_hi:[0,0,1]
	v_pk_fma_f32 v[66:67], v[96:97], v[72:73], v[76:77] op_sel_hi:[1,0,1]
	v_pk_add_f32 v[50:51], v[50:51], v[60:61]
	v_pk_fma_f32 v[78:79], v[102:103], v[98:99], v[122:123] neg_lo:[0,0,1] neg_hi:[0,0,1]
	v_pk_fma_f32 v[80:81], v[102:103], v[98:99], v[122:123] op_sel_hi:[1,0,1]
	v_mov_b32_e32 v65, v67
	v_pk_add_f32 v[50:51], v[50:51], v[74:75]
	v_mov_b32_e32 v79, v81
	v_pk_add_f32 v[50:51], v[50:51], v[64:65]
	s_nop 0
	v_pk_add_f32 v[50:51], v[50:51], v[78:79]
	s_waitcnt vmcnt(0)
	v_pk_add_f32 v[50:51], v[100:101], v[50:51] neg_lo:[0,1] neg_hi:[0,1]
	scratch_store_dwordx2 off, v[50:51], off offset:72
	s_and_saveexec_b64 s[0:1], vcc
	s_cbranch_execz .LBB22_135
; %bb.134:
	scratch_load_dwordx2 v[50:51], off, off offset:64
	v_mov_b32_e32 v49, v48
	scratch_store_dwordx2 off, v[48:49], off offset:64
	s_waitcnt vmcnt(1)
	ds_write_b64 v1, v[50:51]
.LBB22_135:
	s_or_b64 exec, exec, s[0:1]
	s_waitcnt lgkmcnt(0)
	; wave barrier
	scratch_load_dwordx4 v[50:53], off, off offset:72
	scratch_load_dwordx4 v[54:57], off, off offset:88
	;; [unrolled: 1-line block ×7, first 2 shown]
	ds_read2_b64 v[78:81], v48 offset0:33 offset1:34
	ds_read2_b64 v[82:85], v48 offset0:35 offset1:36
	;; [unrolled: 1-line block ×6, first 2 shown]
	scratch_load_dwordx2 v[106:107], off, off offset:64
	ds_read2_b64 v[102:105], v48 offset0:45 offset1:46
	v_cmp_lt_u32_e32 vcc, 7, v0
	s_waitcnt vmcnt(7) lgkmcnt(6)
	v_mul_f32_e32 v113, v78, v51
	v_mul_f32_e32 v117, v80, v53
	s_waitcnt vmcnt(6) lgkmcnt(5)
	v_mul_f32_e32 v121, v82, v55
	v_mul_f32_e32 v125, v84, v57
	;; [unrolled: 3-line block ×3, first 2 shown]
	v_mul_f32_e32 v48, v79, v51
	v_mul_f32_e32 v51, v81, v53
	;; [unrolled: 1-line block ×6, first 2 shown]
	s_waitcnt vmcnt(4) lgkmcnt(3)
	v_pk_mul_f32 v[110:111], v[90:91], v[62:63] op_sel:[1,1] op_sel_hi:[0,1]
	v_mov_b32_e32 v112, v65
	s_waitcnt vmcnt(3) lgkmcnt(2)
	v_pk_mul_f32 v[114:115], v[94:95], v[66:67] op_sel:[1,1] op_sel_hi:[0,1]
	v_mov_b32_e32 v116, v69
	s_waitcnt vmcnt(1) lgkmcnt(0)
	v_pk_mul_f32 v[122:123], v[102:103], v[74:75] op_sel:[1,1] op_sel_hi:[0,1]
	v_fmac_f32_e32 v113, v79, v50
	v_fmac_f32_e32 v117, v81, v52
	;; [unrolled: 1-line block ×6, first 2 shown]
	v_fma_f32 v83, v78, v50, -v48
	v_fma_f32 v85, v80, v52, -v51
	;; [unrolled: 1-line block ×6, first 2 shown]
	v_pk_fma_f32 v[50:51], v[90:91], v[62:63], v[110:111] neg_lo:[0,0,1] neg_hi:[0,0,1]
	v_pk_fma_f32 v[52:53], v[90:91], v[62:63], v[110:111] op_sel_hi:[1,0,1]
	v_pk_mul_f32 v[54:55], v[92:93], v[112:113] op_sel:[1,0] op_sel_hi:[0,0]
	v_pk_fma_f32 v[56:57], v[94:95], v[66:67], v[114:115] neg_lo:[0,0,1] neg_hi:[0,0,1]
	v_pk_fma_f32 v[58:59], v[94:95], v[66:67], v[114:115] op_sel_hi:[1,0,1]
	v_pk_mul_f32 v[60:61], v[96:97], v[116:117] op_sel:[1,0] op_sel_hi:[0,0]
	v_pk_fma_f32 v[78:79], v[102:103], v[74:75], v[122:123] neg_lo:[0,0,1] neg_hi:[0,0,1]
	v_pk_fma_f32 v[74:75], v[102:103], v[74:75], v[122:123] op_sel_hi:[1,0,1]
	v_add_f32_e32 v83, 0, v83
	v_add_f32_e32 v74, 0, v113
	v_mov_b32_e32 v51, v53
	v_pk_fma_f32 v[52:53], v[92:93], v[64:65], v[54:55] neg_lo:[0,0,1] neg_hi:[0,0,1]
	v_pk_fma_f32 v[54:55], v[92:93], v[64:65], v[54:55] op_sel_hi:[1,0,1]
	v_mov_b32_e32 v57, v59
	v_pk_fma_f32 v[58:59], v[96:97], v[68:69], v[60:61] neg_lo:[0,0,1] neg_hi:[0,0,1]
	v_pk_fma_f32 v[60:61], v[96:97], v[68:69], v[60:61] op_sel_hi:[1,0,1]
	v_add_f32_e32 v54, v74, v117
	v_add_f32_e32 v60, v83, v85
	;; [unrolled: 1-line block ×4, first 2 shown]
	v_mov_b32_e32 v53, v55
	v_add_f32_e32 v55, v54, v125
	v_add_f32_e32 v54, v60, v84
	v_pk_add_f32 v[48:49], v[54:55], v[48:49]
	v_pk_mul_f32 v[118:119], v[98:99], v[70:71] op_sel:[1,1] op_sel_hi:[0,1]
	v_pk_add_f32 v[48:49], v[48:49], v[108:109]
	v_mov_b32_e32 v120, v73
	v_pk_add_f32 v[48:49], v[48:49], v[50:51]
	v_pk_fma_f32 v[62:63], v[98:99], v[70:71], v[118:119] neg_lo:[0,0,1] neg_hi:[0,0,1]
	v_pk_add_f32 v[48:49], v[48:49], v[52:53]
	v_pk_fma_f32 v[66:67], v[98:99], v[70:71], v[118:119] op_sel_hi:[1,0,1]
	v_pk_mul_f32 v[70:71], v[100:101], v[120:121] op_sel:[1,0] op_sel_hi:[0,0]
	v_mov_b32_e32 v59, v61
	v_pk_add_f32 v[48:49], v[48:49], v[56:57]
	v_mov_b32_e32 v124, v77
	v_mov_b32_e32 v63, v67
	v_pk_fma_f32 v[64:65], v[100:101], v[72:73], v[70:71] neg_lo:[0,0,1] neg_hi:[0,0,1]
	v_pk_fma_f32 v[66:67], v[100:101], v[72:73], v[70:71] op_sel_hi:[1,0,1]
	v_pk_add_f32 v[48:49], v[48:49], v[58:59]
	v_pk_mul_f32 v[80:81], v[104:105], v[124:125] op_sel:[1,0] op_sel_hi:[0,0]
	v_mov_b32_e32 v65, v67
	v_pk_add_f32 v[48:49], v[48:49], v[62:63]
	v_mov_b32_e32 v79, v75
	v_pk_fma_f32 v[68:69], v[104:105], v[76:77], v[80:81] neg_lo:[0,0,1] neg_hi:[0,0,1]
	v_pk_fma_f32 v[70:71], v[104:105], v[76:77], v[80:81] op_sel_hi:[1,0,1]
	v_pk_add_f32 v[48:49], v[48:49], v[64:65]
	v_mov_b32_e32 v69, v71
	v_pk_add_f32 v[48:49], v[48:49], v[78:79]
	s_nop 0
	v_pk_add_f32 v[48:49], v[48:49], v[68:69]
	s_waitcnt vmcnt(0)
	v_pk_add_f32 v[48:49], v[106:107], v[48:49] neg_lo:[0,1] neg_hi:[0,1]
	scratch_store_dwordx2 off, v[48:49], off offset:64
	s_and_saveexec_b64 s[0:1], vcc
	s_cbranch_execz .LBB22_137
; %bb.136:
	scratch_load_dwordx2 v[48:49], off, off offset:56
	v_mov_b32_e32 v50, 0
	v_mov_b32_e32 v51, v50
	scratch_store_dwordx2 off, v[50:51], off offset:56
	s_waitcnt vmcnt(1)
	ds_write_b64 v1, v[48:49]
.LBB22_137:
	s_or_b64 exec, exec, s[0:1]
	s_waitcnt lgkmcnt(0)
	; wave barrier
	scratch_load_dwordx4 v[50:53], off, off offset:64
	scratch_load_dwordx4 v[54:57], off, off offset:80
	;; [unrolled: 1-line block ×7, first 2 shown]
	scratch_load_dwordx2 v[106:107], off, off offset:176
	scratch_load_dwordx2 v[108:109], off, off offset:56
	v_mov_b32_e32 v48, 0
	ds_read_b128 v[78:81], v48 offset:256
	ds_read_b128 v[82:85], v48 offset:272
	;; [unrolled: 1-line block ×7, first 2 shown]
	ds_read_b64 v[110:111], v48 offset:368
	v_cmp_lt_u32_e32 vcc, 6, v0
	s_waitcnt vmcnt(8) lgkmcnt(7)
	v_mul_f32_e32 v117, v80, v53
	v_mul_f32_e32 v49, v78, v51
	s_waitcnt vmcnt(7) lgkmcnt(6)
	v_mul_f32_e32 v121, v82, v55
	s_waitcnt vmcnt(6) lgkmcnt(5)
	v_mul_f32_e32 v129, v86, v59
	v_mul_f32_e32 v113, v88, v61
	;; [unrolled: 1-line block ×5, first 2 shown]
	s_waitcnt vmcnt(5)
	v_mov_b32_e32 v116, v65
	s_waitcnt vmcnt(3) lgkmcnt(2)
	v_pk_mul_f32 v[122:123], v[98:99], v[70:71] op_sel:[1,1] op_sel_hi:[0,1]
	s_waitcnt vmcnt(2) lgkmcnt(1)
	v_pk_mul_f32 v[126:127], v[102:103], v[74:75] op_sel:[1,1] op_sel_hi:[0,1]
	v_fmac_f32_e32 v117, v81, v52
	v_mul_f32_e32 v53, v81, v53
	v_mul_f32_e32 v55, v83, v55
	v_fmac_f32_e32 v49, v79, v50
	v_fmac_f32_e32 v121, v83, v54
	;; [unrolled: 1-line block ×4, first 2 shown]
	v_fma_f32 v78, v78, v50, -v51
	v_fma_f32 v83, v86, v58, -v59
	;; [unrolled: 1-line block ×3, first 2 shown]
	v_pk_mul_f32 v[50:51], v[92:93], v[116:117] op_sel:[1,0] op_sel_hi:[0,0]
	v_pk_fma_f32 v[58:59], v[98:99], v[70:71], v[122:123] neg_lo:[0,0,1] neg_hi:[0,0,1]
	v_pk_fma_f32 v[60:61], v[98:99], v[70:71], v[122:123] op_sel_hi:[1,0,1]
	v_pk_fma_f32 v[70:71], v[102:103], v[74:75], v[126:127] op_sel_hi:[1,0,1]
	v_fma_f32 v80, v80, v52, -v53
	v_add_f32_e32 v49, 0, v49
	v_add_f32_e32 v70, 0, v78
	v_pk_fma_f32 v[78:79], v[92:93], v[64:65], v[50:51] neg_lo:[0,0,1] neg_hi:[0,0,1]
	v_pk_fma_f32 v[50:51], v[92:93], v[64:65], v[50:51] op_sel_hi:[1,0,1]
	v_mul_f32_e32 v125, v84, v57
	v_mul_f32_e32 v57, v85, v57
	v_fma_f32 v81, v82, v54, -v55
	v_add_f32_e32 v49, v49, v117
	v_add_f32_e32 v50, v70, v80
	v_fmac_f32_e32 v125, v85, v56
	v_fma_f32 v82, v84, v56, -v57
	v_add_f32_e32 v49, v49, v121
	v_add_f32_e32 v50, v50, v81
	;; [unrolled: 1-line block ×4, first 2 shown]
	v_mul_f32_e32 v115, v90, v63
	v_mul_f32_e32 v63, v91, v63
	v_mov_b32_e32 v79, v51
	v_add_f32_e32 v51, v49, v129
	v_add_f32_e32 v50, v50, v83
	v_pk_mul_f32 v[118:119], v[94:95], v[66:67] op_sel:[1,1] op_sel_hi:[0,1]
	v_mov_b32_e32 v120, v69
	v_fmac_f32_e32 v115, v91, v62
	v_fma_f32 v114, v90, v62, -v63
	v_pk_add_f32 v[50:51], v[50:51], v[112:113]
	v_pk_fma_f32 v[52:53], v[94:95], v[66:67], v[118:119] neg_lo:[0,0,1] neg_hi:[0,0,1]
	v_pk_fma_f32 v[54:55], v[94:95], v[66:67], v[118:119] op_sel_hi:[1,0,1]
	v_pk_mul_f32 v[56:57], v[96:97], v[120:121] op_sel:[1,0] op_sel_hi:[0,0]
	v_pk_add_f32 v[50:51], v[50:51], v[114:115]
	v_mov_b32_e32 v124, v73
	v_mov_b32_e32 v53, v55
	v_pk_fma_f32 v[54:55], v[96:97], v[68:69], v[56:57] neg_lo:[0,0,1] neg_hi:[0,0,1]
	v_pk_fma_f32 v[56:57], v[96:97], v[68:69], v[56:57] op_sel_hi:[1,0,1]
	v_pk_add_f32 v[50:51], v[50:51], v[78:79]
	v_pk_mul_f32 v[62:63], v[100:101], v[124:125] op_sel:[1,0] op_sel_hi:[0,0]
	v_mov_b32_e32 v55, v57
	v_pk_add_f32 v[50:51], v[50:51], v[52:53]
	v_mov_b32_e32 v128, v77
	v_mov_b32_e32 v59, v61
	v_pk_fma_f32 v[60:61], v[100:101], v[72:73], v[62:63] neg_lo:[0,0,1] neg_hi:[0,0,1]
	v_pk_fma_f32 v[62:63], v[100:101], v[72:73], v[62:63] op_sel_hi:[1,0,1]
	v_pk_add_f32 v[50:51], v[50:51], v[54:55]
	v_pk_fma_f32 v[66:67], v[102:103], v[74:75], v[126:127] neg_lo:[0,0,1] neg_hi:[0,0,1]
	v_pk_mul_f32 v[74:75], v[104:105], v[128:129] op_sel:[1,0] op_sel_hi:[0,0]
	v_mov_b32_e32 v61, v63
	v_pk_add_f32 v[50:51], v[50:51], v[58:59]
	v_mov_b32_e32 v67, v71
	v_pk_add_f32 v[50:51], v[50:51], v[60:61]
	v_pk_fma_f32 v[52:53], v[104:105], v[76:77], v[74:75] neg_lo:[0,0,1] neg_hi:[0,0,1]
	v_pk_fma_f32 v[54:55], v[104:105], v[76:77], v[74:75] op_sel_hi:[1,0,1]
	v_pk_add_f32 v[50:51], v[50:51], v[66:67]
	v_mov_b32_e32 v53, v55
	v_pk_add_f32 v[50:51], v[50:51], v[52:53]
	s_waitcnt vmcnt(1) lgkmcnt(0)
	v_pk_mul_f32 v[52:53], v[110:111], v[106:107] op_sel:[1,1] op_sel_hi:[0,1]
	v_pk_fma_f32 v[54:55], v[110:111], v[106:107], v[52:53] neg_lo:[0,0,1] neg_hi:[0,0,1]
	v_pk_fma_f32 v[52:53], v[110:111], v[106:107], v[52:53] op_sel_hi:[1,0,1]
	s_nop 0
	v_mov_b32_e32 v55, v53
	v_pk_add_f32 v[50:51], v[50:51], v[54:55]
	s_waitcnt vmcnt(0)
	v_pk_add_f32 v[50:51], v[108:109], v[50:51] neg_lo:[0,1] neg_hi:[0,1]
	scratch_store_dwordx2 off, v[50:51], off offset:56
	s_and_saveexec_b64 s[0:1], vcc
	s_cbranch_execz .LBB22_139
; %bb.138:
	scratch_load_dwordx2 v[50:51], off, off offset:48
	v_mov_b32_e32 v49, v48
	scratch_store_dwordx2 off, v[48:49], off offset:48
	s_waitcnt vmcnt(1)
	ds_write_b64 v1, v[50:51]
.LBB22_139:
	s_or_b64 exec, exec, s[0:1]
	s_waitcnt lgkmcnt(0)
	; wave barrier
	scratch_load_dwordx4 v[54:57], off, off offset:56
	scratch_load_dwordx4 v[62:65], off, off offset:72
	;; [unrolled: 1-line block ×4, first 2 shown]
	ds_read2_b64 v[50:53], v48 offset0:31 offset1:32
	v_cmp_lt_u32_e32 vcc, 5, v0
	s_waitcnt vmcnt(3) lgkmcnt(0)
	v_mul_f32_e32 v49, v50, v55
	v_fmac_f32_e32 v49, v51, v54
	v_mul_f32_e32 v58, v52, v57
	v_add_f32_e32 v49, 0, v49
	v_fmac_f32_e32 v58, v53, v56
	v_add_f32_e32 v49, v49, v58
	ds_read2_b64 v[58:61], v48 offset0:33 offset1:34
	s_waitcnt vmcnt(2) lgkmcnt(0)
	v_mul_f32_e32 v66, v58, v63
	v_fmac_f32_e32 v66, v59, v62
	v_add_f32_e32 v49, v49, v66
	v_mul_f32_e32 v66, v60, v65
	v_fmac_f32_e32 v66, v61, v64
	v_add_f32_e32 v49, v49, v66
	ds_read2_b64 v[66:69], v48 offset0:35 offset1:36
	s_waitcnt vmcnt(1) lgkmcnt(0)
	v_mul_f32_e32 v74, v66, v71
	v_fmac_f32_e32 v74, v67, v70
	v_add_f32_e32 v49, v49, v74
	v_mul_f32_e32 v74, v68, v73
	v_fmac_f32_e32 v74, v69, v72
	v_add_f32_e32 v99, v49, v74
	ds_read2_b64 v[74:77], v48 offset0:37 offset1:38
	scratch_load_dwordx4 v[82:85], off, off offset:120
	scratch_load_dwordx4 v[86:89], off, off offset:136
	;; [unrolled: 1-line block ×4, first 2 shown]
	v_mul_f32_e32 v49, v51, v55
	v_fma_f32 v49, v50, v54, -v49
	v_mul_f32_e32 v50, v53, v57
	v_add_f32_e32 v49, 0, v49
	v_fma_f32 v50, v52, v56, -v50
	v_add_f32_e32 v49, v49, v50
	v_mul_f32_e32 v50, v59, v63
	v_fma_f32 v50, v58, v62, -v50
	v_add_f32_e32 v49, v49, v50
	v_mul_f32_e32 v50, v61, v65
	;; [unrolled: 3-line block ×4, first 2 shown]
	v_fma_f32 v50, v68, v72, -v50
	v_add_f32_e32 v98, v49, v50
	ds_read2_b64 v[50:53], v48 offset0:39 offset1:40
	ds_read2_b64 v[54:57], v48 offset0:41 offset1:42
	;; [unrolled: 1-line block ×4, first 2 shown]
	s_waitcnt vmcnt(4) lgkmcnt(4)
	v_mul_f32_e32 v101, v74, v79
	v_mul_f32_e32 v49, v75, v79
	v_fmac_f32_e32 v101, v75, v78
	v_mul_f32_e32 v103, v76, v81
	v_fma_f32 v100, v74, v78, -v49
	v_mul_f32_e32 v49, v77, v81
	v_fmac_f32_e32 v103, v77, v80
	v_fma_f32 v102, v76, v80, -v49
	v_pk_add_f32 v[48:49], v[98:99], v[100:101]
	s_waitcnt vmcnt(3) lgkmcnt(3)
	v_pk_mul_f32 v[66:67], v[50:51], v[82:83] op_sel:[1,1] op_sel_hi:[0,1]
	v_pk_fma_f32 v[68:69], v[50:51], v[82:83], v[66:67] neg_lo:[0,0,1] neg_hi:[0,0,1]
	v_pk_fma_f32 v[50:51], v[50:51], v[82:83], v[66:67] op_sel_hi:[1,0,1]
	v_pk_add_f32 v[48:49], v[48:49], v[102:103]
	v_mov_b32_e32 v50, v85
	v_mov_b32_e32 v69, v51
	v_pk_mul_f32 v[50:51], v[52:53], v[50:51] op_sel:[1,0] op_sel_hi:[0,0]
	v_pk_fma_f32 v[66:67], v[52:53], v[84:85], v[50:51] neg_lo:[0,0,1] neg_hi:[0,0,1]
	v_pk_fma_f32 v[50:51], v[52:53], v[84:85], v[50:51] op_sel_hi:[1,0,1]
	v_pk_add_f32 v[48:49], v[48:49], v[68:69]
	v_mov_b32_e32 v67, v51
	s_waitcnt vmcnt(2) lgkmcnt(2)
	v_pk_mul_f32 v[50:51], v[54:55], v[86:87] op_sel:[1,1] op_sel_hi:[0,1]
	v_pk_fma_f32 v[52:53], v[54:55], v[86:87], v[50:51] neg_lo:[0,0,1] neg_hi:[0,0,1]
	v_pk_fma_f32 v[50:51], v[54:55], v[86:87], v[50:51] op_sel_hi:[1,0,1]
	v_pk_add_f32 v[48:49], v[48:49], v[66:67]
	v_mov_b32_e32 v50, v89
	v_mov_b32_e32 v53, v51
	v_pk_mul_f32 v[50:51], v[56:57], v[50:51] op_sel:[1,0] op_sel_hi:[0,0]
	v_pk_add_f32 v[48:49], v[48:49], v[52:53]
	v_pk_fma_f32 v[52:53], v[56:57], v[88:89], v[50:51] neg_lo:[0,0,1] neg_hi:[0,0,1]
	v_pk_fma_f32 v[50:51], v[56:57], v[88:89], v[50:51] op_sel_hi:[1,0,1]
	s_nop 0
	v_mov_b32_e32 v53, v51
	s_waitcnt vmcnt(1) lgkmcnt(1)
	v_pk_mul_f32 v[50:51], v[58:59], v[90:91] op_sel:[1,1] op_sel_hi:[0,1]
	v_pk_add_f32 v[48:49], v[48:49], v[52:53]
	v_pk_fma_f32 v[52:53], v[58:59], v[90:91], v[50:51] neg_lo:[0,0,1] neg_hi:[0,0,1]
	v_pk_fma_f32 v[50:51], v[58:59], v[90:91], v[50:51] op_sel_hi:[1,0,1]
	s_nop 0
	v_mov_b32_e32 v50, v93
	v_mov_b32_e32 v53, v51
	v_pk_mul_f32 v[50:51], v[60:61], v[50:51] op_sel:[1,0] op_sel_hi:[0,0]
	v_pk_add_f32 v[48:49], v[48:49], v[52:53]
	v_pk_fma_f32 v[52:53], v[60:61], v[92:93], v[50:51] neg_lo:[0,0,1] neg_hi:[0,0,1]
	v_pk_fma_f32 v[50:51], v[60:61], v[92:93], v[50:51] op_sel_hi:[1,0,1]
	s_nop 0
	v_mov_b32_e32 v53, v51
	s_waitcnt vmcnt(0) lgkmcnt(0)
	v_pk_mul_f32 v[50:51], v[62:63], v[94:95] op_sel:[1,1] op_sel_hi:[0,1]
	v_pk_add_f32 v[48:49], v[48:49], v[52:53]
	v_pk_fma_f32 v[52:53], v[62:63], v[94:95], v[50:51] neg_lo:[0,0,1] neg_hi:[0,0,1]
	v_pk_fma_f32 v[50:51], v[62:63], v[94:95], v[50:51] op_sel_hi:[1,0,1]
	s_nop 0
	v_mov_b32_e32 v50, v97
	v_mov_b32_e32 v53, v51
	v_pk_mul_f32 v[50:51], v[64:65], v[50:51] op_sel:[1,0] op_sel_hi:[0,0]
	v_pk_add_f32 v[48:49], v[48:49], v[52:53]
	v_pk_fma_f32 v[52:53], v[64:65], v[96:97], v[50:51] neg_lo:[0,0,1] neg_hi:[0,0,1]
	v_pk_fma_f32 v[50:51], v[64:65], v[96:97], v[50:51] op_sel_hi:[1,0,1]
	s_nop 0
	v_mov_b32_e32 v53, v51
	scratch_load_dwordx2 v[50:51], off, off offset:48
	v_pk_add_f32 v[48:49], v[48:49], v[52:53]
	s_waitcnt vmcnt(0)
	v_pk_add_f32 v[48:49], v[50:51], v[48:49] neg_lo:[0,1] neg_hi:[0,1]
	scratch_store_dwordx2 off, v[48:49], off offset:48
	s_and_saveexec_b64 s[0:1], vcc
	s_cbranch_execz .LBB22_141
; %bb.140:
	scratch_load_dwordx2 v[48:49], off, off offset:40
	v_mov_b32_e32 v50, 0
	v_mov_b32_e32 v51, v50
	scratch_store_dwordx2 off, v[50:51], off offset:40
	s_waitcnt vmcnt(1)
	ds_write_b64 v1, v[48:49]
.LBB22_141:
	s_or_b64 exec, exec, s[0:1]
	v_mov_b32_e32 v48, 0
	s_waitcnt lgkmcnt(0)
	; wave barrier
	ds_read_b128 v[50:53], v48 offset:240
	ds_read_b128 v[54:57], v48 offset:256
	;; [unrolled: 1-line block ×4, first 2 shown]
	scratch_load_dwordx4 v[66:69], off, off offset:48
	scratch_load_dwordx4 v[86:89], off, off offset:112
	v_cmp_lt_u32_e32 vcc, 4, v0
	s_waitcnt vmcnt(1) lgkmcnt(3)
	v_mul_f32_e32 v49, v50, v67
	v_fmac_f32_e32 v49, v51, v66
	v_mul_f32_e32 v70, v52, v69
	v_add_f32_e32 v49, 0, v49
	v_fmac_f32_e32 v70, v53, v68
	v_add_f32_e32 v49, v49, v70
	scratch_load_dwordx4 v[70:73], off, off offset:64
	s_waitcnt vmcnt(0) lgkmcnt(2)
	v_mul_f32_e32 v74, v54, v71
	v_fmac_f32_e32 v74, v55, v70
	v_add_f32_e32 v49, v49, v74
	v_mul_f32_e32 v74, v56, v73
	v_fmac_f32_e32 v74, v57, v72
	v_add_f32_e32 v49, v49, v74
	scratch_load_dwordx4 v[74:77], off, off offset:80
	s_waitcnt vmcnt(0) lgkmcnt(1)
	v_mul_f32_e32 v78, v58, v75
	v_fmac_f32_e32 v78, v59, v74
	v_add_f32_e32 v49, v49, v78
	v_mul_f32_e32 v78, v60, v77
	v_fmac_f32_e32 v78, v61, v76
	v_add_f32_e32 v49, v49, v78
	scratch_load_dwordx4 v[78:81], off, off offset:96
	s_waitcnt vmcnt(0) lgkmcnt(0)
	v_mul_f32_e32 v82, v62, v79
	v_fmac_f32_e32 v82, v63, v78
	v_add_f32_e32 v103, v49, v82
	ds_read_b128 v[82:85], v48 offset:304
	scratch_load_dwordx4 v[90:93], off, off offset:128
	scratch_load_dwordx4 v[94:97], off, off offset:144
	;; [unrolled: 1-line block ×3, first 2 shown]
	scratch_load_dwordx2 v[108:109], off, off offset:176
	v_mul_f32_e32 v49, v51, v67
	v_fma_f32 v49, v50, v66, -v49
	v_mul_f32_e32 v50, v53, v69
	v_add_f32_e32 v49, 0, v49
	v_fma_f32 v50, v52, v68, -v50
	v_add_f32_e32 v49, v49, v50
	v_mul_f32_e32 v50, v55, v71
	v_fma_f32 v50, v54, v70, -v50
	v_add_f32_e32 v49, v49, v50
	v_mul_f32_e32 v50, v57, v73
	;; [unrolled: 3-line block ×5, first 2 shown]
	v_fma_f32 v50, v62, v78, -v50
	v_mul_f32_e32 v105, v64, v81
	v_add_f32_e32 v102, v49, v50
	v_mul_f32_e32 v49, v65, v81
	v_mov_b32_e32 v66, v89
	v_fmac_f32_e32 v105, v65, v80
	s_waitcnt lgkmcnt(0)
	v_mul_f32_e32 v107, v82, v87
	v_fma_f32 v104, v64, v80, -v49
	v_mul_f32_e32 v49, v83, v87
	ds_read_b128 v[50:53], v48 offset:320
	ds_read_b128 v[54:57], v48 offset:336
	;; [unrolled: 1-line block ×3, first 2 shown]
	ds_read_b64 v[62:63], v48 offset:368
	v_pk_mul_f32 v[66:67], v[84:85], v[66:67] op_sel:[1,0] op_sel_hi:[0,0]
	v_fmac_f32_e32 v107, v83, v86
	v_fma_f32 v106, v82, v86, -v49
	v_pk_add_f32 v[64:65], v[102:103], v[104:105]
	v_pk_fma_f32 v[68:69], v[84:85], v[88:89], v[66:67] neg_lo:[0,0,1] neg_hi:[0,0,1]
	v_pk_fma_f32 v[66:67], v[84:85], v[88:89], v[66:67] op_sel_hi:[1,0,1]
	v_pk_add_f32 v[64:65], v[64:65], v[106:107]
	v_mov_b32_e32 v69, v67
	v_pk_add_f32 v[64:65], v[64:65], v[68:69]
	s_waitcnt vmcnt(3) lgkmcnt(3)
	v_pk_mul_f32 v[66:67], v[50:51], v[90:91] op_sel:[1,1] op_sel_hi:[0,1]
	v_pk_fma_f32 v[68:69], v[50:51], v[90:91], v[66:67] neg_lo:[0,0,1] neg_hi:[0,0,1]
	v_pk_fma_f32 v[50:51], v[50:51], v[90:91], v[66:67] op_sel_hi:[1,0,1]
	s_nop 0
	v_mov_b32_e32 v69, v51
	v_pk_add_f32 v[50:51], v[64:65], v[68:69]
	v_mov_b32_e32 v64, v93
	v_pk_mul_f32 v[64:65], v[52:53], v[64:65] op_sel:[1,0] op_sel_hi:[0,0]
	v_pk_fma_f32 v[66:67], v[52:53], v[92:93], v[64:65] neg_lo:[0,0,1] neg_hi:[0,0,1]
	v_pk_fma_f32 v[52:53], v[52:53], v[92:93], v[64:65] op_sel_hi:[1,0,1]
	s_nop 0
	v_mov_b32_e32 v67, v53
	s_waitcnt vmcnt(2) lgkmcnt(2)
	v_pk_mul_f32 v[52:53], v[54:55], v[94:95] op_sel:[1,1] op_sel_hi:[0,1]
	v_pk_fma_f32 v[64:65], v[54:55], v[94:95], v[52:53] neg_lo:[0,0,1] neg_hi:[0,0,1]
	v_pk_fma_f32 v[52:53], v[54:55], v[94:95], v[52:53] op_sel_hi:[1,0,1]
	v_pk_add_f32 v[50:51], v[50:51], v[66:67]
	v_mov_b32_e32 v52, v97
	v_mov_b32_e32 v65, v53
	v_pk_mul_f32 v[52:53], v[56:57], v[52:53] op_sel:[1,0] op_sel_hi:[0,0]
	v_pk_fma_f32 v[54:55], v[56:57], v[96:97], v[52:53] neg_lo:[0,0,1] neg_hi:[0,0,1]
	v_pk_fma_f32 v[52:53], v[56:57], v[96:97], v[52:53] op_sel_hi:[1,0,1]
	v_pk_add_f32 v[50:51], v[50:51], v[64:65]
	v_mov_b32_e32 v55, v53
	s_waitcnt vmcnt(1) lgkmcnt(1)
	v_pk_mul_f32 v[52:53], v[58:59], v[98:99] op_sel:[1,1] op_sel_hi:[0,1]
	v_pk_add_f32 v[50:51], v[50:51], v[54:55]
	v_pk_fma_f32 v[54:55], v[58:59], v[98:99], v[52:53] neg_lo:[0,0,1] neg_hi:[0,0,1]
	v_pk_fma_f32 v[52:53], v[58:59], v[98:99], v[52:53] op_sel_hi:[1,0,1]
	s_nop 0
	v_mov_b32_e32 v52, v101
	v_mov_b32_e32 v55, v53
	v_pk_mul_f32 v[52:53], v[60:61], v[52:53] op_sel:[1,0] op_sel_hi:[0,0]
	v_pk_add_f32 v[50:51], v[50:51], v[54:55]
	v_pk_fma_f32 v[54:55], v[60:61], v[100:101], v[52:53] neg_lo:[0,0,1] neg_hi:[0,0,1]
	v_pk_fma_f32 v[52:53], v[60:61], v[100:101], v[52:53] op_sel_hi:[1,0,1]
	s_nop 0
	v_mov_b32_e32 v55, v53
	s_waitcnt vmcnt(0) lgkmcnt(0)
	v_pk_mul_f32 v[52:53], v[62:63], v[108:109] op_sel:[1,1] op_sel_hi:[0,1]
	v_pk_add_f32 v[50:51], v[50:51], v[54:55]
	v_pk_fma_f32 v[54:55], v[62:63], v[108:109], v[52:53] neg_lo:[0,0,1] neg_hi:[0,0,1]
	v_pk_fma_f32 v[52:53], v[62:63], v[108:109], v[52:53] op_sel_hi:[1,0,1]
	s_nop 0
	v_mov_b32_e32 v55, v53
	scratch_load_dwordx2 v[52:53], off, off offset:40
	v_pk_add_f32 v[50:51], v[50:51], v[54:55]
	s_waitcnt vmcnt(0)
	v_pk_add_f32 v[50:51], v[52:53], v[50:51] neg_lo:[0,1] neg_hi:[0,1]
	scratch_store_dwordx2 off, v[50:51], off offset:40
	s_and_saveexec_b64 s[0:1], vcc
	s_cbranch_execz .LBB22_143
; %bb.142:
	scratch_load_dwordx2 v[50:51], off, off offset:32
	v_mov_b32_e32 v49, v48
	scratch_store_dwordx2 off, v[48:49], off offset:32
	s_waitcnt vmcnt(1)
	ds_write_b64 v1, v[50:51]
.LBB22_143:
	s_or_b64 exec, exec, s[0:1]
	s_waitcnt lgkmcnt(0)
	; wave barrier
	scratch_load_dwordx4 v[54:57], off, off offset:40
	scratch_load_dwordx4 v[62:65], off, off offset:56
	;; [unrolled: 1-line block ×4, first 2 shown]
	ds_read2_b64 v[50:53], v48 offset0:29 offset1:30
	scratch_load_dwordx4 v[86:89], off, off offset:104
	v_cmp_lt_u32_e32 vcc, 3, v0
	s_waitcnt vmcnt(4) lgkmcnt(0)
	v_mul_f32_e32 v49, v50, v55
	v_fmac_f32_e32 v49, v51, v54
	v_mul_f32_e32 v58, v52, v57
	v_add_f32_e32 v49, 0, v49
	v_fmac_f32_e32 v58, v53, v56
	v_add_f32_e32 v49, v49, v58
	ds_read2_b64 v[58:61], v48 offset0:31 offset1:32
	s_waitcnt vmcnt(3) lgkmcnt(0)
	v_mul_f32_e32 v66, v58, v63
	v_fmac_f32_e32 v66, v59, v62
	v_add_f32_e32 v49, v49, v66
	v_mul_f32_e32 v66, v60, v65
	v_fmac_f32_e32 v66, v61, v64
	v_add_f32_e32 v49, v49, v66
	ds_read2_b64 v[66:69], v48 offset0:33 offset1:34
	s_waitcnt vmcnt(2) lgkmcnt(0)
	v_mul_f32_e32 v74, v66, v71
	v_fmac_f32_e32 v74, v67, v70
	v_add_f32_e32 v49, v49, v74
	v_mul_f32_e32 v74, v68, v73
	;; [unrolled: 8-line block ×3, first 2 shown]
	v_fmac_f32_e32 v82, v77, v80
	v_add_f32_e32 v107, v49, v82
	ds_read2_b64 v[82:85], v48 offset0:37 offset1:38
	scratch_load_dwordx4 v[90:93], off, off offset:120
	scratch_load_dwordx4 v[94:97], off, off offset:136
	;; [unrolled: 1-line block ×4, first 2 shown]
	v_mul_f32_e32 v49, v51, v55
	v_fma_f32 v49, v50, v54, -v49
	v_mul_f32_e32 v50, v53, v57
	v_add_f32_e32 v49, 0, v49
	v_fma_f32 v50, v52, v56, -v50
	v_add_f32_e32 v49, v49, v50
	v_mul_f32_e32 v50, v59, v63
	v_fma_f32 v50, v58, v62, -v50
	v_add_f32_e32 v49, v49, v50
	v_mul_f32_e32 v50, v61, v65
	;; [unrolled: 3-line block ×6, first 2 shown]
	v_fma_f32 v50, v76, v80, -v50
	v_add_f32_e32 v106, v49, v50
	ds_read2_b64 v[50:53], v48 offset0:39 offset1:40
	ds_read2_b64 v[54:57], v48 offset0:41 offset1:42
	;; [unrolled: 1-line block ×4, first 2 shown]
	s_waitcnt vmcnt(4) lgkmcnt(4)
	v_mul_f32_e32 v109, v82, v87
	v_mul_f32_e32 v49, v83, v87
	v_fmac_f32_e32 v109, v83, v86
	v_mul_f32_e32 v111, v84, v89
	v_fma_f32 v108, v82, v86, -v49
	v_mul_f32_e32 v49, v85, v89
	v_fmac_f32_e32 v111, v85, v88
	v_fma_f32 v110, v84, v88, -v49
	v_pk_add_f32 v[48:49], v[106:107], v[108:109]
	s_waitcnt vmcnt(3) lgkmcnt(3)
	v_pk_mul_f32 v[66:67], v[50:51], v[90:91] op_sel:[1,1] op_sel_hi:[0,1]
	v_pk_fma_f32 v[68:69], v[50:51], v[90:91], v[66:67] neg_lo:[0,0,1] neg_hi:[0,0,1]
	v_pk_fma_f32 v[50:51], v[50:51], v[90:91], v[66:67] op_sel_hi:[1,0,1]
	v_pk_add_f32 v[48:49], v[48:49], v[110:111]
	v_mov_b32_e32 v50, v93
	v_mov_b32_e32 v69, v51
	v_pk_mul_f32 v[50:51], v[52:53], v[50:51] op_sel:[1,0] op_sel_hi:[0,0]
	v_pk_fma_f32 v[66:67], v[52:53], v[92:93], v[50:51] neg_lo:[0,0,1] neg_hi:[0,0,1]
	v_pk_fma_f32 v[50:51], v[52:53], v[92:93], v[50:51] op_sel_hi:[1,0,1]
	v_pk_add_f32 v[48:49], v[48:49], v[68:69]
	v_mov_b32_e32 v67, v51
	s_waitcnt vmcnt(2) lgkmcnt(2)
	v_pk_mul_f32 v[50:51], v[54:55], v[94:95] op_sel:[1,1] op_sel_hi:[0,1]
	v_pk_fma_f32 v[52:53], v[54:55], v[94:95], v[50:51] neg_lo:[0,0,1] neg_hi:[0,0,1]
	v_pk_fma_f32 v[50:51], v[54:55], v[94:95], v[50:51] op_sel_hi:[1,0,1]
	v_pk_add_f32 v[48:49], v[48:49], v[66:67]
	v_mov_b32_e32 v50, v97
	v_mov_b32_e32 v53, v51
	v_pk_mul_f32 v[50:51], v[56:57], v[50:51] op_sel:[1,0] op_sel_hi:[0,0]
	v_pk_add_f32 v[48:49], v[48:49], v[52:53]
	v_pk_fma_f32 v[52:53], v[56:57], v[96:97], v[50:51] neg_lo:[0,0,1] neg_hi:[0,0,1]
	v_pk_fma_f32 v[50:51], v[56:57], v[96:97], v[50:51] op_sel_hi:[1,0,1]
	s_nop 0
	v_mov_b32_e32 v53, v51
	s_waitcnt vmcnt(1) lgkmcnt(1)
	v_pk_mul_f32 v[50:51], v[58:59], v[98:99] op_sel:[1,1] op_sel_hi:[0,1]
	v_pk_add_f32 v[48:49], v[48:49], v[52:53]
	v_pk_fma_f32 v[52:53], v[58:59], v[98:99], v[50:51] neg_lo:[0,0,1] neg_hi:[0,0,1]
	v_pk_fma_f32 v[50:51], v[58:59], v[98:99], v[50:51] op_sel_hi:[1,0,1]
	s_nop 0
	v_mov_b32_e32 v50, v101
	v_mov_b32_e32 v53, v51
	v_pk_mul_f32 v[50:51], v[60:61], v[50:51] op_sel:[1,0] op_sel_hi:[0,0]
	v_pk_add_f32 v[48:49], v[48:49], v[52:53]
	v_pk_fma_f32 v[52:53], v[60:61], v[100:101], v[50:51] neg_lo:[0,0,1] neg_hi:[0,0,1]
	v_pk_fma_f32 v[50:51], v[60:61], v[100:101], v[50:51] op_sel_hi:[1,0,1]
	s_nop 0
	v_mov_b32_e32 v53, v51
	s_waitcnt vmcnt(0) lgkmcnt(0)
	v_pk_mul_f32 v[50:51], v[62:63], v[102:103] op_sel:[1,1] op_sel_hi:[0,1]
	v_pk_add_f32 v[48:49], v[48:49], v[52:53]
	v_pk_fma_f32 v[52:53], v[62:63], v[102:103], v[50:51] neg_lo:[0,0,1] neg_hi:[0,0,1]
	v_pk_fma_f32 v[50:51], v[62:63], v[102:103], v[50:51] op_sel_hi:[1,0,1]
	s_nop 0
	v_mov_b32_e32 v50, v105
	v_mov_b32_e32 v53, v51
	v_pk_mul_f32 v[50:51], v[64:65], v[50:51] op_sel:[1,0] op_sel_hi:[0,0]
	v_pk_add_f32 v[48:49], v[48:49], v[52:53]
	v_pk_fma_f32 v[52:53], v[64:65], v[104:105], v[50:51] neg_lo:[0,0,1] neg_hi:[0,0,1]
	v_pk_fma_f32 v[50:51], v[64:65], v[104:105], v[50:51] op_sel_hi:[1,0,1]
	s_nop 0
	v_mov_b32_e32 v53, v51
	scratch_load_dwordx2 v[50:51], off, off offset:32
	v_pk_add_f32 v[48:49], v[48:49], v[52:53]
	s_waitcnt vmcnt(0)
	v_pk_add_f32 v[48:49], v[50:51], v[48:49] neg_lo:[0,1] neg_hi:[0,1]
	scratch_store_dwordx2 off, v[48:49], off offset:32
	s_and_saveexec_b64 s[0:1], vcc
	s_cbranch_execz .LBB22_145
; %bb.144:
	scratch_load_dwordx2 v[48:49], off, off offset:24
	v_mov_b32_e32 v50, 0
	v_mov_b32_e32 v51, v50
	scratch_store_dwordx2 off, v[50:51], off offset:24
	s_waitcnt vmcnt(1)
	ds_write_b64 v1, v[48:49]
.LBB22_145:
	s_or_b64 exec, exec, s[0:1]
	v_mov_b32_e32 v48, 0
	s_waitcnt lgkmcnt(0)
	; wave barrier
	ds_read_b128 v[50:53], v48 offset:224
	ds_read_b128 v[54:57], v48 offset:240
	;; [unrolled: 1-line block ×4, first 2 shown]
	scratch_load_dwordx4 v[66:69], off, off offset:32
	scratch_load_dwordx4 v[86:89], off, off offset:96
	v_cmp_lt_u32_e32 vcc, 2, v0
	scratch_load_dwordx4 v[94:97], off, off offset:112
	s_waitcnt vmcnt(2) lgkmcnt(3)
	v_mul_f32_e32 v49, v50, v67
	v_fmac_f32_e32 v49, v51, v66
	v_mul_f32_e32 v70, v52, v69
	v_add_f32_e32 v49, 0, v49
	v_fmac_f32_e32 v70, v53, v68
	v_add_f32_e32 v49, v49, v70
	scratch_load_dwordx4 v[70:73], off, off offset:48
	s_waitcnt vmcnt(0) lgkmcnt(2)
	v_mul_f32_e32 v74, v54, v71
	v_fmac_f32_e32 v74, v55, v70
	v_add_f32_e32 v49, v49, v74
	v_mul_f32_e32 v74, v56, v73
	v_fmac_f32_e32 v74, v57, v72
	v_add_f32_e32 v49, v49, v74
	scratch_load_dwordx4 v[74:77], off, off offset:64
	s_waitcnt vmcnt(0) lgkmcnt(1)
	v_mul_f32_e32 v78, v58, v75
	v_fmac_f32_e32 v78, v59, v74
	v_add_f32_e32 v49, v49, v78
	v_mul_f32_e32 v78, v60, v77
	;; [unrolled: 8-line block ×3, first 2 shown]
	v_fmac_f32_e32 v82, v65, v80
	v_add_f32_e32 v49, v49, v82
	ds_read_b128 v[82:85], v48 offset:288
	s_waitcnt lgkmcnt(0)
	v_mul_f32_e32 v90, v82, v87
	v_fmac_f32_e32 v90, v83, v86
	v_add_f32_e32 v111, v49, v90
	ds_read_b128 v[90:93], v48 offset:304
	scratch_load_dwordx4 v[98:101], off, off offset:128
	scratch_load_dwordx4 v[102:105], off, off offset:144
	;; [unrolled: 1-line block ×3, first 2 shown]
	scratch_load_dwordx2 v[116:117], off, off offset:176
	v_mul_f32_e32 v49, v51, v67
	v_fma_f32 v49, v50, v66, -v49
	v_mul_f32_e32 v50, v53, v69
	v_add_f32_e32 v49, 0, v49
	v_fma_f32 v50, v52, v68, -v50
	v_add_f32_e32 v49, v49, v50
	v_mul_f32_e32 v50, v55, v71
	v_fma_f32 v50, v54, v70, -v50
	v_add_f32_e32 v49, v49, v50
	v_mul_f32_e32 v50, v57, v73
	;; [unrolled: 3-line block ×7, first 2 shown]
	v_fma_f32 v50, v82, v86, -v50
	v_mul_f32_e32 v113, v84, v89
	v_add_f32_e32 v110, v49, v50
	v_mul_f32_e32 v49, v85, v89
	v_mov_b32_e32 v66, v97
	v_fmac_f32_e32 v113, v85, v88
	s_waitcnt lgkmcnt(0)
	v_mul_f32_e32 v115, v90, v95
	v_fma_f32 v112, v84, v88, -v49
	v_mul_f32_e32 v49, v91, v95
	ds_read_b128 v[50:53], v48 offset:320
	ds_read_b128 v[54:57], v48 offset:336
	;; [unrolled: 1-line block ×3, first 2 shown]
	ds_read_b64 v[62:63], v48 offset:368
	v_pk_mul_f32 v[66:67], v[92:93], v[66:67] op_sel:[1,0] op_sel_hi:[0,0]
	v_fmac_f32_e32 v115, v91, v94
	v_fma_f32 v114, v90, v94, -v49
	v_pk_add_f32 v[64:65], v[110:111], v[112:113]
	v_pk_fma_f32 v[68:69], v[92:93], v[96:97], v[66:67] neg_lo:[0,0,1] neg_hi:[0,0,1]
	v_pk_fma_f32 v[66:67], v[92:93], v[96:97], v[66:67] op_sel_hi:[1,0,1]
	v_pk_add_f32 v[64:65], v[64:65], v[114:115]
	v_mov_b32_e32 v69, v67
	v_pk_add_f32 v[64:65], v[64:65], v[68:69]
	s_waitcnt vmcnt(3) lgkmcnt(3)
	v_pk_mul_f32 v[66:67], v[50:51], v[98:99] op_sel:[1,1] op_sel_hi:[0,1]
	v_pk_fma_f32 v[68:69], v[50:51], v[98:99], v[66:67] neg_lo:[0,0,1] neg_hi:[0,0,1]
	v_pk_fma_f32 v[50:51], v[50:51], v[98:99], v[66:67] op_sel_hi:[1,0,1]
	s_nop 0
	v_mov_b32_e32 v69, v51
	v_pk_add_f32 v[50:51], v[64:65], v[68:69]
	v_mov_b32_e32 v64, v101
	v_pk_mul_f32 v[64:65], v[52:53], v[64:65] op_sel:[1,0] op_sel_hi:[0,0]
	v_pk_fma_f32 v[66:67], v[52:53], v[100:101], v[64:65] neg_lo:[0,0,1] neg_hi:[0,0,1]
	v_pk_fma_f32 v[52:53], v[52:53], v[100:101], v[64:65] op_sel_hi:[1,0,1]
	s_nop 0
	v_mov_b32_e32 v67, v53
	s_waitcnt vmcnt(2) lgkmcnt(2)
	v_pk_mul_f32 v[52:53], v[54:55], v[102:103] op_sel:[1,1] op_sel_hi:[0,1]
	v_pk_fma_f32 v[64:65], v[54:55], v[102:103], v[52:53] neg_lo:[0,0,1] neg_hi:[0,0,1]
	v_pk_fma_f32 v[52:53], v[54:55], v[102:103], v[52:53] op_sel_hi:[1,0,1]
	v_pk_add_f32 v[50:51], v[50:51], v[66:67]
	v_mov_b32_e32 v52, v105
	v_mov_b32_e32 v65, v53
	v_pk_mul_f32 v[52:53], v[56:57], v[52:53] op_sel:[1,0] op_sel_hi:[0,0]
	v_pk_fma_f32 v[54:55], v[56:57], v[104:105], v[52:53] neg_lo:[0,0,1] neg_hi:[0,0,1]
	v_pk_fma_f32 v[52:53], v[56:57], v[104:105], v[52:53] op_sel_hi:[1,0,1]
	v_pk_add_f32 v[50:51], v[50:51], v[64:65]
	v_mov_b32_e32 v55, v53
	s_waitcnt vmcnt(1) lgkmcnt(1)
	v_pk_mul_f32 v[52:53], v[58:59], v[106:107] op_sel:[1,1] op_sel_hi:[0,1]
	v_pk_add_f32 v[50:51], v[50:51], v[54:55]
	v_pk_fma_f32 v[54:55], v[58:59], v[106:107], v[52:53] neg_lo:[0,0,1] neg_hi:[0,0,1]
	v_pk_fma_f32 v[52:53], v[58:59], v[106:107], v[52:53] op_sel_hi:[1,0,1]
	s_nop 0
	v_mov_b32_e32 v52, v109
	v_mov_b32_e32 v55, v53
	v_pk_mul_f32 v[52:53], v[60:61], v[52:53] op_sel:[1,0] op_sel_hi:[0,0]
	v_pk_add_f32 v[50:51], v[50:51], v[54:55]
	v_pk_fma_f32 v[54:55], v[60:61], v[108:109], v[52:53] neg_lo:[0,0,1] neg_hi:[0,0,1]
	v_pk_fma_f32 v[52:53], v[60:61], v[108:109], v[52:53] op_sel_hi:[1,0,1]
	s_nop 0
	v_mov_b32_e32 v55, v53
	s_waitcnt vmcnt(0) lgkmcnt(0)
	v_pk_mul_f32 v[52:53], v[62:63], v[116:117] op_sel:[1,1] op_sel_hi:[0,1]
	v_pk_add_f32 v[50:51], v[50:51], v[54:55]
	v_pk_fma_f32 v[54:55], v[62:63], v[116:117], v[52:53] neg_lo:[0,0,1] neg_hi:[0,0,1]
	v_pk_fma_f32 v[52:53], v[62:63], v[116:117], v[52:53] op_sel_hi:[1,0,1]
	s_nop 0
	v_mov_b32_e32 v55, v53
	scratch_load_dwordx2 v[52:53], off, off offset:24
	v_pk_add_f32 v[50:51], v[50:51], v[54:55]
	s_waitcnt vmcnt(0)
	v_pk_add_f32 v[50:51], v[52:53], v[50:51] neg_lo:[0,1] neg_hi:[0,1]
	scratch_store_dwordx2 off, v[50:51], off offset:24
	s_and_saveexec_b64 s[0:1], vcc
	s_cbranch_execz .LBB22_147
; %bb.146:
	scratch_load_dwordx2 v[50:51], off, off offset:16
	v_mov_b32_e32 v49, v48
	scratch_store_dwordx2 off, v[48:49], off offset:16
	s_waitcnt vmcnt(1)
	ds_write_b64 v1, v[50:51]
.LBB22_147:
	s_or_b64 exec, exec, s[0:1]
	s_waitcnt lgkmcnt(0)
	; wave barrier
	scratch_load_dwordx4 v[54:57], off, off offset:24
	scratch_load_dwordx4 v[62:65], off, off offset:40
	scratch_load_dwordx4 v[70:73], off, off offset:56
	scratch_load_dwordx4 v[78:81], off, off offset:72
	scratch_load_dwordx4 v[86:89], off, off offset:88
	scratch_load_dwordx4 v[94:97], off, off offset:104
	ds_read2_b64 v[50:53], v48 offset0:27 offset1:28
	v_cmp_lt_u32_e32 vcc, 1, v0
	s_waitcnt vmcnt(5) lgkmcnt(0)
	v_mul_f32_e32 v49, v50, v55
	v_fmac_f32_e32 v49, v51, v54
	v_mul_f32_e32 v58, v52, v57
	v_add_f32_e32 v49, 0, v49
	v_fmac_f32_e32 v58, v53, v56
	v_add_f32_e32 v49, v49, v58
	ds_read2_b64 v[58:61], v48 offset0:29 offset1:30
	s_waitcnt vmcnt(4) lgkmcnt(0)
	v_mul_f32_e32 v66, v58, v63
	v_fmac_f32_e32 v66, v59, v62
	v_add_f32_e32 v49, v49, v66
	v_mul_f32_e32 v66, v60, v65
	v_fmac_f32_e32 v66, v61, v64
	v_add_f32_e32 v49, v49, v66
	ds_read2_b64 v[66:69], v48 offset0:31 offset1:32
	s_waitcnt vmcnt(3) lgkmcnt(0)
	v_mul_f32_e32 v74, v66, v71
	v_fmac_f32_e32 v74, v67, v70
	v_add_f32_e32 v49, v49, v74
	v_mul_f32_e32 v74, v68, v73
	;; [unrolled: 8-line block ×4, first 2 shown]
	v_fmac_f32_e32 v90, v85, v88
	v_add_f32_e32 v115, v49, v90
	ds_read2_b64 v[90:93], v48 offset0:37 offset1:38
	scratch_load_dwordx4 v[98:101], off, off offset:120
	scratch_load_dwordx4 v[102:105], off, off offset:136
	;; [unrolled: 1-line block ×4, first 2 shown]
	v_mul_f32_e32 v49, v51, v55
	v_fma_f32 v49, v50, v54, -v49
	v_mul_f32_e32 v50, v53, v57
	v_add_f32_e32 v49, 0, v49
	v_fma_f32 v50, v52, v56, -v50
	v_add_f32_e32 v49, v49, v50
	v_mul_f32_e32 v50, v59, v63
	v_fma_f32 v50, v58, v62, -v50
	v_add_f32_e32 v49, v49, v50
	v_mul_f32_e32 v50, v61, v65
	;; [unrolled: 3-line block ×8, first 2 shown]
	v_fma_f32 v50, v84, v88, -v50
	v_add_f32_e32 v114, v49, v50
	ds_read2_b64 v[50:53], v48 offset0:39 offset1:40
	ds_read2_b64 v[54:57], v48 offset0:41 offset1:42
	;; [unrolled: 1-line block ×4, first 2 shown]
	s_waitcnt vmcnt(4) lgkmcnt(4)
	v_mul_f32_e32 v117, v90, v95
	v_mul_f32_e32 v49, v91, v95
	v_fmac_f32_e32 v117, v91, v94
	v_mul_f32_e32 v119, v92, v97
	v_fma_f32 v116, v90, v94, -v49
	v_mul_f32_e32 v49, v93, v97
	v_fmac_f32_e32 v119, v93, v96
	v_fma_f32 v118, v92, v96, -v49
	v_pk_add_f32 v[48:49], v[114:115], v[116:117]
	s_waitcnt vmcnt(3) lgkmcnt(3)
	v_pk_mul_f32 v[66:67], v[50:51], v[98:99] op_sel:[1,1] op_sel_hi:[0,1]
	v_pk_fma_f32 v[68:69], v[50:51], v[98:99], v[66:67] neg_lo:[0,0,1] neg_hi:[0,0,1]
	v_pk_fma_f32 v[50:51], v[50:51], v[98:99], v[66:67] op_sel_hi:[1,0,1]
	v_pk_add_f32 v[48:49], v[48:49], v[118:119]
	v_mov_b32_e32 v50, v101
	v_mov_b32_e32 v69, v51
	v_pk_mul_f32 v[50:51], v[52:53], v[50:51] op_sel:[1,0] op_sel_hi:[0,0]
	v_pk_fma_f32 v[66:67], v[52:53], v[100:101], v[50:51] neg_lo:[0,0,1] neg_hi:[0,0,1]
	v_pk_fma_f32 v[50:51], v[52:53], v[100:101], v[50:51] op_sel_hi:[1,0,1]
	v_pk_add_f32 v[48:49], v[48:49], v[68:69]
	v_mov_b32_e32 v67, v51
	s_waitcnt vmcnt(2) lgkmcnt(2)
	v_pk_mul_f32 v[50:51], v[54:55], v[102:103] op_sel:[1,1] op_sel_hi:[0,1]
	v_pk_fma_f32 v[52:53], v[54:55], v[102:103], v[50:51] neg_lo:[0,0,1] neg_hi:[0,0,1]
	v_pk_fma_f32 v[50:51], v[54:55], v[102:103], v[50:51] op_sel_hi:[1,0,1]
	v_pk_add_f32 v[48:49], v[48:49], v[66:67]
	v_mov_b32_e32 v50, v105
	v_mov_b32_e32 v53, v51
	v_pk_mul_f32 v[50:51], v[56:57], v[50:51] op_sel:[1,0] op_sel_hi:[0,0]
	v_pk_add_f32 v[48:49], v[48:49], v[52:53]
	v_pk_fma_f32 v[52:53], v[56:57], v[104:105], v[50:51] neg_lo:[0,0,1] neg_hi:[0,0,1]
	v_pk_fma_f32 v[50:51], v[56:57], v[104:105], v[50:51] op_sel_hi:[1,0,1]
	s_nop 0
	v_mov_b32_e32 v53, v51
	s_waitcnt vmcnt(1) lgkmcnt(1)
	v_pk_mul_f32 v[50:51], v[58:59], v[106:107] op_sel:[1,1] op_sel_hi:[0,1]
	v_pk_add_f32 v[48:49], v[48:49], v[52:53]
	v_pk_fma_f32 v[52:53], v[58:59], v[106:107], v[50:51] neg_lo:[0,0,1] neg_hi:[0,0,1]
	v_pk_fma_f32 v[50:51], v[58:59], v[106:107], v[50:51] op_sel_hi:[1,0,1]
	s_nop 0
	v_mov_b32_e32 v50, v109
	v_mov_b32_e32 v53, v51
	v_pk_mul_f32 v[50:51], v[60:61], v[50:51] op_sel:[1,0] op_sel_hi:[0,0]
	v_pk_add_f32 v[48:49], v[48:49], v[52:53]
	v_pk_fma_f32 v[52:53], v[60:61], v[108:109], v[50:51] neg_lo:[0,0,1] neg_hi:[0,0,1]
	v_pk_fma_f32 v[50:51], v[60:61], v[108:109], v[50:51] op_sel_hi:[1,0,1]
	s_nop 0
	v_mov_b32_e32 v53, v51
	s_waitcnt vmcnt(0) lgkmcnt(0)
	v_pk_mul_f32 v[50:51], v[62:63], v[110:111] op_sel:[1,1] op_sel_hi:[0,1]
	v_pk_add_f32 v[48:49], v[48:49], v[52:53]
	v_pk_fma_f32 v[52:53], v[62:63], v[110:111], v[50:51] neg_lo:[0,0,1] neg_hi:[0,0,1]
	v_pk_fma_f32 v[50:51], v[62:63], v[110:111], v[50:51] op_sel_hi:[1,0,1]
	s_nop 0
	v_mov_b32_e32 v50, v113
	v_mov_b32_e32 v53, v51
	v_pk_mul_f32 v[50:51], v[64:65], v[50:51] op_sel:[1,0] op_sel_hi:[0,0]
	v_pk_add_f32 v[48:49], v[48:49], v[52:53]
	v_pk_fma_f32 v[52:53], v[64:65], v[112:113], v[50:51] neg_lo:[0,0,1] neg_hi:[0,0,1]
	v_pk_fma_f32 v[50:51], v[64:65], v[112:113], v[50:51] op_sel_hi:[1,0,1]
	s_nop 0
	v_mov_b32_e32 v53, v51
	scratch_load_dwordx2 v[50:51], off, off offset:16
	v_pk_add_f32 v[48:49], v[48:49], v[52:53]
	s_waitcnt vmcnt(0)
	v_pk_add_f32 v[48:49], v[50:51], v[48:49] neg_lo:[0,1] neg_hi:[0,1]
	scratch_store_dwordx2 off, v[48:49], off offset:16
	s_and_saveexec_b64 s[0:1], vcc
	s_cbranch_execz .LBB22_149
; %bb.148:
	scratch_load_dwordx2 v[48:49], off, off offset:8
	v_mov_b32_e32 v50, 0
	v_mov_b32_e32 v51, v50
	scratch_store_dwordx2 off, v[50:51], off offset:8
	s_waitcnt vmcnt(1)
	ds_write_b64 v1, v[48:49]
.LBB22_149:
	s_or_b64 exec, exec, s[0:1]
	v_mov_b32_e32 v48, 0
	s_waitcnt lgkmcnt(0)
	; wave barrier
	ds_read_b128 v[50:53], v48 offset:208
	ds_read_b128 v[54:57], v48 offset:224
	;; [unrolled: 1-line block ×4, first 2 shown]
	scratch_load_dwordx4 v[66:69], off, off offset:16
	scratch_load_dwordx4 v[86:89], off, off offset:80
	v_cmp_ne_u32_e32 vcc, 0, v0
	scratch_load_dwordx4 v[94:97], off, off offset:96
	scratch_load_dwordx4 v[102:105], off, off offset:112
	s_waitcnt vmcnt(3) lgkmcnt(3)
	v_mul_f32_e32 v49, v50, v67
	v_fmac_f32_e32 v49, v51, v66
	v_mul_f32_e32 v70, v52, v69
	v_add_f32_e32 v49, 0, v49
	v_fmac_f32_e32 v70, v53, v68
	v_add_f32_e32 v49, v49, v70
	scratch_load_dwordx4 v[70:73], off, off offset:32
	s_waitcnt vmcnt(0) lgkmcnt(2)
	v_mul_f32_e32 v74, v54, v71
	v_fmac_f32_e32 v74, v55, v70
	v_add_f32_e32 v49, v49, v74
	v_mul_f32_e32 v74, v56, v73
	v_fmac_f32_e32 v74, v57, v72
	v_add_f32_e32 v49, v49, v74
	scratch_load_dwordx4 v[74:77], off, off offset:48
	s_waitcnt vmcnt(0) lgkmcnt(1)
	v_mul_f32_e32 v78, v58, v75
	v_fmac_f32_e32 v78, v59, v74
	v_add_f32_e32 v49, v49, v78
	v_mul_f32_e32 v78, v60, v77
	;; [unrolled: 8-line block ×3, first 2 shown]
	v_fmac_f32_e32 v82, v65, v80
	v_add_f32_e32 v49, v49, v82
	ds_read_b128 v[82:85], v48 offset:272
	s_waitcnt lgkmcnt(0)
	v_mul_f32_e32 v90, v82, v87
	v_fmac_f32_e32 v90, v83, v86
	v_add_f32_e32 v49, v49, v90
	v_mul_f32_e32 v90, v84, v89
	v_fmac_f32_e32 v90, v85, v88
	v_add_f32_e32 v49, v49, v90
	ds_read_b128 v[90:93], v48 offset:288
	s_waitcnt lgkmcnt(0)
	v_mul_f32_e32 v98, v90, v95
	v_fmac_f32_e32 v98, v91, v94
	v_add_f32_e32 v119, v49, v98
	ds_read_b128 v[98:101], v48 offset:304
	scratch_load_dwordx4 v[106:109], off, off offset:128
	scratch_load_dwordx4 v[110:113], off, off offset:144
	;; [unrolled: 1-line block ×3, first 2 shown]
	scratch_load_dwordx2 v[124:125], off, off offset:176
	v_mul_f32_e32 v49, v51, v67
	v_fma_f32 v49, v50, v66, -v49
	v_mul_f32_e32 v50, v53, v69
	v_add_f32_e32 v49, 0, v49
	v_fma_f32 v50, v52, v68, -v50
	v_add_f32_e32 v49, v49, v50
	v_mul_f32_e32 v50, v55, v71
	v_fma_f32 v50, v54, v70, -v50
	v_add_f32_e32 v49, v49, v50
	v_mul_f32_e32 v50, v57, v73
	;; [unrolled: 3-line block ×9, first 2 shown]
	v_fma_f32 v50, v90, v94, -v50
	v_mul_f32_e32 v121, v92, v97
	v_add_f32_e32 v118, v49, v50
	v_mul_f32_e32 v49, v93, v97
	v_mov_b32_e32 v66, v105
	v_fmac_f32_e32 v121, v93, v96
	s_waitcnt lgkmcnt(0)
	v_mul_f32_e32 v123, v98, v103
	v_fma_f32 v120, v92, v96, -v49
	v_mul_f32_e32 v49, v99, v103
	ds_read_b128 v[50:53], v48 offset:320
	ds_read_b128 v[54:57], v48 offset:336
	;; [unrolled: 1-line block ×3, first 2 shown]
	ds_read_b64 v[62:63], v48 offset:368
	v_pk_mul_f32 v[66:67], v[100:101], v[66:67] op_sel:[1,0] op_sel_hi:[0,0]
	v_fmac_f32_e32 v123, v99, v102
	v_fma_f32 v122, v98, v102, -v49
	v_pk_add_f32 v[64:65], v[118:119], v[120:121]
	v_pk_fma_f32 v[68:69], v[100:101], v[104:105], v[66:67] neg_lo:[0,0,1] neg_hi:[0,0,1]
	v_pk_fma_f32 v[66:67], v[100:101], v[104:105], v[66:67] op_sel_hi:[1,0,1]
	v_pk_add_f32 v[64:65], v[64:65], v[122:123]
	v_mov_b32_e32 v69, v67
	v_pk_add_f32 v[64:65], v[64:65], v[68:69]
	s_waitcnt vmcnt(3) lgkmcnt(3)
	v_pk_mul_f32 v[66:67], v[50:51], v[106:107] op_sel:[1,1] op_sel_hi:[0,1]
	v_pk_fma_f32 v[68:69], v[50:51], v[106:107], v[66:67] neg_lo:[0,0,1] neg_hi:[0,0,1]
	v_pk_fma_f32 v[50:51], v[50:51], v[106:107], v[66:67] op_sel_hi:[1,0,1]
	s_nop 0
	v_mov_b32_e32 v69, v51
	v_pk_add_f32 v[50:51], v[64:65], v[68:69]
	v_mov_b32_e32 v64, v109
	v_pk_mul_f32 v[64:65], v[52:53], v[64:65] op_sel:[1,0] op_sel_hi:[0,0]
	v_pk_fma_f32 v[66:67], v[52:53], v[108:109], v[64:65] neg_lo:[0,0,1] neg_hi:[0,0,1]
	v_pk_fma_f32 v[52:53], v[52:53], v[108:109], v[64:65] op_sel_hi:[1,0,1]
	s_nop 0
	v_mov_b32_e32 v67, v53
	s_waitcnt vmcnt(2) lgkmcnt(2)
	v_pk_mul_f32 v[52:53], v[54:55], v[110:111] op_sel:[1,1] op_sel_hi:[0,1]
	v_pk_fma_f32 v[64:65], v[54:55], v[110:111], v[52:53] neg_lo:[0,0,1] neg_hi:[0,0,1]
	v_pk_fma_f32 v[52:53], v[54:55], v[110:111], v[52:53] op_sel_hi:[1,0,1]
	v_pk_add_f32 v[50:51], v[50:51], v[66:67]
	v_mov_b32_e32 v52, v113
	v_mov_b32_e32 v65, v53
	v_pk_mul_f32 v[52:53], v[56:57], v[52:53] op_sel:[1,0] op_sel_hi:[0,0]
	v_pk_fma_f32 v[54:55], v[56:57], v[112:113], v[52:53] neg_lo:[0,0,1] neg_hi:[0,0,1]
	v_pk_fma_f32 v[52:53], v[56:57], v[112:113], v[52:53] op_sel_hi:[1,0,1]
	v_pk_add_f32 v[50:51], v[50:51], v[64:65]
	v_mov_b32_e32 v55, v53
	s_waitcnt vmcnt(1) lgkmcnt(1)
	v_pk_mul_f32 v[52:53], v[58:59], v[114:115] op_sel:[1,1] op_sel_hi:[0,1]
	v_pk_add_f32 v[50:51], v[50:51], v[54:55]
	v_pk_fma_f32 v[54:55], v[58:59], v[114:115], v[52:53] neg_lo:[0,0,1] neg_hi:[0,0,1]
	v_pk_fma_f32 v[52:53], v[58:59], v[114:115], v[52:53] op_sel_hi:[1,0,1]
	s_nop 0
	v_mov_b32_e32 v52, v117
	v_mov_b32_e32 v55, v53
	v_pk_mul_f32 v[52:53], v[60:61], v[52:53] op_sel:[1,0] op_sel_hi:[0,0]
	v_pk_add_f32 v[50:51], v[50:51], v[54:55]
	v_pk_fma_f32 v[54:55], v[60:61], v[116:117], v[52:53] neg_lo:[0,0,1] neg_hi:[0,0,1]
	v_pk_fma_f32 v[52:53], v[60:61], v[116:117], v[52:53] op_sel_hi:[1,0,1]
	s_nop 0
	v_mov_b32_e32 v55, v53
	s_waitcnt vmcnt(0) lgkmcnt(0)
	v_pk_mul_f32 v[52:53], v[62:63], v[124:125] op_sel:[1,1] op_sel_hi:[0,1]
	v_pk_add_f32 v[50:51], v[50:51], v[54:55]
	v_pk_fma_f32 v[54:55], v[62:63], v[124:125], v[52:53] neg_lo:[0,0,1] neg_hi:[0,0,1]
	v_pk_fma_f32 v[52:53], v[62:63], v[124:125], v[52:53] op_sel_hi:[1,0,1]
	s_nop 0
	v_mov_b32_e32 v55, v53
	scratch_load_dwordx2 v[52:53], off, off offset:8
	v_pk_add_f32 v[50:51], v[50:51], v[54:55]
	s_waitcnt vmcnt(0)
	v_pk_add_f32 v[50:51], v[52:53], v[50:51] neg_lo:[0,1] neg_hi:[0,1]
	scratch_store_dwordx2 off, v[50:51], off offset:8
	s_and_saveexec_b64 s[0:1], vcc
	s_cbranch_execz .LBB22_151
; %bb.150:
	scratch_load_dwordx2 v[50:51], off, off
	v_mov_b32_e32 v49, v48
	scratch_store_dwordx2 off, v[48:49], off
	s_waitcnt vmcnt(1)
	ds_write_b64 v1, v[50:51]
.LBB22_151:
	s_or_b64 exec, exec, s[0:1]
	s_waitcnt lgkmcnt(0)
	; wave barrier
	scratch_load_dwordx4 v[54:57], off, off offset:8
	scratch_load_dwordx4 v[62:65], off, off offset:24
	scratch_load_dwordx4 v[70:73], off, off offset:40
	scratch_load_dwordx4 v[78:81], off, off offset:56
	scratch_load_dwordx4 v[86:89], off, off offset:72
	scratch_load_dwordx4 v[94:97], off, off offset:88
	scratch_load_dwordx4 v[102:105], off, off offset:104
	ds_read2_b64 v[50:53], v48 offset0:25 offset1:26
	ds_read2_b64 v[58:61], v48 offset0:27 offset1:28
	;; [unrolled: 1-line block ×7, first 2 shown]
	scratch_load_dwordx4 v[106:109], off, off offset:120
	scratch_load_dwordx4 v[110:113], off, off offset:136
	;; [unrolled: 1-line block ×4, first 2 shown]
	s_and_b64 vcc, exec, s[18:19]
	s_waitcnt vmcnt(10) lgkmcnt(6)
	v_mul_f32_e32 v0, v50, v55
	v_fmac_f32_e32 v0, v51, v54
	v_mul_f32_e32 v1, v52, v57
	v_add_f32_e32 v0, 0, v0
	v_fmac_f32_e32 v1, v53, v56
	v_add_f32_e32 v0, v0, v1
	s_waitcnt vmcnt(9) lgkmcnt(5)
	v_mul_f32_e32 v1, v58, v63
	v_fmac_f32_e32 v1, v59, v62
	v_add_f32_e32 v0, v0, v1
	v_mul_f32_e32 v1, v60, v65
	v_fmac_f32_e32 v1, v61, v64
	v_add_f32_e32 v0, v0, v1
	s_waitcnt vmcnt(8) lgkmcnt(4)
	v_mul_f32_e32 v1, v66, v71
	v_fmac_f32_e32 v1, v67, v70
	v_add_f32_e32 v0, v0, v1
	v_mul_f32_e32 v1, v68, v73
	;; [unrolled: 7-line block ×5, first 2 shown]
	v_fmac_f32_e32 v1, v93, v96
	v_add_f32_e32 v1, v0, v1
	v_mul_f32_e32 v0, v51, v55
	v_fma_f32 v0, v50, v54, -v0
	v_mul_f32_e32 v49, v53, v57
	v_add_f32_e32 v0, 0, v0
	v_fma_f32 v49, v52, v56, -v49
	v_add_f32_e32 v0, v0, v49
	v_mul_f32_e32 v49, v59, v63
	v_fma_f32 v49, v58, v62, -v49
	v_add_f32_e32 v0, v0, v49
	v_mul_f32_e32 v49, v61, v65
	;; [unrolled: 3-line block ×10, first 2 shown]
	v_fma_f32 v49, v92, v96, -v49
	v_add_f32_e32 v0, v0, v49
	s_waitcnt vmcnt(4) lgkmcnt(0)
	v_mul_f32_e32 v49, v99, v103
	ds_read2_b64 v[50:53], v48 offset0:39 offset1:40
	ds_read2_b64 v[54:57], v48 offset0:41 offset1:42
	;; [unrolled: 1-line block ×4, first 2 shown]
	v_fma_f32 v122, v98, v102, -v49
	v_mul_f32_e32 v49, v101, v105
	v_fma_f32 v124, v100, v104, -v49
	s_waitcnt vmcnt(3) lgkmcnt(3)
	v_pk_mul_f32 v[48:49], v[50:51], v[106:107] op_sel:[1,1] op_sel_hi:[0,1]
	v_mul_f32_e32 v123, v98, v103
	v_pk_fma_f32 v[66:67], v[50:51], v[106:107], v[48:49] neg_lo:[0,0,1] neg_hi:[0,0,1]
	v_pk_fma_f32 v[48:49], v[50:51], v[106:107], v[48:49] op_sel_hi:[1,0,1]
	v_fmac_f32_e32 v123, v99, v102
	v_mul_f32_e32 v125, v100, v105
	v_mov_b32_e32 v48, v109
	v_fmac_f32_e32 v125, v101, v104
	v_pk_add_f32 v[0:1], v[0:1], v[122:123]
	v_mov_b32_e32 v67, v49
	v_pk_mul_f32 v[48:49], v[52:53], v[48:49] op_sel:[1,0] op_sel_hi:[0,0]
	v_pk_add_f32 v[0:1], v[0:1], v[124:125]
	v_pk_fma_f32 v[50:51], v[52:53], v[108:109], v[48:49] neg_lo:[0,0,1] neg_hi:[0,0,1]
	v_pk_fma_f32 v[48:49], v[52:53], v[108:109], v[48:49] op_sel_hi:[1,0,1]
	v_pk_add_f32 v[0:1], v[0:1], v[66:67]
	v_mov_b32_e32 v51, v49
	s_waitcnt vmcnt(2) lgkmcnt(2)
	v_pk_mul_f32 v[48:49], v[54:55], v[110:111] op_sel:[1,1] op_sel_hi:[0,1]
	v_pk_add_f32 v[0:1], v[0:1], v[50:51]
	v_pk_fma_f32 v[50:51], v[54:55], v[110:111], v[48:49] neg_lo:[0,0,1] neg_hi:[0,0,1]
	v_pk_fma_f32 v[48:49], v[54:55], v[110:111], v[48:49] op_sel_hi:[1,0,1]
	s_nop 0
	v_mov_b32_e32 v48, v113
	v_mov_b32_e32 v51, v49
	v_pk_mul_f32 v[48:49], v[56:57], v[48:49] op_sel:[1,0] op_sel_hi:[0,0]
	v_pk_add_f32 v[0:1], v[0:1], v[50:51]
	v_pk_fma_f32 v[50:51], v[56:57], v[112:113], v[48:49] neg_lo:[0,0,1] neg_hi:[0,0,1]
	v_pk_fma_f32 v[48:49], v[56:57], v[112:113], v[48:49] op_sel_hi:[1,0,1]
	s_nop 0
	v_mov_b32_e32 v51, v49
	s_waitcnt vmcnt(1) lgkmcnt(1)
	v_pk_mul_f32 v[48:49], v[58:59], v[114:115] op_sel:[1,1] op_sel_hi:[0,1]
	v_pk_add_f32 v[0:1], v[0:1], v[50:51]
	v_pk_fma_f32 v[50:51], v[58:59], v[114:115], v[48:49] neg_lo:[0,0,1] neg_hi:[0,0,1]
	v_pk_fma_f32 v[48:49], v[58:59], v[114:115], v[48:49] op_sel_hi:[1,0,1]
	s_nop 0
	v_mov_b32_e32 v48, v117
	v_mov_b32_e32 v51, v49
	v_pk_mul_f32 v[48:49], v[60:61], v[48:49] op_sel:[1,0] op_sel_hi:[0,0]
	v_pk_add_f32 v[0:1], v[0:1], v[50:51]
	v_pk_fma_f32 v[50:51], v[60:61], v[116:117], v[48:49] neg_lo:[0,0,1] neg_hi:[0,0,1]
	v_pk_fma_f32 v[48:49], v[60:61], v[116:117], v[48:49] op_sel_hi:[1,0,1]
	s_nop 0
	;; [unrolled: 14-line block ×3, first 2 shown]
	v_mov_b32_e32 v51, v49
	scratch_load_dwordx2 v[48:49], off, off
	v_pk_add_f32 v[0:1], v[0:1], v[50:51]
	s_waitcnt vmcnt(0)
	v_pk_add_f32 v[0:1], v[48:49], v[0:1] neg_lo:[0,1] neg_hi:[0,1]
	scratch_store_dwordx2 off, v[0:1], off
	s_cbranch_vccz .LBB22_196
; %bb.152:
	v_mov_b32_e32 v0, 0
	global_load_dword v1, v0, s[16:17] offset:84
	s_waitcnt vmcnt(0)
	v_readfirstlane_b32 s0, v1
	s_add_i32 s0, s0, -1
	s_cmp_lg_u32 s0, 21
	s_cbranch_scc0 .LBB22_154
; %bb.153:
	s_lshl_b32 s0, s0, 3
	s_nop 0
	scratch_load_dwordx2 v[48:49], off, s0
	scratch_load_dwordx2 v[50:51], off, off offset:168
	s_waitcnt vmcnt(1)
	scratch_store_dwordx2 off, v[48:49], off offset:168
	s_waitcnt vmcnt(1)
	scratch_store_dwordx2 off, v[50:51], s0
.LBB22_154:
	global_load_dword v0, v0, s[16:17] offset:80
	s_waitcnt vmcnt(0)
	v_readfirstlane_b32 s0, v0
	s_add_i32 s0, s0, -1
	s_cmp_eq_u32 s0, 20
	s_cbranch_scc1 .LBB22_156
; %bb.155:
	s_lshl_b32 s0, s0, 3
	s_nop 0
	scratch_load_dwordx2 v[0:1], off, s0
	scratch_load_dwordx2 v[48:49], off, off offset:160
	s_waitcnt vmcnt(1)
	scratch_store_dwordx2 off, v[0:1], off offset:160
	s_waitcnt vmcnt(1)
	scratch_store_dwordx2 off, v[48:49], s0
.LBB22_156:
	v_mov_b32_e32 v0, 0
	global_load_dword v1, v0, s[16:17] offset:76
	s_waitcnt vmcnt(0)
	v_readfirstlane_b32 s0, v1
	s_add_i32 s0, s0, -1
	s_cmp_eq_u32 s0, 19
	s_cbranch_scc1 .LBB22_158
; %bb.157:
	s_lshl_b32 s0, s0, 3
	s_nop 0
	scratch_load_dwordx2 v[48:49], off, s0
	scratch_load_dwordx2 v[50:51], off, off offset:152
	s_waitcnt vmcnt(1)
	scratch_store_dwordx2 off, v[48:49], off offset:152
	s_waitcnt vmcnt(1)
	scratch_store_dwordx2 off, v[50:51], s0
.LBB22_158:
	global_load_dword v0, v0, s[16:17] offset:72
	s_waitcnt vmcnt(0)
	v_readfirstlane_b32 s0, v0
	s_add_i32 s0, s0, -1
	s_cmp_eq_u32 s0, 18
	s_cbranch_scc1 .LBB22_160
; %bb.159:
	s_lshl_b32 s0, s0, 3
	s_nop 0
	scratch_load_dwordx2 v[0:1], off, s0
	scratch_load_dwordx2 v[48:49], off, off offset:144
	s_waitcnt vmcnt(1)
	scratch_store_dwordx2 off, v[0:1], off offset:144
	s_waitcnt vmcnt(1)
	scratch_store_dwordx2 off, v[48:49], s0
.LBB22_160:
	v_mov_b32_e32 v0, 0
	global_load_dword v1, v0, s[16:17] offset:68
	s_waitcnt vmcnt(0)
	v_readfirstlane_b32 s0, v1
	s_add_i32 s0, s0, -1
	s_cmp_eq_u32 s0, 17
	s_cbranch_scc1 .LBB22_162
; %bb.161:
	s_lshl_b32 s0, s0, 3
	s_nop 0
	scratch_load_dwordx2 v[48:49], off, s0
	scratch_load_dwordx2 v[50:51], off, off offset:136
	s_waitcnt vmcnt(1)
	scratch_store_dwordx2 off, v[48:49], off offset:136
	s_waitcnt vmcnt(1)
	scratch_store_dwordx2 off, v[50:51], s0
.LBB22_162:
	;; [unrolled: 33-line block ×10, first 2 shown]
	global_load_dword v48, v0, s[16:17]
	s_nop 0
	scratch_load_dwordx2 v[0:1], off, off
	s_waitcnt vmcnt(1)
	v_readfirstlane_b32 s0, v48
	s_add_i32 s0, s0, -1
	s_cmp_eq_u32 s0, 0
	s_cbranch_scc1 .LBB22_196
; %bb.195:
	s_lshl_b32 s0, s0, 3
	s_nop 0
	scratch_load_dwordx2 v[48:49], off, s0
	s_waitcnt vmcnt(0)
	scratch_store_dwordx2 off, v[48:49], off
	scratch_store_dwordx2 off, v[0:1], s0
	scratch_load_dwordx2 v[0:1], off, off
.LBB22_196:
	s_nop 0
	scratch_load_dwordx4 v[48:51], off, off offset:8
	scratch_load_dwordx4 v[52:55], off, off offset:24
	;; [unrolled: 1-line block ×11, first 2 shown]
	s_waitcnt vmcnt(11)
	global_store_dwordx2 v[2:3], v[0:1], off
	s_waitcnt vmcnt(11)
	global_store_dwordx2 v[4:5], v[48:49], off
	global_store_dwordx2 v[6:7], v[50:51], off
	s_waitcnt vmcnt(12)
	global_store_dwordx2 v[8:9], v[52:53], off
	;; [unrolled: 3-line block ×11, first 2 shown]
	global_store_dwordx2 v[46:47], v[90:91], off
	s_endpgm
	.section	.rodata,"a",@progbits
	.p2align	6, 0x0
	.amdhsa_kernel _ZN9rocsolver6v33100L18getri_kernel_smallILi23E19rocblas_complex_numIfEPS3_EEvT1_iilPiilS6_bb
		.amdhsa_group_segment_fixed_size 376
		.amdhsa_private_segment_fixed_size 192
		.amdhsa_kernarg_size 60
		.amdhsa_user_sgpr_count 2
		.amdhsa_user_sgpr_dispatch_ptr 0
		.amdhsa_user_sgpr_queue_ptr 0
		.amdhsa_user_sgpr_kernarg_segment_ptr 1
		.amdhsa_user_sgpr_dispatch_id 0
		.amdhsa_user_sgpr_kernarg_preload_length 0
		.amdhsa_user_sgpr_kernarg_preload_offset 0
		.amdhsa_user_sgpr_private_segment_size 0
		.amdhsa_uses_dynamic_stack 0
		.amdhsa_enable_private_segment 1
		.amdhsa_system_sgpr_workgroup_id_x 1
		.amdhsa_system_sgpr_workgroup_id_y 0
		.amdhsa_system_sgpr_workgroup_id_z 0
		.amdhsa_system_sgpr_workgroup_info 0
		.amdhsa_system_vgpr_workitem_id 0
		.amdhsa_next_free_vgpr 130
		.amdhsa_next_free_sgpr 20
		.amdhsa_accum_offset 132
		.amdhsa_reserve_vcc 1
		.amdhsa_float_round_mode_32 0
		.amdhsa_float_round_mode_16_64 0
		.amdhsa_float_denorm_mode_32 3
		.amdhsa_float_denorm_mode_16_64 3
		.amdhsa_dx10_clamp 1
		.amdhsa_ieee_mode 1
		.amdhsa_fp16_overflow 0
		.amdhsa_tg_split 0
		.amdhsa_exception_fp_ieee_invalid_op 0
		.amdhsa_exception_fp_denorm_src 0
		.amdhsa_exception_fp_ieee_div_zero 0
		.amdhsa_exception_fp_ieee_overflow 0
		.amdhsa_exception_fp_ieee_underflow 0
		.amdhsa_exception_fp_ieee_inexact 0
		.amdhsa_exception_int_div_zero 0
	.end_amdhsa_kernel
	.section	.text._ZN9rocsolver6v33100L18getri_kernel_smallILi23E19rocblas_complex_numIfEPS3_EEvT1_iilPiilS6_bb,"axG",@progbits,_ZN9rocsolver6v33100L18getri_kernel_smallILi23E19rocblas_complex_numIfEPS3_EEvT1_iilPiilS6_bb,comdat
.Lfunc_end22:
	.size	_ZN9rocsolver6v33100L18getri_kernel_smallILi23E19rocblas_complex_numIfEPS3_EEvT1_iilPiilS6_bb, .Lfunc_end22-_ZN9rocsolver6v33100L18getri_kernel_smallILi23E19rocblas_complex_numIfEPS3_EEvT1_iilPiilS6_bb
                                        ; -- End function
	.set _ZN9rocsolver6v33100L18getri_kernel_smallILi23E19rocblas_complex_numIfEPS3_EEvT1_iilPiilS6_bb.num_vgpr, 130
	.set _ZN9rocsolver6v33100L18getri_kernel_smallILi23E19rocblas_complex_numIfEPS3_EEvT1_iilPiilS6_bb.num_agpr, 0
	.set _ZN9rocsolver6v33100L18getri_kernel_smallILi23E19rocblas_complex_numIfEPS3_EEvT1_iilPiilS6_bb.numbered_sgpr, 20
	.set _ZN9rocsolver6v33100L18getri_kernel_smallILi23E19rocblas_complex_numIfEPS3_EEvT1_iilPiilS6_bb.num_named_barrier, 0
	.set _ZN9rocsolver6v33100L18getri_kernel_smallILi23E19rocblas_complex_numIfEPS3_EEvT1_iilPiilS6_bb.private_seg_size, 192
	.set _ZN9rocsolver6v33100L18getri_kernel_smallILi23E19rocblas_complex_numIfEPS3_EEvT1_iilPiilS6_bb.uses_vcc, 1
	.set _ZN9rocsolver6v33100L18getri_kernel_smallILi23E19rocblas_complex_numIfEPS3_EEvT1_iilPiilS6_bb.uses_flat_scratch, 0
	.set _ZN9rocsolver6v33100L18getri_kernel_smallILi23E19rocblas_complex_numIfEPS3_EEvT1_iilPiilS6_bb.has_dyn_sized_stack, 0
	.set _ZN9rocsolver6v33100L18getri_kernel_smallILi23E19rocblas_complex_numIfEPS3_EEvT1_iilPiilS6_bb.has_recursion, 0
	.set _ZN9rocsolver6v33100L18getri_kernel_smallILi23E19rocblas_complex_numIfEPS3_EEvT1_iilPiilS6_bb.has_indirect_call, 0
	.section	.AMDGPU.csdata,"",@progbits
; Kernel info:
; codeLenInByte = 21604
; TotalNumSgprs: 26
; NumVgprs: 130
; NumAgprs: 0
; TotalNumVgprs: 130
; ScratchSize: 192
; MemoryBound: 0
; FloatMode: 240
; IeeeMode: 1
; LDSByteSize: 376 bytes/workgroup (compile time only)
; SGPRBlocks: 3
; VGPRBlocks: 16
; NumSGPRsForWavesPerEU: 26
; NumVGPRsForWavesPerEU: 130
; AccumOffset: 132
; Occupancy: 3
; WaveLimiterHint : 1
; COMPUTE_PGM_RSRC2:SCRATCH_EN: 1
; COMPUTE_PGM_RSRC2:USER_SGPR: 2
; COMPUTE_PGM_RSRC2:TRAP_HANDLER: 0
; COMPUTE_PGM_RSRC2:TGID_X_EN: 1
; COMPUTE_PGM_RSRC2:TGID_Y_EN: 0
; COMPUTE_PGM_RSRC2:TGID_Z_EN: 0
; COMPUTE_PGM_RSRC2:TIDIG_COMP_CNT: 0
; COMPUTE_PGM_RSRC3_GFX90A:ACCUM_OFFSET: 32
; COMPUTE_PGM_RSRC3_GFX90A:TG_SPLIT: 0
	.section	.text._ZN9rocsolver6v33100L18getri_kernel_smallILi24E19rocblas_complex_numIfEPS3_EEvT1_iilPiilS6_bb,"axG",@progbits,_ZN9rocsolver6v33100L18getri_kernel_smallILi24E19rocblas_complex_numIfEPS3_EEvT1_iilPiilS6_bb,comdat
	.globl	_ZN9rocsolver6v33100L18getri_kernel_smallILi24E19rocblas_complex_numIfEPS3_EEvT1_iilPiilS6_bb ; -- Begin function _ZN9rocsolver6v33100L18getri_kernel_smallILi24E19rocblas_complex_numIfEPS3_EEvT1_iilPiilS6_bb
	.p2align	8
	.type	_ZN9rocsolver6v33100L18getri_kernel_smallILi24E19rocblas_complex_numIfEPS3_EEvT1_iilPiilS6_bb,@function
_ZN9rocsolver6v33100L18getri_kernel_smallILi24E19rocblas_complex_numIfEPS3_EEvT1_iilPiilS6_bb: ; @_ZN9rocsolver6v33100L18getri_kernel_smallILi24E19rocblas_complex_numIfEPS3_EEvT1_iilPiilS6_bb
; %bb.0:
	v_cmp_gt_u32_e32 vcc, 24, v0
	s_and_saveexec_b64 s[4:5], vcc
	s_cbranch_execz .LBB23_110
; %bb.1:
	s_load_dword s8, s[0:1], 0x38
	s_load_dwordx4 s[12:15], s[0:1], 0x10
	s_load_dwordx4 s[4:7], s[0:1], 0x28
                                        ; implicit-def: $sgpr16_sgpr17
	s_waitcnt lgkmcnt(0)
	s_bitcmp1_b32 s8, 8
	s_cselect_b64 s[18:19], -1, 0
	s_ashr_i32 s3, s2, 31
	s_bfe_u32 s8, s8, 0x10008
	s_cmp_eq_u32 s8, 0
	s_cbranch_scc1 .LBB23_3
; %bb.2:
	s_load_dword s8, s[0:1], 0x20
	s_mul_i32 s9, s4, s3
	s_mul_hi_u32 s10, s4, s2
	s_mul_i32 s5, s5, s2
	s_add_i32 s10, s10, s9
	s_add_i32 s5, s10, s5
	s_mul_i32 s4, s4, s2
	s_waitcnt lgkmcnt(0)
	s_ashr_i32 s9, s8, 31
	s_lshl_b64 s[4:5], s[4:5], 2
	s_add_u32 s10, s14, s4
	s_addc_u32 s11, s15, s5
	s_lshl_b64 s[4:5], s[8:9], 2
	s_add_u32 s16, s10, s4
	s_addc_u32 s17, s11, s5
.LBB23_3:
	s_load_dwordx4 s[8:11], s[0:1], 0x0
	s_load_dword s4, s[0:1], 0x38
	s_mul_i32 s5, s12, s3
	s_mul_hi_u32 s14, s12, s2
	s_add_i32 s5, s14, s5
	s_waitcnt lgkmcnt(0)
	s_ashr_i32 s1, s10, 31
	s_mov_b32 s0, s10
	s_mul_i32 s10, s13, s2
	s_add_i32 s13, s5, s10
	s_mul_i32 s12, s12, s2
	s_lshl_b64 s[12:13], s[12:13], 3
	s_add_u32 s5, s8, s12
	s_addc_u32 s8, s9, s13
	s_lshl_b64 s[0:1], s[0:1], 3
	s_add_u32 s0, s5, s0
	s_addc_u32 s1, s8, s1
	s_add_i32 s5, s11, s11
	v_add_u32_e32 v4, s5, v0
	v_ashrrev_i32_e32 v5, 31, v4
	v_lshl_add_u64 v[24:25], v[4:5], 3, s[0:1]
	v_add_u32_e32 v4, s11, v4
	v_ashrrev_i32_e32 v5, 31, v4
	v_lshl_add_u64 v[26:27], v[4:5], 3, s[0:1]
	;; [unrolled: 3-line block ×20, first 2 shown]
	v_add_u32_e32 v4, s11, v4
	v_lshlrev_b32_e32 v2, 3, v0
	v_mov_b32_e32 v3, 0
	v_ashrrev_i32_e32 v5, 31, v4
	v_lshl_add_u64 v[20:21], s[0:1], 0, v[2:3]
	s_ashr_i32 s9, s11, 31
	s_mov_b32 s8, s11
	v_lshl_add_u64 v[64:65], v[4:5], 3, s[0:1]
	v_add_u32_e32 v4, s11, v4
	v_lshl_add_u64 v[22:23], s[8:9], 3, v[20:21]
	v_ashrrev_i32_e32 v5, 31, v4
	global_load_dwordx2 v[6:7], v2, s[0:1]
	global_load_dwordx2 v[8:9], v[22:23], off
	global_load_dwordx2 v[10:11], v[24:25], off
	;; [unrolled: 1-line block ×20, first 2 shown]
	v_lshl_add_u64 v[66:67], v[4:5], 3, s[0:1]
	global_load_dwordx2 v[98:99], v[62:63], off
	global_load_dwordx2 v[100:101], v[64:65], off
	;; [unrolled: 1-line block ×3, first 2 shown]
	s_bitcmp0_b32 s4, 0
	s_mov_b64 s[4:5], -1
	s_waitcnt vmcnt(22)
	scratch_store_dwordx4 off, v[6:9], off
	s_waitcnt vmcnt(21)
	scratch_store_dwordx4 off, v[10:13], off offset:16
	s_waitcnt vmcnt(20)
	scratch_store_dwordx4 off, v[14:17], off offset:32
	;; [unrolled: 2-line block ×11, first 2 shown]
	s_cbranch_scc1 .LBB23_108
; %bb.4:
	v_cmp_eq_u32_e64 s[0:1], 0, v0
	s_and_saveexec_b64 s[4:5], s[0:1]
; %bb.5:
	v_mov_b32_e32 v1, 0
	ds_write_b32 v1, v1 offset:384
; %bb.6:
	s_or_b64 exec, exec, s[4:5]
	s_waitcnt lgkmcnt(0)
	; wave barrier
	scratch_load_dwordx2 v[4:5], v2, off
	s_waitcnt vmcnt(0)
	v_cmp_eq_f32_e32 vcc, 0, v4
	v_cmp_eq_f32_e64 s[4:5], 0, v5
	s_and_b64 s[4:5], vcc, s[4:5]
	s_and_saveexec_b64 s[8:9], s[4:5]
	s_cbranch_execz .LBB23_10
; %bb.7:
	v_mov_b32_e32 v1, 0
	ds_read_b32 v4, v1 offset:384
	v_add_u32_e32 v3, 1, v0
	s_waitcnt lgkmcnt(0)
	v_readfirstlane_b32 s4, v4
	s_cmp_eq_u32 s4, 0
	s_cselect_b64 s[10:11], -1, 0
	v_cmp_gt_i32_e32 vcc, s4, v3
	s_or_b64 s[10:11], s[10:11], vcc
	s_and_b64 exec, exec, s[10:11]
	s_cbranch_execz .LBB23_10
; %bb.8:
	s_mov_b64 s[10:11], 0
	v_mov_b32_e32 v4, s4
.LBB23_9:                               ; =>This Inner Loop Header: Depth=1
	ds_cmpst_rtn_b32 v4, v1, v4, v3 offset:384
	s_waitcnt lgkmcnt(0)
	v_cmp_ne_u32_e32 vcc, 0, v4
	v_cmp_le_i32_e64 s[4:5], v4, v3
	s_and_b64 s[4:5], vcc, s[4:5]
	s_and_b64 s[4:5], exec, s[4:5]
	s_or_b64 s[10:11], s[4:5], s[10:11]
	s_andn2_b64 exec, exec, s[10:11]
	s_cbranch_execnz .LBB23_9
.LBB23_10:
	s_or_b64 exec, exec, s[8:9]
	v_mov_b32_e32 v3, 0
	; wave barrier
	ds_read_b32 v1, v3 offset:384
	s_and_saveexec_b64 s[4:5], s[0:1]
	s_cbranch_execz .LBB23_12
; %bb.11:
	s_lshl_b64 s[8:9], s[2:3], 2
	s_add_u32 s8, s6, s8
	s_addc_u32 s9, s7, s9
	s_waitcnt lgkmcnt(0)
	global_store_dword v3, v1, s[8:9]
.LBB23_12:
	s_or_b64 exec, exec, s[4:5]
	s_waitcnt lgkmcnt(0)
	v_cmp_ne_u32_e32 vcc, 0, v1
	s_mov_b64 s[4:5], 0
	s_cbranch_vccnz .LBB23_108
; %bb.13:
	v_mov_b32_e32 v3, v2
	scratch_load_dwordx2 v[4:5], v3, off
                                        ; implicit-def: $vgpr7
                                        ; implicit-def: $vgpr8
	s_waitcnt vmcnt(0)
	v_cmp_ngt_f32_e64 s[4:5], |v4|, |v5|
	s_and_saveexec_b64 s[8:9], s[4:5]
	s_xor_b64 s[4:5], exec, s[8:9]
	s_cbranch_execz .LBB23_15
; %bb.14:
	v_div_scale_f32 v1, s[8:9], v5, v5, v4
	v_rcp_f32_e32 v6, v1
	v_div_scale_f32 v7, vcc, v4, v5, v4
	v_fma_f32 v8, -v1, v6, 1.0
	v_fmac_f32_e32 v6, v8, v6
	v_mul_f32_e32 v8, v7, v6
	v_fma_f32 v9, -v1, v8, v7
	v_fmac_f32_e32 v8, v9, v6
	v_fma_f32 v1, -v1, v8, v7
	v_div_fmas_f32 v1, v1, v6, v8
	v_div_fixup_f32 v1, v1, v5, v4
	v_fmac_f32_e32 v5, v4, v1
	v_div_scale_f32 v4, s[8:9], v5, v5, -1.0
	v_rcp_f32_e32 v6, v4
	s_nop 0
	v_fma_f32 v7, -v4, v6, 1.0
	v_fmac_f32_e32 v6, v7, v6
	v_div_scale_f32 v7, vcc, -1.0, v5, -1.0
	v_mul_f32_e32 v8, v7, v6
	v_fma_f32 v9, -v4, v8, v7
	v_fmac_f32_e32 v8, v9, v6
	v_fma_f32 v4, -v4, v8, v7
	v_div_fmas_f32 v4, v4, v6, v8
	v_div_fixup_f32 v7, v4, v5, -1.0
	v_mul_f32_e32 v8, v1, v7
	v_xor_b32_e32 v6, 0x80000000, v8
                                        ; implicit-def: $vgpr4_vgpr5
.LBB23_15:
	s_andn2_saveexec_b64 s[4:5], s[4:5]
	s_cbranch_execz .LBB23_17
; %bb.16:
	v_div_scale_f32 v1, s[8:9], v4, v4, v5
	v_rcp_f32_e32 v6, v1
	v_div_scale_f32 v7, vcc, v5, v4, v5
	v_fma_f32 v8, -v1, v6, 1.0
	v_fmac_f32_e32 v6, v8, v6
	v_mul_f32_e32 v8, v7, v6
	v_fma_f32 v9, -v1, v8, v7
	v_fmac_f32_e32 v8, v9, v6
	v_fma_f32 v1, -v1, v8, v7
	v_div_fmas_f32 v1, v1, v6, v8
	v_div_fixup_f32 v1, v1, v4, v5
	v_fmac_f32_e32 v4, v5, v1
	v_div_scale_f32 v5, s[8:9], v4, v4, 1.0
	v_rcp_f32_e32 v6, v5
	s_nop 0
	v_fma_f32 v7, -v5, v6, 1.0
	v_fmac_f32_e32 v6, v7, v6
	v_div_scale_f32 v7, vcc, 1.0, v4, 1.0
	v_mul_f32_e32 v8, v7, v6
	v_fma_f32 v9, -v5, v8, v7
	v_fmac_f32_e32 v8, v9, v6
	v_fma_f32 v5, -v5, v8, v7
	v_div_fmas_f32 v5, v5, v6, v8
	v_div_fixup_f32 v6, v5, v4, 1.0
	v_xor_b32_e32 v8, 0x80000000, v6
	v_mul_f32_e64 v7, v1, -v6
.LBB23_17:
	s_or_b64 exec, exec, s[4:5]
	scratch_store_dwordx2 v3, v[6:7], off
	scratch_load_dwordx2 v[4:5], off, off offset:8
	v_xor_b32_e32 v9, 0x80000000, v7
	v_add_u32_e32 v1, 0xc0, v2
	s_waitcnt vmcnt(0)
	ds_write2_b64 v2, v[8:9], v[4:5] offset1:24
	s_waitcnt lgkmcnt(0)
	; wave barrier
	s_and_saveexec_b64 s[4:5], s[0:1]
	s_cbranch_execz .LBB23_19
; %bb.18:
	scratch_load_dwordx2 v[4:5], v3, off
	ds_read_b64 v[6:7], v1
	v_mov_b32_e32 v8, 0
	ds_read_b64 v[8:9], v8 offset:8
	s_waitcnt vmcnt(0) lgkmcnt(1)
	v_pk_mul_f32 v[10:11], v[6:7], v[4:5] op_sel:[1,1] op_sel_hi:[0,1]
	v_pk_fma_f32 v[12:13], v[6:7], v[4:5], v[10:11] neg_lo:[0,0,1] neg_hi:[0,0,1]
	v_pk_fma_f32 v[4:5], v[6:7], v[4:5], v[10:11] op_sel_hi:[1,0,1]
	s_nop 0
	v_mov_b32_e32 v13, v5
	v_pk_add_f32 v[4:5], v[12:13], 0 op_sel_hi:[1,0]
	s_waitcnt lgkmcnt(0)
	v_pk_mul_f32 v[6:7], v[4:5], v[8:9] op_sel:[1,1] op_sel_hi:[0,1]
	v_pk_fma_f32 v[10:11], v[4:5], v[8:9], v[6:7] neg_lo:[0,0,1] neg_hi:[0,0,1]
	v_pk_fma_f32 v[4:5], v[4:5], v[8:9], v[6:7] op_sel_hi:[1,0,1]
	s_nop 0
	v_mov_b32_e32 v11, v5
	scratch_store_dwordx2 off, v[10:11], off offset:8
.LBB23_19:
	s_or_b64 exec, exec, s[4:5]
	; wave barrier
	scratch_load_dwordx2 v[4:5], off, off offset:16
	v_cmp_gt_u32_e32 vcc, 2, v0
	s_waitcnt vmcnt(0)
	ds_write_b64 v1, v[4:5]
	s_waitcnt lgkmcnt(0)
	; wave barrier
	s_and_saveexec_b64 s[4:5], vcc
	s_cbranch_execz .LBB23_23
; %bb.20:
	scratch_load_dwordx2 v[4:5], v3, off
	ds_read_b64 v[6:7], v1
	s_waitcnt vmcnt(0) lgkmcnt(0)
	v_pk_mul_f32 v[8:9], v[6:7], v[4:5] op_sel:[1,1] op_sel_hi:[0,1]
	v_pk_fma_f32 v[10:11], v[6:7], v[4:5], v[8:9] neg_lo:[0,0,1] neg_hi:[0,0,1]
	v_pk_fma_f32 v[4:5], v[6:7], v[4:5], v[8:9] op_sel_hi:[1,0,1]
	s_nop 0
	v_mov_b32_e32 v11, v5
	v_pk_add_f32 v[4:5], v[10:11], 0 op_sel_hi:[1,0]
	s_and_saveexec_b64 s[8:9], s[0:1]
	s_cbranch_execz .LBB23_22
; %bb.21:
	scratch_load_dwordx2 v[6:7], off, off offset:8
	v_mov_b32_e32 v3, 0
	ds_read_b64 v[8:9], v3 offset:200
	s_waitcnt vmcnt(0) lgkmcnt(0)
	v_pk_mul_f32 v[10:11], v[8:9], v[6:7] op_sel:[1,1] op_sel_hi:[0,1]
	v_pk_fma_f32 v[12:13], v[8:9], v[6:7], v[10:11] neg_lo:[0,0,1] neg_hi:[0,0,1]
	v_pk_fma_f32 v[6:7], v[8:9], v[6:7], v[10:11] op_sel_hi:[1,0,1]
	s_nop 0
	v_mov_b32_e32 v13, v7
	v_pk_add_f32 v[4:5], v[4:5], v[12:13]
.LBB23_22:
	s_or_b64 exec, exec, s[8:9]
	v_mov_b32_e32 v3, 0
	ds_read_b64 v[6:7], v3 offset:16
	s_waitcnt lgkmcnt(0)
	v_pk_mul_f32 v[8:9], v[4:5], v[6:7] op_sel:[1,1] op_sel_hi:[0,1]
	v_pk_fma_f32 v[10:11], v[4:5], v[6:7], v[8:9] neg_lo:[0,0,1] neg_hi:[0,0,1]
	v_pk_fma_f32 v[4:5], v[4:5], v[6:7], v[8:9] op_sel_hi:[1,0,1]
	s_nop 0
	v_mov_b32_e32 v11, v5
	scratch_store_dwordx2 off, v[10:11], off offset:16
.LBB23_23:
	s_or_b64 exec, exec, s[4:5]
	; wave barrier
	scratch_load_dwordx2 v[4:5], off, off offset:24
	v_cmp_gt_u32_e32 vcc, 3, v0
	v_add_u32_e32 v6, -1, v0
	s_waitcnt vmcnt(0)
	ds_write_b64 v1, v[4:5]
	s_waitcnt lgkmcnt(0)
	; wave barrier
	s_and_saveexec_b64 s[0:1], vcc
	s_cbranch_execz .LBB23_27
; %bb.24:
	v_mov_b32_e32 v4, 0
	v_add_u32_e32 v3, -1, v0
	v_add_u32_e32 v7, 0xc0, v2
	v_mov_b32_e32 v8, v2
	s_mov_b64 s[4:5], 0
	v_mov_b32_e32 v5, v4
.LBB23_25:                              ; =>This Inner Loop Header: Depth=1
	scratch_load_dwordx2 v[10:11], v8, off
	ds_read_b64 v[12:13], v7
	v_add_u32_e32 v3, 1, v3
	v_cmp_lt_u32_e32 vcc, 1, v3
	v_add_u32_e32 v7, 8, v7
	v_add_u32_e32 v8, 8, v8
	s_or_b64 s[4:5], vcc, s[4:5]
	s_waitcnt vmcnt(0) lgkmcnt(0)
	v_pk_mul_f32 v[14:15], v[12:13], v[10:11] op_sel:[1,1] op_sel_hi:[0,1]
	v_pk_fma_f32 v[16:17], v[12:13], v[10:11], v[14:15] neg_lo:[0,0,1] neg_hi:[0,0,1]
	v_pk_fma_f32 v[10:11], v[12:13], v[10:11], v[14:15] op_sel_hi:[1,0,1]
	s_nop 0
	v_mov_b32_e32 v17, v11
	v_pk_add_f32 v[4:5], v[4:5], v[16:17]
	s_andn2_b64 exec, exec, s[4:5]
	s_cbranch_execnz .LBB23_25
; %bb.26:
	s_or_b64 exec, exec, s[4:5]
	v_mov_b32_e32 v3, 0
	ds_read_b64 v[8:9], v3 offset:24
	s_waitcnt lgkmcnt(0)
	v_pk_mul_f32 v[10:11], v[4:5], v[8:9] op_sel:[1,1] op_sel_hi:[0,1]
	v_pk_fma_f32 v[12:13], v[4:5], v[8:9], v[10:11] neg_lo:[0,0,1] neg_hi:[0,0,1]
	v_pk_fma_f32 v[4:5], v[4:5], v[8:9], v[10:11] op_sel_hi:[1,0,1]
	s_nop 0
	v_mov_b32_e32 v13, v5
	scratch_store_dwordx2 off, v[12:13], off offset:24
.LBB23_27:
	s_or_b64 exec, exec, s[0:1]
	; wave barrier
	scratch_load_dwordx2 v[4:5], off, off offset:32
	v_cmp_gt_u32_e32 vcc, 4, v0
	s_waitcnt vmcnt(0)
	ds_write_b64 v1, v[4:5]
	s_waitcnt lgkmcnt(0)
	; wave barrier
	s_and_saveexec_b64 s[0:1], vcc
	s_cbranch_execz .LBB23_31
; %bb.28:
	v_mov_b32_e32 v4, 0
	v_add_u32_e32 v3, -1, v0
	v_add_u32_e32 v7, 0xc0, v2
	v_mov_b32_e32 v8, v2
	s_mov_b64 s[4:5], 0
	v_mov_b32_e32 v5, v4
.LBB23_29:                              ; =>This Inner Loop Header: Depth=1
	scratch_load_dwordx2 v[10:11], v8, off
	ds_read_b64 v[12:13], v7
	v_add_u32_e32 v3, 1, v3
	v_cmp_lt_u32_e32 vcc, 2, v3
	v_add_u32_e32 v7, 8, v7
	v_add_u32_e32 v8, 8, v8
	s_or_b64 s[4:5], vcc, s[4:5]
	s_waitcnt vmcnt(0) lgkmcnt(0)
	v_pk_mul_f32 v[14:15], v[12:13], v[10:11] op_sel:[1,1] op_sel_hi:[0,1]
	v_pk_fma_f32 v[16:17], v[12:13], v[10:11], v[14:15] neg_lo:[0,0,1] neg_hi:[0,0,1]
	v_pk_fma_f32 v[10:11], v[12:13], v[10:11], v[14:15] op_sel_hi:[1,0,1]
	s_nop 0
	v_mov_b32_e32 v17, v11
	v_pk_add_f32 v[4:5], v[4:5], v[16:17]
	s_andn2_b64 exec, exec, s[4:5]
	s_cbranch_execnz .LBB23_29
; %bb.30:
	s_or_b64 exec, exec, s[4:5]
	v_mov_b32_e32 v3, 0
	ds_read_b64 v[8:9], v3 offset:32
	s_waitcnt lgkmcnt(0)
	v_pk_mul_f32 v[10:11], v[4:5], v[8:9] op_sel:[1,1] op_sel_hi:[0,1]
	v_pk_fma_f32 v[12:13], v[4:5], v[8:9], v[10:11] neg_lo:[0,0,1] neg_hi:[0,0,1]
	v_pk_fma_f32 v[4:5], v[4:5], v[8:9], v[10:11] op_sel_hi:[1,0,1]
	s_nop 0
	v_mov_b32_e32 v13, v5
	scratch_store_dwordx2 off, v[12:13], off offset:32
.LBB23_31:
	s_or_b64 exec, exec, s[0:1]
	; wave barrier
	scratch_load_dwordx2 v[4:5], off, off offset:40
	v_cmp_gt_u32_e32 vcc, 5, v0
	;; [unrolled: 46-line block ×19, first 2 shown]
	s_waitcnt vmcnt(0)
	ds_write_b64 v1, v[4:5]
	s_waitcnt lgkmcnt(0)
	; wave barrier
	s_and_saveexec_b64 s[0:1], vcc
	s_cbranch_execz .LBB23_103
; %bb.100:
	v_mov_b32_e32 v4, 0
	v_add_u32_e32 v3, -1, v0
	v_add_u32_e32 v7, 0xc0, v2
	v_mov_b32_e32 v8, v2
	s_mov_b64 s[4:5], 0
	v_mov_b32_e32 v5, v4
.LBB23_101:                             ; =>This Inner Loop Header: Depth=1
	scratch_load_dwordx2 v[10:11], v8, off
	ds_read_b64 v[12:13], v7
	v_add_u32_e32 v3, 1, v3
	v_cmp_lt_u32_e32 vcc, 20, v3
	v_add_u32_e32 v7, 8, v7
	v_add_u32_e32 v8, 8, v8
	s_or_b64 s[4:5], vcc, s[4:5]
	s_waitcnt vmcnt(0) lgkmcnt(0)
	v_pk_mul_f32 v[14:15], v[12:13], v[10:11] op_sel:[1,1] op_sel_hi:[0,1]
	v_pk_fma_f32 v[16:17], v[12:13], v[10:11], v[14:15] neg_lo:[0,0,1] neg_hi:[0,0,1]
	v_pk_fma_f32 v[10:11], v[12:13], v[10:11], v[14:15] op_sel_hi:[1,0,1]
	s_nop 0
	v_mov_b32_e32 v17, v11
	v_pk_add_f32 v[4:5], v[4:5], v[16:17]
	s_andn2_b64 exec, exec, s[4:5]
	s_cbranch_execnz .LBB23_101
; %bb.102:
	s_or_b64 exec, exec, s[4:5]
	v_mov_b32_e32 v3, 0
	ds_read_b64 v[8:9], v3 offset:176
	s_waitcnt lgkmcnt(0)
	v_pk_mul_f32 v[10:11], v[4:5], v[8:9] op_sel:[1,1] op_sel_hi:[0,1]
	v_pk_fma_f32 v[12:13], v[4:5], v[8:9], v[10:11] neg_lo:[0,0,1] neg_hi:[0,0,1]
	v_pk_fma_f32 v[4:5], v[4:5], v[8:9], v[10:11] op_sel_hi:[1,0,1]
	s_nop 0
	v_mov_b32_e32 v13, v5
	scratch_store_dwordx2 off, v[12:13], off offset:176
.LBB23_103:
	s_or_b64 exec, exec, s[0:1]
	; wave barrier
	scratch_load_dwordx2 v[4:5], off, off offset:184
	v_cmp_ne_u32_e32 vcc, 23, v0
	s_waitcnt vmcnt(0)
	ds_write_b64 v1, v[4:5]
	s_waitcnt lgkmcnt(0)
	; wave barrier
	s_and_saveexec_b64 s[0:1], vcc
	s_cbranch_execz .LBB23_107
; %bb.104:
	v_add_u32_e32 v1, 0xc0, v2
	v_mov_b32_e32 v4, v2
	v_mov_b32_e32 v2, 0
	s_mov_b64 s[4:5], 0
	v_mov_b32_e32 v3, v2
.LBB23_105:                             ; =>This Inner Loop Header: Depth=1
	scratch_load_dwordx2 v[8:9], v4, off
	ds_read_b64 v[10:11], v1
	v_add_u32_e32 v6, 1, v6
	v_cmp_lt_u32_e32 vcc, 21, v6
	v_add_u32_e32 v1, 8, v1
	v_add_u32_e32 v4, 8, v4
	s_or_b64 s[4:5], vcc, s[4:5]
	s_waitcnt vmcnt(0) lgkmcnt(0)
	v_pk_mul_f32 v[12:13], v[10:11], v[8:9] op_sel:[1,1] op_sel_hi:[0,1]
	v_pk_fma_f32 v[14:15], v[10:11], v[8:9], v[12:13] neg_lo:[0,0,1] neg_hi:[0,0,1]
	v_pk_fma_f32 v[8:9], v[10:11], v[8:9], v[12:13] op_sel_hi:[1,0,1]
	s_nop 0
	v_mov_b32_e32 v15, v9
	v_pk_add_f32 v[2:3], v[2:3], v[14:15]
	s_andn2_b64 exec, exec, s[4:5]
	s_cbranch_execnz .LBB23_105
; %bb.106:
	s_or_b64 exec, exec, s[4:5]
	v_mov_b32_e32 v1, 0
	ds_read_b64 v[4:5], v1 offset:184
	s_waitcnt lgkmcnt(0)
	v_pk_mul_f32 v[6:7], v[2:3], v[4:5] op_sel:[1,1] op_sel_hi:[0,1]
	v_pk_fma_f32 v[8:9], v[2:3], v[4:5], v[6:7] neg_lo:[0,0,1] neg_hi:[0,0,1]
	v_pk_fma_f32 v[2:3], v[2:3], v[4:5], v[6:7] op_sel_hi:[1,0,1]
	s_nop 0
	v_mov_b32_e32 v9, v3
	scratch_store_dwordx2 off, v[8:9], off offset:184
.LBB23_107:
	s_or_b64 exec, exec, s[0:1]
	s_mov_b64 s[4:5], -1
	; wave barrier
.LBB23_108:
	s_and_b64 vcc, exec, s[4:5]
	s_cbranch_vccz .LBB23_110
; %bb.109:
	s_lshl_b64 s[0:1], s[2:3], 2
	s_add_u32 s0, s6, s0
	s_addc_u32 s1, s7, s1
	v_mov_b32_e32 v1, 0
	global_load_dword v1, v1, s[0:1]
	s_waitcnt vmcnt(0)
	v_cmp_ne_u32_e32 vcc, 0, v1
	s_cbranch_vccz .LBB23_111
.LBB23_110:
	s_endpgm
.LBB23_111:
	v_mov_b32_e32 v1, 0xc0
	v_lshl_add_u32 v1, v0, 3, v1
	v_cmp_eq_u32_e32 vcc, 23, v0
	s_and_saveexec_b64 s[0:1], vcc
	s_cbranch_execz .LBB23_113
; %bb.112:
	scratch_load_dwordx2 v[2:3], off, off offset:176
	v_mov_b32_e32 v4, 0
	v_mov_b32_e32 v5, v4
	scratch_store_dwordx2 off, v[4:5], off offset:176
	s_waitcnt vmcnt(1)
	ds_write_b64 v1, v[2:3]
.LBB23_113:
	s_or_b64 exec, exec, s[0:1]
	s_waitcnt lgkmcnt(0)
	; wave barrier
	scratch_load_dwordx2 v[4:5], off, off offset:184
	scratch_load_dwordx2 v[6:7], off, off offset:176
	v_mov_b32_e32 v2, 0
	ds_read_b64 v[8:9], v2 offset:376
	v_cmp_lt_u32_e32 vcc, 21, v0
	s_waitcnt vmcnt(1) lgkmcnt(0)
	v_pk_mul_f32 v[10:11], v[8:9], v[4:5] op_sel:[1,1] op_sel_hi:[0,1]
	v_pk_fma_f32 v[12:13], v[8:9], v[4:5], v[10:11] neg_lo:[0,0,1] neg_hi:[0,0,1]
	v_pk_fma_f32 v[4:5], v[8:9], v[4:5], v[10:11] op_sel_hi:[1,0,1]
	s_nop 0
	v_mov_b32_e32 v13, v5
	v_pk_add_f32 v[4:5], v[12:13], 0 op_sel_hi:[1,0]
	s_waitcnt vmcnt(0)
	v_pk_add_f32 v[4:5], v[6:7], v[4:5] neg_lo:[0,1] neg_hi:[0,1]
	scratch_store_dwordx2 off, v[4:5], off offset:176
	s_and_saveexec_b64 s[0:1], vcc
	s_cbranch_execz .LBB23_115
; %bb.114:
	scratch_load_dwordx2 v[4:5], off, off offset:168
	v_mov_b32_e32 v3, v2
	scratch_store_dwordx2 off, v[2:3], off offset:168
	s_waitcnt vmcnt(1)
	ds_write_b64 v1, v[4:5]
.LBB23_115:
	s_or_b64 exec, exec, s[0:1]
	s_waitcnt lgkmcnt(0)
	; wave barrier
	scratch_load_dwordx4 v[4:7], off, off offset:176
	scratch_load_dwordx2 v[12:13], off, off offset:168
	ds_read_b128 v[8:11], v2 offset:368
	v_cmp_lt_u32_e32 vcc, 20, v0
	s_waitcnt vmcnt(1) lgkmcnt(0)
	v_pk_mul_f32 v[2:3], v[8:9], v[4:5] op_sel:[1,1] op_sel_hi:[0,1]
	v_mov_b32_e32 v14, v7
	v_pk_fma_f32 v[16:17], v[8:9], v[4:5], v[2:3] neg_lo:[0,0,1] neg_hi:[0,0,1]
	v_pk_fma_f32 v[2:3], v[8:9], v[4:5], v[2:3] op_sel_hi:[1,0,1]
	v_pk_mul_f32 v[4:5], v[10:11], v[14:15] op_sel:[1,0] op_sel_hi:[0,0]
	v_mov_b32_e32 v17, v3
	v_pk_fma_f32 v[2:3], v[10:11], v[6:7], v[4:5] neg_lo:[0,0,1] neg_hi:[0,0,1]
	v_pk_fma_f32 v[4:5], v[10:11], v[6:7], v[4:5] op_sel_hi:[1,0,1]
	v_pk_add_f32 v[6:7], v[16:17], 0 op_sel_hi:[1,0]
	v_mov_b32_e32 v3, v5
	v_pk_add_f32 v[2:3], v[6:7], v[2:3]
	s_waitcnt vmcnt(0)
	v_pk_add_f32 v[2:3], v[12:13], v[2:3] neg_lo:[0,1] neg_hi:[0,1]
	scratch_store_dwordx2 off, v[2:3], off offset:168
	s_and_saveexec_b64 s[0:1], vcc
	s_cbranch_execz .LBB23_117
; %bb.116:
	scratch_load_dwordx2 v[2:3], off, off offset:160
	v_mov_b32_e32 v4, 0
	v_mov_b32_e32 v5, v4
	scratch_store_dwordx2 off, v[4:5], off offset:160
	s_waitcnt vmcnt(1)
	ds_write_b64 v1, v[2:3]
.LBB23_117:
	s_or_b64 exec, exec, s[0:1]
	s_waitcnt lgkmcnt(0)
	; wave barrier
	scratch_load_dwordx4 v[4:7], off, off offset:168
	scratch_load_dwordx2 v[12:13], off, off offset:184
	scratch_load_dwordx2 v[14:15], off, off offset:160
	v_mov_b32_e32 v2, 0
	ds_read2_b64 v[8:11], v2 offset0:45 offset1:46
	ds_read_b64 v[16:17], v2 offset:376
	v_cmp_lt_u32_e32 vcc, 19, v0
	s_waitcnt vmcnt(2) lgkmcnt(1)
	v_pk_mul_f32 v[18:19], v[8:9], v[4:5] op_sel:[1,1] op_sel_hi:[0,1]
	v_mov_b32_e32 v68, v7
	v_pk_fma_f32 v[72:73], v[8:9], v[4:5], v[18:19] neg_lo:[0,0,1] neg_hi:[0,0,1]
	v_pk_fma_f32 v[4:5], v[8:9], v[4:5], v[18:19] op_sel_hi:[1,0,1]
	v_pk_mul_f32 v[8:9], v[10:11], v[68:69] op_sel:[1,0] op_sel_hi:[0,0]
	s_waitcnt vmcnt(1) lgkmcnt(0)
	v_pk_mul_f32 v[70:71], v[16:17], v[12:13] op_sel:[1,1] op_sel_hi:[0,1]
	v_mov_b32_e32 v73, v5
	v_pk_fma_f32 v[4:5], v[10:11], v[6:7], v[8:9] neg_lo:[0,0,1] neg_hi:[0,0,1]
	v_pk_fma_f32 v[6:7], v[10:11], v[6:7], v[8:9] op_sel_hi:[1,0,1]
	v_pk_fma_f32 v[18:19], v[16:17], v[12:13], v[70:71] neg_lo:[0,0,1] neg_hi:[0,0,1]
	v_pk_fma_f32 v[12:13], v[16:17], v[12:13], v[70:71] op_sel_hi:[1,0,1]
	v_pk_add_f32 v[8:9], v[72:73], 0 op_sel_hi:[1,0]
	v_mov_b32_e32 v5, v7
	v_mov_b32_e32 v19, v13
	v_pk_add_f32 v[4:5], v[8:9], v[4:5]
	s_nop 0
	v_pk_add_f32 v[4:5], v[4:5], v[18:19]
	s_waitcnt vmcnt(0)
	v_pk_add_f32 v[4:5], v[14:15], v[4:5] neg_lo:[0,1] neg_hi:[0,1]
	scratch_store_dwordx2 off, v[4:5], off offset:160
	s_and_saveexec_b64 s[0:1], vcc
	s_cbranch_execz .LBB23_119
; %bb.118:
	scratch_load_dwordx2 v[4:5], off, off offset:152
	v_mov_b32_e32 v3, v2
	scratch_store_dwordx2 off, v[2:3], off offset:152
	s_waitcnt vmcnt(1)
	ds_write_b64 v1, v[4:5]
.LBB23_119:
	s_or_b64 exec, exec, s[0:1]
	s_waitcnt lgkmcnt(0)
	; wave barrier
	scratch_load_dwordx4 v[4:7], off, off offset:160
	scratch_load_dwordx4 v[8:11], off, off offset:176
	scratch_load_dwordx2 v[68:69], off, off offset:152
	ds_read_b128 v[12:15], v2 offset:352
	ds_read_b128 v[16:19], v2 offset:368
	v_cmp_lt_u32_e32 vcc, 18, v0
	s_waitcnt vmcnt(2) lgkmcnt(1)
	v_pk_mul_f32 v[2:3], v[12:13], v[4:5] op_sel:[1,1] op_sel_hi:[0,1]
	v_mov_b32_e32 v70, v7
	s_waitcnt vmcnt(1) lgkmcnt(0)
	v_pk_mul_f32 v[72:73], v[16:17], v[8:9] op_sel:[1,1] op_sel_hi:[0,1]
	v_mov_b32_e32 v74, v11
	v_pk_fma_f32 v[76:77], v[12:13], v[4:5], v[2:3] neg_lo:[0,0,1] neg_hi:[0,0,1]
	v_pk_fma_f32 v[2:3], v[12:13], v[4:5], v[2:3] op_sel_hi:[1,0,1]
	v_pk_mul_f32 v[4:5], v[14:15], v[70:71] op_sel:[1,0] op_sel_hi:[0,0]
	v_pk_fma_f32 v[12:13], v[16:17], v[8:9], v[72:73] neg_lo:[0,0,1] neg_hi:[0,0,1]
	v_pk_fma_f32 v[8:9], v[16:17], v[8:9], v[72:73] op_sel_hi:[1,0,1]
	v_pk_mul_f32 v[16:17], v[18:19], v[74:75] op_sel:[1,0] op_sel_hi:[0,0]
	v_mov_b32_e32 v77, v3
	v_pk_fma_f32 v[2:3], v[14:15], v[6:7], v[4:5] neg_lo:[0,0,1] neg_hi:[0,0,1]
	v_pk_fma_f32 v[4:5], v[14:15], v[6:7], v[4:5] op_sel_hi:[1,0,1]
	v_mov_b32_e32 v13, v9
	v_pk_fma_f32 v[6:7], v[18:19], v[10:11], v[16:17] neg_lo:[0,0,1] neg_hi:[0,0,1]
	v_pk_fma_f32 v[8:9], v[18:19], v[10:11], v[16:17] op_sel_hi:[1,0,1]
	v_pk_add_f32 v[10:11], v[76:77], 0 op_sel_hi:[1,0]
	v_mov_b32_e32 v3, v5
	v_pk_add_f32 v[2:3], v[10:11], v[2:3]
	v_mov_b32_e32 v7, v9
	v_pk_add_f32 v[2:3], v[2:3], v[12:13]
	s_nop 0
	v_pk_add_f32 v[2:3], v[2:3], v[6:7]
	s_waitcnt vmcnt(0)
	v_pk_add_f32 v[2:3], v[68:69], v[2:3] neg_lo:[0,1] neg_hi:[0,1]
	scratch_store_dwordx2 off, v[2:3], off offset:152
	s_and_saveexec_b64 s[0:1], vcc
	s_cbranch_execz .LBB23_121
; %bb.120:
	scratch_load_dwordx2 v[2:3], off, off offset:144
	v_mov_b32_e32 v4, 0
	v_mov_b32_e32 v5, v4
	scratch_store_dwordx2 off, v[4:5], off offset:144
	s_waitcnt vmcnt(1)
	ds_write_b64 v1, v[2:3]
.LBB23_121:
	s_or_b64 exec, exec, s[0:1]
	s_waitcnt lgkmcnt(0)
	; wave barrier
	scratch_load_dwordx4 v[4:7], off, off offset:152
	scratch_load_dwordx4 v[8:11], off, off offset:168
	scratch_load_dwordx2 v[68:69], off, off offset:184
	scratch_load_dwordx2 v[70:71], off, off offset:144
	v_mov_b32_e32 v2, 0
	ds_read2_b64 v[12:15], v2 offset0:43 offset1:44
	ds_read2_b64 v[16:19], v2 offset0:45 offset1:46
	ds_read_b64 v[72:73], v2 offset:376
	v_cmp_lt_u32_e32 vcc, 17, v0
	s_waitcnt vmcnt(3) lgkmcnt(2)
	v_pk_mul_f32 v[74:75], v[12:13], v[4:5] op_sel:[1,1] op_sel_hi:[0,1]
	v_mov_b32_e32 v76, v7
	v_pk_fma_f32 v[84:85], v[12:13], v[4:5], v[74:75] neg_lo:[0,0,1] neg_hi:[0,0,1]
	v_pk_fma_f32 v[4:5], v[12:13], v[4:5], v[74:75] op_sel_hi:[1,0,1]
	v_pk_mul_f32 v[12:13], v[14:15], v[76:77] op_sel:[1,0] op_sel_hi:[0,0]
	s_waitcnt vmcnt(2) lgkmcnt(1)
	v_pk_mul_f32 v[78:79], v[16:17], v[8:9] op_sel:[1,1] op_sel_hi:[0,1]
	v_mov_b32_e32 v80, v11
	v_mov_b32_e32 v85, v5
	v_pk_fma_f32 v[4:5], v[14:15], v[6:7], v[12:13] neg_lo:[0,0,1] neg_hi:[0,0,1]
	v_pk_fma_f32 v[6:7], v[14:15], v[6:7], v[12:13] op_sel_hi:[1,0,1]
	v_pk_fma_f32 v[74:75], v[16:17], v[8:9], v[78:79] neg_lo:[0,0,1] neg_hi:[0,0,1]
	v_pk_fma_f32 v[8:9], v[16:17], v[8:9], v[78:79] op_sel_hi:[1,0,1]
	v_pk_mul_f32 v[16:17], v[18:19], v[80:81] op_sel:[1,0] op_sel_hi:[0,0]
	v_pk_add_f32 v[12:13], v[84:85], 0 op_sel_hi:[1,0]
	v_mov_b32_e32 v5, v7
	s_waitcnt vmcnt(1) lgkmcnt(0)
	v_pk_mul_f32 v[82:83], v[72:73], v[68:69] op_sel:[1,1] op_sel_hi:[0,1]
	v_mov_b32_e32 v75, v9
	v_pk_fma_f32 v[8:9], v[18:19], v[10:11], v[16:17] neg_lo:[0,0,1] neg_hi:[0,0,1]
	v_pk_fma_f32 v[10:11], v[18:19], v[10:11], v[16:17] op_sel_hi:[1,0,1]
	v_pk_add_f32 v[4:5], v[12:13], v[4:5]
	v_pk_fma_f32 v[76:77], v[72:73], v[68:69], v[82:83] neg_lo:[0,0,1] neg_hi:[0,0,1]
	v_pk_fma_f32 v[68:69], v[72:73], v[68:69], v[82:83] op_sel_hi:[1,0,1]
	v_mov_b32_e32 v9, v11
	v_pk_add_f32 v[4:5], v[4:5], v[74:75]
	v_mov_b32_e32 v77, v69
	v_pk_add_f32 v[4:5], v[4:5], v[8:9]
	s_nop 0
	v_pk_add_f32 v[4:5], v[4:5], v[76:77]
	s_waitcnt vmcnt(0)
	v_pk_add_f32 v[4:5], v[70:71], v[4:5] neg_lo:[0,1] neg_hi:[0,1]
	scratch_store_dwordx2 off, v[4:5], off offset:144
	s_and_saveexec_b64 s[0:1], vcc
	s_cbranch_execz .LBB23_123
; %bb.122:
	scratch_load_dwordx2 v[4:5], off, off offset:136
	v_mov_b32_e32 v3, v2
	scratch_store_dwordx2 off, v[2:3], off offset:136
	s_waitcnt vmcnt(1)
	ds_write_b64 v1, v[4:5]
.LBB23_123:
	s_or_b64 exec, exec, s[0:1]
	s_waitcnt lgkmcnt(0)
	; wave barrier
	scratch_load_dwordx4 v[4:7], off, off offset:144
	scratch_load_dwordx4 v[8:11], off, off offset:160
	;; [unrolled: 1-line block ×3, first 2 shown]
	scratch_load_dwordx2 v[76:77], off, off offset:136
	ds_read_b128 v[16:19], v2 offset:336
	ds_read_b128 v[68:71], v2 offset:352
	;; [unrolled: 1-line block ×3, first 2 shown]
	v_cmp_lt_u32_e32 vcc, 16, v0
	s_waitcnt vmcnt(3) lgkmcnt(2)
	v_pk_mul_f32 v[2:3], v[16:17], v[4:5] op_sel:[1,1] op_sel_hi:[0,1]
	v_mov_b32_e32 v78, v7
	s_waitcnt vmcnt(2) lgkmcnt(1)
	v_pk_mul_f32 v[80:81], v[68:69], v[8:9] op_sel:[1,1] op_sel_hi:[0,1]
	v_mov_b32_e32 v82, v11
	;; [unrolled: 3-line block ×3, first 2 shown]
	v_pk_fma_f32 v[88:89], v[16:17], v[4:5], v[2:3] neg_lo:[0,0,1] neg_hi:[0,0,1]
	v_pk_fma_f32 v[2:3], v[16:17], v[4:5], v[2:3] op_sel_hi:[1,0,1]
	v_pk_mul_f32 v[4:5], v[18:19], v[78:79] op_sel:[1,0] op_sel_hi:[0,0]
	v_pk_fma_f32 v[16:17], v[68:69], v[8:9], v[80:81] neg_lo:[0,0,1] neg_hi:[0,0,1]
	v_pk_fma_f32 v[8:9], v[68:69], v[8:9], v[80:81] op_sel_hi:[1,0,1]
	v_pk_mul_f32 v[68:69], v[70:71], v[82:83] op_sel:[1,0] op_sel_hi:[0,0]
	;; [unrolled: 3-line block ×3, first 2 shown]
	v_mov_b32_e32 v89, v3
	v_pk_fma_f32 v[2:3], v[18:19], v[6:7], v[4:5] neg_lo:[0,0,1] neg_hi:[0,0,1]
	v_pk_fma_f32 v[4:5], v[18:19], v[6:7], v[4:5] op_sel_hi:[1,0,1]
	v_mov_b32_e32 v17, v9
	v_pk_fma_f32 v[6:7], v[70:71], v[10:11], v[68:69] neg_lo:[0,0,1] neg_hi:[0,0,1]
	v_pk_fma_f32 v[8:9], v[70:71], v[10:11], v[68:69] op_sel_hi:[1,0,1]
	;; [unrolled: 3-line block ×3, first 2 shown]
	v_pk_add_f32 v[14:15], v[88:89], 0 op_sel_hi:[1,0]
	v_mov_b32_e32 v3, v5
	v_pk_add_f32 v[2:3], v[14:15], v[2:3]
	v_mov_b32_e32 v7, v9
	v_pk_add_f32 v[2:3], v[2:3], v[16:17]
	;; [unrolled: 2-line block ×3, first 2 shown]
	s_nop 0
	v_pk_add_f32 v[2:3], v[2:3], v[78:79]
	s_nop 0
	v_pk_add_f32 v[2:3], v[2:3], v[10:11]
	s_waitcnt vmcnt(0)
	v_pk_add_f32 v[2:3], v[76:77], v[2:3] neg_lo:[0,1] neg_hi:[0,1]
	scratch_store_dwordx2 off, v[2:3], off offset:136
	s_and_saveexec_b64 s[0:1], vcc
	s_cbranch_execz .LBB23_125
; %bb.124:
	scratch_load_dwordx2 v[2:3], off, off offset:128
	v_mov_b32_e32 v4, 0
	v_mov_b32_e32 v5, v4
	scratch_store_dwordx2 off, v[4:5], off offset:128
	s_waitcnt vmcnt(1)
	ds_write_b64 v1, v[2:3]
.LBB23_125:
	s_or_b64 exec, exec, s[0:1]
	s_waitcnt lgkmcnt(0)
	; wave barrier
	scratch_load_dwordx4 v[4:7], off, off offset:136
	scratch_load_dwordx4 v[8:11], off, off offset:152
	;; [unrolled: 1-line block ×3, first 2 shown]
	scratch_load_dwordx2 v[76:77], off, off offset:184
	scratch_load_dwordx2 v[78:79], off, off offset:128
	v_mov_b32_e32 v2, 0
	ds_read2_b64 v[16:19], v2 offset0:41 offset1:42
	ds_read2_b64 v[68:71], v2 offset0:43 offset1:44
	;; [unrolled: 1-line block ×3, first 2 shown]
	ds_read_b64 v[80:81], v2 offset:376
	v_cmp_lt_u32_e32 vcc, 15, v0
	s_waitcnt vmcnt(4) lgkmcnt(3)
	v_pk_mul_f32 v[82:83], v[16:17], v[4:5] op_sel:[1,1] op_sel_hi:[0,1]
	v_mov_b32_e32 v84, v7
	v_pk_fma_f32 v[96:97], v[16:17], v[4:5], v[82:83] neg_lo:[0,0,1] neg_hi:[0,0,1]
	v_pk_fma_f32 v[4:5], v[16:17], v[4:5], v[82:83] op_sel_hi:[1,0,1]
	v_pk_mul_f32 v[16:17], v[18:19], v[84:85] op_sel:[1,0] op_sel_hi:[0,0]
	s_waitcnt vmcnt(3) lgkmcnt(2)
	v_pk_mul_f32 v[86:87], v[68:69], v[8:9] op_sel:[1,1] op_sel_hi:[0,1]
	v_mov_b32_e32 v88, v11
	v_mov_b32_e32 v97, v5
	v_pk_fma_f32 v[4:5], v[18:19], v[6:7], v[16:17] neg_lo:[0,0,1] neg_hi:[0,0,1]
	v_pk_fma_f32 v[6:7], v[18:19], v[6:7], v[16:17] op_sel_hi:[1,0,1]
	v_pk_fma_f32 v[82:83], v[68:69], v[8:9], v[86:87] neg_lo:[0,0,1] neg_hi:[0,0,1]
	v_pk_fma_f32 v[8:9], v[68:69], v[8:9], v[86:87] op_sel_hi:[1,0,1]
	v_pk_mul_f32 v[68:69], v[70:71], v[88:89] op_sel:[1,0] op_sel_hi:[0,0]
	v_pk_add_f32 v[16:17], v[96:97], 0 op_sel_hi:[1,0]
	v_mov_b32_e32 v5, v7
	s_waitcnt vmcnt(2) lgkmcnt(1)
	v_pk_mul_f32 v[90:91], v[72:73], v[12:13] op_sel:[1,1] op_sel_hi:[0,1]
	v_mov_b32_e32 v92, v15
	v_mov_b32_e32 v83, v9
	v_pk_fma_f32 v[8:9], v[70:71], v[10:11], v[68:69] neg_lo:[0,0,1] neg_hi:[0,0,1]
	v_pk_fma_f32 v[10:11], v[70:71], v[10:11], v[68:69] op_sel_hi:[1,0,1]
	v_pk_add_f32 v[4:5], v[16:17], v[4:5]
	v_pk_fma_f32 v[84:85], v[72:73], v[12:13], v[90:91] neg_lo:[0,0,1] neg_hi:[0,0,1]
	v_pk_fma_f32 v[12:13], v[72:73], v[12:13], v[90:91] op_sel_hi:[1,0,1]
	v_pk_mul_f32 v[72:73], v[74:75], v[92:93] op_sel:[1,0] op_sel_hi:[0,0]
	v_mov_b32_e32 v9, v11
	v_pk_add_f32 v[4:5], v[4:5], v[82:83]
	s_waitcnt vmcnt(1) lgkmcnt(0)
	v_pk_mul_f32 v[94:95], v[80:81], v[76:77] op_sel:[1,1] op_sel_hi:[0,1]
	v_mov_b32_e32 v85, v13
	v_pk_fma_f32 v[12:13], v[74:75], v[14:15], v[72:73] neg_lo:[0,0,1] neg_hi:[0,0,1]
	v_pk_fma_f32 v[14:15], v[74:75], v[14:15], v[72:73] op_sel_hi:[1,0,1]
	v_pk_add_f32 v[4:5], v[4:5], v[8:9]
	v_pk_fma_f32 v[86:87], v[80:81], v[76:77], v[94:95] neg_lo:[0,0,1] neg_hi:[0,0,1]
	v_pk_fma_f32 v[76:77], v[80:81], v[76:77], v[94:95] op_sel_hi:[1,0,1]
	v_mov_b32_e32 v13, v15
	v_pk_add_f32 v[4:5], v[4:5], v[84:85]
	v_mov_b32_e32 v87, v77
	v_pk_add_f32 v[4:5], v[4:5], v[12:13]
	s_nop 0
	v_pk_add_f32 v[4:5], v[4:5], v[86:87]
	s_waitcnt vmcnt(0)
	v_pk_add_f32 v[4:5], v[78:79], v[4:5] neg_lo:[0,1] neg_hi:[0,1]
	scratch_store_dwordx2 off, v[4:5], off offset:128
	s_and_saveexec_b64 s[0:1], vcc
	s_cbranch_execz .LBB23_127
; %bb.126:
	scratch_load_dwordx2 v[4:5], off, off offset:120
	v_mov_b32_e32 v3, v2
	scratch_store_dwordx2 off, v[2:3], off offset:120
	s_waitcnt vmcnt(1)
	ds_write_b64 v1, v[4:5]
.LBB23_127:
	s_or_b64 exec, exec, s[0:1]
	s_waitcnt lgkmcnt(0)
	; wave barrier
	scratch_load_dwordx4 v[4:7], off, off offset:128
	scratch_load_dwordx4 v[8:11], off, off offset:144
	;; [unrolled: 1-line block ×4, first 2 shown]
	scratch_load_dwordx2 v[84:85], off, off offset:120
	ds_read_b128 v[68:71], v2 offset:320
	ds_read_b128 v[72:75], v2 offset:336
	;; [unrolled: 1-line block ×4, first 2 shown]
	v_cmp_lt_u32_e32 vcc, 14, v0
	s_waitcnt vmcnt(4) lgkmcnt(3)
	v_pk_mul_f32 v[2:3], v[68:69], v[4:5] op_sel:[1,1] op_sel_hi:[0,1]
	v_mov_b32_e32 v86, v7
	s_waitcnt vmcnt(3) lgkmcnt(2)
	v_pk_mul_f32 v[88:89], v[72:73], v[8:9] op_sel:[1,1] op_sel_hi:[0,1]
	v_mov_b32_e32 v90, v11
	;; [unrolled: 3-line block ×4, first 2 shown]
	v_pk_fma_f32 v[100:101], v[68:69], v[4:5], v[2:3] neg_lo:[0,0,1] neg_hi:[0,0,1]
	v_pk_fma_f32 v[2:3], v[68:69], v[4:5], v[2:3] op_sel_hi:[1,0,1]
	v_pk_mul_f32 v[4:5], v[70:71], v[86:87] op_sel:[1,0] op_sel_hi:[0,0]
	v_pk_fma_f32 v[68:69], v[72:73], v[8:9], v[88:89] neg_lo:[0,0,1] neg_hi:[0,0,1]
	v_pk_fma_f32 v[8:9], v[72:73], v[8:9], v[88:89] op_sel_hi:[1,0,1]
	v_pk_mul_f32 v[72:73], v[74:75], v[90:91] op_sel:[1,0] op_sel_hi:[0,0]
	;; [unrolled: 3-line block ×4, first 2 shown]
	v_mov_b32_e32 v101, v3
	v_pk_fma_f32 v[2:3], v[70:71], v[6:7], v[4:5] neg_lo:[0,0,1] neg_hi:[0,0,1]
	v_pk_fma_f32 v[4:5], v[70:71], v[6:7], v[4:5] op_sel_hi:[1,0,1]
	v_mov_b32_e32 v69, v9
	v_pk_fma_f32 v[6:7], v[74:75], v[10:11], v[72:73] neg_lo:[0,0,1] neg_hi:[0,0,1]
	v_pk_fma_f32 v[8:9], v[74:75], v[10:11], v[72:73] op_sel_hi:[1,0,1]
	;; [unrolled: 3-line block ×4, first 2 shown]
	v_pk_add_f32 v[18:19], v[100:101], 0 op_sel_hi:[1,0]
	v_mov_b32_e32 v3, v5
	v_pk_add_f32 v[2:3], v[18:19], v[2:3]
	v_mov_b32_e32 v7, v9
	v_pk_add_f32 v[2:3], v[2:3], v[68:69]
	;; [unrolled: 2-line block ×4, first 2 shown]
	s_nop 0
	v_pk_add_f32 v[2:3], v[2:3], v[10:11]
	s_nop 0
	v_pk_add_f32 v[2:3], v[2:3], v[88:89]
	;; [unrolled: 2-line block ×3, first 2 shown]
	s_waitcnt vmcnt(0)
	v_pk_add_f32 v[2:3], v[84:85], v[2:3] neg_lo:[0,1] neg_hi:[0,1]
	scratch_store_dwordx2 off, v[2:3], off offset:120
	s_and_saveexec_b64 s[0:1], vcc
	s_cbranch_execz .LBB23_129
; %bb.128:
	scratch_load_dwordx2 v[2:3], off, off offset:112
	v_mov_b32_e32 v4, 0
	v_mov_b32_e32 v5, v4
	scratch_store_dwordx2 off, v[4:5], off offset:112
	s_waitcnt vmcnt(1)
	ds_write_b64 v1, v[2:3]
.LBB23_129:
	s_or_b64 exec, exec, s[0:1]
	s_waitcnt lgkmcnt(0)
	; wave barrier
	scratch_load_dwordx4 v[4:7], off, off offset:120
	scratch_load_dwordx4 v[8:11], off, off offset:136
	scratch_load_dwordx4 v[12:15], off, off offset:152
	scratch_load_dwordx4 v[16:19], off, off offset:168
	scratch_load_dwordx2 v[84:85], off, off offset:184
	scratch_load_dwordx2 v[86:87], off, off offset:112
	v_mov_b32_e32 v2, 0
	ds_read2_b64 v[68:71], v2 offset0:39 offset1:40
	ds_read2_b64 v[72:75], v2 offset0:41 offset1:42
	;; [unrolled: 1-line block ×4, first 2 shown]
	ds_read_b64 v[88:89], v2 offset:376
	v_cmp_lt_u32_e32 vcc, 13, v0
	s_waitcnt vmcnt(5) lgkmcnt(4)
	v_mul_f32_e32 v91, v68, v5
	v_mul_f32_e32 v3, v69, v5
	v_mov_b32_e32 v92, v7
	s_waitcnt vmcnt(4) lgkmcnt(3)
	v_pk_mul_f32 v[94:95], v[72:73], v[8:9] op_sel:[1,1] op_sel_hi:[0,1]
	v_mov_b32_e32 v96, v11
	s_waitcnt vmcnt(1) lgkmcnt(0)
	v_pk_mul_f32 v[106:107], v[88:89], v[84:85] op_sel:[1,1] op_sel_hi:[0,1]
	v_fmac_f32_e32 v91, v69, v4
	v_fma_f32 v90, v68, v4, -v3
	v_pk_mul_f32 v[4:5], v[70:71], v[92:93] op_sel:[1,0] op_sel_hi:[0,0]
	v_pk_fma_f32 v[68:69], v[72:73], v[8:9], v[94:95] neg_lo:[0,0,1] neg_hi:[0,0,1]
	v_pk_fma_f32 v[8:9], v[72:73], v[8:9], v[94:95] op_sel_hi:[1,0,1]
	v_pk_mul_f32 v[72:73], v[74:75], v[96:97] op_sel:[1,0] op_sel_hi:[0,0]
	v_pk_fma_f32 v[96:97], v[88:89], v[84:85], v[106:107] neg_lo:[0,0,1] neg_hi:[0,0,1]
	v_pk_fma_f32 v[84:85], v[88:89], v[84:85], v[106:107] op_sel_hi:[1,0,1]
	v_pk_add_f32 v[88:89], v[90:91], 0 op_sel_hi:[1,0]
	v_pk_fma_f32 v[90:91], v[70:71], v[6:7], v[4:5] neg_lo:[0,0,1] neg_hi:[0,0,1]
	v_pk_fma_f32 v[4:5], v[70:71], v[6:7], v[4:5] op_sel_hi:[1,0,1]
	v_pk_mul_f32 v[98:99], v[76:77], v[12:13] op_sel:[1,1] op_sel_hi:[0,1]
	v_mov_b32_e32 v91, v5
	v_mov_b32_e32 v100, v15
	;; [unrolled: 1-line block ×3, first 2 shown]
	v_pk_fma_f32 v[6:7], v[74:75], v[10:11], v[72:73] neg_lo:[0,0,1] neg_hi:[0,0,1]
	v_pk_fma_f32 v[8:9], v[74:75], v[10:11], v[72:73] op_sel_hi:[1,0,1]
	v_pk_add_f32 v[4:5], v[88:89], v[90:91]
	v_pk_fma_f32 v[92:93], v[76:77], v[12:13], v[98:99] neg_lo:[0,0,1] neg_hi:[0,0,1]
	v_pk_fma_f32 v[12:13], v[76:77], v[12:13], v[98:99] op_sel_hi:[1,0,1]
	v_pk_mul_f32 v[76:77], v[78:79], v[100:101] op_sel:[1,0] op_sel_hi:[0,0]
	v_mov_b32_e32 v7, v9
	v_pk_add_f32 v[4:5], v[4:5], v[68:69]
	v_pk_mul_f32 v[102:103], v[80:81], v[16:17] op_sel:[1,1] op_sel_hi:[0,1]
	v_mov_b32_e32 v104, v19
	v_mov_b32_e32 v93, v13
	v_pk_fma_f32 v[10:11], v[78:79], v[14:15], v[76:77] neg_lo:[0,0,1] neg_hi:[0,0,1]
	v_pk_fma_f32 v[12:13], v[78:79], v[14:15], v[76:77] op_sel_hi:[1,0,1]
	v_pk_add_f32 v[4:5], v[4:5], v[6:7]
	v_pk_fma_f32 v[94:95], v[80:81], v[16:17], v[102:103] neg_lo:[0,0,1] neg_hi:[0,0,1]
	v_pk_fma_f32 v[16:17], v[80:81], v[16:17], v[102:103] op_sel_hi:[1,0,1]
	v_pk_mul_f32 v[80:81], v[82:83], v[104:105] op_sel:[1,0] op_sel_hi:[0,0]
	v_mov_b32_e32 v11, v13
	v_pk_add_f32 v[4:5], v[4:5], v[92:93]
	v_mov_b32_e32 v95, v17
	v_pk_fma_f32 v[14:15], v[82:83], v[18:19], v[80:81] neg_lo:[0,0,1] neg_hi:[0,0,1]
	v_pk_fma_f32 v[16:17], v[82:83], v[18:19], v[80:81] op_sel_hi:[1,0,1]
	v_pk_add_f32 v[4:5], v[4:5], v[10:11]
	v_mov_b32_e32 v15, v17
	v_pk_add_f32 v[4:5], v[4:5], v[94:95]
	v_mov_b32_e32 v97, v85
	v_pk_add_f32 v[4:5], v[4:5], v[14:15]
	s_nop 0
	v_pk_add_f32 v[4:5], v[4:5], v[96:97]
	s_waitcnt vmcnt(0)
	v_pk_add_f32 v[4:5], v[86:87], v[4:5] neg_lo:[0,1] neg_hi:[0,1]
	scratch_store_dwordx2 off, v[4:5], off offset:112
	s_and_saveexec_b64 s[0:1], vcc
	s_cbranch_execz .LBB23_131
; %bb.130:
	scratch_load_dwordx2 v[4:5], off, off offset:104
	v_mov_b32_e32 v3, v2
	scratch_store_dwordx2 off, v[2:3], off offset:104
	s_waitcnt vmcnt(1)
	ds_write_b64 v1, v[4:5]
.LBB23_131:
	s_or_b64 exec, exec, s[0:1]
	s_waitcnt lgkmcnt(0)
	; wave barrier
	scratch_load_dwordx4 v[4:7], off, off offset:112
	scratch_load_dwordx4 v[8:11], off, off offset:128
	;; [unrolled: 1-line block ×5, first 2 shown]
	scratch_load_dwordx2 v[92:93], off, off offset:104
	ds_read_b128 v[72:75], v2 offset:304
	ds_read_b128 v[76:79], v2 offset:320
	;; [unrolled: 1-line block ×5, first 2 shown]
	v_cmp_lt_u32_e32 vcc, 12, v0
	s_waitcnt vmcnt(5) lgkmcnt(4)
	v_mul_f32_e32 v3, v72, v5
	v_mul_f32_e32 v2, v73, v5
	;; [unrolled: 1-line block ×4, first 2 shown]
	s_waitcnt vmcnt(4) lgkmcnt(3)
	v_pk_mul_f32 v[96:97], v[76:77], v[8:9] op_sel:[1,1] op_sel_hi:[0,1]
	v_mov_b32_e32 v98, v11
	v_fmac_f32_e32 v3, v73, v4
	v_fma_f32 v2, v72, v4, -v2
	v_fmac_f32_e32 v95, v75, v6
	v_fma_f32 v94, v74, v6, -v5
	v_pk_fma_f32 v[4:5], v[76:77], v[8:9], v[96:97] neg_lo:[0,0,1] neg_hi:[0,0,1]
	v_pk_fma_f32 v[6:7], v[76:77], v[8:9], v[96:97] op_sel_hi:[1,0,1]
	v_pk_mul_f32 v[8:9], v[78:79], v[98:99] op_sel:[1,0] op_sel_hi:[0,0]
	v_pk_add_f32 v[2:3], v[2:3], 0 op_sel_hi:[1,0]
	s_waitcnt vmcnt(3) lgkmcnt(2)
	v_pk_mul_f32 v[100:101], v[80:81], v[12:13] op_sel:[1,1] op_sel_hi:[0,1]
	v_mov_b32_e32 v102, v15
	v_mov_b32_e32 v5, v7
	v_pk_fma_f32 v[6:7], v[78:79], v[10:11], v[8:9] neg_lo:[0,0,1] neg_hi:[0,0,1]
	v_pk_fma_f32 v[8:9], v[78:79], v[10:11], v[8:9] op_sel_hi:[1,0,1]
	v_pk_add_f32 v[2:3], v[2:3], v[94:95]
	v_pk_fma_f32 v[72:73], v[80:81], v[12:13], v[100:101] neg_lo:[0,0,1] neg_hi:[0,0,1]
	v_pk_fma_f32 v[12:13], v[80:81], v[12:13], v[100:101] op_sel_hi:[1,0,1]
	v_pk_mul_f32 v[74:75], v[82:83], v[102:103] op_sel:[1,0] op_sel_hi:[0,0]
	v_mov_b32_e32 v7, v9
	v_pk_add_f32 v[2:3], v[2:3], v[4:5]
	s_waitcnt vmcnt(2) lgkmcnt(1)
	v_pk_mul_f32 v[104:105], v[84:85], v[16:17] op_sel:[1,1] op_sel_hi:[0,1]
	v_mov_b32_e32 v106, v19
	v_mov_b32_e32 v73, v13
	v_pk_fma_f32 v[10:11], v[82:83], v[14:15], v[74:75] neg_lo:[0,0,1] neg_hi:[0,0,1]
	v_pk_fma_f32 v[12:13], v[82:83], v[14:15], v[74:75] op_sel_hi:[1,0,1]
	v_pk_add_f32 v[2:3], v[2:3], v[6:7]
	v_pk_fma_f32 v[76:77], v[84:85], v[16:17], v[104:105] neg_lo:[0,0,1] neg_hi:[0,0,1]
	v_pk_fma_f32 v[16:17], v[84:85], v[16:17], v[104:105] op_sel_hi:[1,0,1]
	v_pk_mul_f32 v[80:81], v[86:87], v[106:107] op_sel:[1,0] op_sel_hi:[0,0]
	v_mov_b32_e32 v11, v13
	v_pk_add_f32 v[2:3], v[2:3], v[72:73]
	;; [unrolled: 12-line block ×3, first 2 shown]
	v_mov_b32_e32 v85, v69
	v_pk_fma_f32 v[18:19], v[90:91], v[70:71], v[88:89] neg_lo:[0,0,1] neg_hi:[0,0,1]
	v_pk_fma_f32 v[68:69], v[90:91], v[70:71], v[88:89] op_sel_hi:[1,0,1]
	v_pk_add_f32 v[2:3], v[2:3], v[14:15]
	v_mov_b32_e32 v19, v69
	v_pk_add_f32 v[2:3], v[2:3], v[84:85]
	s_nop 0
	v_pk_add_f32 v[2:3], v[2:3], v[18:19]
	s_waitcnt vmcnt(0)
	v_pk_add_f32 v[2:3], v[92:93], v[2:3] neg_lo:[0,1] neg_hi:[0,1]
	scratch_store_dwordx2 off, v[2:3], off offset:104
	s_and_saveexec_b64 s[0:1], vcc
	s_cbranch_execz .LBB23_133
; %bb.132:
	scratch_load_dwordx2 v[2:3], off, off offset:96
	v_mov_b32_e32 v4, 0
	v_mov_b32_e32 v5, v4
	scratch_store_dwordx2 off, v[4:5], off offset:96
	s_waitcnt vmcnt(1)
	ds_write_b64 v1, v[2:3]
.LBB23_133:
	s_or_b64 exec, exec, s[0:1]
	s_waitcnt lgkmcnt(0)
	; wave barrier
	scratch_load_dwordx4 v[4:7], off, off offset:104
	scratch_load_dwordx4 v[8:11], off, off offset:120
	;; [unrolled: 1-line block ×5, first 2 shown]
	scratch_load_dwordx2 v[92:93], off, off offset:184
	scratch_load_dwordx2 v[94:95], off, off offset:96
	v_mov_b32_e32 v2, 0
	ds_read2_b64 v[72:75], v2 offset0:37 offset1:38
	ds_read2_b64 v[76:79], v2 offset0:39 offset1:40
	;; [unrolled: 1-line block ×5, first 2 shown]
	ds_read_b64 v[96:97], v2 offset:376
	v_cmp_lt_u32_e32 vcc, 11, v0
	s_waitcnt vmcnt(6) lgkmcnt(5)
	v_mul_f32_e32 v3, v72, v5
	v_mul_f32_e32 v5, v73, v5
	;; [unrolled: 1-line block ×3, first 2 shown]
	s_waitcnt vmcnt(5) lgkmcnt(4)
	v_mul_f32_e32 v101, v76, v9
	v_mul_f32_e32 v7, v75, v7
	;; [unrolled: 1-line block ×3, first 2 shown]
	v_mov_b32_e32 v102, v11
	s_waitcnt vmcnt(3) lgkmcnt(2)
	v_pk_mul_f32 v[108:109], v[84:85], v[16:17] op_sel:[1,1] op_sel_hi:[0,1]
	s_waitcnt vmcnt(2) lgkmcnt(1)
	v_pk_mul_f32 v[112:113], v[88:89], v[68:69] op_sel:[1,1] op_sel_hi:[0,1]
	;; [unrolled: 2-line block ×3, first 2 shown]
	v_fmac_f32_e32 v3, v73, v4
	v_fma_f32 v103, v72, v4, -v5
	v_fmac_f32_e32 v99, v75, v6
	v_fmac_f32_e32 v101, v77, v8
	v_fma_f32 v98, v74, v6, -v7
	v_fma_f32 v100, v76, v8, -v9
	v_pk_mul_f32 v[4:5], v[78:79], v[102:103] op_sel:[1,0] op_sel_hi:[0,0]
	v_pk_fma_f32 v[72:73], v[84:85], v[16:17], v[108:109] neg_lo:[0,0,1] neg_hi:[0,0,1]
	v_pk_fma_f32 v[16:17], v[84:85], v[16:17], v[108:109] op_sel_hi:[1,0,1]
	v_pk_fma_f32 v[76:77], v[88:89], v[68:69], v[112:113] neg_lo:[0,0,1] neg_hi:[0,0,1]
	v_pk_fma_f32 v[68:69], v[88:89], v[68:69], v[112:113] op_sel_hi:[1,0,1]
	;; [unrolled: 2-line block ×3, first 2 shown]
	v_add_f32_e32 v93, 0, v3
	v_add_f32_e32 v92, 0, v103
	v_pk_mul_f32 v[104:105], v[80:81], v[12:13] op_sel:[1,1] op_sel_hi:[0,1]
	v_mov_b32_e32 v106, v15
	v_pk_fma_f32 v[96:97], v[78:79], v[10:11], v[4:5] neg_lo:[0,0,1] neg_hi:[0,0,1]
	v_pk_fma_f32 v[4:5], v[78:79], v[10:11], v[4:5] op_sel_hi:[1,0,1]
	v_mov_b32_e32 v77, v69
	v_pk_add_f32 v[68:69], v[92:93], v[98:99]
	v_pk_fma_f32 v[6:7], v[80:81], v[12:13], v[104:105] neg_lo:[0,0,1] neg_hi:[0,0,1]
	v_pk_fma_f32 v[8:9], v[80:81], v[12:13], v[104:105] op_sel_hi:[1,0,1]
	v_pk_mul_f32 v[12:13], v[82:83], v[106:107] op_sel:[1,0] op_sel_hi:[0,0]
	v_mov_b32_e32 v97, v5
	v_pk_add_f32 v[4:5], v[68:69], v[100:101]
	v_mov_b32_e32 v110, v19
	v_mov_b32_e32 v7, v9
	v_pk_fma_f32 v[8:9], v[82:83], v[14:15], v[12:13] neg_lo:[0,0,1] neg_hi:[0,0,1]
	v_pk_fma_f32 v[10:11], v[82:83], v[14:15], v[12:13] op_sel_hi:[1,0,1]
	v_pk_add_f32 v[4:5], v[4:5], v[96:97]
	v_pk_mul_f32 v[74:75], v[86:87], v[110:111] op_sel:[1,0] op_sel_hi:[0,0]
	v_mov_b32_e32 v9, v11
	v_pk_add_f32 v[4:5], v[4:5], v[6:7]
	v_mov_b32_e32 v114, v71
	v_mov_b32_e32 v73, v17
	v_pk_fma_f32 v[12:13], v[86:87], v[18:19], v[74:75] neg_lo:[0,0,1] neg_hi:[0,0,1]
	v_pk_fma_f32 v[14:15], v[86:87], v[18:19], v[74:75] op_sel_hi:[1,0,1]
	v_pk_add_f32 v[4:5], v[4:5], v[8:9]
	v_pk_mul_f32 v[80:81], v[90:91], v[114:115] op_sel:[1,0] op_sel_hi:[0,0]
	v_mov_b32_e32 v13, v15
	v_pk_add_f32 v[4:5], v[4:5], v[72:73]
	v_pk_fma_f32 v[16:17], v[90:91], v[70:71], v[80:81] neg_lo:[0,0,1] neg_hi:[0,0,1]
	v_pk_fma_f32 v[18:19], v[90:91], v[70:71], v[80:81] op_sel_hi:[1,0,1]
	v_pk_add_f32 v[4:5], v[4:5], v[12:13]
	v_mov_b32_e32 v17, v19
	v_pk_add_f32 v[4:5], v[4:5], v[76:77]
	v_mov_b32_e32 v85, v89
	v_pk_add_f32 v[4:5], v[4:5], v[16:17]
	s_nop 0
	v_pk_add_f32 v[4:5], v[4:5], v[84:85]
	s_waitcnt vmcnt(0)
	v_pk_add_f32 v[4:5], v[94:95], v[4:5] neg_lo:[0,1] neg_hi:[0,1]
	scratch_store_dwordx2 off, v[4:5], off offset:96
	s_and_saveexec_b64 s[0:1], vcc
	s_cbranch_execz .LBB23_135
; %bb.134:
	scratch_load_dwordx2 v[4:5], off, off offset:88
	v_mov_b32_e32 v3, v2
	scratch_store_dwordx2 off, v[2:3], off offset:88
	s_waitcnt vmcnt(1)
	ds_write_b64 v1, v[4:5]
.LBB23_135:
	s_or_b64 exec, exec, s[0:1]
	s_waitcnt lgkmcnt(0)
	; wave barrier
	scratch_load_dwordx4 v[4:7], off, off offset:96
	scratch_load_dwordx4 v[8:11], off, off offset:112
	;; [unrolled: 1-line block ×6, first 2 shown]
	scratch_load_dwordx2 v[100:101], off, off offset:88
	ds_read_b128 v[76:79], v2 offset:288
	ds_read_b128 v[80:83], v2 offset:304
	;; [unrolled: 1-line block ×6, first 2 shown]
	v_cmp_lt_u32_e32 vcc, 10, v0
	s_waitcnt vmcnt(6) lgkmcnt(5)
	v_mul_f32_e32 v107, v76, v5
	v_mul_f32_e32 v111, v78, v7
	s_waitcnt vmcnt(5) lgkmcnt(4)
	v_mul_f32_e32 v3, v80, v9
	v_mul_f32_e32 v2, v77, v5
	;; [unrolled: 1-line block ×4, first 2 shown]
	s_waitcnt vmcnt(1) lgkmcnt(0)
	v_pk_mul_f32 v[116:117], v[96:97], v[72:73] op_sel:[1,1] op_sel_hi:[0,1]
	v_pk_mul_f32 v[104:105], v[84:85], v[12:13] op_sel:[1,1] op_sel_hi:[0,1]
	v_fmac_f32_e32 v107, v77, v4
	v_fmac_f32_e32 v3, v81, v8
	v_fma_f32 v115, v76, v4, -v2
	v_fma_f32 v2, v80, v8, -v7
	v_pk_fma_f32 v[80:81], v[96:97], v[72:73], v[116:117] neg_lo:[0,0,1] neg_hi:[0,0,1]
	v_pk_fma_f32 v[72:73], v[96:97], v[72:73], v[116:117] op_sel_hi:[1,0,1]
	v_fmac_f32_e32 v111, v79, v6
	v_fma_f32 v119, v78, v6, -v5
	v_pk_fma_f32 v[4:5], v[84:85], v[12:13], v[104:105] neg_lo:[0,0,1] neg_hi:[0,0,1]
	v_pk_fma_f32 v[6:7], v[84:85], v[12:13], v[104:105] op_sel_hi:[1,0,1]
	v_add_f32_e32 v72, 0, v107
	v_add_f32_e32 v84, 0, v115
	v_mul_f32_e32 v103, v82, v11
	v_mul_f32_e32 v9, v83, v11
	v_mov_b32_e32 v106, v15
	v_mov_b32_e32 v81, v73
	v_add_f32_e32 v73, v72, v111
	v_add_f32_e32 v72, v84, v119
	v_fmac_f32_e32 v103, v83, v10
	v_fma_f32 v102, v82, v10, -v9
	v_pk_mul_f32 v[8:9], v[86:87], v[106:107] op_sel:[1,0] op_sel_hi:[0,0]
	v_pk_add_f32 v[2:3], v[72:73], v[2:3]
	v_pk_mul_f32 v[108:109], v[88:89], v[16:17] op_sel:[1,1] op_sel_hi:[0,1]
	v_mov_b32_e32 v110, v19
	v_mov_b32_e32 v5, v7
	v_pk_fma_f32 v[6:7], v[86:87], v[14:15], v[8:9] neg_lo:[0,0,1] neg_hi:[0,0,1]
	v_pk_fma_f32 v[8:9], v[86:87], v[14:15], v[8:9] op_sel_hi:[1,0,1]
	v_pk_add_f32 v[2:3], v[2:3], v[102:103]
	v_pk_fma_f32 v[10:11], v[88:89], v[16:17], v[108:109] neg_lo:[0,0,1] neg_hi:[0,0,1]
	v_pk_fma_f32 v[12:13], v[88:89], v[16:17], v[108:109] op_sel_hi:[1,0,1]
	v_pk_mul_f32 v[16:17], v[90:91], v[110:111] op_sel:[1,0] op_sel_hi:[0,0]
	v_mov_b32_e32 v7, v9
	v_pk_add_f32 v[2:3], v[2:3], v[4:5]
	v_pk_mul_f32 v[112:113], v[92:93], v[68:69] op_sel:[1,1] op_sel_hi:[0,1]
	v_mov_b32_e32 v114, v71
	v_mov_b32_e32 v11, v13
	v_pk_fma_f32 v[12:13], v[90:91], v[18:19], v[16:17] neg_lo:[0,0,1] neg_hi:[0,0,1]
	v_pk_fma_f32 v[14:15], v[90:91], v[18:19], v[16:17] op_sel_hi:[1,0,1]
	v_pk_add_f32 v[2:3], v[2:3], v[6:7]
	v_pk_fma_f32 v[76:77], v[92:93], v[68:69], v[112:113] neg_lo:[0,0,1] neg_hi:[0,0,1]
	v_pk_fma_f32 v[68:69], v[92:93], v[68:69], v[112:113] op_sel_hi:[1,0,1]
	v_pk_mul_f32 v[78:79], v[94:95], v[114:115] op_sel:[1,0] op_sel_hi:[0,0]
	v_mov_b32_e32 v13, v15
	v_pk_add_f32 v[2:3], v[2:3], v[10:11]
	v_mov_b32_e32 v118, v75
	v_mov_b32_e32 v77, v69
	v_pk_fma_f32 v[16:17], v[94:95], v[70:71], v[78:79] neg_lo:[0,0,1] neg_hi:[0,0,1]
	v_pk_fma_f32 v[18:19], v[94:95], v[70:71], v[78:79] op_sel_hi:[1,0,1]
	v_pk_add_f32 v[2:3], v[2:3], v[12:13]
	v_pk_mul_f32 v[82:83], v[98:99], v[118:119] op_sel:[1,0] op_sel_hi:[0,0]
	v_mov_b32_e32 v17, v19
	v_pk_add_f32 v[2:3], v[2:3], v[76:77]
	v_pk_fma_f32 v[68:69], v[98:99], v[74:75], v[82:83] neg_lo:[0,0,1] neg_hi:[0,0,1]
	v_pk_fma_f32 v[70:71], v[98:99], v[74:75], v[82:83] op_sel_hi:[1,0,1]
	v_pk_add_f32 v[2:3], v[2:3], v[16:17]
	v_mov_b32_e32 v69, v71
	v_pk_add_f32 v[2:3], v[2:3], v[80:81]
	s_nop 0
	v_pk_add_f32 v[2:3], v[2:3], v[68:69]
	s_waitcnt vmcnt(0)
	v_pk_add_f32 v[2:3], v[100:101], v[2:3] neg_lo:[0,1] neg_hi:[0,1]
	scratch_store_dwordx2 off, v[2:3], off offset:88
	s_and_saveexec_b64 s[0:1], vcc
	s_cbranch_execz .LBB23_137
; %bb.136:
	scratch_load_dwordx2 v[2:3], off, off offset:80
	v_mov_b32_e32 v4, 0
	v_mov_b32_e32 v5, v4
	scratch_store_dwordx2 off, v[4:5], off offset:80
	s_waitcnt vmcnt(1)
	ds_write_b64 v1, v[2:3]
.LBB23_137:
	s_or_b64 exec, exec, s[0:1]
	s_waitcnt lgkmcnt(0)
	; wave barrier
	scratch_load_dwordx4 v[4:7], off, off offset:88
	scratch_load_dwordx4 v[8:11], off, off offset:104
	scratch_load_dwordx4 v[12:15], off, off offset:120
	scratch_load_dwordx4 v[16:19], off, off offset:136
	scratch_load_dwordx4 v[68:71], off, off offset:152
	scratch_load_dwordx4 v[72:75], off, off offset:168
	scratch_load_dwordx2 v[100:101], off, off offset:184
	scratch_load_dwordx2 v[102:103], off, off offset:80
	v_mov_b32_e32 v2, 0
	ds_read2_b64 v[76:79], v2 offset0:35 offset1:36
	ds_read2_b64 v[80:83], v2 offset0:37 offset1:38
	;; [unrolled: 1-line block ×6, first 2 shown]
	ds_read_b64 v[104:105], v2 offset:376
	v_cmp_lt_u32_e32 vcc, 9, v0
	s_waitcnt vmcnt(7) lgkmcnt(6)
	v_mul_f32_e32 v111, v78, v7
	v_mul_f32_e32 v3, v76, v5
	s_waitcnt vmcnt(5) lgkmcnt(4)
	v_mul_f32_e32 v109, v84, v13
	v_mul_f32_e32 v5, v77, v5
	v_mov_b32_e32 v110, v15
	s_waitcnt vmcnt(2) lgkmcnt(1)
	v_pk_mul_f32 v[120:121], v[96:97], v[72:73] op_sel:[1,1] op_sel_hi:[0,1]
	v_fmac_f32_e32 v111, v79, v6
	v_mul_f32_e32 v7, v79, v7
	v_mul_f32_e32 v13, v85, v13
	v_fmac_f32_e32 v3, v77, v4
	v_fmac_f32_e32 v109, v85, v12
	v_fma_f32 v85, v76, v4, -v5
	v_pk_mul_f32 v[4:5], v[86:87], v[110:111] op_sel:[1,0] op_sel_hi:[0,0]
	v_pk_fma_f32 v[76:77], v[96:97], v[72:73], v[120:121] neg_lo:[0,0,1] neg_hi:[0,0,1]
	v_pk_fma_f32 v[72:73], v[96:97], v[72:73], v[120:121] op_sel_hi:[1,0,1]
	v_mul_f32_e32 v115, v80, v9
	v_mul_f32_e32 v9, v81, v9
	v_fma_f32 v119, v78, v6, -v7
	v_fma_f32 v108, v84, v12, -v13
	v_add_f32_e32 v3, 0, v3
	v_add_f32_e32 v72, 0, v85
	v_pk_fma_f32 v[84:85], v[86:87], v[14:15], v[4:5] neg_lo:[0,0,1] neg_hi:[0,0,1]
	v_pk_fma_f32 v[4:5], v[86:87], v[14:15], v[4:5] op_sel_hi:[1,0,1]
	v_mul_f32_e32 v107, v82, v11
	v_mul_f32_e32 v11, v83, v11
	v_fmac_f32_e32 v115, v81, v8
	v_fma_f32 v123, v80, v8, -v9
	v_add_f32_e32 v3, v3, v111
	v_add_f32_e32 v4, v72, v119
	v_fmac_f32_e32 v107, v83, v10
	v_fma_f32 v106, v82, v10, -v11
	v_mov_b32_e32 v85, v5
	v_add_f32_e32 v5, v3, v115
	v_add_f32_e32 v4, v4, v123
	v_pk_mul_f32 v[112:113], v[88:89], v[16:17] op_sel:[1,1] op_sel_hi:[0,1]
	v_mov_b32_e32 v114, v19
	v_pk_add_f32 v[4:5], v[4:5], v[106:107]
	v_pk_fma_f32 v[6:7], v[88:89], v[16:17], v[112:113] neg_lo:[0,0,1] neg_hi:[0,0,1]
	v_pk_fma_f32 v[8:9], v[88:89], v[16:17], v[112:113] op_sel_hi:[1,0,1]
	v_pk_mul_f32 v[10:11], v[90:91], v[114:115] op_sel:[1,0] op_sel_hi:[0,0]
	v_pk_add_f32 v[4:5], v[4:5], v[108:109]
	v_pk_mul_f32 v[116:117], v[92:93], v[68:69] op_sel:[1,1] op_sel_hi:[0,1]
	v_mov_b32_e32 v118, v71
	v_mov_b32_e32 v7, v9
	v_pk_fma_f32 v[8:9], v[90:91], v[18:19], v[10:11] neg_lo:[0,0,1] neg_hi:[0,0,1]
	v_pk_fma_f32 v[10:11], v[90:91], v[18:19], v[10:11] op_sel_hi:[1,0,1]
	v_pk_add_f32 v[4:5], v[4:5], v[84:85]
	v_pk_fma_f32 v[12:13], v[92:93], v[68:69], v[116:117] neg_lo:[0,0,1] neg_hi:[0,0,1]
	v_pk_fma_f32 v[16:17], v[92:93], v[68:69], v[116:117] op_sel_hi:[1,0,1]
	v_pk_mul_f32 v[68:69], v[94:95], v[118:119] op_sel:[1,0] op_sel_hi:[0,0]
	v_mov_b32_e32 v9, v11
	v_pk_add_f32 v[4:5], v[4:5], v[6:7]
	v_mov_b32_e32 v122, v75
	v_mov_b32_e32 v13, v17
	v_pk_fma_f32 v[14:15], v[94:95], v[70:71], v[68:69] neg_lo:[0,0,1] neg_hi:[0,0,1]
	v_pk_fma_f32 v[16:17], v[94:95], v[70:71], v[68:69] op_sel_hi:[1,0,1]
	v_pk_add_f32 v[4:5], v[4:5], v[8:9]
	v_pk_mul_f32 v[78:79], v[98:99], v[122:123] op_sel:[1,0] op_sel_hi:[0,0]
	v_mov_b32_e32 v15, v17
	v_pk_add_f32 v[4:5], v[4:5], v[12:13]
	s_waitcnt vmcnt(1) lgkmcnt(0)
	v_pk_mul_f32 v[124:125], v[104:105], v[100:101] op_sel:[1,1] op_sel_hi:[0,1]
	v_mov_b32_e32 v77, v73
	v_pk_fma_f32 v[18:19], v[98:99], v[74:75], v[78:79] neg_lo:[0,0,1] neg_hi:[0,0,1]
	v_pk_fma_f32 v[68:69], v[98:99], v[74:75], v[78:79] op_sel_hi:[1,0,1]
	v_pk_add_f32 v[4:5], v[4:5], v[14:15]
	v_pk_fma_f32 v[80:81], v[104:105], v[100:101], v[124:125] neg_lo:[0,0,1] neg_hi:[0,0,1]
	v_pk_fma_f32 v[82:83], v[104:105], v[100:101], v[124:125] op_sel_hi:[1,0,1]
	v_mov_b32_e32 v19, v69
	v_pk_add_f32 v[4:5], v[4:5], v[76:77]
	v_mov_b32_e32 v81, v83
	v_pk_add_f32 v[4:5], v[4:5], v[18:19]
	s_nop 0
	v_pk_add_f32 v[4:5], v[4:5], v[80:81]
	s_waitcnt vmcnt(0)
	v_pk_add_f32 v[4:5], v[102:103], v[4:5] neg_lo:[0,1] neg_hi:[0,1]
	scratch_store_dwordx2 off, v[4:5], off offset:80
	s_and_saveexec_b64 s[0:1], vcc
	s_cbranch_execz .LBB23_139
; %bb.138:
	scratch_load_dwordx2 v[4:5], off, off offset:72
	v_mov_b32_e32 v3, v2
	scratch_store_dwordx2 off, v[2:3], off offset:72
	s_waitcnt vmcnt(1)
	ds_write_b64 v1, v[4:5]
.LBB23_139:
	s_or_b64 exec, exec, s[0:1]
	s_waitcnt lgkmcnt(0)
	; wave barrier
	scratch_load_dwordx4 v[4:7], off, off offset:80
	scratch_load_dwordx4 v[8:11], off, off offset:96
	;; [unrolled: 1-line block ×7, first 2 shown]
	ds_read_b128 v[80:83], v2 offset:272
	ds_read_b128 v[84:87], v2 offset:288
	;; [unrolled: 1-line block ×6, first 2 shown]
	scratch_load_dwordx2 v[108:109], off, off offset:72
	ds_read_b128 v[104:107], v2 offset:368
	v_cmp_lt_u32_e32 vcc, 8, v0
	s_waitcnt vmcnt(7) lgkmcnt(6)
	v_mul_f32_e32 v115, v80, v5
	v_mul_f32_e32 v119, v82, v7
	s_waitcnt vmcnt(6) lgkmcnt(5)
	v_mul_f32_e32 v123, v84, v9
	v_mul_f32_e32 v127, v86, v11
	;; [unrolled: 3-line block ×3, first 2 shown]
	v_mul_f32_e32 v2, v81, v5
	v_mul_f32_e32 v5, v83, v7
	;; [unrolled: 1-line block ×6, first 2 shown]
	s_waitcnt vmcnt(4) lgkmcnt(3)
	v_pk_mul_f32 v[112:113], v[92:93], v[16:17] op_sel:[1,1] op_sel_hi:[0,1]
	v_mov_b32_e32 v114, v19
	s_waitcnt vmcnt(3) lgkmcnt(2)
	v_pk_mul_f32 v[116:117], v[96:97], v[68:69] op_sel:[1,1] op_sel_hi:[0,1]
	v_mov_b32_e32 v118, v71
	s_waitcnt vmcnt(1) lgkmcnt(0)
	v_pk_mul_f32 v[124:125], v[104:105], v[76:77] op_sel:[1,1] op_sel_hi:[0,1]
	v_fmac_f32_e32 v115, v81, v4
	v_fmac_f32_e32 v119, v83, v6
	;; [unrolled: 1-line block ×6, first 2 shown]
	v_fma_f32 v85, v80, v4, -v2
	v_fma_f32 v87, v82, v6, -v5
	;; [unrolled: 1-line block ×6, first 2 shown]
	v_pk_fma_f32 v[4:5], v[92:93], v[16:17], v[112:113] neg_lo:[0,0,1] neg_hi:[0,0,1]
	v_pk_fma_f32 v[6:7], v[92:93], v[16:17], v[112:113] op_sel_hi:[1,0,1]
	v_pk_mul_f32 v[8:9], v[94:95], v[114:115] op_sel:[1,0] op_sel_hi:[0,0]
	v_pk_fma_f32 v[10:11], v[96:97], v[68:69], v[116:117] neg_lo:[0,0,1] neg_hi:[0,0,1]
	v_pk_fma_f32 v[12:13], v[96:97], v[68:69], v[116:117] op_sel_hi:[1,0,1]
	v_pk_mul_f32 v[14:15], v[98:99], v[118:119] op_sel:[1,0] op_sel_hi:[0,0]
	v_pk_fma_f32 v[80:81], v[104:105], v[76:77], v[124:125] neg_lo:[0,0,1] neg_hi:[0,0,1]
	v_pk_fma_f32 v[76:77], v[104:105], v[76:77], v[124:125] op_sel_hi:[1,0,1]
	v_add_f32_e32 v85, 0, v85
	v_add_f32_e32 v76, 0, v115
	v_mov_b32_e32 v5, v7
	v_pk_fma_f32 v[6:7], v[94:95], v[18:19], v[8:9] neg_lo:[0,0,1] neg_hi:[0,0,1]
	v_pk_fma_f32 v[8:9], v[94:95], v[18:19], v[8:9] op_sel_hi:[1,0,1]
	v_mov_b32_e32 v11, v13
	v_pk_fma_f32 v[12:13], v[98:99], v[70:71], v[14:15] neg_lo:[0,0,1] neg_hi:[0,0,1]
	v_pk_fma_f32 v[14:15], v[98:99], v[70:71], v[14:15] op_sel_hi:[1,0,1]
	v_add_f32_e32 v8, v76, v119
	v_add_f32_e32 v14, v85, v87
	;; [unrolled: 1-line block ×4, first 2 shown]
	v_mov_b32_e32 v7, v9
	v_add_f32_e32 v9, v8, v127
	v_add_f32_e32 v8, v14, v86
	v_pk_add_f32 v[2:3], v[8:9], v[2:3]
	v_pk_mul_f32 v[120:121], v[100:101], v[72:73] op_sel:[1,1] op_sel_hi:[0,1]
	v_pk_add_f32 v[2:3], v[2:3], v[110:111]
	v_mov_b32_e32 v122, v75
	v_pk_add_f32 v[2:3], v[2:3], v[4:5]
	v_pk_fma_f32 v[16:17], v[100:101], v[72:73], v[120:121] neg_lo:[0,0,1] neg_hi:[0,0,1]
	v_pk_add_f32 v[2:3], v[2:3], v[6:7]
	v_pk_fma_f32 v[68:69], v[100:101], v[72:73], v[120:121] op_sel_hi:[1,0,1]
	v_pk_mul_f32 v[72:73], v[102:103], v[122:123] op_sel:[1,0] op_sel_hi:[0,0]
	v_mov_b32_e32 v13, v15
	v_pk_add_f32 v[2:3], v[2:3], v[10:11]
	v_mov_b32_e32 v126, v79
	v_mov_b32_e32 v17, v69
	v_pk_fma_f32 v[18:19], v[102:103], v[74:75], v[72:73] neg_lo:[0,0,1] neg_hi:[0,0,1]
	v_pk_fma_f32 v[68:69], v[102:103], v[74:75], v[72:73] op_sel_hi:[1,0,1]
	v_pk_add_f32 v[2:3], v[2:3], v[12:13]
	v_pk_mul_f32 v[82:83], v[106:107], v[126:127] op_sel:[1,0] op_sel_hi:[0,0]
	v_mov_b32_e32 v19, v69
	v_pk_add_f32 v[2:3], v[2:3], v[16:17]
	v_mov_b32_e32 v81, v77
	v_pk_fma_f32 v[70:71], v[106:107], v[78:79], v[82:83] neg_lo:[0,0,1] neg_hi:[0,0,1]
	v_pk_fma_f32 v[72:73], v[106:107], v[78:79], v[82:83] op_sel_hi:[1,0,1]
	v_pk_add_f32 v[2:3], v[2:3], v[18:19]
	v_mov_b32_e32 v71, v73
	v_pk_add_f32 v[2:3], v[2:3], v[80:81]
	s_nop 0
	v_pk_add_f32 v[2:3], v[2:3], v[70:71]
	s_waitcnt vmcnt(0)
	v_pk_add_f32 v[2:3], v[108:109], v[2:3] neg_lo:[0,1] neg_hi:[0,1]
	scratch_store_dwordx2 off, v[2:3], off offset:72
	s_and_saveexec_b64 s[0:1], vcc
	s_cbranch_execz .LBB23_141
; %bb.140:
	scratch_load_dwordx2 v[2:3], off, off offset:64
	v_mov_b32_e32 v4, 0
	v_mov_b32_e32 v5, v4
	scratch_store_dwordx2 off, v[4:5], off offset:64
	s_waitcnt vmcnt(1)
	ds_write_b64 v1, v[2:3]
.LBB23_141:
	s_or_b64 exec, exec, s[0:1]
	s_waitcnt lgkmcnt(0)
	; wave barrier
	scratch_load_dwordx4 v[8:11], off, off offset:72
	scratch_load_dwordx4 v[16:19], off, off offset:88
	;; [unrolled: 1-line block ×4, first 2 shown]
	v_mov_b32_e32 v2, 0
	ds_read2_b64 v[4:7], v2 offset0:33 offset1:34
	v_cmp_lt_u32_e32 vcc, 7, v0
	s_waitcnt vmcnt(3) lgkmcnt(0)
	v_mul_f32_e32 v3, v4, v9
	v_fmac_f32_e32 v3, v5, v8
	v_mul_f32_e32 v12, v6, v11
	v_add_f32_e32 v3, 0, v3
	v_fmac_f32_e32 v12, v7, v10
	v_add_f32_e32 v3, v3, v12
	ds_read2_b64 v[12:15], v2 offset0:35 offset1:36
	s_waitcnt vmcnt(2) lgkmcnt(0)
	v_mul_f32_e32 v68, v12, v17
	v_fmac_f32_e32 v68, v13, v16
	v_add_f32_e32 v3, v3, v68
	v_mul_f32_e32 v68, v14, v19
	v_fmac_f32_e32 v68, v15, v18
	v_add_f32_e32 v3, v3, v68
	ds_read2_b64 v[68:71], v2 offset0:37 offset1:38
	s_waitcnt vmcnt(1) lgkmcnt(0)
	v_mul_f32_e32 v76, v68, v73
	v_fmac_f32_e32 v76, v69, v72
	v_add_f32_e32 v97, v3, v76
	ds_read2_b64 v[76:79], v2 offset0:39 offset1:40
	scratch_load_dwordx4 v[84:87], off, off offset:136
	scratch_load_dwordx4 v[88:91], off, off offset:152
	;; [unrolled: 1-line block ×3, first 2 shown]
	scratch_load_dwordx2 v[102:103], off, off offset:184
	v_mul_f32_e32 v3, v5, v9
	v_fma_f32 v3, v4, v8, -v3
	v_mul_f32_e32 v4, v7, v11
	v_add_f32_e32 v3, 0, v3
	v_fma_f32 v4, v6, v10, -v4
	v_add_f32_e32 v3, v3, v4
	v_mul_f32_e32 v4, v13, v17
	v_fma_f32 v4, v12, v16, -v4
	v_add_f32_e32 v3, v3, v4
	v_mul_f32_e32 v4, v15, v19
	;; [unrolled: 3-line block ×3, first 2 shown]
	v_fma_f32 v4, v68, v72, -v4
	v_mul_f32_e32 v99, v70, v75
	v_add_f32_e32 v96, v3, v4
	v_mul_f32_e32 v3, v71, v75
	s_waitcnt vmcnt(4)
	v_mov_b32_e32 v68, v83
	v_fmac_f32_e32 v99, v71, v74
	s_waitcnt lgkmcnt(0)
	v_mul_f32_e32 v101, v76, v81
	v_fma_f32 v98, v70, v74, -v3
	v_mul_f32_e32 v3, v77, v81
	ds_read2_b64 v[4:7], v2 offset0:41 offset1:42
	ds_read2_b64 v[8:11], v2 offset0:43 offset1:44
	;; [unrolled: 1-line block ×3, first 2 shown]
	ds_read_b64 v[16:17], v2 offset:376
	v_pk_mul_f32 v[68:69], v[78:79], v[68:69] op_sel:[1,0] op_sel_hi:[0,0]
	v_fmac_f32_e32 v101, v77, v80
	v_fma_f32 v100, v76, v80, -v3
	v_pk_add_f32 v[18:19], v[96:97], v[98:99]
	v_pk_fma_f32 v[70:71], v[78:79], v[82:83], v[68:69] neg_lo:[0,0,1] neg_hi:[0,0,1]
	v_pk_fma_f32 v[68:69], v[78:79], v[82:83], v[68:69] op_sel_hi:[1,0,1]
	v_pk_add_f32 v[18:19], v[18:19], v[100:101]
	v_mov_b32_e32 v71, v69
	v_pk_add_f32 v[18:19], v[18:19], v[70:71]
	s_waitcnt vmcnt(3) lgkmcnt(3)
	v_pk_mul_f32 v[68:69], v[4:5], v[84:85] op_sel:[1,1] op_sel_hi:[0,1]
	v_pk_fma_f32 v[70:71], v[4:5], v[84:85], v[68:69] neg_lo:[0,0,1] neg_hi:[0,0,1]
	v_pk_fma_f32 v[4:5], v[4:5], v[84:85], v[68:69] op_sel_hi:[1,0,1]
	s_nop 0
	v_mov_b32_e32 v71, v5
	v_pk_add_f32 v[4:5], v[18:19], v[70:71]
	v_mov_b32_e32 v18, v87
	v_pk_mul_f32 v[18:19], v[6:7], v[18:19] op_sel:[1,0] op_sel_hi:[0,0]
	v_pk_fma_f32 v[68:69], v[6:7], v[86:87], v[18:19] neg_lo:[0,0,1] neg_hi:[0,0,1]
	v_pk_fma_f32 v[6:7], v[6:7], v[86:87], v[18:19] op_sel_hi:[1,0,1]
	s_nop 0
	v_mov_b32_e32 v69, v7
	s_waitcnt vmcnt(2) lgkmcnt(2)
	v_pk_mul_f32 v[6:7], v[8:9], v[88:89] op_sel:[1,1] op_sel_hi:[0,1]
	v_pk_fma_f32 v[18:19], v[8:9], v[88:89], v[6:7] neg_lo:[0,0,1] neg_hi:[0,0,1]
	v_pk_fma_f32 v[6:7], v[8:9], v[88:89], v[6:7] op_sel_hi:[1,0,1]
	v_pk_add_f32 v[4:5], v[4:5], v[68:69]
	v_mov_b32_e32 v6, v91
	v_mov_b32_e32 v19, v7
	v_pk_mul_f32 v[6:7], v[10:11], v[6:7] op_sel:[1,0] op_sel_hi:[0,0]
	v_pk_fma_f32 v[8:9], v[10:11], v[90:91], v[6:7] neg_lo:[0,0,1] neg_hi:[0,0,1]
	v_pk_fma_f32 v[6:7], v[10:11], v[90:91], v[6:7] op_sel_hi:[1,0,1]
	v_pk_add_f32 v[4:5], v[4:5], v[18:19]
	v_mov_b32_e32 v9, v7
	s_waitcnt vmcnt(1) lgkmcnt(1)
	v_pk_mul_f32 v[6:7], v[12:13], v[92:93] op_sel:[1,1] op_sel_hi:[0,1]
	v_pk_add_f32 v[4:5], v[4:5], v[8:9]
	v_pk_fma_f32 v[8:9], v[12:13], v[92:93], v[6:7] neg_lo:[0,0,1] neg_hi:[0,0,1]
	v_pk_fma_f32 v[6:7], v[12:13], v[92:93], v[6:7] op_sel_hi:[1,0,1]
	s_nop 0
	v_mov_b32_e32 v6, v95
	v_mov_b32_e32 v9, v7
	v_pk_mul_f32 v[6:7], v[14:15], v[6:7] op_sel:[1,0] op_sel_hi:[0,0]
	v_pk_add_f32 v[4:5], v[4:5], v[8:9]
	v_pk_fma_f32 v[8:9], v[14:15], v[94:95], v[6:7] neg_lo:[0,0,1] neg_hi:[0,0,1]
	v_pk_fma_f32 v[6:7], v[14:15], v[94:95], v[6:7] op_sel_hi:[1,0,1]
	s_nop 0
	v_mov_b32_e32 v9, v7
	s_waitcnt vmcnt(0) lgkmcnt(0)
	v_pk_mul_f32 v[6:7], v[16:17], v[102:103] op_sel:[1,1] op_sel_hi:[0,1]
	v_pk_add_f32 v[4:5], v[4:5], v[8:9]
	v_pk_fma_f32 v[8:9], v[16:17], v[102:103], v[6:7] neg_lo:[0,0,1] neg_hi:[0,0,1]
	v_pk_fma_f32 v[6:7], v[16:17], v[102:103], v[6:7] op_sel_hi:[1,0,1]
	s_nop 0
	v_mov_b32_e32 v9, v7
	scratch_load_dwordx2 v[6:7], off, off offset:64
	v_pk_add_f32 v[4:5], v[4:5], v[8:9]
	s_waitcnt vmcnt(0)
	v_pk_add_f32 v[4:5], v[6:7], v[4:5] neg_lo:[0,1] neg_hi:[0,1]
	scratch_store_dwordx2 off, v[4:5], off offset:64
	s_and_saveexec_b64 s[0:1], vcc
	s_cbranch_execz .LBB23_143
; %bb.142:
	scratch_load_dwordx2 v[4:5], off, off offset:56
	v_mov_b32_e32 v3, v2
	scratch_store_dwordx2 off, v[2:3], off offset:56
	s_waitcnt vmcnt(1)
	ds_write_b64 v1, v[4:5]
.LBB23_143:
	s_or_b64 exec, exec, s[0:1]
	s_waitcnt lgkmcnt(0)
	; wave barrier
	ds_read_b128 v[4:7], v2 offset:256
	ds_read_b128 v[8:11], v2 offset:272
	;; [unrolled: 1-line block ×4, first 2 shown]
	scratch_load_dwordx4 v[68:71], off, off offset:64
	v_cmp_lt_u32_e32 vcc, 6, v0
	s_waitcnt vmcnt(0) lgkmcnt(3)
	v_mul_f32_e32 v3, v4, v69
	v_fmac_f32_e32 v3, v5, v68
	v_mul_f32_e32 v72, v6, v71
	v_add_f32_e32 v3, 0, v3
	v_fmac_f32_e32 v72, v7, v70
	v_add_f32_e32 v3, v3, v72
	scratch_load_dwordx4 v[72:75], off, off offset:80
	s_waitcnt vmcnt(0) lgkmcnt(2)
	v_mul_f32_e32 v76, v8, v73
	v_fmac_f32_e32 v76, v9, v72
	v_add_f32_e32 v3, v3, v76
	v_mul_f32_e32 v76, v10, v75
	v_fmac_f32_e32 v76, v11, v74
	v_add_f32_e32 v3, v3, v76
	scratch_load_dwordx4 v[76:79], off, off offset:96
	s_waitcnt vmcnt(0) lgkmcnt(1)
	v_mul_f32_e32 v80, v12, v77
	v_fmac_f32_e32 v80, v13, v76
	v_add_f32_e32 v3, v3, v80
	v_mul_f32_e32 v80, v14, v79
	v_fmac_f32_e32 v80, v15, v78
	v_add_f32_e32 v101, v3, v80
	scratch_load_dwordx4 v[80:83], off, off offset:112
	scratch_load_dwordx4 v[84:87], off, off offset:128
	;; [unrolled: 1-line block ×5, first 2 shown]
	v_mul_f32_e32 v3, v5, v69
	v_fma_f32 v3, v4, v68, -v3
	v_mul_f32_e32 v4, v7, v71
	v_add_f32_e32 v3, 0, v3
	v_fma_f32 v4, v6, v70, -v4
	v_add_f32_e32 v3, v3, v4
	v_mul_f32_e32 v4, v9, v73
	v_fma_f32 v4, v8, v72, -v4
	v_add_f32_e32 v3, v3, v4
	v_mul_f32_e32 v4, v11, v75
	;; [unrolled: 3-line block ×4, first 2 shown]
	v_fma_f32 v4, v14, v78, -v4
	v_add_f32_e32 v100, v3, v4
	s_waitcnt vmcnt(4) lgkmcnt(0)
	v_mul_f32_e32 v3, v17, v81
	v_mul_f32_e32 v103, v16, v81
	;; [unrolled: 1-line block ×3, first 2 shown]
	v_fma_f32 v102, v16, v80, -v3
	v_mul_f32_e32 v3, v19, v83
	v_fmac_f32_e32 v103, v17, v80
	v_fmac_f32_e32 v105, v19, v82
	v_fma_f32 v104, v18, v82, -v3
	ds_read_b128 v[4:7], v2 offset:320
	ds_read_b128 v[8:11], v2 offset:336
	;; [unrolled: 1-line block ×4, first 2 shown]
	v_pk_add_f32 v[2:3], v[100:101], v[102:103]
	s_waitcnt vmcnt(3) lgkmcnt(3)
	v_pk_mul_f32 v[68:69], v[4:5], v[84:85] op_sel:[1,1] op_sel_hi:[0,1]
	v_pk_fma_f32 v[70:71], v[4:5], v[84:85], v[68:69] neg_lo:[0,0,1] neg_hi:[0,0,1]
	v_pk_fma_f32 v[4:5], v[4:5], v[84:85], v[68:69] op_sel_hi:[1,0,1]
	v_pk_add_f32 v[2:3], v[2:3], v[104:105]
	v_mov_b32_e32 v4, v87
	v_mov_b32_e32 v71, v5
	v_pk_mul_f32 v[4:5], v[6:7], v[4:5] op_sel:[1,0] op_sel_hi:[0,0]
	v_pk_fma_f32 v[68:69], v[6:7], v[86:87], v[4:5] neg_lo:[0,0,1] neg_hi:[0,0,1]
	v_pk_fma_f32 v[4:5], v[6:7], v[86:87], v[4:5] op_sel_hi:[1,0,1]
	v_pk_add_f32 v[2:3], v[2:3], v[70:71]
	v_mov_b32_e32 v69, v5
	s_waitcnt vmcnt(2) lgkmcnt(2)
	v_pk_mul_f32 v[4:5], v[8:9], v[88:89] op_sel:[1,1] op_sel_hi:[0,1]
	v_pk_fma_f32 v[6:7], v[8:9], v[88:89], v[4:5] neg_lo:[0,0,1] neg_hi:[0,0,1]
	v_pk_fma_f32 v[4:5], v[8:9], v[88:89], v[4:5] op_sel_hi:[1,0,1]
	v_pk_add_f32 v[2:3], v[2:3], v[68:69]
	v_mov_b32_e32 v4, v91
	v_mov_b32_e32 v7, v5
	v_pk_mul_f32 v[4:5], v[10:11], v[4:5] op_sel:[1,0] op_sel_hi:[0,0]
	v_pk_add_f32 v[2:3], v[2:3], v[6:7]
	v_pk_fma_f32 v[6:7], v[10:11], v[90:91], v[4:5] neg_lo:[0,0,1] neg_hi:[0,0,1]
	v_pk_fma_f32 v[4:5], v[10:11], v[90:91], v[4:5] op_sel_hi:[1,0,1]
	s_nop 0
	v_mov_b32_e32 v7, v5
	s_waitcnt vmcnt(1) lgkmcnt(1)
	v_pk_mul_f32 v[4:5], v[12:13], v[92:93] op_sel:[1,1] op_sel_hi:[0,1]
	v_pk_add_f32 v[2:3], v[2:3], v[6:7]
	v_pk_fma_f32 v[6:7], v[12:13], v[92:93], v[4:5] neg_lo:[0,0,1] neg_hi:[0,0,1]
	v_pk_fma_f32 v[4:5], v[12:13], v[92:93], v[4:5] op_sel_hi:[1,0,1]
	s_nop 0
	v_mov_b32_e32 v4, v95
	v_mov_b32_e32 v7, v5
	v_pk_mul_f32 v[4:5], v[14:15], v[4:5] op_sel:[1,0] op_sel_hi:[0,0]
	v_pk_add_f32 v[2:3], v[2:3], v[6:7]
	v_pk_fma_f32 v[6:7], v[14:15], v[94:95], v[4:5] neg_lo:[0,0,1] neg_hi:[0,0,1]
	v_pk_fma_f32 v[4:5], v[14:15], v[94:95], v[4:5] op_sel_hi:[1,0,1]
	s_nop 0
	v_mov_b32_e32 v7, v5
	s_waitcnt vmcnt(0) lgkmcnt(0)
	v_pk_mul_f32 v[4:5], v[16:17], v[96:97] op_sel:[1,1] op_sel_hi:[0,1]
	v_pk_add_f32 v[2:3], v[2:3], v[6:7]
	v_pk_fma_f32 v[6:7], v[16:17], v[96:97], v[4:5] neg_lo:[0,0,1] neg_hi:[0,0,1]
	v_pk_fma_f32 v[4:5], v[16:17], v[96:97], v[4:5] op_sel_hi:[1,0,1]
	s_nop 0
	v_mov_b32_e32 v4, v99
	v_mov_b32_e32 v7, v5
	v_pk_mul_f32 v[4:5], v[18:19], v[4:5] op_sel:[1,0] op_sel_hi:[0,0]
	v_pk_add_f32 v[2:3], v[2:3], v[6:7]
	v_pk_fma_f32 v[6:7], v[18:19], v[98:99], v[4:5] neg_lo:[0,0,1] neg_hi:[0,0,1]
	v_pk_fma_f32 v[4:5], v[18:19], v[98:99], v[4:5] op_sel_hi:[1,0,1]
	s_nop 0
	v_mov_b32_e32 v7, v5
	scratch_load_dwordx2 v[4:5], off, off offset:56
	v_pk_add_f32 v[2:3], v[2:3], v[6:7]
	s_waitcnt vmcnt(0)
	v_pk_add_f32 v[2:3], v[4:5], v[2:3] neg_lo:[0,1] neg_hi:[0,1]
	scratch_store_dwordx2 off, v[2:3], off offset:56
	s_and_saveexec_b64 s[0:1], vcc
	s_cbranch_execz .LBB23_145
; %bb.144:
	scratch_load_dwordx2 v[2:3], off, off offset:48
	v_mov_b32_e32 v4, 0
	v_mov_b32_e32 v5, v4
	scratch_store_dwordx2 off, v[4:5], off offset:48
	s_waitcnt vmcnt(1)
	ds_write_b64 v1, v[2:3]
.LBB23_145:
	s_or_b64 exec, exec, s[0:1]
	s_waitcnt lgkmcnt(0)
	; wave barrier
	scratch_load_dwordx4 v[8:11], off, off offset:56
	scratch_load_dwordx4 v[16:19], off, off offset:72
	;; [unrolled: 1-line block ×4, first 2 shown]
	v_mov_b32_e32 v2, 0
	ds_read2_b64 v[4:7], v2 offset0:31 offset1:32
	scratch_load_dwordx4 v[88:91], off, off offset:120
	v_cmp_lt_u32_e32 vcc, 5, v0
	s_waitcnt vmcnt(4) lgkmcnt(0)
	v_mul_f32_e32 v3, v4, v9
	v_fmac_f32_e32 v3, v5, v8
	v_mul_f32_e32 v12, v6, v11
	v_add_f32_e32 v3, 0, v3
	v_fmac_f32_e32 v12, v7, v10
	v_add_f32_e32 v3, v3, v12
	ds_read2_b64 v[12:15], v2 offset0:33 offset1:34
	s_waitcnt vmcnt(3) lgkmcnt(0)
	v_mul_f32_e32 v68, v12, v17
	v_fmac_f32_e32 v68, v13, v16
	v_add_f32_e32 v3, v3, v68
	v_mul_f32_e32 v68, v14, v19
	v_fmac_f32_e32 v68, v15, v18
	v_add_f32_e32 v3, v3, v68
	ds_read2_b64 v[68:71], v2 offset0:35 offset1:36
	s_waitcnt vmcnt(2) lgkmcnt(0)
	v_mul_f32_e32 v76, v68, v73
	v_fmac_f32_e32 v76, v69, v72
	v_add_f32_e32 v3, v3, v76
	v_mul_f32_e32 v76, v70, v75
	v_fmac_f32_e32 v76, v71, v74
	v_add_f32_e32 v3, v3, v76
	ds_read2_b64 v[76:79], v2 offset0:37 offset1:38
	s_waitcnt vmcnt(1) lgkmcnt(0)
	v_mul_f32_e32 v84, v76, v81
	v_fmac_f32_e32 v84, v77, v80
	v_add_f32_e32 v105, v3, v84
	ds_read2_b64 v[84:87], v2 offset0:39 offset1:40
	scratch_load_dwordx4 v[92:95], off, off offset:136
	scratch_load_dwordx4 v[96:99], off, off offset:152
	;; [unrolled: 1-line block ×3, first 2 shown]
	scratch_load_dwordx2 v[110:111], off, off offset:184
	v_mul_f32_e32 v3, v5, v9
	v_fma_f32 v3, v4, v8, -v3
	v_mul_f32_e32 v4, v7, v11
	v_add_f32_e32 v3, 0, v3
	v_fma_f32 v4, v6, v10, -v4
	v_add_f32_e32 v3, v3, v4
	v_mul_f32_e32 v4, v13, v17
	v_fma_f32 v4, v12, v16, -v4
	v_add_f32_e32 v3, v3, v4
	v_mul_f32_e32 v4, v15, v19
	;; [unrolled: 3-line block ×5, first 2 shown]
	v_fma_f32 v4, v76, v80, -v4
	v_mul_f32_e32 v107, v78, v83
	v_add_f32_e32 v104, v3, v4
	v_mul_f32_e32 v3, v79, v83
	s_waitcnt vmcnt(4)
	v_mov_b32_e32 v68, v91
	v_fmac_f32_e32 v107, v79, v82
	s_waitcnt lgkmcnt(0)
	v_mul_f32_e32 v109, v84, v89
	v_fma_f32 v106, v78, v82, -v3
	v_mul_f32_e32 v3, v85, v89
	ds_read2_b64 v[4:7], v2 offset0:41 offset1:42
	ds_read2_b64 v[8:11], v2 offset0:43 offset1:44
	;; [unrolled: 1-line block ×3, first 2 shown]
	ds_read_b64 v[16:17], v2 offset:376
	v_pk_mul_f32 v[68:69], v[86:87], v[68:69] op_sel:[1,0] op_sel_hi:[0,0]
	v_fmac_f32_e32 v109, v85, v88
	v_fma_f32 v108, v84, v88, -v3
	v_pk_add_f32 v[18:19], v[104:105], v[106:107]
	v_pk_fma_f32 v[70:71], v[86:87], v[90:91], v[68:69] neg_lo:[0,0,1] neg_hi:[0,0,1]
	v_pk_fma_f32 v[68:69], v[86:87], v[90:91], v[68:69] op_sel_hi:[1,0,1]
	v_pk_add_f32 v[18:19], v[18:19], v[108:109]
	v_mov_b32_e32 v71, v69
	v_pk_add_f32 v[18:19], v[18:19], v[70:71]
	s_waitcnt vmcnt(3) lgkmcnt(3)
	v_pk_mul_f32 v[68:69], v[4:5], v[92:93] op_sel:[1,1] op_sel_hi:[0,1]
	v_pk_fma_f32 v[70:71], v[4:5], v[92:93], v[68:69] neg_lo:[0,0,1] neg_hi:[0,0,1]
	v_pk_fma_f32 v[4:5], v[4:5], v[92:93], v[68:69] op_sel_hi:[1,0,1]
	s_nop 0
	v_mov_b32_e32 v71, v5
	v_pk_add_f32 v[4:5], v[18:19], v[70:71]
	v_mov_b32_e32 v18, v95
	v_pk_mul_f32 v[18:19], v[6:7], v[18:19] op_sel:[1,0] op_sel_hi:[0,0]
	v_pk_fma_f32 v[68:69], v[6:7], v[94:95], v[18:19] neg_lo:[0,0,1] neg_hi:[0,0,1]
	v_pk_fma_f32 v[6:7], v[6:7], v[94:95], v[18:19] op_sel_hi:[1,0,1]
	s_nop 0
	v_mov_b32_e32 v69, v7
	s_waitcnt vmcnt(2) lgkmcnt(2)
	v_pk_mul_f32 v[6:7], v[8:9], v[96:97] op_sel:[1,1] op_sel_hi:[0,1]
	v_pk_fma_f32 v[18:19], v[8:9], v[96:97], v[6:7] neg_lo:[0,0,1] neg_hi:[0,0,1]
	v_pk_fma_f32 v[6:7], v[8:9], v[96:97], v[6:7] op_sel_hi:[1,0,1]
	v_pk_add_f32 v[4:5], v[4:5], v[68:69]
	v_mov_b32_e32 v6, v99
	v_mov_b32_e32 v19, v7
	v_pk_mul_f32 v[6:7], v[10:11], v[6:7] op_sel:[1,0] op_sel_hi:[0,0]
	v_pk_fma_f32 v[8:9], v[10:11], v[98:99], v[6:7] neg_lo:[0,0,1] neg_hi:[0,0,1]
	v_pk_fma_f32 v[6:7], v[10:11], v[98:99], v[6:7] op_sel_hi:[1,0,1]
	v_pk_add_f32 v[4:5], v[4:5], v[18:19]
	v_mov_b32_e32 v9, v7
	s_waitcnt vmcnt(1) lgkmcnt(1)
	v_pk_mul_f32 v[6:7], v[12:13], v[100:101] op_sel:[1,1] op_sel_hi:[0,1]
	v_pk_add_f32 v[4:5], v[4:5], v[8:9]
	v_pk_fma_f32 v[8:9], v[12:13], v[100:101], v[6:7] neg_lo:[0,0,1] neg_hi:[0,0,1]
	v_pk_fma_f32 v[6:7], v[12:13], v[100:101], v[6:7] op_sel_hi:[1,0,1]
	s_nop 0
	v_mov_b32_e32 v6, v103
	v_mov_b32_e32 v9, v7
	v_pk_mul_f32 v[6:7], v[14:15], v[6:7] op_sel:[1,0] op_sel_hi:[0,0]
	v_pk_add_f32 v[4:5], v[4:5], v[8:9]
	v_pk_fma_f32 v[8:9], v[14:15], v[102:103], v[6:7] neg_lo:[0,0,1] neg_hi:[0,0,1]
	v_pk_fma_f32 v[6:7], v[14:15], v[102:103], v[6:7] op_sel_hi:[1,0,1]
	s_nop 0
	v_mov_b32_e32 v9, v7
	s_waitcnt vmcnt(0) lgkmcnt(0)
	v_pk_mul_f32 v[6:7], v[16:17], v[110:111] op_sel:[1,1] op_sel_hi:[0,1]
	v_pk_add_f32 v[4:5], v[4:5], v[8:9]
	v_pk_fma_f32 v[8:9], v[16:17], v[110:111], v[6:7] neg_lo:[0,0,1] neg_hi:[0,0,1]
	v_pk_fma_f32 v[6:7], v[16:17], v[110:111], v[6:7] op_sel_hi:[1,0,1]
	s_nop 0
	v_mov_b32_e32 v9, v7
	scratch_load_dwordx2 v[6:7], off, off offset:48
	v_pk_add_f32 v[4:5], v[4:5], v[8:9]
	s_waitcnt vmcnt(0)
	v_pk_add_f32 v[4:5], v[6:7], v[4:5] neg_lo:[0,1] neg_hi:[0,1]
	scratch_store_dwordx2 off, v[4:5], off offset:48
	s_and_saveexec_b64 s[0:1], vcc
	s_cbranch_execz .LBB23_147
; %bb.146:
	scratch_load_dwordx2 v[4:5], off, off offset:40
	v_mov_b32_e32 v3, v2
	scratch_store_dwordx2 off, v[2:3], off offset:40
	s_waitcnt vmcnt(1)
	ds_write_b64 v1, v[4:5]
.LBB23_147:
	s_or_b64 exec, exec, s[0:1]
	s_waitcnt lgkmcnt(0)
	; wave barrier
	ds_read_b128 v[4:7], v2 offset:240
	ds_read_b128 v[8:11], v2 offset:256
	;; [unrolled: 1-line block ×4, first 2 shown]
	scratch_load_dwordx4 v[68:71], off, off offset:48
	scratch_load_dwordx4 v[88:91], off, off offset:112
	v_cmp_lt_u32_e32 vcc, 4, v0
	s_waitcnt vmcnt(1) lgkmcnt(3)
	v_mul_f32_e32 v3, v4, v69
	v_fmac_f32_e32 v3, v5, v68
	v_mul_f32_e32 v72, v6, v71
	v_add_f32_e32 v3, 0, v3
	v_fmac_f32_e32 v72, v7, v70
	v_add_f32_e32 v3, v3, v72
	scratch_load_dwordx4 v[72:75], off, off offset:64
	s_waitcnt vmcnt(0) lgkmcnt(2)
	v_mul_f32_e32 v76, v8, v73
	v_fmac_f32_e32 v76, v9, v72
	v_add_f32_e32 v3, v3, v76
	v_mul_f32_e32 v76, v10, v75
	v_fmac_f32_e32 v76, v11, v74
	v_add_f32_e32 v3, v3, v76
	scratch_load_dwordx4 v[76:79], off, off offset:80
	s_waitcnt vmcnt(0) lgkmcnt(1)
	v_mul_f32_e32 v80, v12, v77
	v_fmac_f32_e32 v80, v13, v76
	v_add_f32_e32 v3, v3, v80
	v_mul_f32_e32 v80, v14, v79
	;; [unrolled: 8-line block ×3, first 2 shown]
	v_fmac_f32_e32 v84, v19, v82
	v_add_f32_e32 v109, v3, v84
	ds_read_b128 v[84:87], v2 offset:304
	scratch_load_dwordx4 v[92:95], off, off offset:128
	scratch_load_dwordx4 v[96:99], off, off offset:144
	;; [unrolled: 1-line block ×4, first 2 shown]
	v_mul_f32_e32 v3, v5, v69
	v_fma_f32 v3, v4, v68, -v3
	v_mul_f32_e32 v4, v7, v71
	v_add_f32_e32 v3, 0, v3
	v_fma_f32 v4, v6, v70, -v4
	v_add_f32_e32 v3, v3, v4
	v_mul_f32_e32 v4, v9, v73
	v_fma_f32 v4, v8, v72, -v4
	v_add_f32_e32 v3, v3, v4
	v_mul_f32_e32 v4, v11, v75
	;; [unrolled: 3-line block ×6, first 2 shown]
	v_fma_f32 v4, v18, v82, -v4
	v_add_f32_e32 v108, v3, v4
	ds_read_b128 v[4:7], v2 offset:320
	ds_read_b128 v[8:11], v2 offset:336
	;; [unrolled: 1-line block ×4, first 2 shown]
	s_waitcnt lgkmcnt(4)
	v_mul_f32_e32 v111, v84, v89
	v_mul_f32_e32 v3, v85, v89
	v_fmac_f32_e32 v111, v85, v88
	v_mul_f32_e32 v113, v86, v91
	v_fma_f32 v110, v84, v88, -v3
	v_mul_f32_e32 v3, v87, v91
	v_fmac_f32_e32 v113, v87, v90
	v_fma_f32 v112, v86, v90, -v3
	v_pk_add_f32 v[2:3], v[108:109], v[110:111]
	s_waitcnt vmcnt(3) lgkmcnt(3)
	v_pk_mul_f32 v[68:69], v[4:5], v[92:93] op_sel:[1,1] op_sel_hi:[0,1]
	v_pk_fma_f32 v[70:71], v[4:5], v[92:93], v[68:69] neg_lo:[0,0,1] neg_hi:[0,0,1]
	v_pk_fma_f32 v[4:5], v[4:5], v[92:93], v[68:69] op_sel_hi:[1,0,1]
	v_pk_add_f32 v[2:3], v[2:3], v[112:113]
	v_mov_b32_e32 v4, v95
	v_mov_b32_e32 v71, v5
	v_pk_mul_f32 v[4:5], v[6:7], v[4:5] op_sel:[1,0] op_sel_hi:[0,0]
	v_pk_fma_f32 v[68:69], v[6:7], v[94:95], v[4:5] neg_lo:[0,0,1] neg_hi:[0,0,1]
	v_pk_fma_f32 v[4:5], v[6:7], v[94:95], v[4:5] op_sel_hi:[1,0,1]
	v_pk_add_f32 v[2:3], v[2:3], v[70:71]
	v_mov_b32_e32 v69, v5
	s_waitcnt vmcnt(2) lgkmcnt(2)
	v_pk_mul_f32 v[4:5], v[8:9], v[96:97] op_sel:[1,1] op_sel_hi:[0,1]
	v_pk_fma_f32 v[6:7], v[8:9], v[96:97], v[4:5] neg_lo:[0,0,1] neg_hi:[0,0,1]
	v_pk_fma_f32 v[4:5], v[8:9], v[96:97], v[4:5] op_sel_hi:[1,0,1]
	v_pk_add_f32 v[2:3], v[2:3], v[68:69]
	v_mov_b32_e32 v4, v99
	v_mov_b32_e32 v7, v5
	v_pk_mul_f32 v[4:5], v[10:11], v[4:5] op_sel:[1,0] op_sel_hi:[0,0]
	v_pk_add_f32 v[2:3], v[2:3], v[6:7]
	v_pk_fma_f32 v[6:7], v[10:11], v[98:99], v[4:5] neg_lo:[0,0,1] neg_hi:[0,0,1]
	v_pk_fma_f32 v[4:5], v[10:11], v[98:99], v[4:5] op_sel_hi:[1,0,1]
	s_nop 0
	v_mov_b32_e32 v7, v5
	s_waitcnt vmcnt(1) lgkmcnt(1)
	v_pk_mul_f32 v[4:5], v[12:13], v[100:101] op_sel:[1,1] op_sel_hi:[0,1]
	v_pk_add_f32 v[2:3], v[2:3], v[6:7]
	v_pk_fma_f32 v[6:7], v[12:13], v[100:101], v[4:5] neg_lo:[0,0,1] neg_hi:[0,0,1]
	v_pk_fma_f32 v[4:5], v[12:13], v[100:101], v[4:5] op_sel_hi:[1,0,1]
	s_nop 0
	v_mov_b32_e32 v4, v103
	v_mov_b32_e32 v7, v5
	v_pk_mul_f32 v[4:5], v[14:15], v[4:5] op_sel:[1,0] op_sel_hi:[0,0]
	v_pk_add_f32 v[2:3], v[2:3], v[6:7]
	v_pk_fma_f32 v[6:7], v[14:15], v[102:103], v[4:5] neg_lo:[0,0,1] neg_hi:[0,0,1]
	v_pk_fma_f32 v[4:5], v[14:15], v[102:103], v[4:5] op_sel_hi:[1,0,1]
	s_nop 0
	v_mov_b32_e32 v7, v5
	s_waitcnt vmcnt(0) lgkmcnt(0)
	v_pk_mul_f32 v[4:5], v[16:17], v[104:105] op_sel:[1,1] op_sel_hi:[0,1]
	v_pk_add_f32 v[2:3], v[2:3], v[6:7]
	v_pk_fma_f32 v[6:7], v[16:17], v[104:105], v[4:5] neg_lo:[0,0,1] neg_hi:[0,0,1]
	v_pk_fma_f32 v[4:5], v[16:17], v[104:105], v[4:5] op_sel_hi:[1,0,1]
	s_nop 0
	v_mov_b32_e32 v4, v107
	v_mov_b32_e32 v7, v5
	v_pk_mul_f32 v[4:5], v[18:19], v[4:5] op_sel:[1,0] op_sel_hi:[0,0]
	v_pk_add_f32 v[2:3], v[2:3], v[6:7]
	v_pk_fma_f32 v[6:7], v[18:19], v[106:107], v[4:5] neg_lo:[0,0,1] neg_hi:[0,0,1]
	v_pk_fma_f32 v[4:5], v[18:19], v[106:107], v[4:5] op_sel_hi:[1,0,1]
	s_nop 0
	v_mov_b32_e32 v7, v5
	scratch_load_dwordx2 v[4:5], off, off offset:40
	v_pk_add_f32 v[2:3], v[2:3], v[6:7]
	s_waitcnt vmcnt(0)
	v_pk_add_f32 v[2:3], v[4:5], v[2:3] neg_lo:[0,1] neg_hi:[0,1]
	scratch_store_dwordx2 off, v[2:3], off offset:40
	s_and_saveexec_b64 s[0:1], vcc
	s_cbranch_execz .LBB23_149
; %bb.148:
	scratch_load_dwordx2 v[2:3], off, off offset:32
	v_mov_b32_e32 v4, 0
	v_mov_b32_e32 v5, v4
	scratch_store_dwordx2 off, v[4:5], off offset:32
	s_waitcnt vmcnt(1)
	ds_write_b64 v1, v[2:3]
.LBB23_149:
	s_or_b64 exec, exec, s[0:1]
	s_waitcnt lgkmcnt(0)
	; wave barrier
	scratch_load_dwordx4 v[8:11], off, off offset:40
	scratch_load_dwordx4 v[16:19], off, off offset:56
	;; [unrolled: 1-line block ×6, first 2 shown]
	v_mov_b32_e32 v2, 0
	ds_read2_b64 v[4:7], v2 offset0:29 offset1:30
	v_cmp_lt_u32_e32 vcc, 3, v0
	s_waitcnt vmcnt(5) lgkmcnt(0)
	v_mul_f32_e32 v3, v4, v9
	v_fmac_f32_e32 v3, v5, v8
	v_mul_f32_e32 v12, v6, v11
	v_add_f32_e32 v3, 0, v3
	v_fmac_f32_e32 v12, v7, v10
	v_add_f32_e32 v3, v3, v12
	ds_read2_b64 v[12:15], v2 offset0:31 offset1:32
	s_waitcnt vmcnt(4) lgkmcnt(0)
	v_mul_f32_e32 v68, v12, v17
	v_fmac_f32_e32 v68, v13, v16
	v_add_f32_e32 v3, v3, v68
	v_mul_f32_e32 v68, v14, v19
	v_fmac_f32_e32 v68, v15, v18
	v_add_f32_e32 v3, v3, v68
	ds_read2_b64 v[68:71], v2 offset0:33 offset1:34
	s_waitcnt vmcnt(3) lgkmcnt(0)
	v_mul_f32_e32 v76, v68, v73
	v_fmac_f32_e32 v76, v69, v72
	v_add_f32_e32 v3, v3, v76
	v_mul_f32_e32 v76, v70, v75
	;; [unrolled: 8-line block ×3, first 2 shown]
	v_fmac_f32_e32 v84, v79, v82
	v_add_f32_e32 v3, v3, v84
	ds_read2_b64 v[84:87], v2 offset0:37 offset1:38
	s_waitcnt vmcnt(1) lgkmcnt(0)
	v_mul_f32_e32 v92, v84, v89
	v_fmac_f32_e32 v92, v85, v88
	v_add_f32_e32 v113, v3, v92
	ds_read2_b64 v[92:95], v2 offset0:39 offset1:40
	scratch_load_dwordx4 v[100:103], off, off offset:136
	scratch_load_dwordx4 v[104:107], off, off offset:152
	scratch_load_dwordx4 v[108:111], off, off offset:168
	scratch_load_dwordx2 v[118:119], off, off offset:184
	v_mul_f32_e32 v3, v5, v9
	v_fma_f32 v3, v4, v8, -v3
	v_mul_f32_e32 v4, v7, v11
	v_add_f32_e32 v3, 0, v3
	v_fma_f32 v4, v6, v10, -v4
	v_add_f32_e32 v3, v3, v4
	v_mul_f32_e32 v4, v13, v17
	v_fma_f32 v4, v12, v16, -v4
	v_add_f32_e32 v3, v3, v4
	v_mul_f32_e32 v4, v15, v19
	;; [unrolled: 3-line block ×7, first 2 shown]
	v_fma_f32 v4, v84, v88, -v4
	v_mul_f32_e32 v115, v86, v91
	v_add_f32_e32 v112, v3, v4
	v_mul_f32_e32 v3, v87, v91
	s_waitcnt vmcnt(4)
	v_mov_b32_e32 v68, v99
	v_fmac_f32_e32 v115, v87, v90
	s_waitcnt lgkmcnt(0)
	v_mul_f32_e32 v117, v92, v97
	v_fma_f32 v114, v86, v90, -v3
	v_mul_f32_e32 v3, v93, v97
	ds_read2_b64 v[4:7], v2 offset0:41 offset1:42
	ds_read2_b64 v[8:11], v2 offset0:43 offset1:44
	;; [unrolled: 1-line block ×3, first 2 shown]
	ds_read_b64 v[16:17], v2 offset:376
	v_pk_mul_f32 v[68:69], v[94:95], v[68:69] op_sel:[1,0] op_sel_hi:[0,0]
	v_fmac_f32_e32 v117, v93, v96
	v_fma_f32 v116, v92, v96, -v3
	v_pk_add_f32 v[18:19], v[112:113], v[114:115]
	v_pk_fma_f32 v[70:71], v[94:95], v[98:99], v[68:69] neg_lo:[0,0,1] neg_hi:[0,0,1]
	v_pk_fma_f32 v[68:69], v[94:95], v[98:99], v[68:69] op_sel_hi:[1,0,1]
	v_pk_add_f32 v[18:19], v[18:19], v[116:117]
	v_mov_b32_e32 v71, v69
	v_pk_add_f32 v[18:19], v[18:19], v[70:71]
	s_waitcnt vmcnt(3) lgkmcnt(3)
	v_pk_mul_f32 v[68:69], v[4:5], v[100:101] op_sel:[1,1] op_sel_hi:[0,1]
	v_pk_fma_f32 v[70:71], v[4:5], v[100:101], v[68:69] neg_lo:[0,0,1] neg_hi:[0,0,1]
	v_pk_fma_f32 v[4:5], v[4:5], v[100:101], v[68:69] op_sel_hi:[1,0,1]
	s_nop 0
	v_mov_b32_e32 v71, v5
	v_pk_add_f32 v[4:5], v[18:19], v[70:71]
	v_mov_b32_e32 v18, v103
	v_pk_mul_f32 v[18:19], v[6:7], v[18:19] op_sel:[1,0] op_sel_hi:[0,0]
	v_pk_fma_f32 v[68:69], v[6:7], v[102:103], v[18:19] neg_lo:[0,0,1] neg_hi:[0,0,1]
	v_pk_fma_f32 v[6:7], v[6:7], v[102:103], v[18:19] op_sel_hi:[1,0,1]
	s_nop 0
	v_mov_b32_e32 v69, v7
	s_waitcnt vmcnt(2) lgkmcnt(2)
	v_pk_mul_f32 v[6:7], v[8:9], v[104:105] op_sel:[1,1] op_sel_hi:[0,1]
	v_pk_fma_f32 v[18:19], v[8:9], v[104:105], v[6:7] neg_lo:[0,0,1] neg_hi:[0,0,1]
	v_pk_fma_f32 v[6:7], v[8:9], v[104:105], v[6:7] op_sel_hi:[1,0,1]
	v_pk_add_f32 v[4:5], v[4:5], v[68:69]
	v_mov_b32_e32 v6, v107
	v_mov_b32_e32 v19, v7
	v_pk_mul_f32 v[6:7], v[10:11], v[6:7] op_sel:[1,0] op_sel_hi:[0,0]
	v_pk_fma_f32 v[8:9], v[10:11], v[106:107], v[6:7] neg_lo:[0,0,1] neg_hi:[0,0,1]
	v_pk_fma_f32 v[6:7], v[10:11], v[106:107], v[6:7] op_sel_hi:[1,0,1]
	v_pk_add_f32 v[4:5], v[4:5], v[18:19]
	v_mov_b32_e32 v9, v7
	s_waitcnt vmcnt(1) lgkmcnt(1)
	v_pk_mul_f32 v[6:7], v[12:13], v[108:109] op_sel:[1,1] op_sel_hi:[0,1]
	v_pk_add_f32 v[4:5], v[4:5], v[8:9]
	v_pk_fma_f32 v[8:9], v[12:13], v[108:109], v[6:7] neg_lo:[0,0,1] neg_hi:[0,0,1]
	v_pk_fma_f32 v[6:7], v[12:13], v[108:109], v[6:7] op_sel_hi:[1,0,1]
	s_nop 0
	v_mov_b32_e32 v6, v111
	v_mov_b32_e32 v9, v7
	v_pk_mul_f32 v[6:7], v[14:15], v[6:7] op_sel:[1,0] op_sel_hi:[0,0]
	v_pk_add_f32 v[4:5], v[4:5], v[8:9]
	v_pk_fma_f32 v[8:9], v[14:15], v[110:111], v[6:7] neg_lo:[0,0,1] neg_hi:[0,0,1]
	v_pk_fma_f32 v[6:7], v[14:15], v[110:111], v[6:7] op_sel_hi:[1,0,1]
	s_nop 0
	v_mov_b32_e32 v9, v7
	s_waitcnt vmcnt(0) lgkmcnt(0)
	v_pk_mul_f32 v[6:7], v[16:17], v[118:119] op_sel:[1,1] op_sel_hi:[0,1]
	v_pk_add_f32 v[4:5], v[4:5], v[8:9]
	v_pk_fma_f32 v[8:9], v[16:17], v[118:119], v[6:7] neg_lo:[0,0,1] neg_hi:[0,0,1]
	v_pk_fma_f32 v[6:7], v[16:17], v[118:119], v[6:7] op_sel_hi:[1,0,1]
	s_nop 0
	v_mov_b32_e32 v9, v7
	scratch_load_dwordx2 v[6:7], off, off offset:32
	v_pk_add_f32 v[4:5], v[4:5], v[8:9]
	s_waitcnt vmcnt(0)
	v_pk_add_f32 v[4:5], v[6:7], v[4:5] neg_lo:[0,1] neg_hi:[0,1]
	scratch_store_dwordx2 off, v[4:5], off offset:32
	s_and_saveexec_b64 s[0:1], vcc
	s_cbranch_execz .LBB23_151
; %bb.150:
	scratch_load_dwordx2 v[4:5], off, off offset:24
	v_mov_b32_e32 v3, v2
	scratch_store_dwordx2 off, v[2:3], off offset:24
	s_waitcnt vmcnt(1)
	ds_write_b64 v1, v[4:5]
.LBB23_151:
	s_or_b64 exec, exec, s[0:1]
	s_waitcnt lgkmcnt(0)
	; wave barrier
	ds_read_b128 v[4:7], v2 offset:224
	ds_read_b128 v[8:11], v2 offset:240
	;; [unrolled: 1-line block ×4, first 2 shown]
	scratch_load_dwordx4 v[68:71], off, off offset:32
	scratch_load_dwordx4 v[88:91], off, off offset:96
	v_cmp_lt_u32_e32 vcc, 2, v0
	scratch_load_dwordx4 v[96:99], off, off offset:112
	s_waitcnt vmcnt(2) lgkmcnt(3)
	v_mul_f32_e32 v3, v4, v69
	v_fmac_f32_e32 v3, v5, v68
	v_mul_f32_e32 v72, v6, v71
	v_add_f32_e32 v3, 0, v3
	v_fmac_f32_e32 v72, v7, v70
	v_add_f32_e32 v3, v3, v72
	scratch_load_dwordx4 v[72:75], off, off offset:48
	s_waitcnt vmcnt(0) lgkmcnt(2)
	v_mul_f32_e32 v76, v8, v73
	v_fmac_f32_e32 v76, v9, v72
	v_add_f32_e32 v3, v3, v76
	v_mul_f32_e32 v76, v10, v75
	v_fmac_f32_e32 v76, v11, v74
	v_add_f32_e32 v3, v3, v76
	scratch_load_dwordx4 v[76:79], off, off offset:64
	s_waitcnt vmcnt(0) lgkmcnt(1)
	v_mul_f32_e32 v80, v12, v77
	v_fmac_f32_e32 v80, v13, v76
	v_add_f32_e32 v3, v3, v80
	v_mul_f32_e32 v80, v14, v79
	;; [unrolled: 8-line block ×3, first 2 shown]
	v_fmac_f32_e32 v84, v19, v82
	v_add_f32_e32 v3, v3, v84
	ds_read_b128 v[84:87], v2 offset:288
	s_waitcnt lgkmcnt(0)
	v_mul_f32_e32 v92, v84, v89
	v_fmac_f32_e32 v92, v85, v88
	v_add_f32_e32 v3, v3, v92
	v_mul_f32_e32 v92, v86, v91
	v_fmac_f32_e32 v92, v87, v90
	v_add_f32_e32 v117, v3, v92
	ds_read_b128 v[92:95], v2 offset:304
	scratch_load_dwordx4 v[100:103], off, off offset:128
	scratch_load_dwordx4 v[104:107], off, off offset:144
	;; [unrolled: 1-line block ×4, first 2 shown]
	v_mul_f32_e32 v3, v5, v69
	v_fma_f32 v3, v4, v68, -v3
	v_mul_f32_e32 v4, v7, v71
	v_add_f32_e32 v3, 0, v3
	v_fma_f32 v4, v6, v70, -v4
	v_add_f32_e32 v3, v3, v4
	v_mul_f32_e32 v4, v9, v73
	v_fma_f32 v4, v8, v72, -v4
	v_add_f32_e32 v3, v3, v4
	v_mul_f32_e32 v4, v11, v75
	;; [unrolled: 3-line block ×8, first 2 shown]
	v_fma_f32 v4, v86, v90, -v4
	v_add_f32_e32 v116, v3, v4
	ds_read_b128 v[4:7], v2 offset:320
	ds_read_b128 v[8:11], v2 offset:336
	;; [unrolled: 1-line block ×4, first 2 shown]
	s_waitcnt lgkmcnt(4)
	v_mul_f32_e32 v119, v92, v97
	v_mul_f32_e32 v3, v93, v97
	v_fmac_f32_e32 v119, v93, v96
	v_mul_f32_e32 v121, v94, v99
	v_fma_f32 v118, v92, v96, -v3
	v_mul_f32_e32 v3, v95, v99
	v_fmac_f32_e32 v121, v95, v98
	v_fma_f32 v120, v94, v98, -v3
	v_pk_add_f32 v[2:3], v[116:117], v[118:119]
	s_waitcnt vmcnt(3) lgkmcnt(3)
	v_pk_mul_f32 v[68:69], v[4:5], v[100:101] op_sel:[1,1] op_sel_hi:[0,1]
	v_pk_fma_f32 v[70:71], v[4:5], v[100:101], v[68:69] neg_lo:[0,0,1] neg_hi:[0,0,1]
	v_pk_fma_f32 v[4:5], v[4:5], v[100:101], v[68:69] op_sel_hi:[1,0,1]
	v_pk_add_f32 v[2:3], v[2:3], v[120:121]
	v_mov_b32_e32 v4, v103
	v_mov_b32_e32 v71, v5
	v_pk_mul_f32 v[4:5], v[6:7], v[4:5] op_sel:[1,0] op_sel_hi:[0,0]
	v_pk_fma_f32 v[68:69], v[6:7], v[102:103], v[4:5] neg_lo:[0,0,1] neg_hi:[0,0,1]
	v_pk_fma_f32 v[4:5], v[6:7], v[102:103], v[4:5] op_sel_hi:[1,0,1]
	v_pk_add_f32 v[2:3], v[2:3], v[70:71]
	v_mov_b32_e32 v69, v5
	s_waitcnt vmcnt(2) lgkmcnt(2)
	v_pk_mul_f32 v[4:5], v[8:9], v[104:105] op_sel:[1,1] op_sel_hi:[0,1]
	v_pk_fma_f32 v[6:7], v[8:9], v[104:105], v[4:5] neg_lo:[0,0,1] neg_hi:[0,0,1]
	v_pk_fma_f32 v[4:5], v[8:9], v[104:105], v[4:5] op_sel_hi:[1,0,1]
	v_pk_add_f32 v[2:3], v[2:3], v[68:69]
	v_mov_b32_e32 v4, v107
	v_mov_b32_e32 v7, v5
	v_pk_mul_f32 v[4:5], v[10:11], v[4:5] op_sel:[1,0] op_sel_hi:[0,0]
	v_pk_add_f32 v[2:3], v[2:3], v[6:7]
	v_pk_fma_f32 v[6:7], v[10:11], v[106:107], v[4:5] neg_lo:[0,0,1] neg_hi:[0,0,1]
	v_pk_fma_f32 v[4:5], v[10:11], v[106:107], v[4:5] op_sel_hi:[1,0,1]
	s_nop 0
	v_mov_b32_e32 v7, v5
	s_waitcnt vmcnt(1) lgkmcnt(1)
	v_pk_mul_f32 v[4:5], v[12:13], v[108:109] op_sel:[1,1] op_sel_hi:[0,1]
	v_pk_add_f32 v[2:3], v[2:3], v[6:7]
	v_pk_fma_f32 v[6:7], v[12:13], v[108:109], v[4:5] neg_lo:[0,0,1] neg_hi:[0,0,1]
	v_pk_fma_f32 v[4:5], v[12:13], v[108:109], v[4:5] op_sel_hi:[1,0,1]
	s_nop 0
	v_mov_b32_e32 v4, v111
	v_mov_b32_e32 v7, v5
	v_pk_mul_f32 v[4:5], v[14:15], v[4:5] op_sel:[1,0] op_sel_hi:[0,0]
	v_pk_add_f32 v[2:3], v[2:3], v[6:7]
	v_pk_fma_f32 v[6:7], v[14:15], v[110:111], v[4:5] neg_lo:[0,0,1] neg_hi:[0,0,1]
	v_pk_fma_f32 v[4:5], v[14:15], v[110:111], v[4:5] op_sel_hi:[1,0,1]
	s_nop 0
	v_mov_b32_e32 v7, v5
	s_waitcnt vmcnt(0) lgkmcnt(0)
	v_pk_mul_f32 v[4:5], v[16:17], v[112:113] op_sel:[1,1] op_sel_hi:[0,1]
	v_pk_add_f32 v[2:3], v[2:3], v[6:7]
	v_pk_fma_f32 v[6:7], v[16:17], v[112:113], v[4:5] neg_lo:[0,0,1] neg_hi:[0,0,1]
	v_pk_fma_f32 v[4:5], v[16:17], v[112:113], v[4:5] op_sel_hi:[1,0,1]
	s_nop 0
	v_mov_b32_e32 v4, v115
	v_mov_b32_e32 v7, v5
	v_pk_mul_f32 v[4:5], v[18:19], v[4:5] op_sel:[1,0] op_sel_hi:[0,0]
	v_pk_add_f32 v[2:3], v[2:3], v[6:7]
	v_pk_fma_f32 v[6:7], v[18:19], v[114:115], v[4:5] neg_lo:[0,0,1] neg_hi:[0,0,1]
	v_pk_fma_f32 v[4:5], v[18:19], v[114:115], v[4:5] op_sel_hi:[1,0,1]
	s_nop 0
	v_mov_b32_e32 v7, v5
	scratch_load_dwordx2 v[4:5], off, off offset:24
	v_pk_add_f32 v[2:3], v[2:3], v[6:7]
	s_waitcnt vmcnt(0)
	v_pk_add_f32 v[2:3], v[4:5], v[2:3] neg_lo:[0,1] neg_hi:[0,1]
	scratch_store_dwordx2 off, v[2:3], off offset:24
	s_and_saveexec_b64 s[0:1], vcc
	s_cbranch_execz .LBB23_153
; %bb.152:
	scratch_load_dwordx2 v[2:3], off, off offset:16
	v_mov_b32_e32 v4, 0
	v_mov_b32_e32 v5, v4
	scratch_store_dwordx2 off, v[4:5], off offset:16
	s_waitcnt vmcnt(1)
	ds_write_b64 v1, v[2:3]
.LBB23_153:
	s_or_b64 exec, exec, s[0:1]
	s_waitcnt lgkmcnt(0)
	; wave barrier
	scratch_load_dwordx4 v[8:11], off, off offset:24
	scratch_load_dwordx4 v[16:19], off, off offset:40
	;; [unrolled: 1-line block ×6, first 2 shown]
	v_mov_b32_e32 v2, 0
	ds_read2_b64 v[4:7], v2 offset0:27 offset1:28
	scratch_load_dwordx4 v[104:107], off, off offset:120
	v_cmp_lt_u32_e32 vcc, 1, v0
	s_waitcnt vmcnt(6) lgkmcnt(0)
	v_mul_f32_e32 v3, v4, v9
	v_fmac_f32_e32 v3, v5, v8
	v_mul_f32_e32 v12, v6, v11
	v_add_f32_e32 v3, 0, v3
	v_fmac_f32_e32 v12, v7, v10
	v_add_f32_e32 v3, v3, v12
	ds_read2_b64 v[12:15], v2 offset0:29 offset1:30
	s_waitcnt vmcnt(5) lgkmcnt(0)
	v_mul_f32_e32 v68, v12, v17
	v_fmac_f32_e32 v68, v13, v16
	v_add_f32_e32 v3, v3, v68
	v_mul_f32_e32 v68, v14, v19
	v_fmac_f32_e32 v68, v15, v18
	v_add_f32_e32 v3, v3, v68
	ds_read2_b64 v[68:71], v2 offset0:31 offset1:32
	s_waitcnt vmcnt(4) lgkmcnt(0)
	v_mul_f32_e32 v76, v68, v73
	v_fmac_f32_e32 v76, v69, v72
	v_add_f32_e32 v3, v3, v76
	v_mul_f32_e32 v76, v70, v75
	;; [unrolled: 8-line block ×4, first 2 shown]
	v_fmac_f32_e32 v92, v87, v90
	v_add_f32_e32 v3, v3, v92
	ds_read2_b64 v[92:95], v2 offset0:37 offset1:38
	s_waitcnt vmcnt(1) lgkmcnt(0)
	v_mul_f32_e32 v100, v92, v97
	v_fmac_f32_e32 v100, v93, v96
	v_add_f32_e32 v121, v3, v100
	ds_read2_b64 v[100:103], v2 offset0:39 offset1:40
	scratch_load_dwordx4 v[108:111], off, off offset:136
	scratch_load_dwordx4 v[112:115], off, off offset:152
	;; [unrolled: 1-line block ×3, first 2 shown]
	scratch_load_dwordx2 v[126:127], off, off offset:184
	v_mul_f32_e32 v3, v5, v9
	v_fma_f32 v3, v4, v8, -v3
	v_mul_f32_e32 v4, v7, v11
	v_add_f32_e32 v3, 0, v3
	v_fma_f32 v4, v6, v10, -v4
	v_add_f32_e32 v3, v3, v4
	v_mul_f32_e32 v4, v13, v17
	v_fma_f32 v4, v12, v16, -v4
	v_add_f32_e32 v3, v3, v4
	v_mul_f32_e32 v4, v15, v19
	;; [unrolled: 3-line block ×9, first 2 shown]
	v_fma_f32 v4, v92, v96, -v4
	v_mul_f32_e32 v123, v94, v99
	v_add_f32_e32 v120, v3, v4
	v_mul_f32_e32 v3, v95, v99
	s_waitcnt vmcnt(4)
	v_mov_b32_e32 v68, v107
	v_fmac_f32_e32 v123, v95, v98
	s_waitcnt lgkmcnt(0)
	v_mul_f32_e32 v125, v100, v105
	v_fma_f32 v122, v94, v98, -v3
	v_mul_f32_e32 v3, v101, v105
	ds_read2_b64 v[4:7], v2 offset0:41 offset1:42
	ds_read2_b64 v[8:11], v2 offset0:43 offset1:44
	;; [unrolled: 1-line block ×3, first 2 shown]
	ds_read_b64 v[16:17], v2 offset:376
	v_pk_mul_f32 v[68:69], v[102:103], v[68:69] op_sel:[1,0] op_sel_hi:[0,0]
	v_fmac_f32_e32 v125, v101, v104
	v_fma_f32 v124, v100, v104, -v3
	v_pk_add_f32 v[18:19], v[120:121], v[122:123]
	v_pk_fma_f32 v[70:71], v[102:103], v[106:107], v[68:69] neg_lo:[0,0,1] neg_hi:[0,0,1]
	v_pk_fma_f32 v[68:69], v[102:103], v[106:107], v[68:69] op_sel_hi:[1,0,1]
	v_pk_add_f32 v[18:19], v[18:19], v[124:125]
	v_mov_b32_e32 v71, v69
	v_pk_add_f32 v[18:19], v[18:19], v[70:71]
	s_waitcnt vmcnt(3) lgkmcnt(3)
	v_pk_mul_f32 v[68:69], v[4:5], v[108:109] op_sel:[1,1] op_sel_hi:[0,1]
	v_pk_fma_f32 v[70:71], v[4:5], v[108:109], v[68:69] neg_lo:[0,0,1] neg_hi:[0,0,1]
	v_pk_fma_f32 v[4:5], v[4:5], v[108:109], v[68:69] op_sel_hi:[1,0,1]
	s_nop 0
	v_mov_b32_e32 v71, v5
	v_pk_add_f32 v[4:5], v[18:19], v[70:71]
	v_mov_b32_e32 v18, v111
	v_pk_mul_f32 v[18:19], v[6:7], v[18:19] op_sel:[1,0] op_sel_hi:[0,0]
	v_pk_fma_f32 v[68:69], v[6:7], v[110:111], v[18:19] neg_lo:[0,0,1] neg_hi:[0,0,1]
	v_pk_fma_f32 v[6:7], v[6:7], v[110:111], v[18:19] op_sel_hi:[1,0,1]
	s_nop 0
	v_mov_b32_e32 v69, v7
	s_waitcnt vmcnt(2) lgkmcnt(2)
	v_pk_mul_f32 v[6:7], v[8:9], v[112:113] op_sel:[1,1] op_sel_hi:[0,1]
	v_pk_fma_f32 v[18:19], v[8:9], v[112:113], v[6:7] neg_lo:[0,0,1] neg_hi:[0,0,1]
	v_pk_fma_f32 v[6:7], v[8:9], v[112:113], v[6:7] op_sel_hi:[1,0,1]
	v_pk_add_f32 v[4:5], v[4:5], v[68:69]
	v_mov_b32_e32 v6, v115
	v_mov_b32_e32 v19, v7
	v_pk_mul_f32 v[6:7], v[10:11], v[6:7] op_sel:[1,0] op_sel_hi:[0,0]
	v_pk_fma_f32 v[8:9], v[10:11], v[114:115], v[6:7] neg_lo:[0,0,1] neg_hi:[0,0,1]
	v_pk_fma_f32 v[6:7], v[10:11], v[114:115], v[6:7] op_sel_hi:[1,0,1]
	v_pk_add_f32 v[4:5], v[4:5], v[18:19]
	v_mov_b32_e32 v9, v7
	s_waitcnt vmcnt(1) lgkmcnt(1)
	v_pk_mul_f32 v[6:7], v[12:13], v[116:117] op_sel:[1,1] op_sel_hi:[0,1]
	v_pk_add_f32 v[4:5], v[4:5], v[8:9]
	v_pk_fma_f32 v[8:9], v[12:13], v[116:117], v[6:7] neg_lo:[0,0,1] neg_hi:[0,0,1]
	v_pk_fma_f32 v[6:7], v[12:13], v[116:117], v[6:7] op_sel_hi:[1,0,1]
	s_nop 0
	v_mov_b32_e32 v6, v119
	v_mov_b32_e32 v9, v7
	v_pk_mul_f32 v[6:7], v[14:15], v[6:7] op_sel:[1,0] op_sel_hi:[0,0]
	v_pk_add_f32 v[4:5], v[4:5], v[8:9]
	v_pk_fma_f32 v[8:9], v[14:15], v[118:119], v[6:7] neg_lo:[0,0,1] neg_hi:[0,0,1]
	v_pk_fma_f32 v[6:7], v[14:15], v[118:119], v[6:7] op_sel_hi:[1,0,1]
	s_nop 0
	v_mov_b32_e32 v9, v7
	s_waitcnt vmcnt(0) lgkmcnt(0)
	v_pk_mul_f32 v[6:7], v[16:17], v[126:127] op_sel:[1,1] op_sel_hi:[0,1]
	v_pk_add_f32 v[4:5], v[4:5], v[8:9]
	v_pk_fma_f32 v[8:9], v[16:17], v[126:127], v[6:7] neg_lo:[0,0,1] neg_hi:[0,0,1]
	v_pk_fma_f32 v[6:7], v[16:17], v[126:127], v[6:7] op_sel_hi:[1,0,1]
	s_nop 0
	v_mov_b32_e32 v9, v7
	scratch_load_dwordx2 v[6:7], off, off offset:16
	v_pk_add_f32 v[4:5], v[4:5], v[8:9]
	s_waitcnt vmcnt(0)
	v_pk_add_f32 v[4:5], v[6:7], v[4:5] neg_lo:[0,1] neg_hi:[0,1]
	scratch_store_dwordx2 off, v[4:5], off offset:16
	s_and_saveexec_b64 s[0:1], vcc
	s_cbranch_execz .LBB23_155
; %bb.154:
	scratch_load_dwordx2 v[4:5], off, off offset:8
	v_mov_b32_e32 v3, v2
	scratch_store_dwordx2 off, v[2:3], off offset:8
	s_waitcnt vmcnt(1)
	ds_write_b64 v1, v[4:5]
.LBB23_155:
	s_or_b64 exec, exec, s[0:1]
	s_waitcnt lgkmcnt(0)
	; wave barrier
	ds_read_b128 v[4:7], v2 offset:208
	ds_read_b128 v[8:11], v2 offset:224
	;; [unrolled: 1-line block ×4, first 2 shown]
	scratch_load_dwordx4 v[68:71], off, off offset:16
	scratch_load_dwordx4 v[88:91], off, off offset:80
	v_cmp_ne_u32_e32 vcc, 0, v0
	scratch_load_dwordx4 v[96:99], off, off offset:96
	scratch_load_dwordx4 v[104:107], off, off offset:112
	s_waitcnt vmcnt(3) lgkmcnt(3)
	v_mul_f32_e32 v3, v4, v69
	v_fmac_f32_e32 v3, v5, v68
	v_mul_f32_e32 v72, v6, v71
	v_add_f32_e32 v3, 0, v3
	v_fmac_f32_e32 v72, v7, v70
	v_add_f32_e32 v3, v3, v72
	scratch_load_dwordx4 v[72:75], off, off offset:32
	s_waitcnt vmcnt(0) lgkmcnt(2)
	v_mul_f32_e32 v76, v8, v73
	v_fmac_f32_e32 v76, v9, v72
	v_add_f32_e32 v3, v3, v76
	v_mul_f32_e32 v76, v10, v75
	v_fmac_f32_e32 v76, v11, v74
	v_add_f32_e32 v3, v3, v76
	scratch_load_dwordx4 v[76:79], off, off offset:48
	s_waitcnt vmcnt(0) lgkmcnt(1)
	v_mul_f32_e32 v80, v12, v77
	v_fmac_f32_e32 v80, v13, v76
	v_add_f32_e32 v3, v3, v80
	v_mul_f32_e32 v80, v14, v79
	;; [unrolled: 8-line block ×3, first 2 shown]
	v_fmac_f32_e32 v84, v19, v82
	v_add_f32_e32 v3, v3, v84
	ds_read_b128 v[84:87], v2 offset:272
	s_waitcnt lgkmcnt(0)
	v_mul_f32_e32 v92, v84, v89
	v_fmac_f32_e32 v92, v85, v88
	v_add_f32_e32 v3, v3, v92
	v_mul_f32_e32 v92, v86, v91
	v_fmac_f32_e32 v92, v87, v90
	v_add_f32_e32 v3, v3, v92
	ds_read_b128 v[92:95], v2 offset:288
	s_waitcnt lgkmcnt(0)
	v_mul_f32_e32 v100, v92, v97
	v_fmac_f32_e32 v100, v93, v96
	v_add_f32_e32 v3, v3, v100
	v_mul_f32_e32 v100, v94, v99
	v_fmac_f32_e32 v100, v95, v98
	v_add_f32_e32 v125, v3, v100
	ds_read_b128 v[100:103], v2 offset:304
	scratch_load_dwordx4 v[108:111], off, off offset:128
	scratch_load_dwordx4 v[112:115], off, off offset:144
	;; [unrolled: 1-line block ×4, first 2 shown]
	v_mul_f32_e32 v3, v5, v69
	v_fma_f32 v3, v4, v68, -v3
	v_mul_f32_e32 v4, v7, v71
	v_add_f32_e32 v3, 0, v3
	v_fma_f32 v4, v6, v70, -v4
	v_add_f32_e32 v3, v3, v4
	v_mul_f32_e32 v4, v9, v73
	v_fma_f32 v4, v8, v72, -v4
	v_add_f32_e32 v3, v3, v4
	v_mul_f32_e32 v4, v11, v75
	;; [unrolled: 3-line block ×10, first 2 shown]
	v_fma_f32 v4, v94, v98, -v4
	v_add_f32_e32 v124, v3, v4
	ds_read_b128 v[4:7], v2 offset:320
	ds_read_b128 v[8:11], v2 offset:336
	;; [unrolled: 1-line block ×4, first 2 shown]
	s_waitcnt lgkmcnt(4)
	v_mul_f32_e32 v127, v100, v105
	v_mul_f32_e32 v3, v101, v105
	v_fmac_f32_e32 v127, v101, v104
	v_mul_f32_e32 v129, v102, v107
	v_fma_f32 v126, v100, v104, -v3
	v_mul_f32_e32 v3, v103, v107
	v_fmac_f32_e32 v129, v103, v106
	v_fma_f32 v128, v102, v106, -v3
	v_pk_add_f32 v[2:3], v[124:125], v[126:127]
	s_waitcnt vmcnt(3) lgkmcnt(3)
	v_pk_mul_f32 v[68:69], v[4:5], v[108:109] op_sel:[1,1] op_sel_hi:[0,1]
	v_pk_fma_f32 v[70:71], v[4:5], v[108:109], v[68:69] neg_lo:[0,0,1] neg_hi:[0,0,1]
	v_pk_fma_f32 v[4:5], v[4:5], v[108:109], v[68:69] op_sel_hi:[1,0,1]
	v_pk_add_f32 v[2:3], v[2:3], v[128:129]
	v_mov_b32_e32 v4, v111
	v_mov_b32_e32 v71, v5
	v_pk_mul_f32 v[4:5], v[6:7], v[4:5] op_sel:[1,0] op_sel_hi:[0,0]
	v_pk_fma_f32 v[68:69], v[6:7], v[110:111], v[4:5] neg_lo:[0,0,1] neg_hi:[0,0,1]
	v_pk_fma_f32 v[4:5], v[6:7], v[110:111], v[4:5] op_sel_hi:[1,0,1]
	v_pk_add_f32 v[2:3], v[2:3], v[70:71]
	v_mov_b32_e32 v69, v5
	s_waitcnt vmcnt(2) lgkmcnt(2)
	v_pk_mul_f32 v[4:5], v[8:9], v[112:113] op_sel:[1,1] op_sel_hi:[0,1]
	v_pk_fma_f32 v[6:7], v[8:9], v[112:113], v[4:5] neg_lo:[0,0,1] neg_hi:[0,0,1]
	v_pk_fma_f32 v[4:5], v[8:9], v[112:113], v[4:5] op_sel_hi:[1,0,1]
	v_pk_add_f32 v[2:3], v[2:3], v[68:69]
	v_mov_b32_e32 v4, v115
	v_mov_b32_e32 v7, v5
	v_pk_mul_f32 v[4:5], v[10:11], v[4:5] op_sel:[1,0] op_sel_hi:[0,0]
	v_pk_add_f32 v[2:3], v[2:3], v[6:7]
	v_pk_fma_f32 v[6:7], v[10:11], v[114:115], v[4:5] neg_lo:[0,0,1] neg_hi:[0,0,1]
	v_pk_fma_f32 v[4:5], v[10:11], v[114:115], v[4:5] op_sel_hi:[1,0,1]
	s_nop 0
	v_mov_b32_e32 v7, v5
	s_waitcnt vmcnt(1) lgkmcnt(1)
	v_pk_mul_f32 v[4:5], v[12:13], v[116:117] op_sel:[1,1] op_sel_hi:[0,1]
	v_pk_add_f32 v[2:3], v[2:3], v[6:7]
	v_pk_fma_f32 v[6:7], v[12:13], v[116:117], v[4:5] neg_lo:[0,0,1] neg_hi:[0,0,1]
	v_pk_fma_f32 v[4:5], v[12:13], v[116:117], v[4:5] op_sel_hi:[1,0,1]
	s_nop 0
	v_mov_b32_e32 v4, v119
	v_mov_b32_e32 v7, v5
	v_pk_mul_f32 v[4:5], v[14:15], v[4:5] op_sel:[1,0] op_sel_hi:[0,0]
	v_pk_add_f32 v[2:3], v[2:3], v[6:7]
	v_pk_fma_f32 v[6:7], v[14:15], v[118:119], v[4:5] neg_lo:[0,0,1] neg_hi:[0,0,1]
	v_pk_fma_f32 v[4:5], v[14:15], v[118:119], v[4:5] op_sel_hi:[1,0,1]
	s_nop 0
	v_mov_b32_e32 v7, v5
	s_waitcnt vmcnt(0) lgkmcnt(0)
	v_pk_mul_f32 v[4:5], v[16:17], v[120:121] op_sel:[1,1] op_sel_hi:[0,1]
	v_pk_add_f32 v[2:3], v[2:3], v[6:7]
	v_pk_fma_f32 v[6:7], v[16:17], v[120:121], v[4:5] neg_lo:[0,0,1] neg_hi:[0,0,1]
	v_pk_fma_f32 v[4:5], v[16:17], v[120:121], v[4:5] op_sel_hi:[1,0,1]
	s_nop 0
	v_mov_b32_e32 v4, v123
	v_mov_b32_e32 v7, v5
	v_pk_mul_f32 v[4:5], v[18:19], v[4:5] op_sel:[1,0] op_sel_hi:[0,0]
	v_pk_add_f32 v[2:3], v[2:3], v[6:7]
	v_pk_fma_f32 v[6:7], v[18:19], v[122:123], v[4:5] neg_lo:[0,0,1] neg_hi:[0,0,1]
	v_pk_fma_f32 v[4:5], v[18:19], v[122:123], v[4:5] op_sel_hi:[1,0,1]
	s_nop 0
	v_mov_b32_e32 v7, v5
	scratch_load_dwordx2 v[4:5], off, off offset:8
	v_pk_add_f32 v[2:3], v[2:3], v[6:7]
	s_waitcnt vmcnt(0)
	v_pk_add_f32 v[2:3], v[4:5], v[2:3] neg_lo:[0,1] neg_hi:[0,1]
	scratch_store_dwordx2 off, v[2:3], off offset:8
	s_and_saveexec_b64 s[0:1], vcc
	s_cbranch_execz .LBB23_157
; %bb.156:
	scratch_load_dwordx2 v[2:3], off, off
	v_mov_b32_e32 v4, 0
	v_mov_b32_e32 v5, v4
	scratch_store_dwordx2 off, v[4:5], off
	s_waitcnt vmcnt(1)
	ds_write_b64 v1, v[2:3]
.LBB23_157:
	s_or_b64 exec, exec, s[0:1]
	s_waitcnt lgkmcnt(0)
	; wave barrier
	scratch_load_dwordx4 v[0:3], off, off offset:8
	scratch_load_dwordx4 v[12:15], off, off offset:24
	;; [unrolled: 1-line block ×11, first 2 shown]
	scratch_load_dwordx2 v[68:69], off, off offset:184
	scratch_load_dwordx2 v[128:129], off, off
	v_mov_b32_e32 v70, 0
	ds_read2_b64 v[96:99], v70 offset0:25 offset1:26
	ds_read2_b64 v[100:103], v70 offset0:27 offset1:28
	;; [unrolled: 1-line block ×8, first 2 shown]
	s_and_b64 vcc, exec, s[18:19]
	s_waitcnt vmcnt(12) lgkmcnt(7)
	v_mul_f32_e32 v71, v96, v1
	v_mul_f32_e32 v130, v98, v3
	;; [unrolled: 1-line block ×3, first 2 shown]
	v_fmac_f32_e32 v71, v97, v0
	s_waitcnt vmcnt(8) lgkmcnt(3)
	v_mul_f32_e32 v139, v112, v17
	v_mul_f32_e32 v17, v113, v17
	;; [unrolled: 1-line block ×4, first 2 shown]
	v_fmac_f32_e32 v130, v99, v2
	v_fmac_f32_e32 v139, v113, v16
	v_fma_f32 v0, v96, v0, -v1
	v_fma_f32 v16, v112, v16, -v17
	v_add_f32_e32 v17, 0, v71
	v_mul_f32_e32 v134, v102, v15
	v_fmac_f32_e32 v132, v101, v12
	v_fma_f32 v1, v98, v2, -v3
	v_add_f32_e32 v0, 0, v0
	v_add_f32_e32 v17, v17, v130
	v_mul_f32_e32 v135, v104, v73
	v_fmac_f32_e32 v134, v103, v14
	v_add_f32_e32 v0, v0, v1
	v_add_f32_e32 v1, v17, v132
	v_mul_f32_e32 v136, v106, v75
	v_fmac_f32_e32 v135, v105, v72
	v_add_f32_e32 v1, v1, v134
	v_mul_f32_e32 v137, v108, v77
	v_mul_f32_e32 v13, v101, v13
	v_fmac_f32_e32 v136, v107, v74
	v_add_f32_e32 v1, v1, v135
	v_mul_f32_e32 v138, v110, v79
	v_mul_f32_e32 v15, v103, v15
	v_fmac_f32_e32 v137, v109, v76
	v_fma_f32 v2, v100, v12, -v13
	v_add_f32_e32 v1, v1, v136
	v_mul_f32_e32 v73, v105, v73
	v_fmac_f32_e32 v138, v111, v78
	v_fma_f32 v3, v102, v14, -v15
	v_add_f32_e32 v0, v0, v2
	v_add_f32_e32 v1, v1, v137
	v_mul_f32_e32 v140, v114, v19
	v_mul_f32_e32 v75, v107, v75
	v_fma_f32 v12, v104, v72, -v73
	v_add_f32_e32 v0, v0, v3
	v_add_f32_e32 v1, v1, v138
	s_waitcnt vmcnt(7) lgkmcnt(2)
	v_mul_f32_e32 v141, v116, v81
	v_mul_f32_e32 v77, v109, v77
	v_fmac_f32_e32 v140, v115, v18
	v_fma_f32 v13, v106, v74, -v75
	v_add_f32_e32 v0, v0, v12
	v_add_f32_e32 v1, v1, v139
	v_mul_f32_e32 v142, v118, v83
	v_mul_f32_e32 v79, v111, v79
	v_fmac_f32_e32 v141, v117, v80
	v_fma_f32 v14, v108, v76, -v77
	v_add_f32_e32 v0, v0, v13
	v_add_f32_e32 v1, v1, v140
	s_waitcnt vmcnt(6) lgkmcnt(1)
	v_mul_f32_e32 v143, v120, v85
	v_fmac_f32_e32 v142, v119, v82
	v_fma_f32 v15, v110, v78, -v79
	v_add_f32_e32 v0, v0, v14
	v_add_f32_e32 v1, v1, v141
	v_mul_f32_e32 v19, v115, v19
	v_fmac_f32_e32 v143, v121, v84
	v_add_f32_e32 v0, v0, v15
	v_add_f32_e32 v1, v1, v142
	;; [unrolled: 1-line block ×4, first 2 shown]
	v_fma_f32 v1, v114, v18, -v19
	v_add_f32_e32 v0, v0, v1
	v_mul_f32_e32 v1, v117, v81
	v_fma_f32 v1, v116, v80, -v1
	v_add_f32_e32 v0, v0, v1
	v_mul_f32_e32 v1, v119, v83
	;; [unrolled: 3-line block ×4, first 2 shown]
	v_mul_f32_e32 v131, v122, v87
	v_fma_f32 v130, v122, v86, -v0
	s_waitcnt vmcnt(5) lgkmcnt(0)
	v_mul_f32_e32 v0, v125, v89
	v_mov_b32_e32 v76, v91
	v_mul_f32_e32 v133, v124, v89
	v_fmac_f32_e32 v131, v123, v86
	v_fma_f32 v132, v124, v88, -v0
	ds_read2_b64 v[0:3], v70 offset0:41 offset1:42
	ds_read2_b64 v[12:15], v70 offset0:43 offset1:44
	;; [unrolled: 1-line block ×3, first 2 shown]
	ds_read_b64 v[74:75], v70 offset:376
	v_pk_mul_f32 v[76:77], v[126:127], v[76:77] op_sel:[1,0] op_sel_hi:[0,0]
	v_fmac_f32_e32 v133, v125, v88
	v_pk_add_f32 v[72:73], v[72:73], v[130:131]
	v_pk_fma_f32 v[78:79], v[126:127], v[90:91], v[76:77] neg_lo:[0,0,1] neg_hi:[0,0,1]
	v_pk_fma_f32 v[76:77], v[126:127], v[90:91], v[76:77] op_sel_hi:[1,0,1]
	v_pk_add_f32 v[72:73], v[72:73], v[132:133]
	v_mov_b32_e32 v79, v77
	s_waitcnt vmcnt(4) lgkmcnt(3)
	v_pk_mul_f32 v[76:77], v[0:1], v[92:93] op_sel:[1,1] op_sel_hi:[0,1]
	v_pk_add_f32 v[72:73], v[72:73], v[78:79]
	v_pk_fma_f32 v[78:79], v[0:1], v[92:93], v[76:77] neg_lo:[0,0,1] neg_hi:[0,0,1]
	v_pk_fma_f32 v[0:1], v[0:1], v[92:93], v[76:77] op_sel_hi:[1,0,1]
	s_nop 0
	v_mov_b32_e32 v79, v1
	v_pk_add_f32 v[0:1], v[72:73], v[78:79]
	v_mov_b32_e32 v72, v95
	v_pk_mul_f32 v[72:73], v[2:3], v[72:73] op_sel:[1,0] op_sel_hi:[0,0]
	v_pk_fma_f32 v[76:77], v[2:3], v[94:95], v[72:73] neg_lo:[0,0,1] neg_hi:[0,0,1]
	v_pk_fma_f32 v[2:3], v[2:3], v[94:95], v[72:73] op_sel_hi:[1,0,1]
	s_nop 0
	v_mov_b32_e32 v77, v3
	s_waitcnt vmcnt(3) lgkmcnt(2)
	v_pk_mul_f32 v[2:3], v[12:13], v[8:9] op_sel:[1,1] op_sel_hi:[0,1]
	v_pk_fma_f32 v[72:73], v[12:13], v[8:9], v[2:3] neg_lo:[0,0,1] neg_hi:[0,0,1]
	v_pk_fma_f32 v[2:3], v[12:13], v[8:9], v[2:3] op_sel_hi:[1,0,1]
	v_pk_add_f32 v[0:1], v[0:1], v[76:77]
	v_mov_b32_e32 v2, v11
	v_mov_b32_e32 v73, v3
	v_pk_mul_f32 v[2:3], v[14:15], v[2:3] op_sel:[1,0] op_sel_hi:[0,0]
	v_pk_fma_f32 v[8:9], v[14:15], v[10:11], v[2:3] neg_lo:[0,0,1] neg_hi:[0,0,1]
	v_pk_fma_f32 v[2:3], v[14:15], v[10:11], v[2:3] op_sel_hi:[1,0,1]
	v_pk_add_f32 v[0:1], v[0:1], v[72:73]
	v_mov_b32_e32 v9, v3
	s_waitcnt vmcnt(2) lgkmcnt(1)
	v_pk_mul_f32 v[2:3], v[16:17], v[4:5] op_sel:[1,1] op_sel_hi:[0,1]
	v_pk_add_f32 v[0:1], v[0:1], v[8:9]
	v_pk_fma_f32 v[8:9], v[16:17], v[4:5], v[2:3] neg_lo:[0,0,1] neg_hi:[0,0,1]
	v_pk_fma_f32 v[2:3], v[16:17], v[4:5], v[2:3] op_sel_hi:[1,0,1]
	s_nop 0
	v_mov_b32_e32 v2, v7
	v_mov_b32_e32 v9, v3
	v_pk_mul_f32 v[2:3], v[18:19], v[2:3] op_sel:[1,0] op_sel_hi:[0,0]
	v_pk_fma_f32 v[4:5], v[18:19], v[6:7], v[2:3] neg_lo:[0,0,1] neg_hi:[0,0,1]
	v_pk_fma_f32 v[2:3], v[18:19], v[6:7], v[2:3] op_sel_hi:[1,0,1]
	v_pk_add_f32 v[0:1], v[0:1], v[8:9]
	v_mov_b32_e32 v5, v3
	s_waitcnt vmcnt(1) lgkmcnt(0)
	v_pk_mul_f32 v[2:3], v[74:75], v[68:69] op_sel:[1,1] op_sel_hi:[0,1]
	v_pk_add_f32 v[0:1], v[0:1], v[4:5]
	v_pk_fma_f32 v[4:5], v[74:75], v[68:69], v[2:3] neg_lo:[0,0,1] neg_hi:[0,0,1]
	v_pk_fma_f32 v[2:3], v[74:75], v[68:69], v[2:3] op_sel_hi:[1,0,1]
	s_nop 0
	v_mov_b32_e32 v5, v3
	v_pk_add_f32 v[0:1], v[0:1], v[4:5]
	s_waitcnt vmcnt(0)
	v_pk_add_f32 v[0:1], v[128:129], v[0:1] neg_lo:[0,1] neg_hi:[0,1]
	scratch_store_dwordx2 off, v[0:1], off
	s_cbranch_vccz .LBB23_204
; %bb.158:
	global_load_dword v0, v70, s[16:17] offset:88
	s_waitcnt vmcnt(0)
	v_readfirstlane_b32 s0, v0
	s_add_i32 s0, s0, -1
	s_cmp_lg_u32 s0, 22
	s_cbranch_scc0 .LBB23_160
; %bb.159:
	s_lshl_b32 s0, s0, 3
	s_nop 0
	scratch_load_dwordx2 v[0:1], off, s0
	scratch_load_dwordx2 v[2:3], off, off offset:176
	s_waitcnt vmcnt(1)
	scratch_store_dwordx2 off, v[0:1], off offset:176
	s_waitcnt vmcnt(1)
	scratch_store_dwordx2 off, v[2:3], s0
.LBB23_160:
	v_mov_b32_e32 v0, 0
	global_load_dword v1, v0, s[16:17] offset:84
	s_waitcnt vmcnt(0)
	v_readfirstlane_b32 s0, v1
	s_add_i32 s0, s0, -1
	s_cmp_eq_u32 s0, 21
	s_cbranch_scc1 .LBB23_162
; %bb.161:
	s_lshl_b32 s0, s0, 3
	s_nop 0
	scratch_load_dwordx2 v[2:3], off, s0
	scratch_load_dwordx2 v[4:5], off, off offset:168
	s_waitcnt vmcnt(1)
	scratch_store_dwordx2 off, v[2:3], off offset:168
	s_waitcnt vmcnt(1)
	scratch_store_dwordx2 off, v[4:5], s0
.LBB23_162:
	global_load_dword v0, v0, s[16:17] offset:80
	s_waitcnt vmcnt(0)
	v_readfirstlane_b32 s0, v0
	s_add_i32 s0, s0, -1
	s_cmp_eq_u32 s0, 20
	s_cbranch_scc1 .LBB23_164
; %bb.163:
	s_lshl_b32 s0, s0, 3
	s_nop 0
	scratch_load_dwordx2 v[0:1], off, s0
	scratch_load_dwordx2 v[2:3], off, off offset:160
	s_waitcnt vmcnt(1)
	scratch_store_dwordx2 off, v[0:1], off offset:160
	s_waitcnt vmcnt(1)
	scratch_store_dwordx2 off, v[2:3], s0
.LBB23_164:
	v_mov_b32_e32 v0, 0
	global_load_dword v1, v0, s[16:17] offset:76
	s_waitcnt vmcnt(0)
	v_readfirstlane_b32 s0, v1
	s_add_i32 s0, s0, -1
	s_cmp_eq_u32 s0, 19
	s_cbranch_scc1 .LBB23_166
; %bb.165:
	s_lshl_b32 s0, s0, 3
	s_nop 0
	scratch_load_dwordx2 v[2:3], off, s0
	scratch_load_dwordx2 v[4:5], off, off offset:152
	s_waitcnt vmcnt(1)
	scratch_store_dwordx2 off, v[2:3], off offset:152
	s_waitcnt vmcnt(1)
	scratch_store_dwordx2 off, v[4:5], s0
.LBB23_166:
	global_load_dword v0, v0, s[16:17] offset:72
	s_waitcnt vmcnt(0)
	v_readfirstlane_b32 s0, v0
	s_add_i32 s0, s0, -1
	s_cmp_eq_u32 s0, 18
	s_cbranch_scc1 .LBB23_168
; %bb.167:
	s_lshl_b32 s0, s0, 3
	s_nop 0
	scratch_load_dwordx2 v[0:1], off, s0
	scratch_load_dwordx2 v[2:3], off, off offset:144
	s_waitcnt vmcnt(1)
	scratch_store_dwordx2 off, v[0:1], off offset:144
	s_waitcnt vmcnt(1)
	scratch_store_dwordx2 off, v[2:3], s0
.LBB23_168:
	;; [unrolled: 33-line block ×10, first 2 shown]
	v_mov_b32_e32 v0, 0
	global_load_dword v1, v0, s[16:17] offset:4
	s_waitcnt vmcnt(0)
	v_readfirstlane_b32 s0, v1
	s_add_i32 s0, s0, -1
	s_cmp_eq_u32 s0, 1
	s_cbranch_scc1 .LBB23_202
; %bb.201:
	s_lshl_b32 s0, s0, 3
	s_nop 0
	scratch_load_dwordx2 v[2:3], off, s0
	scratch_load_dwordx2 v[4:5], off, off offset:8
	s_waitcnt vmcnt(1)
	scratch_store_dwordx2 off, v[2:3], off offset:8
	s_waitcnt vmcnt(1)
	scratch_store_dwordx2 off, v[4:5], s0
.LBB23_202:
	global_load_dword v2, v0, s[16:17]
	s_nop 0
	scratch_load_dwordx2 v[0:1], off, off
	s_waitcnt vmcnt(1)
	v_readfirstlane_b32 s0, v2
	s_add_i32 s0, s0, -1
	s_cmp_eq_u32 s0, 0
	s_cbranch_scc1 .LBB23_204
; %bb.203:
	s_lshl_b32 s0, s0, 3
	s_nop 0
	scratch_load_dwordx2 v[2:3], off, s0
	s_waitcnt vmcnt(0)
	scratch_store_dwordx2 off, v[2:3], off
	scratch_store_dwordx2 off, v[0:1], s0
	scratch_load_dwordx2 v[0:1], off, off
.LBB23_204:
	s_nop 0
	scratch_load_dwordx4 v[4:7], off, off offset:8
	scratch_load_dwordx4 v[8:11], off, off offset:24
	;; [unrolled: 1-line block ×11, first 2 shown]
	scratch_load_dwordx2 v[2:3], off, off offset:184
	s_waitcnt vmcnt(12)
	global_store_dwordx2 v[20:21], v[0:1], off
	s_waitcnt vmcnt(12)
	global_store_dwordx2 v[22:23], v[4:5], off
	global_store_dwordx2 v[24:25], v[6:7], off
	s_waitcnt vmcnt(13)
	global_store_dwordx2 v[26:27], v[8:9], off
	;; [unrolled: 3-line block ×12, first 2 shown]
	s_endpgm
	.section	.rodata,"a",@progbits
	.p2align	6, 0x0
	.amdhsa_kernel _ZN9rocsolver6v33100L18getri_kernel_smallILi24E19rocblas_complex_numIfEPS3_EEvT1_iilPiilS6_bb
		.amdhsa_group_segment_fixed_size 388
		.amdhsa_private_segment_fixed_size 208
		.amdhsa_kernarg_size 60
		.amdhsa_user_sgpr_count 2
		.amdhsa_user_sgpr_dispatch_ptr 0
		.amdhsa_user_sgpr_queue_ptr 0
		.amdhsa_user_sgpr_kernarg_segment_ptr 1
		.amdhsa_user_sgpr_dispatch_id 0
		.amdhsa_user_sgpr_kernarg_preload_length 0
		.amdhsa_user_sgpr_kernarg_preload_offset 0
		.amdhsa_user_sgpr_private_segment_size 0
		.amdhsa_uses_dynamic_stack 0
		.amdhsa_enable_private_segment 1
		.amdhsa_system_sgpr_workgroup_id_x 1
		.amdhsa_system_sgpr_workgroup_id_y 0
		.amdhsa_system_sgpr_workgroup_id_z 0
		.amdhsa_system_sgpr_workgroup_info 0
		.amdhsa_system_vgpr_workitem_id 0
		.amdhsa_next_free_vgpr 144
		.amdhsa_next_free_sgpr 20
		.amdhsa_accum_offset 144
		.amdhsa_reserve_vcc 1
		.amdhsa_float_round_mode_32 0
		.amdhsa_float_round_mode_16_64 0
		.amdhsa_float_denorm_mode_32 3
		.amdhsa_float_denorm_mode_16_64 3
		.amdhsa_dx10_clamp 1
		.amdhsa_ieee_mode 1
		.amdhsa_fp16_overflow 0
		.amdhsa_tg_split 0
		.amdhsa_exception_fp_ieee_invalid_op 0
		.amdhsa_exception_fp_denorm_src 0
		.amdhsa_exception_fp_ieee_div_zero 0
		.amdhsa_exception_fp_ieee_overflow 0
		.amdhsa_exception_fp_ieee_underflow 0
		.amdhsa_exception_fp_ieee_inexact 0
		.amdhsa_exception_int_div_zero 0
	.end_amdhsa_kernel
	.section	.text._ZN9rocsolver6v33100L18getri_kernel_smallILi24E19rocblas_complex_numIfEPS3_EEvT1_iilPiilS6_bb,"axG",@progbits,_ZN9rocsolver6v33100L18getri_kernel_smallILi24E19rocblas_complex_numIfEPS3_EEvT1_iilPiilS6_bb,comdat
.Lfunc_end23:
	.size	_ZN9rocsolver6v33100L18getri_kernel_smallILi24E19rocblas_complex_numIfEPS3_EEvT1_iilPiilS6_bb, .Lfunc_end23-_ZN9rocsolver6v33100L18getri_kernel_smallILi24E19rocblas_complex_numIfEPS3_EEvT1_iilPiilS6_bb
                                        ; -- End function
	.set _ZN9rocsolver6v33100L18getri_kernel_smallILi24E19rocblas_complex_numIfEPS3_EEvT1_iilPiilS6_bb.num_vgpr, 144
	.set _ZN9rocsolver6v33100L18getri_kernel_smallILi24E19rocblas_complex_numIfEPS3_EEvT1_iilPiilS6_bb.num_agpr, 0
	.set _ZN9rocsolver6v33100L18getri_kernel_smallILi24E19rocblas_complex_numIfEPS3_EEvT1_iilPiilS6_bb.numbered_sgpr, 20
	.set _ZN9rocsolver6v33100L18getri_kernel_smallILi24E19rocblas_complex_numIfEPS3_EEvT1_iilPiilS6_bb.num_named_barrier, 0
	.set _ZN9rocsolver6v33100L18getri_kernel_smallILi24E19rocblas_complex_numIfEPS3_EEvT1_iilPiilS6_bb.private_seg_size, 208
	.set _ZN9rocsolver6v33100L18getri_kernel_smallILi24E19rocblas_complex_numIfEPS3_EEvT1_iilPiilS6_bb.uses_vcc, 1
	.set _ZN9rocsolver6v33100L18getri_kernel_smallILi24E19rocblas_complex_numIfEPS3_EEvT1_iilPiilS6_bb.uses_flat_scratch, 0
	.set _ZN9rocsolver6v33100L18getri_kernel_smallILi24E19rocblas_complex_numIfEPS3_EEvT1_iilPiilS6_bb.has_dyn_sized_stack, 0
	.set _ZN9rocsolver6v33100L18getri_kernel_smallILi24E19rocblas_complex_numIfEPS3_EEvT1_iilPiilS6_bb.has_recursion, 0
	.set _ZN9rocsolver6v33100L18getri_kernel_smallILi24E19rocblas_complex_numIfEPS3_EEvT1_iilPiilS6_bb.has_indirect_call, 0
	.section	.AMDGPU.csdata,"",@progbits
; Kernel info:
; codeLenInByte = 23028
; TotalNumSgprs: 26
; NumVgprs: 144
; NumAgprs: 0
; TotalNumVgprs: 144
; ScratchSize: 208
; MemoryBound: 0
; FloatMode: 240
; IeeeMode: 1
; LDSByteSize: 388 bytes/workgroup (compile time only)
; SGPRBlocks: 3
; VGPRBlocks: 17
; NumSGPRsForWavesPerEU: 26
; NumVGPRsForWavesPerEU: 144
; AccumOffset: 144
; Occupancy: 3
; WaveLimiterHint : 1
; COMPUTE_PGM_RSRC2:SCRATCH_EN: 1
; COMPUTE_PGM_RSRC2:USER_SGPR: 2
; COMPUTE_PGM_RSRC2:TRAP_HANDLER: 0
; COMPUTE_PGM_RSRC2:TGID_X_EN: 1
; COMPUTE_PGM_RSRC2:TGID_Y_EN: 0
; COMPUTE_PGM_RSRC2:TGID_Z_EN: 0
; COMPUTE_PGM_RSRC2:TIDIG_COMP_CNT: 0
; COMPUTE_PGM_RSRC3_GFX90A:ACCUM_OFFSET: 35
; COMPUTE_PGM_RSRC3_GFX90A:TG_SPLIT: 0
	.section	.text._ZN9rocsolver6v33100L18getri_kernel_smallILi25E19rocblas_complex_numIfEPS3_EEvT1_iilPiilS6_bb,"axG",@progbits,_ZN9rocsolver6v33100L18getri_kernel_smallILi25E19rocblas_complex_numIfEPS3_EEvT1_iilPiilS6_bb,comdat
	.globl	_ZN9rocsolver6v33100L18getri_kernel_smallILi25E19rocblas_complex_numIfEPS3_EEvT1_iilPiilS6_bb ; -- Begin function _ZN9rocsolver6v33100L18getri_kernel_smallILi25E19rocblas_complex_numIfEPS3_EEvT1_iilPiilS6_bb
	.p2align	8
	.type	_ZN9rocsolver6v33100L18getri_kernel_smallILi25E19rocblas_complex_numIfEPS3_EEvT1_iilPiilS6_bb,@function
_ZN9rocsolver6v33100L18getri_kernel_smallILi25E19rocblas_complex_numIfEPS3_EEvT1_iilPiilS6_bb: ; @_ZN9rocsolver6v33100L18getri_kernel_smallILi25E19rocblas_complex_numIfEPS3_EEvT1_iilPiilS6_bb
; %bb.0:
	v_cmp_gt_u32_e32 vcc, 25, v0
	s_and_saveexec_b64 s[4:5], vcc
	s_cbranch_execz .LBB24_114
; %bb.1:
	s_load_dword s8, s[0:1], 0x38
	s_load_dwordx4 s[12:15], s[0:1], 0x10
	s_load_dwordx4 s[4:7], s[0:1], 0x28
                                        ; implicit-def: $sgpr16_sgpr17
	s_waitcnt lgkmcnt(0)
	s_bitcmp1_b32 s8, 8
	s_cselect_b64 s[18:19], -1, 0
	s_ashr_i32 s3, s2, 31
	s_bfe_u32 s8, s8, 0x10008
	s_cmp_eq_u32 s8, 0
	s_cbranch_scc1 .LBB24_3
; %bb.2:
	s_load_dword s8, s[0:1], 0x20
	s_mul_i32 s9, s4, s3
	s_mul_hi_u32 s10, s4, s2
	s_mul_i32 s5, s5, s2
	s_add_i32 s10, s10, s9
	s_add_i32 s5, s10, s5
	s_mul_i32 s4, s4, s2
	s_waitcnt lgkmcnt(0)
	s_ashr_i32 s9, s8, 31
	s_lshl_b64 s[4:5], s[4:5], 2
	s_add_u32 s10, s14, s4
	s_addc_u32 s11, s15, s5
	s_lshl_b64 s[4:5], s[8:9], 2
	s_add_u32 s16, s10, s4
	s_addc_u32 s17, s11, s5
.LBB24_3:
	s_load_dwordx4 s[8:11], s[0:1], 0x0
	s_load_dword s4, s[0:1], 0x38
	s_mul_i32 s5, s12, s3
	s_mul_hi_u32 s14, s12, s2
	s_add_i32 s5, s14, s5
	s_waitcnt lgkmcnt(0)
	s_ashr_i32 s1, s10, 31
	s_mov_b32 s0, s10
	s_mul_i32 s10, s13, s2
	s_add_i32 s13, s5, s10
	s_mul_i32 s12, s12, s2
	s_lshl_b64 s[12:13], s[12:13], 3
	s_add_u32 s5, s8, s12
	s_addc_u32 s8, s9, s13
	s_lshl_b64 s[0:1], s[0:1], 3
	s_add_u32 s0, s5, s0
	s_addc_u32 s1, s8, s1
	s_add_i32 s5, s11, s11
	v_add_u32_e32 v4, s5, v0
	v_ashrrev_i32_e32 v5, 31, v4
	v_lshl_add_u64 v[40:41], v[4:5], 3, s[0:1]
	v_add_u32_e32 v4, s11, v4
	v_ashrrev_i32_e32 v5, 31, v4
	v_lshl_add_u64 v[42:43], v[4:5], 3, s[0:1]
	;; [unrolled: 3-line block ×21, first 2 shown]
	v_add_u32_e32 v4, s11, v4
	v_lshlrev_b32_e32 v2, 3, v0
	v_mov_b32_e32 v3, 0
	v_ashrrev_i32_e32 v5, 31, v4
	v_lshl_add_u64 v[36:37], s[0:1], 0, v[2:3]
	s_ashr_i32 s9, s11, 31
	s_mov_b32 s8, s11
	v_lshl_add_u64 v[82:83], v[4:5], 3, s[0:1]
	v_add_u32_e32 v4, s11, v4
	v_lshl_add_u64 v[38:39], s[8:9], 3, v[36:37]
	v_ashrrev_i32_e32 v5, 31, v4
	global_load_dwordx2 v[6:7], v2, s[0:1]
	global_load_dwordx2 v[8:9], v[38:39], off
	global_load_dwordx2 v[10:11], v[40:41], off
	;; [unrolled: 1-line block ×20, first 2 shown]
	v_lshl_add_u64 v[84:85], v[4:5], 3, s[0:1]
	global_load_dwordx2 v[100:101], v[78:79], off
	global_load_dwordx2 v[102:103], v[80:81], off
	;; [unrolled: 1-line block ×4, first 2 shown]
	s_bitcmp0_b32 s4, 0
	s_mov_b64 s[4:5], -1
	s_waitcnt vmcnt(23)
	scratch_store_dwordx4 off, v[6:9], off
	s_waitcnt vmcnt(22)
	scratch_store_dwordx4 off, v[10:13], off offset:16
	s_waitcnt vmcnt(21)
	scratch_store_dwordx4 off, v[14:17], off offset:32
	;; [unrolled: 2-line block ×11, first 2 shown]
	s_waitcnt vmcnt(12)
	scratch_store_dwordx2 off, v[4:5], off offset:192
	s_cbranch_scc1 .LBB24_112
; %bb.4:
	v_cmp_eq_u32_e64 s[0:1], 0, v0
	s_and_saveexec_b64 s[4:5], s[0:1]
; %bb.5:
	v_mov_b32_e32 v1, 0
	ds_write_b32 v1, v1 offset:200
; %bb.6:
	s_or_b64 exec, exec, s[4:5]
	s_waitcnt lgkmcnt(0)
	; wave barrier
	scratch_load_dwordx2 v[4:5], v2, off
	s_waitcnt vmcnt(0)
	v_cmp_eq_f32_e32 vcc, 0, v4
	v_cmp_eq_f32_e64 s[4:5], 0, v5
	s_and_b64 s[4:5], vcc, s[4:5]
	s_and_saveexec_b64 s[8:9], s[4:5]
	s_cbranch_execz .LBB24_10
; %bb.7:
	v_mov_b32_e32 v1, 0
	ds_read_b32 v4, v1 offset:200
	v_add_u32_e32 v3, 1, v0
	s_waitcnt lgkmcnt(0)
	v_readfirstlane_b32 s4, v4
	s_cmp_eq_u32 s4, 0
	s_cselect_b64 s[10:11], -1, 0
	v_cmp_gt_i32_e32 vcc, s4, v3
	s_or_b64 s[10:11], s[10:11], vcc
	s_and_b64 exec, exec, s[10:11]
	s_cbranch_execz .LBB24_10
; %bb.8:
	s_mov_b64 s[10:11], 0
	v_mov_b32_e32 v4, s4
.LBB24_9:                               ; =>This Inner Loop Header: Depth=1
	ds_cmpst_rtn_b32 v4, v1, v4, v3 offset:200
	s_waitcnt lgkmcnt(0)
	v_cmp_ne_u32_e32 vcc, 0, v4
	v_cmp_le_i32_e64 s[4:5], v4, v3
	s_and_b64 s[4:5], vcc, s[4:5]
	s_and_b64 s[4:5], exec, s[4:5]
	s_or_b64 s[10:11], s[4:5], s[10:11]
	s_andn2_b64 exec, exec, s[10:11]
	s_cbranch_execnz .LBB24_9
.LBB24_10:
	s_or_b64 exec, exec, s[8:9]
	v_mov_b32_e32 v3, 0
	; wave barrier
	ds_read_b32 v1, v3 offset:200
	s_and_saveexec_b64 s[4:5], s[0:1]
	s_cbranch_execz .LBB24_12
; %bb.11:
	s_lshl_b64 s[8:9], s[2:3], 2
	s_add_u32 s8, s6, s8
	s_addc_u32 s9, s7, s9
	s_waitcnt lgkmcnt(0)
	global_store_dword v3, v1, s[8:9]
.LBB24_12:
	s_or_b64 exec, exec, s[4:5]
	s_waitcnt lgkmcnt(0)
	v_cmp_ne_u32_e32 vcc, 0, v1
	s_mov_b64 s[4:5], 0
	s_cbranch_vccnz .LBB24_112
; %bb.13:
	v_mov_b32_e32 v3, v2
	scratch_load_dwordx2 v[4:5], v3, off
                                        ; implicit-def: $vgpr7
                                        ; implicit-def: $vgpr8
	s_waitcnt vmcnt(0)
	v_cmp_ngt_f32_e64 s[4:5], |v4|, |v5|
	s_and_saveexec_b64 s[8:9], s[4:5]
	s_xor_b64 s[4:5], exec, s[8:9]
	s_cbranch_execz .LBB24_15
; %bb.14:
	v_div_scale_f32 v1, s[8:9], v5, v5, v4
	v_rcp_f32_e32 v6, v1
	v_div_scale_f32 v7, vcc, v4, v5, v4
	v_fma_f32 v8, -v1, v6, 1.0
	v_fmac_f32_e32 v6, v8, v6
	v_mul_f32_e32 v8, v7, v6
	v_fma_f32 v9, -v1, v8, v7
	v_fmac_f32_e32 v8, v9, v6
	v_fma_f32 v1, -v1, v8, v7
	v_div_fmas_f32 v1, v1, v6, v8
	v_div_fixup_f32 v1, v1, v5, v4
	v_fmac_f32_e32 v5, v4, v1
	v_div_scale_f32 v4, s[8:9], v5, v5, -1.0
	v_rcp_f32_e32 v6, v4
	s_nop 0
	v_fma_f32 v7, -v4, v6, 1.0
	v_fmac_f32_e32 v6, v7, v6
	v_div_scale_f32 v7, vcc, -1.0, v5, -1.0
	v_mul_f32_e32 v8, v7, v6
	v_fma_f32 v9, -v4, v8, v7
	v_fmac_f32_e32 v8, v9, v6
	v_fma_f32 v4, -v4, v8, v7
	v_div_fmas_f32 v4, v4, v6, v8
	v_div_fixup_f32 v7, v4, v5, -1.0
	v_mul_f32_e32 v8, v1, v7
	v_xor_b32_e32 v6, 0x80000000, v8
                                        ; implicit-def: $vgpr4_vgpr5
.LBB24_15:
	s_andn2_saveexec_b64 s[4:5], s[4:5]
	s_cbranch_execz .LBB24_17
; %bb.16:
	v_div_scale_f32 v1, s[8:9], v4, v4, v5
	v_rcp_f32_e32 v6, v1
	v_div_scale_f32 v7, vcc, v5, v4, v5
	v_fma_f32 v8, -v1, v6, 1.0
	v_fmac_f32_e32 v6, v8, v6
	v_mul_f32_e32 v8, v7, v6
	v_fma_f32 v9, -v1, v8, v7
	v_fmac_f32_e32 v8, v9, v6
	v_fma_f32 v1, -v1, v8, v7
	v_div_fmas_f32 v1, v1, v6, v8
	v_div_fixup_f32 v1, v1, v4, v5
	v_fmac_f32_e32 v4, v5, v1
	v_div_scale_f32 v5, s[8:9], v4, v4, 1.0
	v_rcp_f32_e32 v6, v5
	s_nop 0
	v_fma_f32 v7, -v5, v6, 1.0
	v_fmac_f32_e32 v6, v7, v6
	v_div_scale_f32 v7, vcc, 1.0, v4, 1.0
	v_mul_f32_e32 v8, v7, v6
	v_fma_f32 v9, -v5, v8, v7
	v_fmac_f32_e32 v8, v9, v6
	v_fma_f32 v5, -v5, v8, v7
	v_div_fmas_f32 v5, v5, v6, v8
	v_div_fixup_f32 v6, v5, v4, 1.0
	v_xor_b32_e32 v8, 0x80000000, v6
	v_mul_f32_e64 v7, v1, -v6
.LBB24_17:
	s_or_b64 exec, exec, s[4:5]
	scratch_store_dwordx2 v3, v[6:7], off
	scratch_load_dwordx2 v[4:5], off, off offset:8
	v_xor_b32_e32 v9, 0x80000000, v7
	v_add_u32_e32 v1, 0xd0, v2
	s_waitcnt vmcnt(0)
	ds_write2_b64 v2, v[8:9], v[4:5] offset1:26
	s_waitcnt lgkmcnt(0)
	; wave barrier
	s_and_saveexec_b64 s[4:5], s[0:1]
	s_cbranch_execz .LBB24_19
; %bb.18:
	scratch_load_dwordx2 v[4:5], v3, off
	ds_read_b64 v[6:7], v1
	v_mov_b32_e32 v8, 0
	ds_read_b64 v[8:9], v8 offset:8
	s_waitcnt vmcnt(0) lgkmcnt(1)
	v_pk_mul_f32 v[10:11], v[6:7], v[4:5] op_sel:[1,1] op_sel_hi:[0,1]
	v_pk_fma_f32 v[12:13], v[6:7], v[4:5], v[10:11] neg_lo:[0,0,1] neg_hi:[0,0,1]
	v_pk_fma_f32 v[4:5], v[6:7], v[4:5], v[10:11] op_sel_hi:[1,0,1]
	s_nop 0
	v_mov_b32_e32 v13, v5
	v_pk_add_f32 v[4:5], v[12:13], 0 op_sel_hi:[1,0]
	s_waitcnt lgkmcnt(0)
	v_pk_mul_f32 v[6:7], v[4:5], v[8:9] op_sel:[1,1] op_sel_hi:[0,1]
	v_pk_fma_f32 v[10:11], v[4:5], v[8:9], v[6:7] neg_lo:[0,0,1] neg_hi:[0,0,1]
	v_pk_fma_f32 v[4:5], v[4:5], v[8:9], v[6:7] op_sel_hi:[1,0,1]
	s_nop 0
	v_mov_b32_e32 v11, v5
	scratch_store_dwordx2 off, v[10:11], off offset:8
.LBB24_19:
	s_or_b64 exec, exec, s[4:5]
	; wave barrier
	scratch_load_dwordx2 v[4:5], off, off offset:16
	v_cmp_gt_u32_e32 vcc, 2, v0
	s_waitcnt vmcnt(0)
	ds_write_b64 v1, v[4:5]
	s_waitcnt lgkmcnt(0)
	; wave barrier
	s_and_saveexec_b64 s[4:5], vcc
	s_cbranch_execz .LBB24_23
; %bb.20:
	scratch_load_dwordx2 v[4:5], v3, off
	ds_read_b64 v[6:7], v1
	s_waitcnt vmcnt(0) lgkmcnt(0)
	v_pk_mul_f32 v[8:9], v[6:7], v[4:5] op_sel:[1,1] op_sel_hi:[0,1]
	v_pk_fma_f32 v[10:11], v[6:7], v[4:5], v[8:9] neg_lo:[0,0,1] neg_hi:[0,0,1]
	v_pk_fma_f32 v[4:5], v[6:7], v[4:5], v[8:9] op_sel_hi:[1,0,1]
	s_nop 0
	v_mov_b32_e32 v11, v5
	v_pk_add_f32 v[4:5], v[10:11], 0 op_sel_hi:[1,0]
	s_and_saveexec_b64 s[8:9], s[0:1]
	s_cbranch_execz .LBB24_22
; %bb.21:
	scratch_load_dwordx2 v[6:7], off, off offset:8
	v_mov_b32_e32 v3, 0
	ds_read_b64 v[8:9], v3 offset:216
	s_waitcnt vmcnt(0) lgkmcnt(0)
	v_pk_mul_f32 v[10:11], v[8:9], v[6:7] op_sel:[1,1] op_sel_hi:[0,1]
	v_pk_fma_f32 v[12:13], v[8:9], v[6:7], v[10:11] neg_lo:[0,0,1] neg_hi:[0,0,1]
	v_pk_fma_f32 v[6:7], v[8:9], v[6:7], v[10:11] op_sel_hi:[1,0,1]
	s_nop 0
	v_mov_b32_e32 v13, v7
	v_pk_add_f32 v[4:5], v[4:5], v[12:13]
.LBB24_22:
	s_or_b64 exec, exec, s[8:9]
	v_mov_b32_e32 v3, 0
	ds_read_b64 v[6:7], v3 offset:16
	s_waitcnt lgkmcnt(0)
	v_pk_mul_f32 v[8:9], v[4:5], v[6:7] op_sel:[1,1] op_sel_hi:[0,1]
	v_pk_fma_f32 v[10:11], v[4:5], v[6:7], v[8:9] neg_lo:[0,0,1] neg_hi:[0,0,1]
	v_pk_fma_f32 v[4:5], v[4:5], v[6:7], v[8:9] op_sel_hi:[1,0,1]
	s_nop 0
	v_mov_b32_e32 v11, v5
	scratch_store_dwordx2 off, v[10:11], off offset:16
.LBB24_23:
	s_or_b64 exec, exec, s[4:5]
	; wave barrier
	scratch_load_dwordx2 v[4:5], off, off offset:24
	v_cmp_gt_u32_e32 vcc, 3, v0
	v_add_u32_e32 v6, -1, v0
	s_waitcnt vmcnt(0)
	ds_write_b64 v1, v[4:5]
	s_waitcnt lgkmcnt(0)
	; wave barrier
	s_and_saveexec_b64 s[0:1], vcc
	s_cbranch_execz .LBB24_27
; %bb.24:
	v_mov_b32_e32 v4, 0
	v_add_u32_e32 v3, -1, v0
	v_add_u32_e32 v7, 0xd0, v2
	v_mov_b32_e32 v8, v2
	s_mov_b64 s[4:5], 0
	v_mov_b32_e32 v5, v4
.LBB24_25:                              ; =>This Inner Loop Header: Depth=1
	scratch_load_dwordx2 v[10:11], v8, off
	ds_read_b64 v[12:13], v7
	v_add_u32_e32 v3, 1, v3
	v_cmp_lt_u32_e32 vcc, 1, v3
	v_add_u32_e32 v7, 8, v7
	v_add_u32_e32 v8, 8, v8
	s_or_b64 s[4:5], vcc, s[4:5]
	s_waitcnt vmcnt(0) lgkmcnt(0)
	v_pk_mul_f32 v[14:15], v[12:13], v[10:11] op_sel:[1,1] op_sel_hi:[0,1]
	v_pk_fma_f32 v[16:17], v[12:13], v[10:11], v[14:15] neg_lo:[0,0,1] neg_hi:[0,0,1]
	v_pk_fma_f32 v[10:11], v[12:13], v[10:11], v[14:15] op_sel_hi:[1,0,1]
	s_nop 0
	v_mov_b32_e32 v17, v11
	v_pk_add_f32 v[4:5], v[4:5], v[16:17]
	s_andn2_b64 exec, exec, s[4:5]
	s_cbranch_execnz .LBB24_25
; %bb.26:
	s_or_b64 exec, exec, s[4:5]
	v_mov_b32_e32 v3, 0
	ds_read_b64 v[8:9], v3 offset:24
	s_waitcnt lgkmcnt(0)
	v_pk_mul_f32 v[10:11], v[4:5], v[8:9] op_sel:[1,1] op_sel_hi:[0,1]
	v_pk_fma_f32 v[12:13], v[4:5], v[8:9], v[10:11] neg_lo:[0,0,1] neg_hi:[0,0,1]
	v_pk_fma_f32 v[4:5], v[4:5], v[8:9], v[10:11] op_sel_hi:[1,0,1]
	s_nop 0
	v_mov_b32_e32 v13, v5
	scratch_store_dwordx2 off, v[12:13], off offset:24
.LBB24_27:
	s_or_b64 exec, exec, s[0:1]
	; wave barrier
	scratch_load_dwordx2 v[4:5], off, off offset:32
	v_cmp_gt_u32_e32 vcc, 4, v0
	s_waitcnt vmcnt(0)
	ds_write_b64 v1, v[4:5]
	s_waitcnt lgkmcnt(0)
	; wave barrier
	s_and_saveexec_b64 s[0:1], vcc
	s_cbranch_execz .LBB24_31
; %bb.28:
	v_mov_b32_e32 v4, 0
	v_add_u32_e32 v3, -1, v0
	v_add_u32_e32 v7, 0xd0, v2
	v_mov_b32_e32 v8, v2
	s_mov_b64 s[4:5], 0
	v_mov_b32_e32 v5, v4
.LBB24_29:                              ; =>This Inner Loop Header: Depth=1
	scratch_load_dwordx2 v[10:11], v8, off
	ds_read_b64 v[12:13], v7
	v_add_u32_e32 v3, 1, v3
	v_cmp_lt_u32_e32 vcc, 2, v3
	v_add_u32_e32 v7, 8, v7
	v_add_u32_e32 v8, 8, v8
	s_or_b64 s[4:5], vcc, s[4:5]
	s_waitcnt vmcnt(0) lgkmcnt(0)
	v_pk_mul_f32 v[14:15], v[12:13], v[10:11] op_sel:[1,1] op_sel_hi:[0,1]
	v_pk_fma_f32 v[16:17], v[12:13], v[10:11], v[14:15] neg_lo:[0,0,1] neg_hi:[0,0,1]
	v_pk_fma_f32 v[10:11], v[12:13], v[10:11], v[14:15] op_sel_hi:[1,0,1]
	s_nop 0
	v_mov_b32_e32 v17, v11
	v_pk_add_f32 v[4:5], v[4:5], v[16:17]
	s_andn2_b64 exec, exec, s[4:5]
	s_cbranch_execnz .LBB24_29
; %bb.30:
	s_or_b64 exec, exec, s[4:5]
	v_mov_b32_e32 v3, 0
	ds_read_b64 v[8:9], v3 offset:32
	s_waitcnt lgkmcnt(0)
	v_pk_mul_f32 v[10:11], v[4:5], v[8:9] op_sel:[1,1] op_sel_hi:[0,1]
	v_pk_fma_f32 v[12:13], v[4:5], v[8:9], v[10:11] neg_lo:[0,0,1] neg_hi:[0,0,1]
	v_pk_fma_f32 v[4:5], v[4:5], v[8:9], v[10:11] op_sel_hi:[1,0,1]
	s_nop 0
	v_mov_b32_e32 v13, v5
	scratch_store_dwordx2 off, v[12:13], off offset:32
.LBB24_31:
	s_or_b64 exec, exec, s[0:1]
	; wave barrier
	scratch_load_dwordx2 v[4:5], off, off offset:40
	v_cmp_gt_u32_e32 vcc, 5, v0
	;; [unrolled: 46-line block ×19, first 2 shown]
	s_waitcnt vmcnt(0)
	ds_write_b64 v1, v[4:5]
	s_waitcnt lgkmcnt(0)
	; wave barrier
	s_and_saveexec_b64 s[0:1], vcc
	s_cbranch_execz .LBB24_103
; %bb.100:
	v_mov_b32_e32 v4, 0
	v_add_u32_e32 v3, -1, v0
	v_add_u32_e32 v7, 0xd0, v2
	v_mov_b32_e32 v8, v2
	s_mov_b64 s[4:5], 0
	v_mov_b32_e32 v5, v4
.LBB24_101:                             ; =>This Inner Loop Header: Depth=1
	scratch_load_dwordx2 v[10:11], v8, off
	ds_read_b64 v[12:13], v7
	v_add_u32_e32 v3, 1, v3
	v_cmp_lt_u32_e32 vcc, 20, v3
	v_add_u32_e32 v7, 8, v7
	v_add_u32_e32 v8, 8, v8
	s_or_b64 s[4:5], vcc, s[4:5]
	s_waitcnt vmcnt(0) lgkmcnt(0)
	v_pk_mul_f32 v[14:15], v[12:13], v[10:11] op_sel:[1,1] op_sel_hi:[0,1]
	v_pk_fma_f32 v[16:17], v[12:13], v[10:11], v[14:15] neg_lo:[0,0,1] neg_hi:[0,0,1]
	v_pk_fma_f32 v[10:11], v[12:13], v[10:11], v[14:15] op_sel_hi:[1,0,1]
	s_nop 0
	v_mov_b32_e32 v17, v11
	v_pk_add_f32 v[4:5], v[4:5], v[16:17]
	s_andn2_b64 exec, exec, s[4:5]
	s_cbranch_execnz .LBB24_101
; %bb.102:
	s_or_b64 exec, exec, s[4:5]
	v_mov_b32_e32 v3, 0
	ds_read_b64 v[8:9], v3 offset:176
	s_waitcnt lgkmcnt(0)
	v_pk_mul_f32 v[10:11], v[4:5], v[8:9] op_sel:[1,1] op_sel_hi:[0,1]
	v_pk_fma_f32 v[12:13], v[4:5], v[8:9], v[10:11] neg_lo:[0,0,1] neg_hi:[0,0,1]
	v_pk_fma_f32 v[4:5], v[4:5], v[8:9], v[10:11] op_sel_hi:[1,0,1]
	s_nop 0
	v_mov_b32_e32 v13, v5
	scratch_store_dwordx2 off, v[12:13], off offset:176
.LBB24_103:
	s_or_b64 exec, exec, s[0:1]
	; wave barrier
	scratch_load_dwordx2 v[4:5], off, off offset:184
	v_cmp_gt_u32_e32 vcc, 23, v0
	s_waitcnt vmcnt(0)
	ds_write_b64 v1, v[4:5]
	s_waitcnt lgkmcnt(0)
	; wave barrier
	s_and_saveexec_b64 s[0:1], vcc
	s_cbranch_execz .LBB24_107
; %bb.104:
	v_mov_b32_e32 v4, 0
	v_add_u32_e32 v3, -1, v0
	v_add_u32_e32 v7, 0xd0, v2
	v_mov_b32_e32 v8, v2
	s_mov_b64 s[4:5], 0
	v_mov_b32_e32 v5, v4
.LBB24_105:                             ; =>This Inner Loop Header: Depth=1
	scratch_load_dwordx2 v[10:11], v8, off
	ds_read_b64 v[12:13], v7
	v_add_u32_e32 v3, 1, v3
	v_cmp_lt_u32_e32 vcc, 21, v3
	v_add_u32_e32 v7, 8, v7
	v_add_u32_e32 v8, 8, v8
	s_or_b64 s[4:5], vcc, s[4:5]
	s_waitcnt vmcnt(0) lgkmcnt(0)
	v_pk_mul_f32 v[14:15], v[12:13], v[10:11] op_sel:[1,1] op_sel_hi:[0,1]
	v_pk_fma_f32 v[16:17], v[12:13], v[10:11], v[14:15] neg_lo:[0,0,1] neg_hi:[0,0,1]
	v_pk_fma_f32 v[10:11], v[12:13], v[10:11], v[14:15] op_sel_hi:[1,0,1]
	s_nop 0
	v_mov_b32_e32 v17, v11
	v_pk_add_f32 v[4:5], v[4:5], v[16:17]
	s_andn2_b64 exec, exec, s[4:5]
	s_cbranch_execnz .LBB24_105
; %bb.106:
	s_or_b64 exec, exec, s[4:5]
	v_mov_b32_e32 v3, 0
	ds_read_b64 v[8:9], v3 offset:184
	s_waitcnt lgkmcnt(0)
	v_pk_mul_f32 v[10:11], v[4:5], v[8:9] op_sel:[1,1] op_sel_hi:[0,1]
	v_pk_fma_f32 v[12:13], v[4:5], v[8:9], v[10:11] neg_lo:[0,0,1] neg_hi:[0,0,1]
	v_pk_fma_f32 v[4:5], v[4:5], v[8:9], v[10:11] op_sel_hi:[1,0,1]
	s_nop 0
	v_mov_b32_e32 v13, v5
	scratch_store_dwordx2 off, v[12:13], off offset:184
.LBB24_107:
	s_or_b64 exec, exec, s[0:1]
	; wave barrier
	scratch_load_dwordx2 v[4:5], off, off offset:192
	v_cmp_ne_u32_e32 vcc, 24, v0
	s_waitcnt vmcnt(0)
	ds_write_b64 v1, v[4:5]
	s_waitcnt lgkmcnt(0)
	; wave barrier
	s_and_saveexec_b64 s[0:1], vcc
	s_cbranch_execz .LBB24_111
; %bb.108:
	v_add_u32_e32 v1, 0xd0, v2
	v_mov_b32_e32 v4, v2
	v_mov_b32_e32 v2, 0
	s_mov_b64 s[4:5], 0
	v_mov_b32_e32 v3, v2
.LBB24_109:                             ; =>This Inner Loop Header: Depth=1
	scratch_load_dwordx2 v[8:9], v4, off
	ds_read_b64 v[10:11], v1
	v_add_u32_e32 v6, 1, v6
	v_cmp_lt_u32_e32 vcc, 22, v6
	v_add_u32_e32 v1, 8, v1
	v_add_u32_e32 v4, 8, v4
	s_or_b64 s[4:5], vcc, s[4:5]
	s_waitcnt vmcnt(0) lgkmcnt(0)
	v_pk_mul_f32 v[12:13], v[10:11], v[8:9] op_sel:[1,1] op_sel_hi:[0,1]
	v_pk_fma_f32 v[14:15], v[10:11], v[8:9], v[12:13] neg_lo:[0,0,1] neg_hi:[0,0,1]
	v_pk_fma_f32 v[8:9], v[10:11], v[8:9], v[12:13] op_sel_hi:[1,0,1]
	s_nop 0
	v_mov_b32_e32 v15, v9
	v_pk_add_f32 v[2:3], v[2:3], v[14:15]
	s_andn2_b64 exec, exec, s[4:5]
	s_cbranch_execnz .LBB24_109
; %bb.110:
	s_or_b64 exec, exec, s[4:5]
	v_mov_b32_e32 v1, 0
	ds_read_b64 v[4:5], v1 offset:192
	s_waitcnt lgkmcnt(0)
	v_pk_mul_f32 v[6:7], v[2:3], v[4:5] op_sel:[1,1] op_sel_hi:[0,1]
	v_pk_fma_f32 v[8:9], v[2:3], v[4:5], v[6:7] neg_lo:[0,0,1] neg_hi:[0,0,1]
	v_pk_fma_f32 v[2:3], v[2:3], v[4:5], v[6:7] op_sel_hi:[1,0,1]
	s_nop 0
	v_mov_b32_e32 v9, v3
	scratch_store_dwordx2 off, v[8:9], off offset:192
.LBB24_111:
	s_or_b64 exec, exec, s[0:1]
	s_mov_b64 s[4:5], -1
	; wave barrier
.LBB24_112:
	s_and_b64 vcc, exec, s[4:5]
	s_cbranch_vccz .LBB24_114
; %bb.113:
	s_lshl_b64 s[0:1], s[2:3], 2
	s_add_u32 s0, s6, s0
	s_addc_u32 s1, s7, s1
	v_mov_b32_e32 v1, 0
	global_load_dword v1, v1, s[0:1]
	s_waitcnt vmcnt(0)
	v_cmp_ne_u32_e32 vcc, 0, v1
	s_cbranch_vccz .LBB24_115
.LBB24_114:
	s_endpgm
.LBB24_115:
	v_mov_b32_e32 v1, 0xd0
	v_lshl_add_u32 v1, v0, 3, v1
	v_cmp_eq_u32_e32 vcc, 24, v0
	s_and_saveexec_b64 s[0:1], vcc
	s_cbranch_execz .LBB24_117
; %bb.116:
	scratch_load_dwordx2 v[2:3], off, off offset:184
	v_mov_b32_e32 v4, 0
	v_mov_b32_e32 v5, v4
	scratch_store_dwordx2 off, v[4:5], off offset:184
	s_waitcnt vmcnt(1)
	ds_write_b64 v1, v[2:3]
.LBB24_117:
	s_or_b64 exec, exec, s[0:1]
	s_waitcnt lgkmcnt(0)
	; wave barrier
	scratch_load_dwordx2 v[4:5], off, off offset:192
	scratch_load_dwordx2 v[6:7], off, off offset:184
	v_mov_b32_e32 v2, 0
	ds_read_b64 v[8:9], v2 offset:400
	v_cmp_lt_u32_e32 vcc, 22, v0
	s_waitcnt vmcnt(1) lgkmcnt(0)
	v_pk_mul_f32 v[10:11], v[8:9], v[4:5] op_sel:[1,1] op_sel_hi:[0,1]
	v_pk_fma_f32 v[12:13], v[8:9], v[4:5], v[10:11] neg_lo:[0,0,1] neg_hi:[0,0,1]
	v_pk_fma_f32 v[4:5], v[8:9], v[4:5], v[10:11] op_sel_hi:[1,0,1]
	s_nop 0
	v_mov_b32_e32 v13, v5
	v_pk_add_f32 v[4:5], v[12:13], 0 op_sel_hi:[1,0]
	s_waitcnt vmcnt(0)
	v_pk_add_f32 v[4:5], v[6:7], v[4:5] neg_lo:[0,1] neg_hi:[0,1]
	scratch_store_dwordx2 off, v[4:5], off offset:184
	s_and_saveexec_b64 s[0:1], vcc
	s_cbranch_execz .LBB24_119
; %bb.118:
	scratch_load_dwordx2 v[4:5], off, off offset:176
	v_mov_b32_e32 v3, v2
	scratch_store_dwordx2 off, v[2:3], off offset:176
	s_waitcnt vmcnt(1)
	ds_write_b64 v1, v[4:5]
.LBB24_119:
	s_or_b64 exec, exec, s[0:1]
	s_waitcnt lgkmcnt(0)
	; wave barrier
	scratch_load_dwordx4 v[4:7], off, off offset:184
	scratch_load_dwordx2 v[12:13], off, off offset:176
	ds_read2_b64 v[8:11], v2 offset0:49 offset1:50
	v_cmp_lt_u32_e32 vcc, 21, v0
	s_waitcnt vmcnt(1) lgkmcnt(0)
	v_pk_mul_f32 v[2:3], v[8:9], v[4:5] op_sel:[1,1] op_sel_hi:[0,1]
	v_mov_b32_e32 v14, v7
	v_pk_fma_f32 v[16:17], v[8:9], v[4:5], v[2:3] neg_lo:[0,0,1] neg_hi:[0,0,1]
	v_pk_fma_f32 v[2:3], v[8:9], v[4:5], v[2:3] op_sel_hi:[1,0,1]
	v_pk_mul_f32 v[4:5], v[10:11], v[14:15] op_sel:[1,0] op_sel_hi:[0,0]
	v_mov_b32_e32 v17, v3
	v_pk_fma_f32 v[2:3], v[10:11], v[6:7], v[4:5] neg_lo:[0,0,1] neg_hi:[0,0,1]
	v_pk_fma_f32 v[4:5], v[10:11], v[6:7], v[4:5] op_sel_hi:[1,0,1]
	v_pk_add_f32 v[6:7], v[16:17], 0 op_sel_hi:[1,0]
	v_mov_b32_e32 v3, v5
	v_pk_add_f32 v[2:3], v[6:7], v[2:3]
	s_waitcnt vmcnt(0)
	v_pk_add_f32 v[2:3], v[12:13], v[2:3] neg_lo:[0,1] neg_hi:[0,1]
	scratch_store_dwordx2 off, v[2:3], off offset:176
	s_and_saveexec_b64 s[0:1], vcc
	s_cbranch_execz .LBB24_121
; %bb.120:
	scratch_load_dwordx2 v[2:3], off, off offset:168
	v_mov_b32_e32 v4, 0
	v_mov_b32_e32 v5, v4
	scratch_store_dwordx2 off, v[4:5], off offset:168
	s_waitcnt vmcnt(1)
	ds_write_b64 v1, v[2:3]
.LBB24_121:
	s_or_b64 exec, exec, s[0:1]
	s_waitcnt lgkmcnt(0)
	; wave barrier
	scratch_load_dwordx4 v[4:7], off, off offset:176
	scratch_load_dwordx2 v[12:13], off, off offset:192
	scratch_load_dwordx2 v[14:15], off, off offset:168
	v_mov_b32_e32 v2, 0
	ds_read_b128 v[8:11], v2 offset:384
	ds_read_b64 v[16:17], v2 offset:400
	v_cmp_lt_u32_e32 vcc, 20, v0
	s_waitcnt vmcnt(2) lgkmcnt(1)
	v_pk_mul_f32 v[18:19], v[8:9], v[4:5] op_sel:[1,1] op_sel_hi:[0,1]
	v_mov_b32_e32 v20, v7
	v_pk_fma_f32 v[24:25], v[8:9], v[4:5], v[18:19] neg_lo:[0,0,1] neg_hi:[0,0,1]
	v_pk_fma_f32 v[4:5], v[8:9], v[4:5], v[18:19] op_sel_hi:[1,0,1]
	v_pk_mul_f32 v[8:9], v[10:11], v[20:21] op_sel:[1,0] op_sel_hi:[0,0]
	s_waitcnt vmcnt(1) lgkmcnt(0)
	v_pk_mul_f32 v[22:23], v[16:17], v[12:13] op_sel:[1,1] op_sel_hi:[0,1]
	v_mov_b32_e32 v25, v5
	v_pk_fma_f32 v[4:5], v[10:11], v[6:7], v[8:9] neg_lo:[0,0,1] neg_hi:[0,0,1]
	v_pk_fma_f32 v[6:7], v[10:11], v[6:7], v[8:9] op_sel_hi:[1,0,1]
	v_pk_fma_f32 v[18:19], v[16:17], v[12:13], v[22:23] neg_lo:[0,0,1] neg_hi:[0,0,1]
	v_pk_fma_f32 v[12:13], v[16:17], v[12:13], v[22:23] op_sel_hi:[1,0,1]
	v_pk_add_f32 v[8:9], v[24:25], 0 op_sel_hi:[1,0]
	v_mov_b32_e32 v5, v7
	v_mov_b32_e32 v19, v13
	v_pk_add_f32 v[4:5], v[8:9], v[4:5]
	s_nop 0
	v_pk_add_f32 v[4:5], v[4:5], v[18:19]
	s_waitcnt vmcnt(0)
	v_pk_add_f32 v[4:5], v[14:15], v[4:5] neg_lo:[0,1] neg_hi:[0,1]
	scratch_store_dwordx2 off, v[4:5], off offset:168
	s_and_saveexec_b64 s[0:1], vcc
	s_cbranch_execz .LBB24_123
; %bb.122:
	scratch_load_dwordx2 v[4:5], off, off offset:160
	v_mov_b32_e32 v3, v2
	scratch_store_dwordx2 off, v[2:3], off offset:160
	s_waitcnt vmcnt(1)
	ds_write_b64 v1, v[4:5]
.LBB24_123:
	s_or_b64 exec, exec, s[0:1]
	s_waitcnt lgkmcnt(0)
	; wave barrier
	scratch_load_dwordx4 v[4:7], off, off offset:168
	scratch_load_dwordx4 v[8:11], off, off offset:184
	scratch_load_dwordx2 v[20:21], off, off offset:160
	ds_read2_b64 v[12:15], v2 offset0:47 offset1:48
	ds_read2_b64 v[16:19], v2 offset0:49 offset1:50
	v_cmp_lt_u32_e32 vcc, 19, v0
	s_waitcnt vmcnt(2) lgkmcnt(1)
	v_pk_mul_f32 v[2:3], v[12:13], v[4:5] op_sel:[1,1] op_sel_hi:[0,1]
	v_mov_b32_e32 v22, v7
	s_waitcnt vmcnt(1) lgkmcnt(0)
	v_pk_mul_f32 v[24:25], v[16:17], v[8:9] op_sel:[1,1] op_sel_hi:[0,1]
	v_mov_b32_e32 v26, v11
	v_pk_fma_f32 v[28:29], v[12:13], v[4:5], v[2:3] neg_lo:[0,0,1] neg_hi:[0,0,1]
	v_pk_fma_f32 v[2:3], v[12:13], v[4:5], v[2:3] op_sel_hi:[1,0,1]
	v_pk_mul_f32 v[4:5], v[14:15], v[22:23] op_sel:[1,0] op_sel_hi:[0,0]
	v_pk_fma_f32 v[12:13], v[16:17], v[8:9], v[24:25] neg_lo:[0,0,1] neg_hi:[0,0,1]
	v_pk_fma_f32 v[8:9], v[16:17], v[8:9], v[24:25] op_sel_hi:[1,0,1]
	v_pk_mul_f32 v[16:17], v[18:19], v[26:27] op_sel:[1,0] op_sel_hi:[0,0]
	v_mov_b32_e32 v29, v3
	v_pk_fma_f32 v[2:3], v[14:15], v[6:7], v[4:5] neg_lo:[0,0,1] neg_hi:[0,0,1]
	v_pk_fma_f32 v[4:5], v[14:15], v[6:7], v[4:5] op_sel_hi:[1,0,1]
	v_mov_b32_e32 v13, v9
	v_pk_fma_f32 v[6:7], v[18:19], v[10:11], v[16:17] neg_lo:[0,0,1] neg_hi:[0,0,1]
	v_pk_fma_f32 v[8:9], v[18:19], v[10:11], v[16:17] op_sel_hi:[1,0,1]
	v_pk_add_f32 v[10:11], v[28:29], 0 op_sel_hi:[1,0]
	v_mov_b32_e32 v3, v5
	v_pk_add_f32 v[2:3], v[10:11], v[2:3]
	v_mov_b32_e32 v7, v9
	v_pk_add_f32 v[2:3], v[2:3], v[12:13]
	s_nop 0
	v_pk_add_f32 v[2:3], v[2:3], v[6:7]
	s_waitcnt vmcnt(0)
	v_pk_add_f32 v[2:3], v[20:21], v[2:3] neg_lo:[0,1] neg_hi:[0,1]
	scratch_store_dwordx2 off, v[2:3], off offset:160
	s_and_saveexec_b64 s[0:1], vcc
	s_cbranch_execz .LBB24_125
; %bb.124:
	scratch_load_dwordx2 v[2:3], off, off offset:152
	v_mov_b32_e32 v4, 0
	v_mov_b32_e32 v5, v4
	scratch_store_dwordx2 off, v[4:5], off offset:152
	s_waitcnt vmcnt(1)
	ds_write_b64 v1, v[2:3]
.LBB24_125:
	s_or_b64 exec, exec, s[0:1]
	s_waitcnt lgkmcnt(0)
	; wave barrier
	scratch_load_dwordx4 v[4:7], off, off offset:160
	scratch_load_dwordx4 v[8:11], off, off offset:176
	scratch_load_dwordx2 v[20:21], off, off offset:192
	scratch_load_dwordx2 v[22:23], off, off offset:152
	v_mov_b32_e32 v2, 0
	ds_read_b128 v[12:15], v2 offset:368
	ds_read_b128 v[16:19], v2 offset:384
	ds_read_b64 v[24:25], v2 offset:400
	v_cmp_lt_u32_e32 vcc, 18, v0
	s_waitcnt vmcnt(3) lgkmcnt(2)
	v_pk_mul_f32 v[26:27], v[12:13], v[4:5] op_sel:[1,1] op_sel_hi:[0,1]
	v_mov_b32_e32 v28, v7
	v_pk_fma_f32 v[86:87], v[12:13], v[4:5], v[26:27] neg_lo:[0,0,1] neg_hi:[0,0,1]
	v_pk_fma_f32 v[4:5], v[12:13], v[4:5], v[26:27] op_sel_hi:[1,0,1]
	v_pk_mul_f32 v[12:13], v[14:15], v[28:29] op_sel:[1,0] op_sel_hi:[0,0]
	s_waitcnt vmcnt(2) lgkmcnt(1)
	v_pk_mul_f32 v[30:31], v[16:17], v[8:9] op_sel:[1,1] op_sel_hi:[0,1]
	v_mov_b32_e32 v32, v11
	v_mov_b32_e32 v87, v5
	v_pk_fma_f32 v[4:5], v[14:15], v[6:7], v[12:13] neg_lo:[0,0,1] neg_hi:[0,0,1]
	v_pk_fma_f32 v[6:7], v[14:15], v[6:7], v[12:13] op_sel_hi:[1,0,1]
	v_pk_fma_f32 v[26:27], v[16:17], v[8:9], v[30:31] neg_lo:[0,0,1] neg_hi:[0,0,1]
	v_pk_fma_f32 v[8:9], v[16:17], v[8:9], v[30:31] op_sel_hi:[1,0,1]
	v_pk_mul_f32 v[16:17], v[18:19], v[32:33] op_sel:[1,0] op_sel_hi:[0,0]
	v_pk_add_f32 v[12:13], v[86:87], 0 op_sel_hi:[1,0]
	v_mov_b32_e32 v5, v7
	s_waitcnt vmcnt(1) lgkmcnt(0)
	v_pk_mul_f32 v[34:35], v[24:25], v[20:21] op_sel:[1,1] op_sel_hi:[0,1]
	v_mov_b32_e32 v27, v9
	v_pk_fma_f32 v[8:9], v[18:19], v[10:11], v[16:17] neg_lo:[0,0,1] neg_hi:[0,0,1]
	v_pk_fma_f32 v[10:11], v[18:19], v[10:11], v[16:17] op_sel_hi:[1,0,1]
	v_pk_add_f32 v[4:5], v[12:13], v[4:5]
	v_pk_fma_f32 v[28:29], v[24:25], v[20:21], v[34:35] neg_lo:[0,0,1] neg_hi:[0,0,1]
	v_pk_fma_f32 v[20:21], v[24:25], v[20:21], v[34:35] op_sel_hi:[1,0,1]
	v_mov_b32_e32 v9, v11
	v_pk_add_f32 v[4:5], v[4:5], v[26:27]
	v_mov_b32_e32 v29, v21
	v_pk_add_f32 v[4:5], v[4:5], v[8:9]
	s_nop 0
	v_pk_add_f32 v[4:5], v[4:5], v[28:29]
	s_waitcnt vmcnt(0)
	v_pk_add_f32 v[4:5], v[22:23], v[4:5] neg_lo:[0,1] neg_hi:[0,1]
	scratch_store_dwordx2 off, v[4:5], off offset:152
	s_and_saveexec_b64 s[0:1], vcc
	s_cbranch_execz .LBB24_127
; %bb.126:
	scratch_load_dwordx2 v[4:5], off, off offset:144
	v_mov_b32_e32 v3, v2
	scratch_store_dwordx2 off, v[2:3], off offset:144
	s_waitcnt vmcnt(1)
	ds_write_b64 v1, v[4:5]
.LBB24_127:
	s_or_b64 exec, exec, s[0:1]
	s_waitcnt lgkmcnt(0)
	; wave barrier
	scratch_load_dwordx4 v[4:7], off, off offset:152
	scratch_load_dwordx4 v[8:11], off, off offset:168
	;; [unrolled: 1-line block ×3, first 2 shown]
	scratch_load_dwordx2 v[28:29], off, off offset:144
	ds_read2_b64 v[16:19], v2 offset0:45 offset1:46
	ds_read2_b64 v[20:23], v2 offset0:47 offset1:48
	;; [unrolled: 1-line block ×3, first 2 shown]
	v_cmp_lt_u32_e32 vcc, 17, v0
	s_waitcnt vmcnt(3) lgkmcnt(2)
	v_pk_mul_f32 v[2:3], v[16:17], v[4:5] op_sel:[1,1] op_sel_hi:[0,1]
	v_mov_b32_e32 v30, v7
	s_waitcnt vmcnt(2) lgkmcnt(1)
	v_pk_mul_f32 v[32:33], v[20:21], v[8:9] op_sel:[1,1] op_sel_hi:[0,1]
	v_mov_b32_e32 v34, v11
	;; [unrolled: 3-line block ×3, first 2 shown]
	v_pk_fma_f32 v[90:91], v[16:17], v[4:5], v[2:3] neg_lo:[0,0,1] neg_hi:[0,0,1]
	v_pk_fma_f32 v[2:3], v[16:17], v[4:5], v[2:3] op_sel_hi:[1,0,1]
	v_pk_mul_f32 v[4:5], v[18:19], v[30:31] op_sel:[1,0] op_sel_hi:[0,0]
	v_pk_fma_f32 v[16:17], v[20:21], v[8:9], v[32:33] neg_lo:[0,0,1] neg_hi:[0,0,1]
	v_pk_fma_f32 v[8:9], v[20:21], v[8:9], v[32:33] op_sel_hi:[1,0,1]
	v_pk_mul_f32 v[20:21], v[22:23], v[34:35] op_sel:[1,0] op_sel_hi:[0,0]
	;; [unrolled: 3-line block ×3, first 2 shown]
	v_mov_b32_e32 v91, v3
	v_pk_fma_f32 v[2:3], v[18:19], v[6:7], v[4:5] neg_lo:[0,0,1] neg_hi:[0,0,1]
	v_pk_fma_f32 v[4:5], v[18:19], v[6:7], v[4:5] op_sel_hi:[1,0,1]
	v_mov_b32_e32 v17, v9
	v_pk_fma_f32 v[6:7], v[22:23], v[10:11], v[20:21] neg_lo:[0,0,1] neg_hi:[0,0,1]
	v_pk_fma_f32 v[8:9], v[22:23], v[10:11], v[20:21] op_sel_hi:[1,0,1]
	;; [unrolled: 3-line block ×3, first 2 shown]
	v_pk_add_f32 v[14:15], v[90:91], 0 op_sel_hi:[1,0]
	v_mov_b32_e32 v3, v5
	v_pk_add_f32 v[2:3], v[14:15], v[2:3]
	v_mov_b32_e32 v7, v9
	v_pk_add_f32 v[2:3], v[2:3], v[16:17]
	v_mov_b32_e32 v11, v13
	v_pk_add_f32 v[2:3], v[2:3], v[6:7]
	s_nop 0
	v_pk_add_f32 v[2:3], v[2:3], v[30:31]
	s_nop 0
	v_pk_add_f32 v[2:3], v[2:3], v[10:11]
	s_waitcnt vmcnt(0)
	v_pk_add_f32 v[2:3], v[28:29], v[2:3] neg_lo:[0,1] neg_hi:[0,1]
	scratch_store_dwordx2 off, v[2:3], off offset:144
	s_and_saveexec_b64 s[0:1], vcc
	s_cbranch_execz .LBB24_129
; %bb.128:
	scratch_load_dwordx2 v[2:3], off, off offset:136
	v_mov_b32_e32 v4, 0
	v_mov_b32_e32 v5, v4
	scratch_store_dwordx2 off, v[4:5], off offset:136
	s_waitcnt vmcnt(1)
	ds_write_b64 v1, v[2:3]
.LBB24_129:
	s_or_b64 exec, exec, s[0:1]
	s_waitcnt lgkmcnt(0)
	; wave barrier
	scratch_load_dwordx4 v[4:7], off, off offset:144
	scratch_load_dwordx4 v[8:11], off, off offset:160
	;; [unrolled: 1-line block ×3, first 2 shown]
	scratch_load_dwordx2 v[28:29], off, off offset:192
	scratch_load_dwordx2 v[30:31], off, off offset:136
	v_mov_b32_e32 v2, 0
	ds_read_b128 v[16:19], v2 offset:352
	ds_read_b128 v[20:23], v2 offset:368
	;; [unrolled: 1-line block ×3, first 2 shown]
	ds_read_b64 v[32:33], v2 offset:400
	v_cmp_lt_u32_e32 vcc, 16, v0
	s_waitcnt vmcnt(4) lgkmcnt(3)
	v_pk_mul_f32 v[34:35], v[16:17], v[4:5] op_sel:[1,1] op_sel_hi:[0,1]
	v_mov_b32_e32 v86, v7
	v_pk_fma_f32 v[98:99], v[16:17], v[4:5], v[34:35] neg_lo:[0,0,1] neg_hi:[0,0,1]
	v_pk_fma_f32 v[4:5], v[16:17], v[4:5], v[34:35] op_sel_hi:[1,0,1]
	v_pk_mul_f32 v[16:17], v[18:19], v[86:87] op_sel:[1,0] op_sel_hi:[0,0]
	s_waitcnt vmcnt(3) lgkmcnt(2)
	v_pk_mul_f32 v[88:89], v[20:21], v[8:9] op_sel:[1,1] op_sel_hi:[0,1]
	v_mov_b32_e32 v90, v11
	v_mov_b32_e32 v99, v5
	v_pk_fma_f32 v[4:5], v[18:19], v[6:7], v[16:17] neg_lo:[0,0,1] neg_hi:[0,0,1]
	v_pk_fma_f32 v[6:7], v[18:19], v[6:7], v[16:17] op_sel_hi:[1,0,1]
	v_pk_fma_f32 v[34:35], v[20:21], v[8:9], v[88:89] neg_lo:[0,0,1] neg_hi:[0,0,1]
	v_pk_fma_f32 v[8:9], v[20:21], v[8:9], v[88:89] op_sel_hi:[1,0,1]
	v_pk_mul_f32 v[20:21], v[22:23], v[90:91] op_sel:[1,0] op_sel_hi:[0,0]
	v_pk_add_f32 v[16:17], v[98:99], 0 op_sel_hi:[1,0]
	v_mov_b32_e32 v5, v7
	s_waitcnt vmcnt(2) lgkmcnt(1)
	v_pk_mul_f32 v[92:93], v[24:25], v[12:13] op_sel:[1,1] op_sel_hi:[0,1]
	v_mov_b32_e32 v94, v15
	v_mov_b32_e32 v35, v9
	v_pk_fma_f32 v[8:9], v[22:23], v[10:11], v[20:21] neg_lo:[0,0,1] neg_hi:[0,0,1]
	v_pk_fma_f32 v[10:11], v[22:23], v[10:11], v[20:21] op_sel_hi:[1,0,1]
	v_pk_add_f32 v[4:5], v[16:17], v[4:5]
	v_pk_fma_f32 v[86:87], v[24:25], v[12:13], v[92:93] neg_lo:[0,0,1] neg_hi:[0,0,1]
	v_pk_fma_f32 v[12:13], v[24:25], v[12:13], v[92:93] op_sel_hi:[1,0,1]
	v_pk_mul_f32 v[24:25], v[26:27], v[94:95] op_sel:[1,0] op_sel_hi:[0,0]
	v_mov_b32_e32 v9, v11
	v_pk_add_f32 v[4:5], v[4:5], v[34:35]
	s_waitcnt vmcnt(1) lgkmcnt(0)
	v_pk_mul_f32 v[96:97], v[32:33], v[28:29] op_sel:[1,1] op_sel_hi:[0,1]
	v_mov_b32_e32 v87, v13
	v_pk_fma_f32 v[12:13], v[26:27], v[14:15], v[24:25] neg_lo:[0,0,1] neg_hi:[0,0,1]
	v_pk_fma_f32 v[14:15], v[26:27], v[14:15], v[24:25] op_sel_hi:[1,0,1]
	v_pk_add_f32 v[4:5], v[4:5], v[8:9]
	v_pk_fma_f32 v[88:89], v[32:33], v[28:29], v[96:97] neg_lo:[0,0,1] neg_hi:[0,0,1]
	v_pk_fma_f32 v[28:29], v[32:33], v[28:29], v[96:97] op_sel_hi:[1,0,1]
	v_mov_b32_e32 v13, v15
	v_pk_add_f32 v[4:5], v[4:5], v[86:87]
	v_mov_b32_e32 v89, v29
	v_pk_add_f32 v[4:5], v[4:5], v[12:13]
	s_nop 0
	v_pk_add_f32 v[4:5], v[4:5], v[88:89]
	s_waitcnt vmcnt(0)
	v_pk_add_f32 v[4:5], v[30:31], v[4:5] neg_lo:[0,1] neg_hi:[0,1]
	scratch_store_dwordx2 off, v[4:5], off offset:136
	s_and_saveexec_b64 s[0:1], vcc
	s_cbranch_execz .LBB24_131
; %bb.130:
	scratch_load_dwordx2 v[4:5], off, off offset:128
	v_mov_b32_e32 v3, v2
	scratch_store_dwordx2 off, v[2:3], off offset:128
	s_waitcnt vmcnt(1)
	ds_write_b64 v1, v[4:5]
.LBB24_131:
	s_or_b64 exec, exec, s[0:1]
	s_waitcnt lgkmcnt(0)
	; wave barrier
	scratch_load_dwordx4 v[4:7], off, off offset:136
	scratch_load_dwordx4 v[8:11], off, off offset:152
	;; [unrolled: 1-line block ×4, first 2 shown]
	scratch_load_dwordx2 v[86:87], off, off offset:128
	ds_read2_b64 v[20:23], v2 offset0:43 offset1:44
	ds_read2_b64 v[24:27], v2 offset0:45 offset1:46
	;; [unrolled: 1-line block ×4, first 2 shown]
	v_cmp_lt_u32_e32 vcc, 15, v0
	s_waitcnt vmcnt(4) lgkmcnt(3)
	v_pk_mul_f32 v[2:3], v[20:21], v[4:5] op_sel:[1,1] op_sel_hi:[0,1]
	v_mov_b32_e32 v88, v7
	s_waitcnt vmcnt(3) lgkmcnt(2)
	v_pk_mul_f32 v[90:91], v[24:25], v[8:9] op_sel:[1,1] op_sel_hi:[0,1]
	v_mov_b32_e32 v92, v11
	;; [unrolled: 3-line block ×4, first 2 shown]
	v_pk_fma_f32 v[102:103], v[20:21], v[4:5], v[2:3] neg_lo:[0,0,1] neg_hi:[0,0,1]
	v_pk_fma_f32 v[2:3], v[20:21], v[4:5], v[2:3] op_sel_hi:[1,0,1]
	v_pk_mul_f32 v[4:5], v[22:23], v[88:89] op_sel:[1,0] op_sel_hi:[0,0]
	v_pk_fma_f32 v[20:21], v[24:25], v[8:9], v[90:91] neg_lo:[0,0,1] neg_hi:[0,0,1]
	v_pk_fma_f32 v[8:9], v[24:25], v[8:9], v[90:91] op_sel_hi:[1,0,1]
	v_pk_mul_f32 v[24:25], v[26:27], v[92:93] op_sel:[1,0] op_sel_hi:[0,0]
	;; [unrolled: 3-line block ×4, first 2 shown]
	v_mov_b32_e32 v103, v3
	v_pk_fma_f32 v[2:3], v[22:23], v[6:7], v[4:5] neg_lo:[0,0,1] neg_hi:[0,0,1]
	v_pk_fma_f32 v[4:5], v[22:23], v[6:7], v[4:5] op_sel_hi:[1,0,1]
	v_mov_b32_e32 v21, v9
	v_pk_fma_f32 v[6:7], v[26:27], v[10:11], v[24:25] neg_lo:[0,0,1] neg_hi:[0,0,1]
	v_pk_fma_f32 v[8:9], v[26:27], v[10:11], v[24:25] op_sel_hi:[1,0,1]
	;; [unrolled: 3-line block ×4, first 2 shown]
	v_pk_add_f32 v[18:19], v[102:103], 0 op_sel_hi:[1,0]
	v_mov_b32_e32 v3, v5
	v_pk_add_f32 v[2:3], v[18:19], v[2:3]
	v_mov_b32_e32 v7, v9
	v_pk_add_f32 v[2:3], v[2:3], v[20:21]
	;; [unrolled: 2-line block ×4, first 2 shown]
	s_nop 0
	v_pk_add_f32 v[2:3], v[2:3], v[10:11]
	s_nop 0
	v_pk_add_f32 v[2:3], v[2:3], v[90:91]
	s_nop 0
	v_pk_add_f32 v[2:3], v[2:3], v[14:15]
	s_waitcnt vmcnt(0)
	v_pk_add_f32 v[2:3], v[86:87], v[2:3] neg_lo:[0,1] neg_hi:[0,1]
	scratch_store_dwordx2 off, v[2:3], off offset:128
	s_and_saveexec_b64 s[0:1], vcc
	s_cbranch_execz .LBB24_133
; %bb.132:
	scratch_load_dwordx2 v[2:3], off, off offset:120
	v_mov_b32_e32 v4, 0
	v_mov_b32_e32 v5, v4
	scratch_store_dwordx2 off, v[4:5], off offset:120
	s_waitcnt vmcnt(1)
	ds_write_b64 v1, v[2:3]
.LBB24_133:
	s_or_b64 exec, exec, s[0:1]
	s_waitcnt lgkmcnt(0)
	; wave barrier
	scratch_load_dwordx4 v[4:7], off, off offset:128
	scratch_load_dwordx4 v[8:11], off, off offset:144
	;; [unrolled: 1-line block ×4, first 2 shown]
	scratch_load_dwordx2 v[86:87], off, off offset:192
	scratch_load_dwordx2 v[88:89], off, off offset:120
	v_mov_b32_e32 v2, 0
	ds_read_b128 v[20:23], v2 offset:336
	ds_read_b128 v[24:27], v2 offset:352
	;; [unrolled: 1-line block ×4, first 2 shown]
	ds_read_b64 v[90:91], v2 offset:400
	v_cmp_lt_u32_e32 vcc, 14, v0
	s_waitcnt vmcnt(5) lgkmcnt(4)
	v_mul_f32_e32 v93, v20, v5
	v_mul_f32_e32 v3, v21, v5
	v_mov_b32_e32 v94, v7
	s_waitcnt vmcnt(4) lgkmcnt(3)
	v_pk_mul_f32 v[96:97], v[24:25], v[8:9] op_sel:[1,1] op_sel_hi:[0,1]
	v_mov_b32_e32 v98, v11
	s_waitcnt vmcnt(1) lgkmcnt(0)
	v_pk_mul_f32 v[108:109], v[90:91], v[86:87] op_sel:[1,1] op_sel_hi:[0,1]
	v_fmac_f32_e32 v93, v21, v4
	v_fma_f32 v92, v20, v4, -v3
	v_pk_mul_f32 v[4:5], v[22:23], v[94:95] op_sel:[1,0] op_sel_hi:[0,0]
	v_pk_fma_f32 v[20:21], v[24:25], v[8:9], v[96:97] neg_lo:[0,0,1] neg_hi:[0,0,1]
	v_pk_fma_f32 v[8:9], v[24:25], v[8:9], v[96:97] op_sel_hi:[1,0,1]
	v_pk_mul_f32 v[24:25], v[26:27], v[98:99] op_sel:[1,0] op_sel_hi:[0,0]
	v_pk_fma_f32 v[98:99], v[90:91], v[86:87], v[108:109] neg_lo:[0,0,1] neg_hi:[0,0,1]
	v_pk_fma_f32 v[86:87], v[90:91], v[86:87], v[108:109] op_sel_hi:[1,0,1]
	v_pk_add_f32 v[90:91], v[92:93], 0 op_sel_hi:[1,0]
	v_pk_fma_f32 v[92:93], v[22:23], v[6:7], v[4:5] neg_lo:[0,0,1] neg_hi:[0,0,1]
	v_pk_fma_f32 v[4:5], v[22:23], v[6:7], v[4:5] op_sel_hi:[1,0,1]
	v_pk_mul_f32 v[100:101], v[28:29], v[12:13] op_sel:[1,1] op_sel_hi:[0,1]
	v_mov_b32_e32 v93, v5
	v_mov_b32_e32 v102, v15
	;; [unrolled: 1-line block ×3, first 2 shown]
	v_pk_fma_f32 v[6:7], v[26:27], v[10:11], v[24:25] neg_lo:[0,0,1] neg_hi:[0,0,1]
	v_pk_fma_f32 v[8:9], v[26:27], v[10:11], v[24:25] op_sel_hi:[1,0,1]
	v_pk_add_f32 v[4:5], v[90:91], v[92:93]
	v_pk_fma_f32 v[94:95], v[28:29], v[12:13], v[100:101] neg_lo:[0,0,1] neg_hi:[0,0,1]
	v_pk_fma_f32 v[12:13], v[28:29], v[12:13], v[100:101] op_sel_hi:[1,0,1]
	v_pk_mul_f32 v[28:29], v[30:31], v[102:103] op_sel:[1,0] op_sel_hi:[0,0]
	v_mov_b32_e32 v7, v9
	v_pk_add_f32 v[4:5], v[4:5], v[20:21]
	v_pk_mul_f32 v[104:105], v[32:33], v[16:17] op_sel:[1,1] op_sel_hi:[0,1]
	v_mov_b32_e32 v106, v19
	v_mov_b32_e32 v95, v13
	v_pk_fma_f32 v[10:11], v[30:31], v[14:15], v[28:29] neg_lo:[0,0,1] neg_hi:[0,0,1]
	v_pk_fma_f32 v[12:13], v[30:31], v[14:15], v[28:29] op_sel_hi:[1,0,1]
	v_pk_add_f32 v[4:5], v[4:5], v[6:7]
	v_pk_fma_f32 v[96:97], v[32:33], v[16:17], v[104:105] neg_lo:[0,0,1] neg_hi:[0,0,1]
	v_pk_fma_f32 v[16:17], v[32:33], v[16:17], v[104:105] op_sel_hi:[1,0,1]
	v_pk_mul_f32 v[32:33], v[34:35], v[106:107] op_sel:[1,0] op_sel_hi:[0,0]
	v_mov_b32_e32 v11, v13
	v_pk_add_f32 v[4:5], v[4:5], v[94:95]
	v_mov_b32_e32 v97, v17
	v_pk_fma_f32 v[14:15], v[34:35], v[18:19], v[32:33] neg_lo:[0,0,1] neg_hi:[0,0,1]
	v_pk_fma_f32 v[16:17], v[34:35], v[18:19], v[32:33] op_sel_hi:[1,0,1]
	v_pk_add_f32 v[4:5], v[4:5], v[10:11]
	v_mov_b32_e32 v15, v17
	v_pk_add_f32 v[4:5], v[4:5], v[96:97]
	v_mov_b32_e32 v99, v87
	v_pk_add_f32 v[4:5], v[4:5], v[14:15]
	s_nop 0
	v_pk_add_f32 v[4:5], v[4:5], v[98:99]
	s_waitcnt vmcnt(0)
	v_pk_add_f32 v[4:5], v[88:89], v[4:5] neg_lo:[0,1] neg_hi:[0,1]
	scratch_store_dwordx2 off, v[4:5], off offset:120
	s_and_saveexec_b64 s[0:1], vcc
	s_cbranch_execz .LBB24_135
; %bb.134:
	scratch_load_dwordx2 v[4:5], off, off offset:112
	v_mov_b32_e32 v3, v2
	scratch_store_dwordx2 off, v[2:3], off offset:112
	s_waitcnt vmcnt(1)
	ds_write_b64 v1, v[4:5]
.LBB24_135:
	s_or_b64 exec, exec, s[0:1]
	s_waitcnt lgkmcnt(0)
	; wave barrier
	scratch_load_dwordx4 v[4:7], off, off offset:120
	scratch_load_dwordx4 v[8:11], off, off offset:136
	scratch_load_dwordx4 v[12:15], off, off offset:152
	scratch_load_dwordx4 v[16:19], off, off offset:168
	scratch_load_dwordx4 v[20:23], off, off offset:184
	scratch_load_dwordx2 v[94:95], off, off offset:112
	ds_read2_b64 v[24:27], v2 offset0:41 offset1:42
	ds_read2_b64 v[28:31], v2 offset0:43 offset1:44
	;; [unrolled: 1-line block ×5, first 2 shown]
	v_cmp_lt_u32_e32 vcc, 13, v0
	s_waitcnt vmcnt(5) lgkmcnt(4)
	v_mul_f32_e32 v3, v24, v5
	v_mul_f32_e32 v2, v25, v5
	;; [unrolled: 1-line block ×4, first 2 shown]
	s_waitcnt vmcnt(4) lgkmcnt(3)
	v_pk_mul_f32 v[98:99], v[28:29], v[8:9] op_sel:[1,1] op_sel_hi:[0,1]
	v_mov_b32_e32 v100, v11
	v_fmac_f32_e32 v3, v25, v4
	v_fma_f32 v2, v24, v4, -v2
	v_fmac_f32_e32 v97, v27, v6
	v_fma_f32 v96, v26, v6, -v5
	v_pk_fma_f32 v[4:5], v[28:29], v[8:9], v[98:99] neg_lo:[0,0,1] neg_hi:[0,0,1]
	v_pk_fma_f32 v[6:7], v[28:29], v[8:9], v[98:99] op_sel_hi:[1,0,1]
	v_pk_mul_f32 v[8:9], v[30:31], v[100:101] op_sel:[1,0] op_sel_hi:[0,0]
	v_pk_add_f32 v[2:3], v[2:3], 0 op_sel_hi:[1,0]
	s_waitcnt vmcnt(3) lgkmcnt(2)
	v_pk_mul_f32 v[102:103], v[32:33], v[12:13] op_sel:[1,1] op_sel_hi:[0,1]
	v_mov_b32_e32 v104, v15
	v_mov_b32_e32 v5, v7
	v_pk_fma_f32 v[6:7], v[30:31], v[10:11], v[8:9] neg_lo:[0,0,1] neg_hi:[0,0,1]
	v_pk_fma_f32 v[8:9], v[30:31], v[10:11], v[8:9] op_sel_hi:[1,0,1]
	v_pk_add_f32 v[2:3], v[2:3], v[96:97]
	v_pk_fma_f32 v[24:25], v[32:33], v[12:13], v[102:103] neg_lo:[0,0,1] neg_hi:[0,0,1]
	v_pk_fma_f32 v[12:13], v[32:33], v[12:13], v[102:103] op_sel_hi:[1,0,1]
	v_pk_mul_f32 v[26:27], v[34:35], v[104:105] op_sel:[1,0] op_sel_hi:[0,0]
	v_mov_b32_e32 v7, v9
	v_pk_add_f32 v[2:3], v[2:3], v[4:5]
	s_waitcnt vmcnt(2) lgkmcnt(1)
	v_pk_mul_f32 v[106:107], v[86:87], v[16:17] op_sel:[1,1] op_sel_hi:[0,1]
	v_mov_b32_e32 v108, v19
	v_mov_b32_e32 v25, v13
	v_pk_fma_f32 v[10:11], v[34:35], v[14:15], v[26:27] neg_lo:[0,0,1] neg_hi:[0,0,1]
	v_pk_fma_f32 v[12:13], v[34:35], v[14:15], v[26:27] op_sel_hi:[1,0,1]
	v_pk_add_f32 v[2:3], v[2:3], v[6:7]
	v_pk_fma_f32 v[28:29], v[86:87], v[16:17], v[106:107] neg_lo:[0,0,1] neg_hi:[0,0,1]
	v_pk_fma_f32 v[16:17], v[86:87], v[16:17], v[106:107] op_sel_hi:[1,0,1]
	v_pk_mul_f32 v[32:33], v[88:89], v[108:109] op_sel:[1,0] op_sel_hi:[0,0]
	v_mov_b32_e32 v11, v13
	v_pk_add_f32 v[2:3], v[2:3], v[24:25]
	;; [unrolled: 12-line block ×3, first 2 shown]
	v_mov_b32_e32 v87, v21
	v_pk_fma_f32 v[18:19], v[92:93], v[22:23], v[90:91] neg_lo:[0,0,1] neg_hi:[0,0,1]
	v_pk_fma_f32 v[20:21], v[92:93], v[22:23], v[90:91] op_sel_hi:[1,0,1]
	v_pk_add_f32 v[2:3], v[2:3], v[14:15]
	v_mov_b32_e32 v19, v21
	v_pk_add_f32 v[2:3], v[2:3], v[86:87]
	s_nop 0
	v_pk_add_f32 v[2:3], v[2:3], v[18:19]
	s_waitcnt vmcnt(0)
	v_pk_add_f32 v[2:3], v[94:95], v[2:3] neg_lo:[0,1] neg_hi:[0,1]
	scratch_store_dwordx2 off, v[2:3], off offset:112
	s_and_saveexec_b64 s[0:1], vcc
	s_cbranch_execz .LBB24_137
; %bb.136:
	scratch_load_dwordx2 v[2:3], off, off offset:104
	v_mov_b32_e32 v4, 0
	v_mov_b32_e32 v5, v4
	scratch_store_dwordx2 off, v[4:5], off offset:104
	s_waitcnt vmcnt(1)
	ds_write_b64 v1, v[2:3]
.LBB24_137:
	s_or_b64 exec, exec, s[0:1]
	s_waitcnt lgkmcnt(0)
	; wave barrier
	scratch_load_dwordx4 v[4:7], off, off offset:112
	scratch_load_dwordx4 v[8:11], off, off offset:128
	;; [unrolled: 1-line block ×5, first 2 shown]
	scratch_load_dwordx2 v[94:95], off, off offset:192
	scratch_load_dwordx2 v[96:97], off, off offset:104
	v_mov_b32_e32 v2, 0
	ds_read_b128 v[24:27], v2 offset:320
	ds_read_b128 v[28:31], v2 offset:336
	;; [unrolled: 1-line block ×5, first 2 shown]
	ds_read_b64 v[98:99], v2 offset:400
	v_cmp_lt_u32_e32 vcc, 12, v0
	s_waitcnt vmcnt(6) lgkmcnt(5)
	v_mul_f32_e32 v3, v24, v5
	v_mul_f32_e32 v5, v25, v5
	;; [unrolled: 1-line block ×3, first 2 shown]
	s_waitcnt vmcnt(5) lgkmcnt(4)
	v_mul_f32_e32 v103, v28, v9
	v_mul_f32_e32 v7, v27, v7
	;; [unrolled: 1-line block ×3, first 2 shown]
	v_mov_b32_e32 v104, v11
	s_waitcnt vmcnt(3) lgkmcnt(2)
	v_pk_mul_f32 v[110:111], v[86:87], v[16:17] op_sel:[1,1] op_sel_hi:[0,1]
	s_waitcnt vmcnt(2) lgkmcnt(1)
	v_pk_mul_f32 v[114:115], v[90:91], v[20:21] op_sel:[1,1] op_sel_hi:[0,1]
	;; [unrolled: 2-line block ×3, first 2 shown]
	v_fmac_f32_e32 v3, v25, v4
	v_fma_f32 v105, v24, v4, -v5
	v_fmac_f32_e32 v101, v27, v6
	v_fmac_f32_e32 v103, v29, v8
	v_fma_f32 v100, v26, v6, -v7
	v_fma_f32 v102, v28, v8, -v9
	v_pk_mul_f32 v[4:5], v[30:31], v[104:105] op_sel:[1,0] op_sel_hi:[0,0]
	v_pk_fma_f32 v[24:25], v[86:87], v[16:17], v[110:111] neg_lo:[0,0,1] neg_hi:[0,0,1]
	v_pk_fma_f32 v[16:17], v[86:87], v[16:17], v[110:111] op_sel_hi:[1,0,1]
	v_pk_fma_f32 v[28:29], v[90:91], v[20:21], v[114:115] neg_lo:[0,0,1] neg_hi:[0,0,1]
	v_pk_fma_f32 v[20:21], v[90:91], v[20:21], v[114:115] op_sel_hi:[1,0,1]
	;; [unrolled: 2-line block ×3, first 2 shown]
	v_add_f32_e32 v95, 0, v3
	v_add_f32_e32 v94, 0, v105
	v_pk_mul_f32 v[106:107], v[32:33], v[12:13] op_sel:[1,1] op_sel_hi:[0,1]
	v_mov_b32_e32 v108, v15
	v_pk_fma_f32 v[98:99], v[30:31], v[10:11], v[4:5] neg_lo:[0,0,1] neg_hi:[0,0,1]
	v_pk_fma_f32 v[4:5], v[30:31], v[10:11], v[4:5] op_sel_hi:[1,0,1]
	v_mov_b32_e32 v29, v21
	v_pk_add_f32 v[20:21], v[94:95], v[100:101]
	v_pk_fma_f32 v[6:7], v[32:33], v[12:13], v[106:107] neg_lo:[0,0,1] neg_hi:[0,0,1]
	v_pk_fma_f32 v[8:9], v[32:33], v[12:13], v[106:107] op_sel_hi:[1,0,1]
	v_pk_mul_f32 v[12:13], v[34:35], v[108:109] op_sel:[1,0] op_sel_hi:[0,0]
	v_mov_b32_e32 v99, v5
	v_pk_add_f32 v[4:5], v[20:21], v[102:103]
	v_mov_b32_e32 v112, v19
	v_mov_b32_e32 v7, v9
	v_pk_fma_f32 v[8:9], v[34:35], v[14:15], v[12:13] neg_lo:[0,0,1] neg_hi:[0,0,1]
	v_pk_fma_f32 v[10:11], v[34:35], v[14:15], v[12:13] op_sel_hi:[1,0,1]
	v_pk_add_f32 v[4:5], v[4:5], v[98:99]
	v_pk_mul_f32 v[26:27], v[88:89], v[112:113] op_sel:[1,0] op_sel_hi:[0,0]
	v_mov_b32_e32 v9, v11
	v_pk_add_f32 v[4:5], v[4:5], v[6:7]
	v_mov_b32_e32 v116, v23
	v_mov_b32_e32 v25, v17
	v_pk_fma_f32 v[12:13], v[88:89], v[18:19], v[26:27] neg_lo:[0,0,1] neg_hi:[0,0,1]
	v_pk_fma_f32 v[14:15], v[88:89], v[18:19], v[26:27] op_sel_hi:[1,0,1]
	v_pk_add_f32 v[4:5], v[4:5], v[8:9]
	v_pk_mul_f32 v[32:33], v[92:93], v[116:117] op_sel:[1,0] op_sel_hi:[0,0]
	v_mov_b32_e32 v13, v15
	v_pk_add_f32 v[4:5], v[4:5], v[24:25]
	v_pk_fma_f32 v[16:17], v[92:93], v[22:23], v[32:33] neg_lo:[0,0,1] neg_hi:[0,0,1]
	v_pk_fma_f32 v[18:19], v[92:93], v[22:23], v[32:33] op_sel_hi:[1,0,1]
	v_pk_add_f32 v[4:5], v[4:5], v[12:13]
	v_mov_b32_e32 v17, v19
	v_pk_add_f32 v[4:5], v[4:5], v[28:29]
	v_mov_b32_e32 v87, v91
	v_pk_add_f32 v[4:5], v[4:5], v[16:17]
	s_nop 0
	v_pk_add_f32 v[4:5], v[4:5], v[86:87]
	s_waitcnt vmcnt(0)
	v_pk_add_f32 v[4:5], v[96:97], v[4:5] neg_lo:[0,1] neg_hi:[0,1]
	scratch_store_dwordx2 off, v[4:5], off offset:104
	s_and_saveexec_b64 s[0:1], vcc
	s_cbranch_execz .LBB24_139
; %bb.138:
	scratch_load_dwordx2 v[4:5], off, off offset:96
	v_mov_b32_e32 v3, v2
	scratch_store_dwordx2 off, v[2:3], off offset:96
	s_waitcnt vmcnt(1)
	ds_write_b64 v1, v[4:5]
.LBB24_139:
	s_or_b64 exec, exec, s[0:1]
	s_waitcnt lgkmcnt(0)
	; wave barrier
	scratch_load_dwordx4 v[4:7], off, off offset:104
	scratch_load_dwordx4 v[8:11], off, off offset:120
	;; [unrolled: 1-line block ×6, first 2 shown]
	scratch_load_dwordx2 v[102:103], off, off offset:96
	ds_read2_b64 v[28:31], v2 offset0:39 offset1:40
	ds_read2_b64 v[32:35], v2 offset0:41 offset1:42
	;; [unrolled: 1-line block ×6, first 2 shown]
	v_cmp_lt_u32_e32 vcc, 11, v0
	s_waitcnt vmcnt(6) lgkmcnt(5)
	v_mul_f32_e32 v109, v28, v5
	v_mul_f32_e32 v113, v30, v7
	s_waitcnt vmcnt(5) lgkmcnt(4)
	v_mul_f32_e32 v3, v32, v9
	v_mul_f32_e32 v2, v29, v5
	;; [unrolled: 1-line block ×4, first 2 shown]
	s_waitcnt vmcnt(1) lgkmcnt(0)
	v_pk_mul_f32 v[118:119], v[98:99], v[24:25] op_sel:[1,1] op_sel_hi:[0,1]
	v_pk_mul_f32 v[106:107], v[86:87], v[12:13] op_sel:[1,1] op_sel_hi:[0,1]
	v_fmac_f32_e32 v109, v29, v4
	v_fmac_f32_e32 v3, v33, v8
	v_fma_f32 v117, v28, v4, -v2
	v_fma_f32 v2, v32, v8, -v7
	v_pk_fma_f32 v[32:33], v[98:99], v[24:25], v[118:119] neg_lo:[0,0,1] neg_hi:[0,0,1]
	v_pk_fma_f32 v[24:25], v[98:99], v[24:25], v[118:119] op_sel_hi:[1,0,1]
	v_fmac_f32_e32 v113, v31, v6
	v_fma_f32 v121, v30, v6, -v5
	v_pk_fma_f32 v[4:5], v[86:87], v[12:13], v[106:107] neg_lo:[0,0,1] neg_hi:[0,0,1]
	v_pk_fma_f32 v[6:7], v[86:87], v[12:13], v[106:107] op_sel_hi:[1,0,1]
	v_add_f32_e32 v24, 0, v109
	v_add_f32_e32 v86, 0, v117
	v_mul_f32_e32 v105, v34, v11
	v_mul_f32_e32 v9, v35, v11
	v_mov_b32_e32 v108, v15
	v_mov_b32_e32 v33, v25
	v_add_f32_e32 v25, v24, v113
	v_add_f32_e32 v24, v86, v121
	v_fmac_f32_e32 v105, v35, v10
	v_fma_f32 v104, v34, v10, -v9
	v_pk_mul_f32 v[8:9], v[88:89], v[108:109] op_sel:[1,0] op_sel_hi:[0,0]
	v_pk_add_f32 v[2:3], v[24:25], v[2:3]
	v_pk_mul_f32 v[110:111], v[90:91], v[16:17] op_sel:[1,1] op_sel_hi:[0,1]
	v_mov_b32_e32 v112, v19
	v_mov_b32_e32 v5, v7
	v_pk_fma_f32 v[6:7], v[88:89], v[14:15], v[8:9] neg_lo:[0,0,1] neg_hi:[0,0,1]
	v_pk_fma_f32 v[8:9], v[88:89], v[14:15], v[8:9] op_sel_hi:[1,0,1]
	v_pk_add_f32 v[2:3], v[2:3], v[104:105]
	v_pk_fma_f32 v[10:11], v[90:91], v[16:17], v[110:111] neg_lo:[0,0,1] neg_hi:[0,0,1]
	v_pk_fma_f32 v[12:13], v[90:91], v[16:17], v[110:111] op_sel_hi:[1,0,1]
	v_pk_mul_f32 v[16:17], v[92:93], v[112:113] op_sel:[1,0] op_sel_hi:[0,0]
	v_mov_b32_e32 v7, v9
	v_pk_add_f32 v[2:3], v[2:3], v[4:5]
	v_pk_mul_f32 v[114:115], v[94:95], v[20:21] op_sel:[1,1] op_sel_hi:[0,1]
	v_mov_b32_e32 v116, v23
	v_mov_b32_e32 v11, v13
	v_pk_fma_f32 v[12:13], v[92:93], v[18:19], v[16:17] neg_lo:[0,0,1] neg_hi:[0,0,1]
	v_pk_fma_f32 v[14:15], v[92:93], v[18:19], v[16:17] op_sel_hi:[1,0,1]
	v_pk_add_f32 v[2:3], v[2:3], v[6:7]
	v_pk_fma_f32 v[28:29], v[94:95], v[20:21], v[114:115] neg_lo:[0,0,1] neg_hi:[0,0,1]
	v_pk_fma_f32 v[20:21], v[94:95], v[20:21], v[114:115] op_sel_hi:[1,0,1]
	v_pk_mul_f32 v[30:31], v[96:97], v[116:117] op_sel:[1,0] op_sel_hi:[0,0]
	v_mov_b32_e32 v13, v15
	v_pk_add_f32 v[2:3], v[2:3], v[10:11]
	v_mov_b32_e32 v120, v27
	v_mov_b32_e32 v29, v21
	v_pk_fma_f32 v[16:17], v[96:97], v[22:23], v[30:31] neg_lo:[0,0,1] neg_hi:[0,0,1]
	v_pk_fma_f32 v[18:19], v[96:97], v[22:23], v[30:31] op_sel_hi:[1,0,1]
	v_pk_add_f32 v[2:3], v[2:3], v[12:13]
	v_pk_mul_f32 v[34:35], v[100:101], v[120:121] op_sel:[1,0] op_sel_hi:[0,0]
	v_mov_b32_e32 v17, v19
	v_pk_add_f32 v[2:3], v[2:3], v[28:29]
	v_pk_fma_f32 v[20:21], v[100:101], v[26:27], v[34:35] neg_lo:[0,0,1] neg_hi:[0,0,1]
	v_pk_fma_f32 v[22:23], v[100:101], v[26:27], v[34:35] op_sel_hi:[1,0,1]
	v_pk_add_f32 v[2:3], v[2:3], v[16:17]
	v_mov_b32_e32 v21, v23
	v_pk_add_f32 v[2:3], v[2:3], v[32:33]
	s_nop 0
	v_pk_add_f32 v[2:3], v[2:3], v[20:21]
	s_waitcnt vmcnt(0)
	v_pk_add_f32 v[2:3], v[102:103], v[2:3] neg_lo:[0,1] neg_hi:[0,1]
	scratch_store_dwordx2 off, v[2:3], off offset:96
	s_and_saveexec_b64 s[0:1], vcc
	s_cbranch_execz .LBB24_141
; %bb.140:
	scratch_load_dwordx2 v[2:3], off, off offset:88
	v_mov_b32_e32 v4, 0
	v_mov_b32_e32 v5, v4
	scratch_store_dwordx2 off, v[4:5], off offset:88
	s_waitcnt vmcnt(1)
	ds_write_b64 v1, v[2:3]
.LBB24_141:
	s_or_b64 exec, exec, s[0:1]
	s_waitcnt lgkmcnt(0)
	; wave barrier
	scratch_load_dwordx4 v[4:7], off, off offset:96
	scratch_load_dwordx4 v[8:11], off, off offset:112
	;; [unrolled: 1-line block ×6, first 2 shown]
	scratch_load_dwordx2 v[102:103], off, off offset:192
	scratch_load_dwordx2 v[104:105], off, off offset:88
	v_mov_b32_e32 v2, 0
	ds_read_b128 v[28:31], v2 offset:304
	ds_read_b128 v[32:35], v2 offset:320
	;; [unrolled: 1-line block ×6, first 2 shown]
	ds_read_b64 v[106:107], v2 offset:400
	v_cmp_lt_u32_e32 vcc, 10, v0
	s_waitcnt vmcnt(7) lgkmcnt(6)
	v_mul_f32_e32 v113, v30, v7
	v_mul_f32_e32 v3, v28, v5
	s_waitcnt vmcnt(5) lgkmcnt(4)
	v_mul_f32_e32 v111, v86, v13
	v_mul_f32_e32 v5, v29, v5
	v_mov_b32_e32 v112, v15
	s_waitcnt vmcnt(2) lgkmcnt(1)
	v_pk_mul_f32 v[122:123], v[98:99], v[24:25] op_sel:[1,1] op_sel_hi:[0,1]
	v_fmac_f32_e32 v113, v31, v6
	v_mul_f32_e32 v7, v31, v7
	v_mul_f32_e32 v13, v87, v13
	v_fmac_f32_e32 v3, v29, v4
	v_fmac_f32_e32 v111, v87, v12
	v_fma_f32 v87, v28, v4, -v5
	v_pk_mul_f32 v[4:5], v[88:89], v[112:113] op_sel:[1,0] op_sel_hi:[0,0]
	v_pk_fma_f32 v[28:29], v[98:99], v[24:25], v[122:123] neg_lo:[0,0,1] neg_hi:[0,0,1]
	v_pk_fma_f32 v[24:25], v[98:99], v[24:25], v[122:123] op_sel_hi:[1,0,1]
	v_mul_f32_e32 v117, v32, v9
	v_mul_f32_e32 v9, v33, v9
	v_fma_f32 v121, v30, v6, -v7
	v_fma_f32 v110, v86, v12, -v13
	v_add_f32_e32 v3, 0, v3
	v_add_f32_e32 v24, 0, v87
	v_pk_fma_f32 v[86:87], v[88:89], v[14:15], v[4:5] neg_lo:[0,0,1] neg_hi:[0,0,1]
	v_pk_fma_f32 v[4:5], v[88:89], v[14:15], v[4:5] op_sel_hi:[1,0,1]
	v_mul_f32_e32 v109, v34, v11
	v_mul_f32_e32 v11, v35, v11
	v_fmac_f32_e32 v117, v33, v8
	v_fma_f32 v125, v32, v8, -v9
	v_add_f32_e32 v3, v3, v113
	v_add_f32_e32 v4, v24, v121
	v_fmac_f32_e32 v109, v35, v10
	v_fma_f32 v108, v34, v10, -v11
	v_mov_b32_e32 v87, v5
	v_add_f32_e32 v5, v3, v117
	v_add_f32_e32 v4, v4, v125
	v_pk_mul_f32 v[114:115], v[90:91], v[16:17] op_sel:[1,1] op_sel_hi:[0,1]
	v_mov_b32_e32 v116, v19
	v_pk_add_f32 v[4:5], v[4:5], v[108:109]
	v_pk_fma_f32 v[6:7], v[90:91], v[16:17], v[114:115] neg_lo:[0,0,1] neg_hi:[0,0,1]
	v_pk_fma_f32 v[8:9], v[90:91], v[16:17], v[114:115] op_sel_hi:[1,0,1]
	v_pk_mul_f32 v[10:11], v[92:93], v[116:117] op_sel:[1,0] op_sel_hi:[0,0]
	v_pk_add_f32 v[4:5], v[4:5], v[110:111]
	v_pk_mul_f32 v[118:119], v[94:95], v[20:21] op_sel:[1,1] op_sel_hi:[0,1]
	v_mov_b32_e32 v120, v23
	v_mov_b32_e32 v7, v9
	v_pk_fma_f32 v[8:9], v[92:93], v[18:19], v[10:11] neg_lo:[0,0,1] neg_hi:[0,0,1]
	v_pk_fma_f32 v[10:11], v[92:93], v[18:19], v[10:11] op_sel_hi:[1,0,1]
	v_pk_add_f32 v[4:5], v[4:5], v[86:87]
	v_pk_fma_f32 v[12:13], v[94:95], v[20:21], v[118:119] neg_lo:[0,0,1] neg_hi:[0,0,1]
	v_pk_fma_f32 v[16:17], v[94:95], v[20:21], v[118:119] op_sel_hi:[1,0,1]
	v_pk_mul_f32 v[20:21], v[96:97], v[120:121] op_sel:[1,0] op_sel_hi:[0,0]
	v_mov_b32_e32 v9, v11
	v_pk_add_f32 v[4:5], v[4:5], v[6:7]
	v_mov_b32_e32 v124, v27
	v_mov_b32_e32 v13, v17
	v_pk_fma_f32 v[14:15], v[96:97], v[22:23], v[20:21] neg_lo:[0,0,1] neg_hi:[0,0,1]
	v_pk_fma_f32 v[16:17], v[96:97], v[22:23], v[20:21] op_sel_hi:[1,0,1]
	v_pk_add_f32 v[4:5], v[4:5], v[8:9]
	v_pk_mul_f32 v[30:31], v[100:101], v[124:125] op_sel:[1,0] op_sel_hi:[0,0]
	v_mov_b32_e32 v15, v17
	v_pk_add_f32 v[4:5], v[4:5], v[12:13]
	s_waitcnt vmcnt(1) lgkmcnt(0)
	v_pk_mul_f32 v[126:127], v[106:107], v[102:103] op_sel:[1,1] op_sel_hi:[0,1]
	v_mov_b32_e32 v29, v25
	v_pk_fma_f32 v[18:19], v[100:101], v[26:27], v[30:31] neg_lo:[0,0,1] neg_hi:[0,0,1]
	v_pk_fma_f32 v[20:21], v[100:101], v[26:27], v[30:31] op_sel_hi:[1,0,1]
	v_pk_add_f32 v[4:5], v[4:5], v[14:15]
	v_pk_fma_f32 v[32:33], v[106:107], v[102:103], v[126:127] neg_lo:[0,0,1] neg_hi:[0,0,1]
	v_pk_fma_f32 v[34:35], v[106:107], v[102:103], v[126:127] op_sel_hi:[1,0,1]
	v_mov_b32_e32 v19, v21
	v_pk_add_f32 v[4:5], v[4:5], v[28:29]
	v_mov_b32_e32 v33, v35
	v_pk_add_f32 v[4:5], v[4:5], v[18:19]
	s_nop 0
	v_pk_add_f32 v[4:5], v[4:5], v[32:33]
	s_waitcnt vmcnt(0)
	v_pk_add_f32 v[4:5], v[104:105], v[4:5] neg_lo:[0,1] neg_hi:[0,1]
	scratch_store_dwordx2 off, v[4:5], off offset:88
	s_and_saveexec_b64 s[0:1], vcc
	s_cbranch_execz .LBB24_143
; %bb.142:
	scratch_load_dwordx2 v[4:5], off, off offset:80
	v_mov_b32_e32 v3, v2
	scratch_store_dwordx2 off, v[2:3], off offset:80
	s_waitcnt vmcnt(1)
	ds_write_b64 v1, v[4:5]
.LBB24_143:
	s_or_b64 exec, exec, s[0:1]
	s_waitcnt lgkmcnt(0)
	; wave barrier
	scratch_load_dwordx4 v[4:7], off, off offset:88
	scratch_load_dwordx4 v[8:11], off, off offset:104
	;; [unrolled: 1-line block ×7, first 2 shown]
	ds_read2_b64 v[32:35], v2 offset0:37 offset1:38
	ds_read2_b64 v[86:89], v2 offset0:39 offset1:40
	;; [unrolled: 1-line block ×6, first 2 shown]
	scratch_load_dwordx2 v[110:111], off, off offset:80
	ds_read2_b64 v[106:109], v2 offset0:49 offset1:50
	v_cmp_lt_u32_e32 vcc, 9, v0
	s_waitcnt vmcnt(7) lgkmcnt(6)
	v_mul_f32_e32 v117, v32, v5
	v_mul_f32_e32 v121, v34, v7
	s_waitcnt vmcnt(6) lgkmcnt(5)
	v_mul_f32_e32 v125, v86, v9
	v_mul_f32_e32 v129, v88, v11
	;; [unrolled: 3-line block ×3, first 2 shown]
	v_mul_f32_e32 v2, v33, v5
	v_mul_f32_e32 v5, v35, v7
	;; [unrolled: 1-line block ×6, first 2 shown]
	s_waitcnt vmcnt(4) lgkmcnt(3)
	v_pk_mul_f32 v[114:115], v[94:95], v[16:17] op_sel:[1,1] op_sel_hi:[0,1]
	v_mov_b32_e32 v116, v19
	s_waitcnt vmcnt(3) lgkmcnt(2)
	v_pk_mul_f32 v[118:119], v[98:99], v[20:21] op_sel:[1,1] op_sel_hi:[0,1]
	v_mov_b32_e32 v120, v23
	s_waitcnt vmcnt(1) lgkmcnt(0)
	v_pk_mul_f32 v[126:127], v[106:107], v[28:29] op_sel:[1,1] op_sel_hi:[0,1]
	v_fmac_f32_e32 v117, v33, v4
	v_fmac_f32_e32 v121, v35, v6
	;; [unrolled: 1-line block ×6, first 2 shown]
	v_fma_f32 v87, v32, v4, -v2
	v_fma_f32 v89, v34, v6, -v5
	;; [unrolled: 1-line block ×6, first 2 shown]
	v_pk_fma_f32 v[4:5], v[94:95], v[16:17], v[114:115] neg_lo:[0,0,1] neg_hi:[0,0,1]
	v_pk_fma_f32 v[6:7], v[94:95], v[16:17], v[114:115] op_sel_hi:[1,0,1]
	v_pk_mul_f32 v[8:9], v[96:97], v[116:117] op_sel:[1,0] op_sel_hi:[0,0]
	v_pk_fma_f32 v[10:11], v[98:99], v[20:21], v[118:119] neg_lo:[0,0,1] neg_hi:[0,0,1]
	v_pk_fma_f32 v[12:13], v[98:99], v[20:21], v[118:119] op_sel_hi:[1,0,1]
	v_pk_mul_f32 v[14:15], v[100:101], v[120:121] op_sel:[1,0] op_sel_hi:[0,0]
	v_pk_fma_f32 v[32:33], v[106:107], v[28:29], v[126:127] neg_lo:[0,0,1] neg_hi:[0,0,1]
	v_pk_fma_f32 v[28:29], v[106:107], v[28:29], v[126:127] op_sel_hi:[1,0,1]
	v_add_f32_e32 v87, 0, v87
	v_add_f32_e32 v28, 0, v117
	v_mov_b32_e32 v5, v7
	v_pk_fma_f32 v[6:7], v[96:97], v[18:19], v[8:9] neg_lo:[0,0,1] neg_hi:[0,0,1]
	v_pk_fma_f32 v[8:9], v[96:97], v[18:19], v[8:9] op_sel_hi:[1,0,1]
	v_mov_b32_e32 v11, v13
	v_pk_fma_f32 v[12:13], v[100:101], v[22:23], v[14:15] neg_lo:[0,0,1] neg_hi:[0,0,1]
	v_pk_fma_f32 v[14:15], v[100:101], v[22:23], v[14:15] op_sel_hi:[1,0,1]
	v_add_f32_e32 v8, v28, v121
	v_add_f32_e32 v14, v87, v89
	;; [unrolled: 1-line block ×4, first 2 shown]
	v_mov_b32_e32 v7, v9
	v_add_f32_e32 v9, v8, v129
	v_add_f32_e32 v8, v14, v88
	v_pk_add_f32 v[2:3], v[8:9], v[2:3]
	v_pk_mul_f32 v[122:123], v[102:103], v[24:25] op_sel:[1,1] op_sel_hi:[0,1]
	v_pk_add_f32 v[2:3], v[2:3], v[112:113]
	v_mov_b32_e32 v124, v27
	v_pk_add_f32 v[2:3], v[2:3], v[4:5]
	v_pk_fma_f32 v[16:17], v[102:103], v[24:25], v[122:123] neg_lo:[0,0,1] neg_hi:[0,0,1]
	v_pk_add_f32 v[2:3], v[2:3], v[6:7]
	v_pk_fma_f32 v[20:21], v[102:103], v[24:25], v[122:123] op_sel_hi:[1,0,1]
	v_pk_mul_f32 v[24:25], v[104:105], v[124:125] op_sel:[1,0] op_sel_hi:[0,0]
	v_mov_b32_e32 v13, v15
	v_pk_add_f32 v[2:3], v[2:3], v[10:11]
	v_mov_b32_e32 v128, v31
	v_mov_b32_e32 v17, v21
	v_pk_fma_f32 v[18:19], v[104:105], v[26:27], v[24:25] neg_lo:[0,0,1] neg_hi:[0,0,1]
	v_pk_fma_f32 v[20:21], v[104:105], v[26:27], v[24:25] op_sel_hi:[1,0,1]
	v_pk_add_f32 v[2:3], v[2:3], v[12:13]
	v_pk_mul_f32 v[34:35], v[108:109], v[128:129] op_sel:[1,0] op_sel_hi:[0,0]
	v_mov_b32_e32 v19, v21
	v_pk_add_f32 v[2:3], v[2:3], v[16:17]
	v_mov_b32_e32 v33, v29
	v_pk_fma_f32 v[22:23], v[108:109], v[30:31], v[34:35] neg_lo:[0,0,1] neg_hi:[0,0,1]
	v_pk_fma_f32 v[24:25], v[108:109], v[30:31], v[34:35] op_sel_hi:[1,0,1]
	v_pk_add_f32 v[2:3], v[2:3], v[18:19]
	v_mov_b32_e32 v23, v25
	v_pk_add_f32 v[2:3], v[2:3], v[32:33]
	s_nop 0
	v_pk_add_f32 v[2:3], v[2:3], v[22:23]
	s_waitcnt vmcnt(0)
	v_pk_add_f32 v[2:3], v[110:111], v[2:3] neg_lo:[0,1] neg_hi:[0,1]
	scratch_store_dwordx2 off, v[2:3], off offset:80
	s_and_saveexec_b64 s[0:1], vcc
	s_cbranch_execz .LBB24_145
; %bb.144:
	scratch_load_dwordx2 v[2:3], off, off offset:72
	v_mov_b32_e32 v4, 0
	v_mov_b32_e32 v5, v4
	scratch_store_dwordx2 off, v[4:5], off offset:72
	s_waitcnt vmcnt(1)
	ds_write_b64 v1, v[2:3]
.LBB24_145:
	s_or_b64 exec, exec, s[0:1]
	v_mov_b32_e32 v2, 0
	s_waitcnt lgkmcnt(0)
	; wave barrier
	ds_read_b128 v[4:7], v2 offset:288
	ds_read_b128 v[8:11], v2 offset:304
	;; [unrolled: 1-line block ×4, first 2 shown]
	scratch_load_dwordx4 v[20:23], off, off offset:80
	v_cmp_lt_u32_e32 vcc, 8, v0
	s_waitcnt vmcnt(0) lgkmcnt(3)
	v_mul_f32_e32 v3, v4, v21
	v_fmac_f32_e32 v3, v5, v20
	v_mul_f32_e32 v24, v6, v23
	v_add_f32_e32 v3, 0, v3
	v_fmac_f32_e32 v24, v7, v22
	v_add_f32_e32 v3, v3, v24
	scratch_load_dwordx4 v[24:27], off, off offset:96
	s_waitcnt vmcnt(0) lgkmcnt(2)
	v_mul_f32_e32 v28, v8, v25
	v_fmac_f32_e32 v28, v9, v24
	v_add_f32_e32 v3, v3, v28
	v_mul_f32_e32 v28, v10, v27
	v_fmac_f32_e32 v28, v11, v26
	v_add_f32_e32 v3, v3, v28
	scratch_load_dwordx4 v[28:31], off, off offset:112
	s_waitcnt vmcnt(0) lgkmcnt(1)
	v_mul_f32_e32 v32, v12, v29
	v_fmac_f32_e32 v32, v13, v28
	v_add_f32_e32 v99, v3, v32
	scratch_load_dwordx4 v[32:35], off, off offset:128
	scratch_load_dwordx4 v[86:89], off, off offset:144
	;; [unrolled: 1-line block ×4, first 2 shown]
	scratch_load_dwordx2 v[104:105], off, off offset:192
	v_mul_f32_e32 v3, v5, v21
	v_fma_f32 v3, v4, v20, -v3
	v_mul_f32_e32 v4, v7, v23
	v_add_f32_e32 v3, 0, v3
	v_fma_f32 v4, v6, v22, -v4
	v_add_f32_e32 v3, v3, v4
	v_mul_f32_e32 v4, v9, v25
	v_fma_f32 v4, v8, v24, -v4
	v_add_f32_e32 v3, v3, v4
	v_mul_f32_e32 v4, v11, v27
	;; [unrolled: 3-line block ×3, first 2 shown]
	v_fma_f32 v4, v12, v28, -v4
	v_mul_f32_e32 v101, v14, v31
	v_add_f32_e32 v98, v3, v4
	v_mul_f32_e32 v3, v15, v31
	v_fmac_f32_e32 v101, v15, v30
	v_fma_f32 v100, v14, v30, -v3
	v_pk_add_f32 v[20:21], v[98:99], v[100:101]
	s_waitcnt vmcnt(4)
	v_mov_b32_e32 v22, v35
	s_waitcnt lgkmcnt(0)
	v_mul_f32_e32 v103, v16, v33
	v_mul_f32_e32 v3, v17, v33
	v_pk_mul_f32 v[22:23], v[18:19], v[22:23] op_sel:[1,0] op_sel_hi:[0,0]
	v_fmac_f32_e32 v103, v17, v32
	v_fma_f32 v102, v16, v32, -v3
	ds_read_b128 v[4:7], v2 offset:352
	ds_read_b128 v[8:11], v2 offset:368
	;; [unrolled: 1-line block ×3, first 2 shown]
	ds_read_b64 v[16:17], v2 offset:400
	v_pk_fma_f32 v[24:25], v[18:19], v[34:35], v[22:23] neg_lo:[0,0,1] neg_hi:[0,0,1]
	v_pk_fma_f32 v[18:19], v[18:19], v[34:35], v[22:23] op_sel_hi:[1,0,1]
	v_pk_add_f32 v[20:21], v[20:21], v[102:103]
	v_mov_b32_e32 v25, v19
	v_pk_add_f32 v[18:19], v[20:21], v[24:25]
	s_waitcnt vmcnt(3) lgkmcnt(3)
	v_pk_mul_f32 v[20:21], v[4:5], v[86:87] op_sel:[1,1] op_sel_hi:[0,1]
	v_pk_fma_f32 v[22:23], v[4:5], v[86:87], v[20:21] neg_lo:[0,0,1] neg_hi:[0,0,1]
	v_pk_fma_f32 v[4:5], v[4:5], v[86:87], v[20:21] op_sel_hi:[1,0,1]
	s_nop 0
	v_mov_b32_e32 v23, v5
	v_pk_add_f32 v[4:5], v[18:19], v[22:23]
	v_mov_b32_e32 v18, v89
	v_pk_mul_f32 v[18:19], v[6:7], v[18:19] op_sel:[1,0] op_sel_hi:[0,0]
	v_pk_fma_f32 v[20:21], v[6:7], v[88:89], v[18:19] neg_lo:[0,0,1] neg_hi:[0,0,1]
	v_pk_fma_f32 v[6:7], v[6:7], v[88:89], v[18:19] op_sel_hi:[1,0,1]
	s_nop 0
	v_mov_b32_e32 v21, v7
	s_waitcnt vmcnt(2) lgkmcnt(2)
	v_pk_mul_f32 v[6:7], v[8:9], v[90:91] op_sel:[1,1] op_sel_hi:[0,1]
	v_pk_fma_f32 v[18:19], v[8:9], v[90:91], v[6:7] neg_lo:[0,0,1] neg_hi:[0,0,1]
	v_pk_fma_f32 v[6:7], v[8:9], v[90:91], v[6:7] op_sel_hi:[1,0,1]
	v_pk_add_f32 v[4:5], v[4:5], v[20:21]
	v_mov_b32_e32 v6, v93
	v_mov_b32_e32 v19, v7
	v_pk_mul_f32 v[6:7], v[10:11], v[6:7] op_sel:[1,0] op_sel_hi:[0,0]
	v_pk_fma_f32 v[8:9], v[10:11], v[92:93], v[6:7] neg_lo:[0,0,1] neg_hi:[0,0,1]
	v_pk_fma_f32 v[6:7], v[10:11], v[92:93], v[6:7] op_sel_hi:[1,0,1]
	v_pk_add_f32 v[4:5], v[4:5], v[18:19]
	v_mov_b32_e32 v9, v7
	s_waitcnt vmcnt(1) lgkmcnt(1)
	v_pk_mul_f32 v[6:7], v[12:13], v[94:95] op_sel:[1,1] op_sel_hi:[0,1]
	v_pk_add_f32 v[4:5], v[4:5], v[8:9]
	v_pk_fma_f32 v[8:9], v[12:13], v[94:95], v[6:7] neg_lo:[0,0,1] neg_hi:[0,0,1]
	v_pk_fma_f32 v[6:7], v[12:13], v[94:95], v[6:7] op_sel_hi:[1,0,1]
	s_nop 0
	v_mov_b32_e32 v6, v97
	v_mov_b32_e32 v9, v7
	v_pk_mul_f32 v[6:7], v[14:15], v[6:7] op_sel:[1,0] op_sel_hi:[0,0]
	v_pk_add_f32 v[4:5], v[4:5], v[8:9]
	v_pk_fma_f32 v[8:9], v[14:15], v[96:97], v[6:7] neg_lo:[0,0,1] neg_hi:[0,0,1]
	v_pk_fma_f32 v[6:7], v[14:15], v[96:97], v[6:7] op_sel_hi:[1,0,1]
	s_nop 0
	v_mov_b32_e32 v9, v7
	s_waitcnt vmcnt(0) lgkmcnt(0)
	v_pk_mul_f32 v[6:7], v[16:17], v[104:105] op_sel:[1,1] op_sel_hi:[0,1]
	v_pk_add_f32 v[4:5], v[4:5], v[8:9]
	v_pk_fma_f32 v[8:9], v[16:17], v[104:105], v[6:7] neg_lo:[0,0,1] neg_hi:[0,0,1]
	v_pk_fma_f32 v[6:7], v[16:17], v[104:105], v[6:7] op_sel_hi:[1,0,1]
	s_nop 0
	v_mov_b32_e32 v9, v7
	scratch_load_dwordx2 v[6:7], off, off offset:72
	v_pk_add_f32 v[4:5], v[4:5], v[8:9]
	s_waitcnt vmcnt(0)
	v_pk_add_f32 v[4:5], v[6:7], v[4:5] neg_lo:[0,1] neg_hi:[0,1]
	scratch_store_dwordx2 off, v[4:5], off offset:72
	s_and_saveexec_b64 s[0:1], vcc
	s_cbranch_execz .LBB24_147
; %bb.146:
	scratch_load_dwordx2 v[4:5], off, off offset:64
	v_mov_b32_e32 v3, v2
	scratch_store_dwordx2 off, v[2:3], off offset:64
	s_waitcnt vmcnt(1)
	ds_write_b64 v1, v[4:5]
.LBB24_147:
	s_or_b64 exec, exec, s[0:1]
	s_waitcnt lgkmcnt(0)
	; wave barrier
	scratch_load_dwordx4 v[8:11], off, off offset:72
	scratch_load_dwordx4 v[16:19], off, off offset:88
	scratch_load_dwordx4 v[24:27], off, off offset:104
	scratch_load_dwordx4 v[32:35], off, off offset:120
	ds_read2_b64 v[4:7], v2 offset0:35 offset1:36
	v_cmp_lt_u32_e32 vcc, 7, v0
	s_waitcnt vmcnt(3) lgkmcnt(0)
	v_mul_f32_e32 v3, v4, v9
	v_fmac_f32_e32 v3, v5, v8
	v_mul_f32_e32 v12, v6, v11
	v_add_f32_e32 v3, 0, v3
	v_fmac_f32_e32 v12, v7, v10
	v_add_f32_e32 v3, v3, v12
	ds_read2_b64 v[12:15], v2 offset0:37 offset1:38
	s_waitcnt vmcnt(2) lgkmcnt(0)
	v_mul_f32_e32 v20, v12, v17
	v_fmac_f32_e32 v20, v13, v16
	v_add_f32_e32 v3, v3, v20
	v_mul_f32_e32 v20, v14, v19
	v_fmac_f32_e32 v20, v15, v18
	v_add_f32_e32 v3, v3, v20
	ds_read2_b64 v[20:23], v2 offset0:39 offset1:40
	s_waitcnt vmcnt(1) lgkmcnt(0)
	v_mul_f32_e32 v28, v20, v25
	v_fmac_f32_e32 v28, v21, v24
	v_add_f32_e32 v3, v3, v28
	v_mul_f32_e32 v28, v22, v27
	v_fmac_f32_e32 v28, v23, v26
	v_add_f32_e32 v103, v3, v28
	ds_read2_b64 v[28:31], v2 offset0:41 offset1:42
	scratch_load_dwordx4 v[86:89], off, off offset:136
	scratch_load_dwordx4 v[90:93], off, off offset:152
	;; [unrolled: 1-line block ×4, first 2 shown]
	v_mul_f32_e32 v3, v5, v9
	v_fma_f32 v3, v4, v8, -v3
	v_mul_f32_e32 v4, v7, v11
	v_add_f32_e32 v3, 0, v3
	v_fma_f32 v4, v6, v10, -v4
	v_add_f32_e32 v3, v3, v4
	v_mul_f32_e32 v4, v13, v17
	v_fma_f32 v4, v12, v16, -v4
	v_add_f32_e32 v3, v3, v4
	v_mul_f32_e32 v4, v15, v19
	v_fma_f32 v4, v14, v18, -v4
	v_add_f32_e32 v3, v3, v4
	v_mul_f32_e32 v4, v21, v25
	v_fma_f32 v4, v20, v24, -v4
	v_add_f32_e32 v3, v3, v4
	v_mul_f32_e32 v4, v23, v27
	v_fma_f32 v4, v22, v26, -v4
	v_add_f32_e32 v102, v3, v4
	ds_read2_b64 v[4:7], v2 offset0:43 offset1:44
	ds_read2_b64 v[8:11], v2 offset0:45 offset1:46
	ds_read2_b64 v[12:15], v2 offset0:47 offset1:48
	ds_read2_b64 v[16:19], v2 offset0:49 offset1:50
	s_waitcnt vmcnt(4) lgkmcnt(4)
	v_mul_f32_e32 v105, v28, v33
	v_mul_f32_e32 v3, v29, v33
	v_fmac_f32_e32 v105, v29, v32
	v_mul_f32_e32 v107, v30, v35
	v_fma_f32 v104, v28, v32, -v3
	v_mul_f32_e32 v3, v31, v35
	v_fmac_f32_e32 v107, v31, v34
	v_fma_f32 v106, v30, v34, -v3
	v_pk_add_f32 v[2:3], v[102:103], v[104:105]
	s_waitcnt vmcnt(3) lgkmcnt(3)
	v_pk_mul_f32 v[20:21], v[4:5], v[86:87] op_sel:[1,1] op_sel_hi:[0,1]
	v_pk_fma_f32 v[22:23], v[4:5], v[86:87], v[20:21] neg_lo:[0,0,1] neg_hi:[0,0,1]
	v_pk_fma_f32 v[4:5], v[4:5], v[86:87], v[20:21] op_sel_hi:[1,0,1]
	v_pk_add_f32 v[2:3], v[2:3], v[106:107]
	v_mov_b32_e32 v4, v89
	v_mov_b32_e32 v23, v5
	v_pk_mul_f32 v[4:5], v[6:7], v[4:5] op_sel:[1,0] op_sel_hi:[0,0]
	v_pk_fma_f32 v[20:21], v[6:7], v[88:89], v[4:5] neg_lo:[0,0,1] neg_hi:[0,0,1]
	v_pk_fma_f32 v[4:5], v[6:7], v[88:89], v[4:5] op_sel_hi:[1,0,1]
	v_pk_add_f32 v[2:3], v[2:3], v[22:23]
	v_mov_b32_e32 v21, v5
	s_waitcnt vmcnt(2) lgkmcnt(2)
	v_pk_mul_f32 v[4:5], v[8:9], v[90:91] op_sel:[1,1] op_sel_hi:[0,1]
	v_pk_fma_f32 v[6:7], v[8:9], v[90:91], v[4:5] neg_lo:[0,0,1] neg_hi:[0,0,1]
	v_pk_fma_f32 v[4:5], v[8:9], v[90:91], v[4:5] op_sel_hi:[1,0,1]
	v_pk_add_f32 v[2:3], v[2:3], v[20:21]
	v_mov_b32_e32 v4, v93
	v_mov_b32_e32 v7, v5
	v_pk_mul_f32 v[4:5], v[10:11], v[4:5] op_sel:[1,0] op_sel_hi:[0,0]
	v_pk_add_f32 v[2:3], v[2:3], v[6:7]
	v_pk_fma_f32 v[6:7], v[10:11], v[92:93], v[4:5] neg_lo:[0,0,1] neg_hi:[0,0,1]
	v_pk_fma_f32 v[4:5], v[10:11], v[92:93], v[4:5] op_sel_hi:[1,0,1]
	s_nop 0
	v_mov_b32_e32 v7, v5
	s_waitcnt vmcnt(1) lgkmcnt(1)
	v_pk_mul_f32 v[4:5], v[12:13], v[94:95] op_sel:[1,1] op_sel_hi:[0,1]
	v_pk_add_f32 v[2:3], v[2:3], v[6:7]
	v_pk_fma_f32 v[6:7], v[12:13], v[94:95], v[4:5] neg_lo:[0,0,1] neg_hi:[0,0,1]
	v_pk_fma_f32 v[4:5], v[12:13], v[94:95], v[4:5] op_sel_hi:[1,0,1]
	s_nop 0
	v_mov_b32_e32 v4, v97
	v_mov_b32_e32 v7, v5
	v_pk_mul_f32 v[4:5], v[14:15], v[4:5] op_sel:[1,0] op_sel_hi:[0,0]
	v_pk_add_f32 v[2:3], v[2:3], v[6:7]
	v_pk_fma_f32 v[6:7], v[14:15], v[96:97], v[4:5] neg_lo:[0,0,1] neg_hi:[0,0,1]
	v_pk_fma_f32 v[4:5], v[14:15], v[96:97], v[4:5] op_sel_hi:[1,0,1]
	s_nop 0
	v_mov_b32_e32 v7, v5
	s_waitcnt vmcnt(0) lgkmcnt(0)
	v_pk_mul_f32 v[4:5], v[16:17], v[98:99] op_sel:[1,1] op_sel_hi:[0,1]
	v_pk_add_f32 v[2:3], v[2:3], v[6:7]
	v_pk_fma_f32 v[6:7], v[16:17], v[98:99], v[4:5] neg_lo:[0,0,1] neg_hi:[0,0,1]
	v_pk_fma_f32 v[4:5], v[16:17], v[98:99], v[4:5] op_sel_hi:[1,0,1]
	s_nop 0
	v_mov_b32_e32 v4, v101
	v_mov_b32_e32 v7, v5
	v_pk_mul_f32 v[4:5], v[18:19], v[4:5] op_sel:[1,0] op_sel_hi:[0,0]
	v_pk_add_f32 v[2:3], v[2:3], v[6:7]
	v_pk_fma_f32 v[6:7], v[18:19], v[100:101], v[4:5] neg_lo:[0,0,1] neg_hi:[0,0,1]
	v_pk_fma_f32 v[4:5], v[18:19], v[100:101], v[4:5] op_sel_hi:[1,0,1]
	s_nop 0
	v_mov_b32_e32 v7, v5
	scratch_load_dwordx2 v[4:5], off, off offset:64
	v_pk_add_f32 v[2:3], v[2:3], v[6:7]
	s_waitcnt vmcnt(0)
	v_pk_add_f32 v[2:3], v[4:5], v[2:3] neg_lo:[0,1] neg_hi:[0,1]
	scratch_store_dwordx2 off, v[2:3], off offset:64
	s_and_saveexec_b64 s[0:1], vcc
	s_cbranch_execz .LBB24_149
; %bb.148:
	scratch_load_dwordx2 v[2:3], off, off offset:56
	v_mov_b32_e32 v4, 0
	v_mov_b32_e32 v5, v4
	scratch_store_dwordx2 off, v[4:5], off offset:56
	s_waitcnt vmcnt(1)
	ds_write_b64 v1, v[2:3]
.LBB24_149:
	s_or_b64 exec, exec, s[0:1]
	v_mov_b32_e32 v2, 0
	s_waitcnt lgkmcnt(0)
	; wave barrier
	ds_read_b128 v[4:7], v2 offset:272
	ds_read_b128 v[8:11], v2 offset:288
	;; [unrolled: 1-line block ×4, first 2 shown]
	scratch_load_dwordx4 v[20:23], off, off offset:64
	scratch_load_dwordx4 v[90:93], off, off offset:128
	v_cmp_lt_u32_e32 vcc, 6, v0
	s_waitcnt vmcnt(1) lgkmcnt(3)
	v_mul_f32_e32 v3, v4, v21
	v_fmac_f32_e32 v3, v5, v20
	v_mul_f32_e32 v24, v6, v23
	v_add_f32_e32 v3, 0, v3
	v_fmac_f32_e32 v24, v7, v22
	v_add_f32_e32 v3, v3, v24
	scratch_load_dwordx4 v[24:27], off, off offset:80
	s_waitcnt vmcnt(0) lgkmcnt(2)
	v_mul_f32_e32 v28, v8, v25
	v_fmac_f32_e32 v28, v9, v24
	v_add_f32_e32 v3, v3, v28
	v_mul_f32_e32 v28, v10, v27
	v_fmac_f32_e32 v28, v11, v26
	v_add_f32_e32 v3, v3, v28
	scratch_load_dwordx4 v[28:31], off, off offset:96
	s_waitcnt vmcnt(0) lgkmcnt(1)
	v_mul_f32_e32 v32, v12, v29
	v_fmac_f32_e32 v32, v13, v28
	v_add_f32_e32 v3, v3, v32
	v_mul_f32_e32 v32, v14, v31
	v_fmac_f32_e32 v32, v15, v30
	v_add_f32_e32 v3, v3, v32
	scratch_load_dwordx4 v[32:35], off, off offset:112
	s_waitcnt vmcnt(0) lgkmcnt(0)
	v_mul_f32_e32 v86, v16, v33
	v_fmac_f32_e32 v86, v17, v32
	v_add_f32_e32 v107, v3, v86
	ds_read_b128 v[86:89], v2 offset:336
	scratch_load_dwordx4 v[94:97], off, off offset:144
	scratch_load_dwordx4 v[98:101], off, off offset:160
	;; [unrolled: 1-line block ×3, first 2 shown]
	scratch_load_dwordx2 v[112:113], off, off offset:192
	v_mul_f32_e32 v3, v5, v21
	v_fma_f32 v3, v4, v20, -v3
	v_mul_f32_e32 v4, v7, v23
	v_add_f32_e32 v3, 0, v3
	v_fma_f32 v4, v6, v22, -v4
	v_add_f32_e32 v3, v3, v4
	v_mul_f32_e32 v4, v9, v25
	v_fma_f32 v4, v8, v24, -v4
	v_add_f32_e32 v3, v3, v4
	v_mul_f32_e32 v4, v11, v27
	;; [unrolled: 3-line block ×5, first 2 shown]
	v_fma_f32 v4, v16, v32, -v4
	v_mul_f32_e32 v109, v18, v35
	v_add_f32_e32 v106, v3, v4
	v_mul_f32_e32 v3, v19, v35
	v_mov_b32_e32 v20, v93
	v_fmac_f32_e32 v109, v19, v34
	s_waitcnt lgkmcnt(0)
	v_mul_f32_e32 v111, v86, v91
	v_fma_f32 v108, v18, v34, -v3
	v_mul_f32_e32 v3, v87, v91
	ds_read_b128 v[4:7], v2 offset:352
	ds_read_b128 v[8:11], v2 offset:368
	;; [unrolled: 1-line block ×3, first 2 shown]
	ds_read_b64 v[16:17], v2 offset:400
	v_pk_mul_f32 v[20:21], v[88:89], v[20:21] op_sel:[1,0] op_sel_hi:[0,0]
	v_fmac_f32_e32 v111, v87, v90
	v_fma_f32 v110, v86, v90, -v3
	v_pk_add_f32 v[18:19], v[106:107], v[108:109]
	v_pk_fma_f32 v[22:23], v[88:89], v[92:93], v[20:21] neg_lo:[0,0,1] neg_hi:[0,0,1]
	v_pk_fma_f32 v[20:21], v[88:89], v[92:93], v[20:21] op_sel_hi:[1,0,1]
	v_pk_add_f32 v[18:19], v[18:19], v[110:111]
	v_mov_b32_e32 v23, v21
	v_pk_add_f32 v[18:19], v[18:19], v[22:23]
	s_waitcnt vmcnt(3) lgkmcnt(3)
	v_pk_mul_f32 v[20:21], v[4:5], v[94:95] op_sel:[1,1] op_sel_hi:[0,1]
	v_pk_fma_f32 v[22:23], v[4:5], v[94:95], v[20:21] neg_lo:[0,0,1] neg_hi:[0,0,1]
	v_pk_fma_f32 v[4:5], v[4:5], v[94:95], v[20:21] op_sel_hi:[1,0,1]
	s_nop 0
	v_mov_b32_e32 v23, v5
	v_pk_add_f32 v[4:5], v[18:19], v[22:23]
	v_mov_b32_e32 v18, v97
	v_pk_mul_f32 v[18:19], v[6:7], v[18:19] op_sel:[1,0] op_sel_hi:[0,0]
	v_pk_fma_f32 v[20:21], v[6:7], v[96:97], v[18:19] neg_lo:[0,0,1] neg_hi:[0,0,1]
	v_pk_fma_f32 v[6:7], v[6:7], v[96:97], v[18:19] op_sel_hi:[1,0,1]
	s_nop 0
	v_mov_b32_e32 v21, v7
	s_waitcnt vmcnt(2) lgkmcnt(2)
	v_pk_mul_f32 v[6:7], v[8:9], v[98:99] op_sel:[1,1] op_sel_hi:[0,1]
	v_pk_fma_f32 v[18:19], v[8:9], v[98:99], v[6:7] neg_lo:[0,0,1] neg_hi:[0,0,1]
	v_pk_fma_f32 v[6:7], v[8:9], v[98:99], v[6:7] op_sel_hi:[1,0,1]
	v_pk_add_f32 v[4:5], v[4:5], v[20:21]
	v_mov_b32_e32 v6, v101
	v_mov_b32_e32 v19, v7
	v_pk_mul_f32 v[6:7], v[10:11], v[6:7] op_sel:[1,0] op_sel_hi:[0,0]
	v_pk_fma_f32 v[8:9], v[10:11], v[100:101], v[6:7] neg_lo:[0,0,1] neg_hi:[0,0,1]
	v_pk_fma_f32 v[6:7], v[10:11], v[100:101], v[6:7] op_sel_hi:[1,0,1]
	v_pk_add_f32 v[4:5], v[4:5], v[18:19]
	v_mov_b32_e32 v9, v7
	s_waitcnt vmcnt(1) lgkmcnt(1)
	v_pk_mul_f32 v[6:7], v[12:13], v[102:103] op_sel:[1,1] op_sel_hi:[0,1]
	v_pk_add_f32 v[4:5], v[4:5], v[8:9]
	v_pk_fma_f32 v[8:9], v[12:13], v[102:103], v[6:7] neg_lo:[0,0,1] neg_hi:[0,0,1]
	v_pk_fma_f32 v[6:7], v[12:13], v[102:103], v[6:7] op_sel_hi:[1,0,1]
	s_nop 0
	v_mov_b32_e32 v6, v105
	v_mov_b32_e32 v9, v7
	v_pk_mul_f32 v[6:7], v[14:15], v[6:7] op_sel:[1,0] op_sel_hi:[0,0]
	v_pk_add_f32 v[4:5], v[4:5], v[8:9]
	v_pk_fma_f32 v[8:9], v[14:15], v[104:105], v[6:7] neg_lo:[0,0,1] neg_hi:[0,0,1]
	v_pk_fma_f32 v[6:7], v[14:15], v[104:105], v[6:7] op_sel_hi:[1,0,1]
	s_nop 0
	v_mov_b32_e32 v9, v7
	s_waitcnt vmcnt(0) lgkmcnt(0)
	v_pk_mul_f32 v[6:7], v[16:17], v[112:113] op_sel:[1,1] op_sel_hi:[0,1]
	v_pk_add_f32 v[4:5], v[4:5], v[8:9]
	v_pk_fma_f32 v[8:9], v[16:17], v[112:113], v[6:7] neg_lo:[0,0,1] neg_hi:[0,0,1]
	v_pk_fma_f32 v[6:7], v[16:17], v[112:113], v[6:7] op_sel_hi:[1,0,1]
	s_nop 0
	v_mov_b32_e32 v9, v7
	scratch_load_dwordx2 v[6:7], off, off offset:56
	v_pk_add_f32 v[4:5], v[4:5], v[8:9]
	s_waitcnt vmcnt(0)
	v_pk_add_f32 v[4:5], v[6:7], v[4:5] neg_lo:[0,1] neg_hi:[0,1]
	scratch_store_dwordx2 off, v[4:5], off offset:56
	s_and_saveexec_b64 s[0:1], vcc
	s_cbranch_execz .LBB24_151
; %bb.150:
	scratch_load_dwordx2 v[4:5], off, off offset:48
	v_mov_b32_e32 v3, v2
	scratch_store_dwordx2 off, v[2:3], off offset:48
	s_waitcnt vmcnt(1)
	ds_write_b64 v1, v[4:5]
.LBB24_151:
	s_or_b64 exec, exec, s[0:1]
	s_waitcnt lgkmcnt(0)
	; wave barrier
	scratch_load_dwordx4 v[8:11], off, off offset:56
	scratch_load_dwordx4 v[16:19], off, off offset:72
	;; [unrolled: 1-line block ×4, first 2 shown]
	ds_read2_b64 v[4:7], v2 offset0:33 offset1:34
	scratch_load_dwordx4 v[90:93], off, off offset:120
	v_cmp_lt_u32_e32 vcc, 5, v0
	s_waitcnt vmcnt(4) lgkmcnt(0)
	v_mul_f32_e32 v3, v4, v9
	v_fmac_f32_e32 v3, v5, v8
	v_mul_f32_e32 v12, v6, v11
	v_add_f32_e32 v3, 0, v3
	v_fmac_f32_e32 v12, v7, v10
	v_add_f32_e32 v3, v3, v12
	ds_read2_b64 v[12:15], v2 offset0:35 offset1:36
	s_waitcnt vmcnt(3) lgkmcnt(0)
	v_mul_f32_e32 v20, v12, v17
	v_fmac_f32_e32 v20, v13, v16
	v_add_f32_e32 v3, v3, v20
	v_mul_f32_e32 v20, v14, v19
	v_fmac_f32_e32 v20, v15, v18
	v_add_f32_e32 v3, v3, v20
	ds_read2_b64 v[20:23], v2 offset0:37 offset1:38
	s_waitcnt vmcnt(2) lgkmcnt(0)
	v_mul_f32_e32 v28, v20, v25
	v_fmac_f32_e32 v28, v21, v24
	v_add_f32_e32 v3, v3, v28
	v_mul_f32_e32 v28, v22, v27
	;; [unrolled: 8-line block ×3, first 2 shown]
	v_fmac_f32_e32 v86, v31, v34
	v_add_f32_e32 v111, v3, v86
	ds_read2_b64 v[86:89], v2 offset0:41 offset1:42
	scratch_load_dwordx4 v[94:97], off, off offset:136
	scratch_load_dwordx4 v[98:101], off, off offset:152
	;; [unrolled: 1-line block ×4, first 2 shown]
	v_mul_f32_e32 v3, v5, v9
	v_fma_f32 v3, v4, v8, -v3
	v_mul_f32_e32 v4, v7, v11
	v_add_f32_e32 v3, 0, v3
	v_fma_f32 v4, v6, v10, -v4
	v_add_f32_e32 v3, v3, v4
	v_mul_f32_e32 v4, v13, v17
	v_fma_f32 v4, v12, v16, -v4
	v_add_f32_e32 v3, v3, v4
	v_mul_f32_e32 v4, v15, v19
	;; [unrolled: 3-line block ×6, first 2 shown]
	v_fma_f32 v4, v30, v34, -v4
	v_add_f32_e32 v110, v3, v4
	ds_read2_b64 v[4:7], v2 offset0:43 offset1:44
	ds_read2_b64 v[8:11], v2 offset0:45 offset1:46
	;; [unrolled: 1-line block ×4, first 2 shown]
	s_waitcnt vmcnt(4) lgkmcnt(4)
	v_mul_f32_e32 v113, v86, v91
	v_mul_f32_e32 v3, v87, v91
	v_fmac_f32_e32 v113, v87, v90
	v_mul_f32_e32 v115, v88, v93
	v_fma_f32 v112, v86, v90, -v3
	v_mul_f32_e32 v3, v89, v93
	v_fmac_f32_e32 v115, v89, v92
	v_fma_f32 v114, v88, v92, -v3
	v_pk_add_f32 v[2:3], v[110:111], v[112:113]
	s_waitcnt vmcnt(3) lgkmcnt(3)
	v_pk_mul_f32 v[20:21], v[4:5], v[94:95] op_sel:[1,1] op_sel_hi:[0,1]
	v_pk_fma_f32 v[22:23], v[4:5], v[94:95], v[20:21] neg_lo:[0,0,1] neg_hi:[0,0,1]
	v_pk_fma_f32 v[4:5], v[4:5], v[94:95], v[20:21] op_sel_hi:[1,0,1]
	v_pk_add_f32 v[2:3], v[2:3], v[114:115]
	v_mov_b32_e32 v4, v97
	v_mov_b32_e32 v23, v5
	v_pk_mul_f32 v[4:5], v[6:7], v[4:5] op_sel:[1,0] op_sel_hi:[0,0]
	v_pk_fma_f32 v[20:21], v[6:7], v[96:97], v[4:5] neg_lo:[0,0,1] neg_hi:[0,0,1]
	v_pk_fma_f32 v[4:5], v[6:7], v[96:97], v[4:5] op_sel_hi:[1,0,1]
	v_pk_add_f32 v[2:3], v[2:3], v[22:23]
	v_mov_b32_e32 v21, v5
	s_waitcnt vmcnt(2) lgkmcnt(2)
	v_pk_mul_f32 v[4:5], v[8:9], v[98:99] op_sel:[1,1] op_sel_hi:[0,1]
	v_pk_fma_f32 v[6:7], v[8:9], v[98:99], v[4:5] neg_lo:[0,0,1] neg_hi:[0,0,1]
	v_pk_fma_f32 v[4:5], v[8:9], v[98:99], v[4:5] op_sel_hi:[1,0,1]
	v_pk_add_f32 v[2:3], v[2:3], v[20:21]
	v_mov_b32_e32 v4, v101
	v_mov_b32_e32 v7, v5
	v_pk_mul_f32 v[4:5], v[10:11], v[4:5] op_sel:[1,0] op_sel_hi:[0,0]
	v_pk_add_f32 v[2:3], v[2:3], v[6:7]
	v_pk_fma_f32 v[6:7], v[10:11], v[100:101], v[4:5] neg_lo:[0,0,1] neg_hi:[0,0,1]
	v_pk_fma_f32 v[4:5], v[10:11], v[100:101], v[4:5] op_sel_hi:[1,0,1]
	s_nop 0
	v_mov_b32_e32 v7, v5
	s_waitcnt vmcnt(1) lgkmcnt(1)
	v_pk_mul_f32 v[4:5], v[12:13], v[102:103] op_sel:[1,1] op_sel_hi:[0,1]
	v_pk_add_f32 v[2:3], v[2:3], v[6:7]
	v_pk_fma_f32 v[6:7], v[12:13], v[102:103], v[4:5] neg_lo:[0,0,1] neg_hi:[0,0,1]
	v_pk_fma_f32 v[4:5], v[12:13], v[102:103], v[4:5] op_sel_hi:[1,0,1]
	s_nop 0
	v_mov_b32_e32 v4, v105
	v_mov_b32_e32 v7, v5
	v_pk_mul_f32 v[4:5], v[14:15], v[4:5] op_sel:[1,0] op_sel_hi:[0,0]
	v_pk_add_f32 v[2:3], v[2:3], v[6:7]
	v_pk_fma_f32 v[6:7], v[14:15], v[104:105], v[4:5] neg_lo:[0,0,1] neg_hi:[0,0,1]
	v_pk_fma_f32 v[4:5], v[14:15], v[104:105], v[4:5] op_sel_hi:[1,0,1]
	s_nop 0
	v_mov_b32_e32 v7, v5
	s_waitcnt vmcnt(0) lgkmcnt(0)
	v_pk_mul_f32 v[4:5], v[16:17], v[106:107] op_sel:[1,1] op_sel_hi:[0,1]
	v_pk_add_f32 v[2:3], v[2:3], v[6:7]
	v_pk_fma_f32 v[6:7], v[16:17], v[106:107], v[4:5] neg_lo:[0,0,1] neg_hi:[0,0,1]
	v_pk_fma_f32 v[4:5], v[16:17], v[106:107], v[4:5] op_sel_hi:[1,0,1]
	s_nop 0
	v_mov_b32_e32 v4, v109
	v_mov_b32_e32 v7, v5
	v_pk_mul_f32 v[4:5], v[18:19], v[4:5] op_sel:[1,0] op_sel_hi:[0,0]
	v_pk_add_f32 v[2:3], v[2:3], v[6:7]
	v_pk_fma_f32 v[6:7], v[18:19], v[108:109], v[4:5] neg_lo:[0,0,1] neg_hi:[0,0,1]
	v_pk_fma_f32 v[4:5], v[18:19], v[108:109], v[4:5] op_sel_hi:[1,0,1]
	s_nop 0
	v_mov_b32_e32 v7, v5
	scratch_load_dwordx2 v[4:5], off, off offset:48
	v_pk_add_f32 v[2:3], v[2:3], v[6:7]
	s_waitcnt vmcnt(0)
	v_pk_add_f32 v[2:3], v[4:5], v[2:3] neg_lo:[0,1] neg_hi:[0,1]
	scratch_store_dwordx2 off, v[2:3], off offset:48
	s_and_saveexec_b64 s[0:1], vcc
	s_cbranch_execz .LBB24_153
; %bb.152:
	scratch_load_dwordx2 v[2:3], off, off offset:40
	v_mov_b32_e32 v4, 0
	v_mov_b32_e32 v5, v4
	scratch_store_dwordx2 off, v[4:5], off offset:40
	s_waitcnt vmcnt(1)
	ds_write_b64 v1, v[2:3]
.LBB24_153:
	s_or_b64 exec, exec, s[0:1]
	v_mov_b32_e32 v2, 0
	s_waitcnt lgkmcnt(0)
	; wave barrier
	ds_read_b128 v[4:7], v2 offset:256
	ds_read_b128 v[8:11], v2 offset:272
	;; [unrolled: 1-line block ×4, first 2 shown]
	scratch_load_dwordx4 v[20:23], off, off offset:48
	scratch_load_dwordx4 v[90:93], off, off offset:112
	v_cmp_lt_u32_e32 vcc, 4, v0
	scratch_load_dwordx4 v[98:101], off, off offset:128
	s_waitcnt vmcnt(2) lgkmcnt(3)
	v_mul_f32_e32 v3, v4, v21
	v_fmac_f32_e32 v3, v5, v20
	v_mul_f32_e32 v24, v6, v23
	v_add_f32_e32 v3, 0, v3
	v_fmac_f32_e32 v24, v7, v22
	v_add_f32_e32 v3, v3, v24
	scratch_load_dwordx4 v[24:27], off, off offset:64
	s_waitcnt vmcnt(0) lgkmcnt(2)
	v_mul_f32_e32 v28, v8, v25
	v_fmac_f32_e32 v28, v9, v24
	v_add_f32_e32 v3, v3, v28
	v_mul_f32_e32 v28, v10, v27
	v_fmac_f32_e32 v28, v11, v26
	v_add_f32_e32 v3, v3, v28
	scratch_load_dwordx4 v[28:31], off, off offset:80
	s_waitcnt vmcnt(0) lgkmcnt(1)
	v_mul_f32_e32 v32, v12, v29
	v_fmac_f32_e32 v32, v13, v28
	v_add_f32_e32 v3, v3, v32
	v_mul_f32_e32 v32, v14, v31
	;; [unrolled: 8-line block ×3, first 2 shown]
	v_fmac_f32_e32 v86, v19, v34
	v_add_f32_e32 v3, v3, v86
	ds_read_b128 v[86:89], v2 offset:320
	s_waitcnt lgkmcnt(0)
	v_mul_f32_e32 v94, v86, v91
	v_fmac_f32_e32 v94, v87, v90
	v_add_f32_e32 v115, v3, v94
	ds_read_b128 v[94:97], v2 offset:336
	scratch_load_dwordx4 v[102:105], off, off offset:144
	scratch_load_dwordx4 v[106:109], off, off offset:160
	scratch_load_dwordx4 v[110:113], off, off offset:176
	scratch_load_dwordx2 v[120:121], off, off offset:192
	v_mul_f32_e32 v3, v5, v21
	v_fma_f32 v3, v4, v20, -v3
	v_mul_f32_e32 v4, v7, v23
	v_add_f32_e32 v3, 0, v3
	v_fma_f32 v4, v6, v22, -v4
	v_add_f32_e32 v3, v3, v4
	v_mul_f32_e32 v4, v9, v25
	v_fma_f32 v4, v8, v24, -v4
	v_add_f32_e32 v3, v3, v4
	v_mul_f32_e32 v4, v11, v27
	;; [unrolled: 3-line block ×7, first 2 shown]
	v_fma_f32 v4, v86, v90, -v4
	v_mul_f32_e32 v117, v88, v93
	v_add_f32_e32 v114, v3, v4
	v_mul_f32_e32 v3, v89, v93
	v_mov_b32_e32 v20, v101
	v_fmac_f32_e32 v117, v89, v92
	s_waitcnt lgkmcnt(0)
	v_mul_f32_e32 v119, v94, v99
	v_fma_f32 v116, v88, v92, -v3
	v_mul_f32_e32 v3, v95, v99
	ds_read_b128 v[4:7], v2 offset:352
	ds_read_b128 v[8:11], v2 offset:368
	;; [unrolled: 1-line block ×3, first 2 shown]
	ds_read_b64 v[16:17], v2 offset:400
	v_pk_mul_f32 v[20:21], v[96:97], v[20:21] op_sel:[1,0] op_sel_hi:[0,0]
	v_fmac_f32_e32 v119, v95, v98
	v_fma_f32 v118, v94, v98, -v3
	v_pk_add_f32 v[18:19], v[114:115], v[116:117]
	v_pk_fma_f32 v[22:23], v[96:97], v[100:101], v[20:21] neg_lo:[0,0,1] neg_hi:[0,0,1]
	v_pk_fma_f32 v[20:21], v[96:97], v[100:101], v[20:21] op_sel_hi:[1,0,1]
	v_pk_add_f32 v[18:19], v[18:19], v[118:119]
	v_mov_b32_e32 v23, v21
	v_pk_add_f32 v[18:19], v[18:19], v[22:23]
	s_waitcnt vmcnt(3) lgkmcnt(3)
	v_pk_mul_f32 v[20:21], v[4:5], v[102:103] op_sel:[1,1] op_sel_hi:[0,1]
	v_pk_fma_f32 v[22:23], v[4:5], v[102:103], v[20:21] neg_lo:[0,0,1] neg_hi:[0,0,1]
	v_pk_fma_f32 v[4:5], v[4:5], v[102:103], v[20:21] op_sel_hi:[1,0,1]
	s_nop 0
	v_mov_b32_e32 v23, v5
	v_pk_add_f32 v[4:5], v[18:19], v[22:23]
	v_mov_b32_e32 v18, v105
	v_pk_mul_f32 v[18:19], v[6:7], v[18:19] op_sel:[1,0] op_sel_hi:[0,0]
	v_pk_fma_f32 v[20:21], v[6:7], v[104:105], v[18:19] neg_lo:[0,0,1] neg_hi:[0,0,1]
	v_pk_fma_f32 v[6:7], v[6:7], v[104:105], v[18:19] op_sel_hi:[1,0,1]
	s_nop 0
	v_mov_b32_e32 v21, v7
	s_waitcnt vmcnt(2) lgkmcnt(2)
	v_pk_mul_f32 v[6:7], v[8:9], v[106:107] op_sel:[1,1] op_sel_hi:[0,1]
	v_pk_fma_f32 v[18:19], v[8:9], v[106:107], v[6:7] neg_lo:[0,0,1] neg_hi:[0,0,1]
	v_pk_fma_f32 v[6:7], v[8:9], v[106:107], v[6:7] op_sel_hi:[1,0,1]
	v_pk_add_f32 v[4:5], v[4:5], v[20:21]
	v_mov_b32_e32 v6, v109
	v_mov_b32_e32 v19, v7
	v_pk_mul_f32 v[6:7], v[10:11], v[6:7] op_sel:[1,0] op_sel_hi:[0,0]
	v_pk_fma_f32 v[8:9], v[10:11], v[108:109], v[6:7] neg_lo:[0,0,1] neg_hi:[0,0,1]
	v_pk_fma_f32 v[6:7], v[10:11], v[108:109], v[6:7] op_sel_hi:[1,0,1]
	v_pk_add_f32 v[4:5], v[4:5], v[18:19]
	v_mov_b32_e32 v9, v7
	s_waitcnt vmcnt(1) lgkmcnt(1)
	v_pk_mul_f32 v[6:7], v[12:13], v[110:111] op_sel:[1,1] op_sel_hi:[0,1]
	v_pk_add_f32 v[4:5], v[4:5], v[8:9]
	v_pk_fma_f32 v[8:9], v[12:13], v[110:111], v[6:7] neg_lo:[0,0,1] neg_hi:[0,0,1]
	v_pk_fma_f32 v[6:7], v[12:13], v[110:111], v[6:7] op_sel_hi:[1,0,1]
	s_nop 0
	v_mov_b32_e32 v6, v113
	v_mov_b32_e32 v9, v7
	v_pk_mul_f32 v[6:7], v[14:15], v[6:7] op_sel:[1,0] op_sel_hi:[0,0]
	v_pk_add_f32 v[4:5], v[4:5], v[8:9]
	v_pk_fma_f32 v[8:9], v[14:15], v[112:113], v[6:7] neg_lo:[0,0,1] neg_hi:[0,0,1]
	v_pk_fma_f32 v[6:7], v[14:15], v[112:113], v[6:7] op_sel_hi:[1,0,1]
	s_nop 0
	v_mov_b32_e32 v9, v7
	s_waitcnt vmcnt(0) lgkmcnt(0)
	v_pk_mul_f32 v[6:7], v[16:17], v[120:121] op_sel:[1,1] op_sel_hi:[0,1]
	v_pk_add_f32 v[4:5], v[4:5], v[8:9]
	v_pk_fma_f32 v[8:9], v[16:17], v[120:121], v[6:7] neg_lo:[0,0,1] neg_hi:[0,0,1]
	v_pk_fma_f32 v[6:7], v[16:17], v[120:121], v[6:7] op_sel_hi:[1,0,1]
	s_nop 0
	v_mov_b32_e32 v9, v7
	scratch_load_dwordx2 v[6:7], off, off offset:40
	v_pk_add_f32 v[4:5], v[4:5], v[8:9]
	s_waitcnt vmcnt(0)
	v_pk_add_f32 v[4:5], v[6:7], v[4:5] neg_lo:[0,1] neg_hi:[0,1]
	scratch_store_dwordx2 off, v[4:5], off offset:40
	s_and_saveexec_b64 s[0:1], vcc
	s_cbranch_execz .LBB24_155
; %bb.154:
	scratch_load_dwordx2 v[4:5], off, off offset:32
	v_mov_b32_e32 v3, v2
	scratch_store_dwordx2 off, v[2:3], off offset:32
	s_waitcnt vmcnt(1)
	ds_write_b64 v1, v[4:5]
.LBB24_155:
	s_or_b64 exec, exec, s[0:1]
	s_waitcnt lgkmcnt(0)
	; wave barrier
	scratch_load_dwordx4 v[8:11], off, off offset:40
	scratch_load_dwordx4 v[16:19], off, off offset:56
	;; [unrolled: 1-line block ×6, first 2 shown]
	ds_read2_b64 v[4:7], v2 offset0:31 offset1:32
	v_cmp_lt_u32_e32 vcc, 3, v0
	s_waitcnt vmcnt(5) lgkmcnt(0)
	v_mul_f32_e32 v3, v4, v9
	v_fmac_f32_e32 v3, v5, v8
	v_mul_f32_e32 v12, v6, v11
	v_add_f32_e32 v3, 0, v3
	v_fmac_f32_e32 v12, v7, v10
	v_add_f32_e32 v3, v3, v12
	ds_read2_b64 v[12:15], v2 offset0:33 offset1:34
	s_waitcnt vmcnt(4) lgkmcnt(0)
	v_mul_f32_e32 v20, v12, v17
	v_fmac_f32_e32 v20, v13, v16
	v_add_f32_e32 v3, v3, v20
	v_mul_f32_e32 v20, v14, v19
	v_fmac_f32_e32 v20, v15, v18
	v_add_f32_e32 v3, v3, v20
	ds_read2_b64 v[20:23], v2 offset0:35 offset1:36
	s_waitcnt vmcnt(3) lgkmcnt(0)
	v_mul_f32_e32 v28, v20, v25
	v_fmac_f32_e32 v28, v21, v24
	v_add_f32_e32 v3, v3, v28
	v_mul_f32_e32 v28, v22, v27
	;; [unrolled: 8-line block ×4, first 2 shown]
	v_fmac_f32_e32 v94, v89, v92
	v_add_f32_e32 v119, v3, v94
	ds_read2_b64 v[94:97], v2 offset0:41 offset1:42
	scratch_load_dwordx4 v[102:105], off, off offset:136
	scratch_load_dwordx4 v[106:109], off, off offset:152
	;; [unrolled: 1-line block ×4, first 2 shown]
	v_mul_f32_e32 v3, v5, v9
	v_fma_f32 v3, v4, v8, -v3
	v_mul_f32_e32 v4, v7, v11
	v_add_f32_e32 v3, 0, v3
	v_fma_f32 v4, v6, v10, -v4
	v_add_f32_e32 v3, v3, v4
	v_mul_f32_e32 v4, v13, v17
	v_fma_f32 v4, v12, v16, -v4
	v_add_f32_e32 v3, v3, v4
	v_mul_f32_e32 v4, v15, v19
	;; [unrolled: 3-line block ×8, first 2 shown]
	v_fma_f32 v4, v88, v92, -v4
	v_add_f32_e32 v118, v3, v4
	ds_read2_b64 v[4:7], v2 offset0:43 offset1:44
	ds_read2_b64 v[8:11], v2 offset0:45 offset1:46
	;; [unrolled: 1-line block ×4, first 2 shown]
	s_waitcnt vmcnt(4) lgkmcnt(4)
	v_mul_f32_e32 v121, v94, v99
	v_mul_f32_e32 v3, v95, v99
	v_fmac_f32_e32 v121, v95, v98
	v_mul_f32_e32 v123, v96, v101
	v_fma_f32 v120, v94, v98, -v3
	v_mul_f32_e32 v3, v97, v101
	v_fmac_f32_e32 v123, v97, v100
	v_fma_f32 v122, v96, v100, -v3
	v_pk_add_f32 v[2:3], v[118:119], v[120:121]
	s_waitcnt vmcnt(3) lgkmcnt(3)
	v_pk_mul_f32 v[20:21], v[4:5], v[102:103] op_sel:[1,1] op_sel_hi:[0,1]
	v_pk_fma_f32 v[22:23], v[4:5], v[102:103], v[20:21] neg_lo:[0,0,1] neg_hi:[0,0,1]
	v_pk_fma_f32 v[4:5], v[4:5], v[102:103], v[20:21] op_sel_hi:[1,0,1]
	v_pk_add_f32 v[2:3], v[2:3], v[122:123]
	v_mov_b32_e32 v4, v105
	v_mov_b32_e32 v23, v5
	v_pk_mul_f32 v[4:5], v[6:7], v[4:5] op_sel:[1,0] op_sel_hi:[0,0]
	v_pk_fma_f32 v[20:21], v[6:7], v[104:105], v[4:5] neg_lo:[0,0,1] neg_hi:[0,0,1]
	v_pk_fma_f32 v[4:5], v[6:7], v[104:105], v[4:5] op_sel_hi:[1,0,1]
	v_pk_add_f32 v[2:3], v[2:3], v[22:23]
	v_mov_b32_e32 v21, v5
	s_waitcnt vmcnt(2) lgkmcnt(2)
	v_pk_mul_f32 v[4:5], v[8:9], v[106:107] op_sel:[1,1] op_sel_hi:[0,1]
	v_pk_fma_f32 v[6:7], v[8:9], v[106:107], v[4:5] neg_lo:[0,0,1] neg_hi:[0,0,1]
	v_pk_fma_f32 v[4:5], v[8:9], v[106:107], v[4:5] op_sel_hi:[1,0,1]
	v_pk_add_f32 v[2:3], v[2:3], v[20:21]
	v_mov_b32_e32 v4, v109
	v_mov_b32_e32 v7, v5
	v_pk_mul_f32 v[4:5], v[10:11], v[4:5] op_sel:[1,0] op_sel_hi:[0,0]
	v_pk_add_f32 v[2:3], v[2:3], v[6:7]
	v_pk_fma_f32 v[6:7], v[10:11], v[108:109], v[4:5] neg_lo:[0,0,1] neg_hi:[0,0,1]
	v_pk_fma_f32 v[4:5], v[10:11], v[108:109], v[4:5] op_sel_hi:[1,0,1]
	s_nop 0
	v_mov_b32_e32 v7, v5
	s_waitcnt vmcnt(1) lgkmcnt(1)
	v_pk_mul_f32 v[4:5], v[12:13], v[110:111] op_sel:[1,1] op_sel_hi:[0,1]
	v_pk_add_f32 v[2:3], v[2:3], v[6:7]
	v_pk_fma_f32 v[6:7], v[12:13], v[110:111], v[4:5] neg_lo:[0,0,1] neg_hi:[0,0,1]
	v_pk_fma_f32 v[4:5], v[12:13], v[110:111], v[4:5] op_sel_hi:[1,0,1]
	s_nop 0
	v_mov_b32_e32 v4, v113
	v_mov_b32_e32 v7, v5
	v_pk_mul_f32 v[4:5], v[14:15], v[4:5] op_sel:[1,0] op_sel_hi:[0,0]
	v_pk_add_f32 v[2:3], v[2:3], v[6:7]
	v_pk_fma_f32 v[6:7], v[14:15], v[112:113], v[4:5] neg_lo:[0,0,1] neg_hi:[0,0,1]
	v_pk_fma_f32 v[4:5], v[14:15], v[112:113], v[4:5] op_sel_hi:[1,0,1]
	s_nop 0
	v_mov_b32_e32 v7, v5
	s_waitcnt vmcnt(0) lgkmcnt(0)
	v_pk_mul_f32 v[4:5], v[16:17], v[114:115] op_sel:[1,1] op_sel_hi:[0,1]
	v_pk_add_f32 v[2:3], v[2:3], v[6:7]
	v_pk_fma_f32 v[6:7], v[16:17], v[114:115], v[4:5] neg_lo:[0,0,1] neg_hi:[0,0,1]
	v_pk_fma_f32 v[4:5], v[16:17], v[114:115], v[4:5] op_sel_hi:[1,0,1]
	s_nop 0
	v_mov_b32_e32 v4, v117
	v_mov_b32_e32 v7, v5
	v_pk_mul_f32 v[4:5], v[18:19], v[4:5] op_sel:[1,0] op_sel_hi:[0,0]
	v_pk_add_f32 v[2:3], v[2:3], v[6:7]
	v_pk_fma_f32 v[6:7], v[18:19], v[116:117], v[4:5] neg_lo:[0,0,1] neg_hi:[0,0,1]
	v_pk_fma_f32 v[4:5], v[18:19], v[116:117], v[4:5] op_sel_hi:[1,0,1]
	s_nop 0
	v_mov_b32_e32 v7, v5
	scratch_load_dwordx2 v[4:5], off, off offset:32
	v_pk_add_f32 v[2:3], v[2:3], v[6:7]
	s_waitcnt vmcnt(0)
	v_pk_add_f32 v[2:3], v[4:5], v[2:3] neg_lo:[0,1] neg_hi:[0,1]
	scratch_store_dwordx2 off, v[2:3], off offset:32
	s_and_saveexec_b64 s[0:1], vcc
	s_cbranch_execz .LBB24_157
; %bb.156:
	scratch_load_dwordx2 v[2:3], off, off offset:24
	v_mov_b32_e32 v4, 0
	v_mov_b32_e32 v5, v4
	scratch_store_dwordx2 off, v[4:5], off offset:24
	s_waitcnt vmcnt(1)
	ds_write_b64 v1, v[2:3]
.LBB24_157:
	s_or_b64 exec, exec, s[0:1]
	v_mov_b32_e32 v10, 0
	s_waitcnt lgkmcnt(0)
	; wave barrier
	ds_read_b128 v[2:5], v10 offset:240
	ds_read_b128 v[6:9], v10 offset:256
	;; [unrolled: 1-line block ×4, first 2 shown]
	scratch_load_dwordx4 v[20:23], off, off offset:32
	scratch_load_dwordx4 v[90:93], off, off offset:96
	v_cmp_lt_u32_e32 vcc, 2, v0
	scratch_load_dwordx4 v[98:101], off, off offset:112
	scratch_load_dwordx4 v[106:109], off, off offset:128
	s_waitcnt vmcnt(3) lgkmcnt(3)
	v_mul_f32_e32 v11, v2, v21
	v_fmac_f32_e32 v11, v3, v20
	v_mul_f32_e32 v24, v4, v23
	v_add_f32_e32 v11, 0, v11
	v_fmac_f32_e32 v24, v5, v22
	v_add_f32_e32 v11, v11, v24
	scratch_load_dwordx4 v[24:27], off, off offset:48
	v_mul_f32_e32 v3, v3, v21
	v_fma_f32 v2, v2, v20, -v3
	v_mul_f32_e32 v3, v5, v23
	v_add_f32_e32 v2, 0, v2
	v_fma_f32 v3, v4, v22, -v3
	v_add_f32_e32 v2, v2, v3
	s_waitcnt vmcnt(1)
	v_mov_b32_e32 v20, v109
	s_waitcnt vmcnt(0) lgkmcnt(2)
	v_mul_f32_e32 v28, v6, v25
	v_fmac_f32_e32 v28, v7, v24
	v_add_f32_e32 v11, v11, v28
	v_mul_f32_e32 v28, v8, v27
	v_fmac_f32_e32 v28, v9, v26
	v_add_f32_e32 v11, v11, v28
	scratch_load_dwordx4 v[28:31], off, off offset:64
	v_mul_f32_e32 v3, v7, v25
	v_fma_f32 v3, v6, v24, -v3
	v_add_f32_e32 v2, v2, v3
	v_mul_f32_e32 v3, v9, v27
	v_fma_f32 v3, v8, v26, -v3
	v_add_f32_e32 v2, v2, v3
	s_waitcnt vmcnt(0) lgkmcnt(1)
	v_mul_f32_e32 v32, v12, v29
	v_fmac_f32_e32 v32, v13, v28
	v_add_f32_e32 v11, v11, v32
	v_mul_f32_e32 v32, v14, v31
	v_fmac_f32_e32 v32, v15, v30
	v_add_f32_e32 v11, v11, v32
	scratch_load_dwordx4 v[32:35], off, off offset:80
	v_mul_f32_e32 v3, v13, v29
	v_fma_f32 v3, v12, v28, -v3
	v_add_f32_e32 v2, v2, v3
	v_mul_f32_e32 v3, v15, v31
	v_fma_f32 v3, v14, v30, -v3
	v_add_f32_e32 v2, v2, v3
	s_waitcnt vmcnt(0) lgkmcnt(0)
	v_mul_f32_e32 v86, v16, v33
	v_fmac_f32_e32 v86, v17, v32
	v_add_f32_e32 v11, v11, v86
	v_mul_f32_e32 v86, v18, v35
	v_fmac_f32_e32 v86, v19, v34
	v_add_f32_e32 v11, v11, v86
	ds_read_b128 v[86:89], v10 offset:304
	v_mul_f32_e32 v3, v17, v33
	v_fma_f32 v3, v16, v32, -v3
	v_add_f32_e32 v2, v2, v3
	v_mul_f32_e32 v3, v19, v35
	s_waitcnt lgkmcnt(0)
	v_mul_f32_e32 v94, v86, v91
	v_fmac_f32_e32 v94, v87, v90
	v_add_f32_e32 v11, v11, v94
	v_mul_f32_e32 v94, v88, v93
	v_fmac_f32_e32 v94, v89, v92
	v_add_f32_e32 v11, v11, v94
	ds_read_b128 v[94:97], v10 offset:320
	v_fma_f32 v3, v18, v34, -v3
	v_add_f32_e32 v2, v2, v3
	v_mul_f32_e32 v3, v87, v91
	v_fma_f32 v3, v86, v90, -v3
	s_waitcnt lgkmcnt(0)
	v_mul_f32_e32 v102, v94, v99
	v_fmac_f32_e32 v102, v95, v98
	v_add_f32_e32 v123, v11, v102
	ds_read_b128 v[102:105], v10 offset:336
	scratch_load_dwordx4 v[110:113], off, off offset:144
	scratch_load_dwordx4 v[114:117], off, off offset:160
	;; [unrolled: 1-line block ×3, first 2 shown]
	scratch_load_dwordx2 v[128:129], off, off offset:192
	v_add_f32_e32 v2, v2, v3
	v_mul_f32_e32 v3, v89, v93
	v_fma_f32 v3, v88, v92, -v3
	v_add_f32_e32 v2, v2, v3
	v_mul_f32_e32 v3, v95, v99
	v_fma_f32 v3, v94, v98, -v3
	v_add_f32_e32 v122, v2, v3
	v_mul_f32_e32 v2, v97, v101
	v_mul_f32_e32 v125, v96, v101
	v_fma_f32 v124, v96, v100, -v2
	s_waitcnt lgkmcnt(0)
	v_mul_f32_e32 v2, v103, v107
	v_fmac_f32_e32 v125, v97, v100
	v_mul_f32_e32 v127, v102, v107
	v_fma_f32 v126, v102, v106, -v2
	ds_read_b128 v[2:5], v10 offset:352
	ds_read_b128 v[6:9], v10 offset:368
	;; [unrolled: 1-line block ×3, first 2 shown]
	ds_read_b64 v[16:17], v10 offset:400
	v_pk_mul_f32 v[20:21], v[104:105], v[20:21] op_sel:[1,0] op_sel_hi:[0,0]
	v_fmac_f32_e32 v127, v103, v106
	v_pk_add_f32 v[18:19], v[122:123], v[124:125]
	v_pk_fma_f32 v[22:23], v[104:105], v[108:109], v[20:21] neg_lo:[0,0,1] neg_hi:[0,0,1]
	v_pk_fma_f32 v[20:21], v[104:105], v[108:109], v[20:21] op_sel_hi:[1,0,1]
	v_pk_add_f32 v[18:19], v[18:19], v[126:127]
	v_mov_b32_e32 v23, v21
	v_pk_add_f32 v[18:19], v[18:19], v[22:23]
	s_waitcnt vmcnt(3) lgkmcnt(3)
	v_pk_mul_f32 v[20:21], v[2:3], v[110:111] op_sel:[1,1] op_sel_hi:[0,1]
	v_pk_fma_f32 v[22:23], v[2:3], v[110:111], v[20:21] neg_lo:[0,0,1] neg_hi:[0,0,1]
	v_pk_fma_f32 v[2:3], v[2:3], v[110:111], v[20:21] op_sel_hi:[1,0,1]
	s_nop 0
	v_mov_b32_e32 v23, v3
	v_pk_add_f32 v[2:3], v[18:19], v[22:23]
	v_mov_b32_e32 v18, v113
	v_pk_mul_f32 v[18:19], v[4:5], v[18:19] op_sel:[1,0] op_sel_hi:[0,0]
	v_pk_fma_f32 v[20:21], v[4:5], v[112:113], v[18:19] neg_lo:[0,0,1] neg_hi:[0,0,1]
	v_pk_fma_f32 v[4:5], v[4:5], v[112:113], v[18:19] op_sel_hi:[1,0,1]
	s_nop 0
	v_mov_b32_e32 v21, v5
	s_waitcnt vmcnt(2) lgkmcnt(2)
	v_pk_mul_f32 v[4:5], v[6:7], v[114:115] op_sel:[1,1] op_sel_hi:[0,1]
	v_pk_fma_f32 v[18:19], v[6:7], v[114:115], v[4:5] neg_lo:[0,0,1] neg_hi:[0,0,1]
	v_pk_fma_f32 v[4:5], v[6:7], v[114:115], v[4:5] op_sel_hi:[1,0,1]
	v_pk_add_f32 v[2:3], v[2:3], v[20:21]
	v_mov_b32_e32 v4, v117
	v_mov_b32_e32 v19, v5
	v_pk_mul_f32 v[4:5], v[8:9], v[4:5] op_sel:[1,0] op_sel_hi:[0,0]
	v_pk_fma_f32 v[6:7], v[8:9], v[116:117], v[4:5] neg_lo:[0,0,1] neg_hi:[0,0,1]
	v_pk_fma_f32 v[4:5], v[8:9], v[116:117], v[4:5] op_sel_hi:[1,0,1]
	v_pk_add_f32 v[2:3], v[2:3], v[18:19]
	v_mov_b32_e32 v7, v5
	s_waitcnt vmcnt(1) lgkmcnt(1)
	v_pk_mul_f32 v[4:5], v[12:13], v[118:119] op_sel:[1,1] op_sel_hi:[0,1]
	v_pk_add_f32 v[2:3], v[2:3], v[6:7]
	v_pk_fma_f32 v[6:7], v[12:13], v[118:119], v[4:5] neg_lo:[0,0,1] neg_hi:[0,0,1]
	v_pk_fma_f32 v[4:5], v[12:13], v[118:119], v[4:5] op_sel_hi:[1,0,1]
	s_nop 0
	v_mov_b32_e32 v4, v121
	v_mov_b32_e32 v7, v5
	v_pk_mul_f32 v[4:5], v[14:15], v[4:5] op_sel:[1,0] op_sel_hi:[0,0]
	v_pk_add_f32 v[2:3], v[2:3], v[6:7]
	v_pk_fma_f32 v[6:7], v[14:15], v[120:121], v[4:5] neg_lo:[0,0,1] neg_hi:[0,0,1]
	v_pk_fma_f32 v[4:5], v[14:15], v[120:121], v[4:5] op_sel_hi:[1,0,1]
	s_nop 0
	v_mov_b32_e32 v7, v5
	s_waitcnt vmcnt(0) lgkmcnt(0)
	v_pk_mul_f32 v[4:5], v[16:17], v[128:129] op_sel:[1,1] op_sel_hi:[0,1]
	v_pk_add_f32 v[2:3], v[2:3], v[6:7]
	v_pk_fma_f32 v[6:7], v[16:17], v[128:129], v[4:5] neg_lo:[0,0,1] neg_hi:[0,0,1]
	v_pk_fma_f32 v[4:5], v[16:17], v[128:129], v[4:5] op_sel_hi:[1,0,1]
	s_nop 0
	v_mov_b32_e32 v7, v5
	scratch_load_dwordx2 v[4:5], off, off offset:24
	v_pk_add_f32 v[2:3], v[2:3], v[6:7]
	s_waitcnt vmcnt(0)
	v_pk_add_f32 v[2:3], v[4:5], v[2:3] neg_lo:[0,1] neg_hi:[0,1]
	scratch_store_dwordx2 off, v[2:3], off offset:24
	s_and_saveexec_b64 s[0:1], vcc
	s_cbranch_execz .LBB24_159
; %bb.158:
	scratch_load_dwordx2 v[2:3], off, off offset:16
	v_mov_b32_e32 v11, v10
	scratch_store_dwordx2 off, v[10:11], off offset:16
	s_waitcnt vmcnt(1)
	ds_write_b64 v1, v[2:3]
.LBB24_159:
	s_or_b64 exec, exec, s[0:1]
	s_waitcnt lgkmcnt(0)
	; wave barrier
	scratch_load_dwordx4 v[6:9], off, off offset:24
	scratch_load_dwordx4 v[12:15], off, off offset:40
	;; [unrolled: 1-line block ×7, first 2 shown]
	ds_read2_b64 v[86:89], v10 offset0:29 offset1:30
	ds_read2_b64 v[90:93], v10 offset0:31 offset1:32
	ds_read2_b64 v[94:97], v10 offset0:33 offset1:34
	ds_read2_b64 v[98:101], v10 offset0:35 offset1:36
	ds_read2_b64 v[102:105], v10 offset0:37 offset1:38
	ds_read2_b64 v[106:109], v10 offset0:39 offset1:40
	scratch_load_dwordx4 v[110:113], off, off offset:136
	scratch_load_dwordx4 v[114:117], off, off offset:152
	;; [unrolled: 1-line block ×4, first 2 shown]
	ds_read2_b64 v[122:125], v10 offset0:41 offset1:42
	ds_read2_b64 v[126:129], v10 offset0:43 offset1:44
	scratch_load_dwordx2 v[130:131], off, off offset:16
	v_cmp_lt_u32_e32 vcc, 1, v0
	s_waitcnt vmcnt(11) lgkmcnt(7)
	v_mul_f32_e32 v11, v86, v7
	v_mul_f32_e32 v132, v88, v9
	;; [unrolled: 1-line block ×3, first 2 shown]
	v_fmac_f32_e32 v11, v87, v6
	s_waitcnt vmcnt(10) lgkmcnt(6)
	v_mul_f32_e32 v134, v90, v13
	v_mul_f32_e32 v9, v89, v9
	v_fmac_f32_e32 v132, v89, v8
	v_fma_f32 v6, v86, v6, -v7
	v_add_f32_e32 v11, 0, v11
	v_mul_f32_e32 v136, v92, v15
	v_fmac_f32_e32 v134, v91, v12
	v_fma_f32 v7, v88, v8, -v9
	v_add_f32_e32 v6, 0, v6
	v_add_f32_e32 v11, v11, v132
	s_waitcnt vmcnt(9) lgkmcnt(5)
	v_mul_f32_e32 v137, v94, v17
	v_mul_f32_e32 v13, v91, v13
	v_fmac_f32_e32 v136, v93, v14
	v_add_f32_e32 v6, v6, v7
	v_add_f32_e32 v7, v11, v134
	v_mul_f32_e32 v138, v96, v19
	v_mul_f32_e32 v15, v93, v15
	v_fmac_f32_e32 v137, v95, v16
	v_fma_f32 v8, v90, v12, -v13
	v_add_f32_e32 v7, v7, v136
	s_waitcnt vmcnt(8) lgkmcnt(4)
	v_mul_f32_e32 v139, v98, v21
	v_mul_f32_e32 v17, v95, v17
	v_fmac_f32_e32 v138, v97, v18
	v_fma_f32 v9, v92, v14, -v15
	v_add_f32_e32 v6, v6, v8
	v_add_f32_e32 v7, v7, v137
	v_mul_f32_e32 v140, v100, v23
	v_mul_f32_e32 v19, v97, v19
	v_fmac_f32_e32 v139, v99, v20
	v_fma_f32 v12, v94, v16, -v17
	v_add_f32_e32 v6, v6, v9
	v_add_f32_e32 v7, v7, v138
	s_waitcnt vmcnt(7) lgkmcnt(3)
	v_mul_f32_e32 v141, v102, v25
	v_mul_f32_e32 v21, v99, v21
	v_fmac_f32_e32 v140, v101, v22
	v_fma_f32 v13, v96, v18, -v19
	v_add_f32_e32 v6, v6, v12
	v_add_f32_e32 v7, v7, v139
	v_mul_f32_e32 v142, v104, v27
	v_mul_f32_e32 v23, v101, v23
	v_fmac_f32_e32 v141, v103, v24
	v_fma_f32 v14, v98, v20, -v21
	v_add_f32_e32 v6, v6, v13
	;; [unrolled: 13-line block ×3, first 2 shown]
	v_add_f32_e32 v7, v7, v142
	v_mul_f32_e32 v29, v107, v29
	v_fmac_f32_e32 v144, v109, v30
	v_fma_f32 v17, v104, v26, -v27
	v_add_f32_e32 v6, v6, v16
	v_add_f32_e32 v7, v7, v143
	v_fma_f32 v18, v106, v28, -v29
	v_add_f32_e32 v6, v6, v17
	v_add_f32_e32 v21, v7, v144
	v_mul_f32_e32 v7, v109, v31
	v_add_f32_e32 v6, v6, v18
	v_fma_f32 v7, v108, v30, -v7
	s_waitcnt vmcnt(5) lgkmcnt(1)
	v_mul_f32_e32 v133, v122, v33
	v_add_f32_e32 v20, v6, v7
	v_mul_f32_e32 v6, v123, v33
	v_fmac_f32_e32 v133, v123, v32
	v_fma_f32 v132, v122, v32, -v6
	v_mul_f32_e32 v6, v125, v35
	v_fma_f32 v134, v124, v34, -v6
	ds_read2_b64 v[6:9], v10 offset0:45 offset1:46
	ds_read2_b64 v[12:15], v10 offset0:47 offset1:48
	;; [unrolled: 1-line block ×3, first 2 shown]
	v_pk_add_f32 v[10:11], v[20:21], v[132:133]
	s_waitcnt vmcnt(4) lgkmcnt(3)
	v_pk_mul_f32 v[20:21], v[126:127], v[110:111] op_sel:[1,1] op_sel_hi:[0,1]
	v_mul_f32_e32 v135, v124, v35
	v_pk_fma_f32 v[22:23], v[126:127], v[110:111], v[20:21] neg_lo:[0,0,1] neg_hi:[0,0,1]
	v_pk_fma_f32 v[20:21], v[126:127], v[110:111], v[20:21] op_sel_hi:[1,0,1]
	v_fmac_f32_e32 v135, v125, v34
	v_mov_b32_e32 v20, v113
	v_pk_add_f32 v[10:11], v[10:11], v[134:135]
	v_mov_b32_e32 v23, v21
	v_pk_mul_f32 v[20:21], v[128:129], v[20:21] op_sel:[1,0] op_sel_hi:[0,0]
	v_pk_add_f32 v[10:11], v[10:11], v[22:23]
	v_pk_fma_f32 v[22:23], v[128:129], v[112:113], v[20:21] neg_lo:[0,0,1] neg_hi:[0,0,1]
	v_pk_fma_f32 v[20:21], v[128:129], v[112:113], v[20:21] op_sel_hi:[1,0,1]
	s_nop 0
	v_mov_b32_e32 v23, v21
	s_waitcnt vmcnt(3) lgkmcnt(2)
	v_pk_mul_f32 v[20:21], v[6:7], v[114:115] op_sel:[1,1] op_sel_hi:[0,1]
	v_pk_add_f32 v[10:11], v[10:11], v[22:23]
	v_pk_fma_f32 v[22:23], v[6:7], v[114:115], v[20:21] neg_lo:[0,0,1] neg_hi:[0,0,1]
	v_pk_fma_f32 v[6:7], v[6:7], v[114:115], v[20:21] op_sel_hi:[1,0,1]
	s_nop 0
	v_mov_b32_e32 v23, v7
	v_pk_add_f32 v[6:7], v[10:11], v[22:23]
	v_mov_b32_e32 v10, v117
	v_pk_mul_f32 v[10:11], v[8:9], v[10:11] op_sel:[1,0] op_sel_hi:[0,0]
	v_pk_fma_f32 v[20:21], v[8:9], v[116:117], v[10:11] neg_lo:[0,0,1] neg_hi:[0,0,1]
	v_pk_fma_f32 v[8:9], v[8:9], v[116:117], v[10:11] op_sel_hi:[1,0,1]
	s_nop 0
	v_mov_b32_e32 v21, v9
	s_waitcnt vmcnt(2) lgkmcnt(1)
	v_pk_mul_f32 v[8:9], v[12:13], v[118:119] op_sel:[1,1] op_sel_hi:[0,1]
	v_pk_fma_f32 v[10:11], v[12:13], v[118:119], v[8:9] neg_lo:[0,0,1] neg_hi:[0,0,1]
	v_pk_fma_f32 v[8:9], v[12:13], v[118:119], v[8:9] op_sel_hi:[1,0,1]
	v_pk_add_f32 v[6:7], v[6:7], v[20:21]
	v_mov_b32_e32 v8, v121
	v_mov_b32_e32 v11, v9
	v_pk_mul_f32 v[8:9], v[14:15], v[8:9] op_sel:[1,0] op_sel_hi:[0,0]
	v_pk_add_f32 v[6:7], v[6:7], v[10:11]
	v_pk_fma_f32 v[10:11], v[14:15], v[120:121], v[8:9] neg_lo:[0,0,1] neg_hi:[0,0,1]
	v_pk_fma_f32 v[8:9], v[14:15], v[120:121], v[8:9] op_sel_hi:[1,0,1]
	s_nop 0
	v_mov_b32_e32 v11, v9
	s_waitcnt vmcnt(1) lgkmcnt(0)
	v_pk_mul_f32 v[8:9], v[16:17], v[2:3] op_sel:[1,1] op_sel_hi:[0,1]
	v_pk_add_f32 v[6:7], v[6:7], v[10:11]
	v_pk_fma_f32 v[10:11], v[16:17], v[2:3], v[8:9] neg_lo:[0,0,1] neg_hi:[0,0,1]
	v_pk_fma_f32 v[2:3], v[16:17], v[2:3], v[8:9] op_sel_hi:[1,0,1]
	s_nop 0
	v_mov_b32_e32 v11, v3
	v_pk_add_f32 v[2:3], v[6:7], v[10:11]
	v_mov_b32_e32 v6, v5
	v_pk_mul_f32 v[6:7], v[18:19], v[6:7] op_sel:[1,0] op_sel_hi:[0,0]
	v_pk_fma_f32 v[8:9], v[18:19], v[4:5], v[6:7] neg_lo:[0,0,1] neg_hi:[0,0,1]
	v_pk_fma_f32 v[4:5], v[18:19], v[4:5], v[6:7] op_sel_hi:[1,0,1]
	s_nop 0
	v_mov_b32_e32 v9, v5
	v_pk_add_f32 v[2:3], v[2:3], v[8:9]
	s_waitcnt vmcnt(0)
	v_pk_add_f32 v[2:3], v[130:131], v[2:3] neg_lo:[0,1] neg_hi:[0,1]
	scratch_store_dwordx2 off, v[2:3], off offset:16
	s_and_saveexec_b64 s[0:1], vcc
	s_cbranch_execz .LBB24_161
; %bb.160:
	scratch_load_dwordx2 v[2:3], off, off offset:8
	v_mov_b32_e32 v4, 0
	v_mov_b32_e32 v5, v4
	scratch_store_dwordx2 off, v[4:5], off offset:8
	s_waitcnt vmcnt(1)
	ds_write_b64 v1, v[2:3]
.LBB24_161:
	s_or_b64 exec, exec, s[0:1]
	s_waitcnt lgkmcnt(0)
	; wave barrier
	scratch_load_dwordx4 v[6:9], off, off offset:16
	scratch_load_dwordx4 v[14:17], off, off offset:32
	;; [unrolled: 1-line block ×11, first 2 shown]
	scratch_load_dwordx2 v[22:23], off, off offset:192
	scratch_load_dwordx2 v[132:133], off, off offset:8
	v_mov_b32_e32 v86, 0
	ds_read_b128 v[100:103], v86 offset:224
	ds_read_b128 v[104:107], v86 offset:240
	;; [unrolled: 1-line block ×8, first 2 shown]
	v_cmp_ne_u32_e32 vcc, 0, v0
	s_waitcnt vmcnt(12) lgkmcnt(7)
	v_mul_f32_e32 v87, v100, v7
	v_mul_f32_e32 v134, v102, v9
	v_mul_f32_e32 v7, v101, v7
	v_fmac_f32_e32 v87, v101, v6
	s_waitcnt vmcnt(8) lgkmcnt(3)
	v_mul_f32_e32 v143, v116, v19
	v_mul_f32_e32 v19, v117, v19
	;; [unrolled: 1-line block ×4, first 2 shown]
	v_fmac_f32_e32 v134, v103, v8
	v_fmac_f32_e32 v143, v117, v18
	v_fma_f32 v6, v100, v6, -v7
	v_fma_f32 v18, v116, v18, -v19
	v_add_f32_e32 v19, 0, v87
	v_mul_f32_e32 v138, v106, v17
	v_fmac_f32_e32 v136, v105, v14
	v_fma_f32 v7, v102, v8, -v9
	v_add_f32_e32 v6, 0, v6
	v_add_f32_e32 v19, v19, v134
	v_mul_f32_e32 v139, v108, v25
	v_fmac_f32_e32 v138, v107, v16
	v_add_f32_e32 v6, v6, v7
	v_add_f32_e32 v7, v19, v136
	v_mul_f32_e32 v140, v110, v27
	v_fmac_f32_e32 v139, v109, v24
	v_add_f32_e32 v7, v7, v138
	v_mul_f32_e32 v141, v112, v29
	v_mul_f32_e32 v15, v105, v15
	v_fmac_f32_e32 v140, v111, v26
	v_add_f32_e32 v7, v7, v139
	v_mul_f32_e32 v142, v114, v31
	v_mul_f32_e32 v17, v107, v17
	v_fmac_f32_e32 v141, v113, v28
	v_fma_f32 v8, v104, v14, -v15
	v_add_f32_e32 v7, v7, v140
	v_mul_f32_e32 v25, v109, v25
	v_fmac_f32_e32 v142, v115, v30
	v_fma_f32 v9, v106, v16, -v17
	v_add_f32_e32 v6, v6, v8
	v_add_f32_e32 v7, v7, v141
	v_mul_f32_e32 v144, v118, v21
	v_mul_f32_e32 v27, v111, v27
	v_fma_f32 v14, v108, v24, -v25
	v_add_f32_e32 v6, v6, v9
	v_add_f32_e32 v7, v7, v142
	s_waitcnt vmcnt(7) lgkmcnt(2)
	v_mul_f32_e32 v145, v120, v33
	v_mul_f32_e32 v29, v113, v29
	v_fmac_f32_e32 v144, v119, v20
	v_fma_f32 v15, v110, v26, -v27
	v_add_f32_e32 v6, v6, v14
	v_add_f32_e32 v7, v7, v143
	v_mul_f32_e32 v146, v122, v35
	v_mul_f32_e32 v31, v115, v31
	v_fmac_f32_e32 v145, v121, v32
	v_fma_f32 v16, v112, v28, -v29
	v_add_f32_e32 v6, v6, v15
	v_add_f32_e32 v7, v7, v144
	s_waitcnt vmcnt(6) lgkmcnt(1)
	v_mul_f32_e32 v147, v124, v89
	v_fmac_f32_e32 v146, v123, v34
	v_fma_f32 v17, v114, v30, -v31
	v_add_f32_e32 v6, v6, v16
	v_add_f32_e32 v7, v7, v145
	v_mul_f32_e32 v21, v119, v21
	v_fmac_f32_e32 v147, v125, v88
	v_add_f32_e32 v6, v6, v17
	v_add_f32_e32 v7, v7, v146
	;; [unrolled: 1-line block ×4, first 2 shown]
	v_fma_f32 v7, v118, v20, -v21
	v_add_f32_e32 v6, v6, v7
	v_mul_f32_e32 v7, v121, v33
	v_fma_f32 v7, v120, v32, -v7
	v_add_f32_e32 v6, v6, v7
	v_mul_f32_e32 v7, v123, v35
	;; [unrolled: 3-line block ×4, first 2 shown]
	v_mul_f32_e32 v135, v126, v91
	v_fma_f32 v134, v126, v90, -v6
	s_waitcnt vmcnt(5) lgkmcnt(0)
	v_mul_f32_e32 v6, v129, v93
	v_mov_b32_e32 v28, v95
	v_mul_f32_e32 v137, v128, v93
	v_fmac_f32_e32 v135, v127, v90
	v_fma_f32 v136, v128, v92, -v6
	ds_read_b128 v[6:9], v86 offset:352
	ds_read_b128 v[14:17], v86 offset:368
	;; [unrolled: 1-line block ×3, first 2 shown]
	ds_read_b64 v[26:27], v86 offset:400
	v_pk_mul_f32 v[28:29], v[130:131], v[28:29] op_sel:[1,0] op_sel_hi:[0,0]
	v_fmac_f32_e32 v137, v129, v92
	v_pk_add_f32 v[24:25], v[24:25], v[134:135]
	v_pk_fma_f32 v[30:31], v[130:131], v[94:95], v[28:29] neg_lo:[0,0,1] neg_hi:[0,0,1]
	v_pk_fma_f32 v[28:29], v[130:131], v[94:95], v[28:29] op_sel_hi:[1,0,1]
	v_pk_add_f32 v[24:25], v[24:25], v[136:137]
	v_mov_b32_e32 v31, v29
	s_waitcnt vmcnt(4) lgkmcnt(3)
	v_pk_mul_f32 v[28:29], v[6:7], v[96:97] op_sel:[1,1] op_sel_hi:[0,1]
	v_pk_add_f32 v[24:25], v[24:25], v[30:31]
	v_pk_fma_f32 v[30:31], v[6:7], v[96:97], v[28:29] neg_lo:[0,0,1] neg_hi:[0,0,1]
	v_pk_fma_f32 v[6:7], v[6:7], v[96:97], v[28:29] op_sel_hi:[1,0,1]
	s_nop 0
	v_mov_b32_e32 v31, v7
	v_pk_add_f32 v[6:7], v[24:25], v[30:31]
	v_mov_b32_e32 v24, v99
	v_pk_mul_f32 v[24:25], v[8:9], v[24:25] op_sel:[1,0] op_sel_hi:[0,0]
	v_pk_fma_f32 v[28:29], v[8:9], v[98:99], v[24:25] neg_lo:[0,0,1] neg_hi:[0,0,1]
	v_pk_fma_f32 v[8:9], v[8:9], v[98:99], v[24:25] op_sel_hi:[1,0,1]
	s_nop 0
	v_mov_b32_e32 v29, v9
	s_waitcnt vmcnt(3) lgkmcnt(2)
	v_pk_mul_f32 v[8:9], v[14:15], v[10:11] op_sel:[1,1] op_sel_hi:[0,1]
	v_pk_fma_f32 v[24:25], v[14:15], v[10:11], v[8:9] neg_lo:[0,0,1] neg_hi:[0,0,1]
	v_pk_fma_f32 v[8:9], v[14:15], v[10:11], v[8:9] op_sel_hi:[1,0,1]
	v_pk_add_f32 v[6:7], v[6:7], v[28:29]
	v_mov_b32_e32 v8, v13
	v_mov_b32_e32 v25, v9
	v_pk_mul_f32 v[8:9], v[16:17], v[8:9] op_sel:[1,0] op_sel_hi:[0,0]
	v_pk_fma_f32 v[10:11], v[16:17], v[12:13], v[8:9] neg_lo:[0,0,1] neg_hi:[0,0,1]
	v_pk_fma_f32 v[8:9], v[16:17], v[12:13], v[8:9] op_sel_hi:[1,0,1]
	v_pk_add_f32 v[6:7], v[6:7], v[24:25]
	v_mov_b32_e32 v11, v9
	s_waitcnt vmcnt(2) lgkmcnt(1)
	v_pk_mul_f32 v[8:9], v[18:19], v[2:3] op_sel:[1,1] op_sel_hi:[0,1]
	v_pk_add_f32 v[6:7], v[6:7], v[10:11]
	v_pk_fma_f32 v[10:11], v[18:19], v[2:3], v[8:9] neg_lo:[0,0,1] neg_hi:[0,0,1]
	v_pk_fma_f32 v[2:3], v[18:19], v[2:3], v[8:9] op_sel_hi:[1,0,1]
	s_nop 0
	v_mov_b32_e32 v11, v3
	v_pk_add_f32 v[2:3], v[6:7], v[10:11]
	v_mov_b32_e32 v6, v5
	v_pk_mul_f32 v[6:7], v[20:21], v[6:7] op_sel:[1,0] op_sel_hi:[0,0]
	v_pk_fma_f32 v[8:9], v[20:21], v[4:5], v[6:7] neg_lo:[0,0,1] neg_hi:[0,0,1]
	v_pk_fma_f32 v[4:5], v[20:21], v[4:5], v[6:7] op_sel_hi:[1,0,1]
	s_nop 0
	v_mov_b32_e32 v9, v5
	s_waitcnt vmcnt(1) lgkmcnt(0)
	v_pk_mul_f32 v[4:5], v[26:27], v[22:23] op_sel:[1,1] op_sel_hi:[0,1]
	v_pk_fma_f32 v[6:7], v[26:27], v[22:23], v[4:5] neg_lo:[0,0,1] neg_hi:[0,0,1]
	v_pk_fma_f32 v[4:5], v[26:27], v[22:23], v[4:5] op_sel_hi:[1,0,1]
	v_pk_add_f32 v[2:3], v[2:3], v[8:9]
	v_mov_b32_e32 v7, v5
	v_pk_add_f32 v[2:3], v[2:3], v[6:7]
	s_waitcnt vmcnt(0)
	v_pk_add_f32 v[2:3], v[132:133], v[2:3] neg_lo:[0,1] neg_hi:[0,1]
	scratch_store_dwordx2 off, v[2:3], off offset:8
	s_and_saveexec_b64 s[0:1], vcc
	s_cbranch_execz .LBB24_163
; %bb.162:
	scratch_load_dwordx2 v[2:3], off, off
	v_mov_b32_e32 v87, v86
	scratch_store_dwordx2 off, v[86:87], off
	s_waitcnt vmcnt(1)
	ds_write_b64 v1, v[2:3]
.LBB24_163:
	s_or_b64 exec, exec, s[0:1]
	s_waitcnt lgkmcnt(0)
	; wave barrier
	scratch_load_dwordx4 v[0:3], off, off offset:8
	scratch_load_dwordx4 v[12:15], off, off offset:24
	;; [unrolled: 1-line block ×8, first 2 shown]
	ds_read2_b64 v[96:99], v86 offset0:27 offset1:28
	ds_read2_b64 v[100:103], v86 offset0:29 offset1:30
	;; [unrolled: 1-line block ×8, first 2 shown]
	scratch_load_dwordx4 v[128:131], off, off offset:136
	scratch_load_dwordx4 v[24:27], off, off offset:152
	;; [unrolled: 1-line block ×4, first 2 shown]
	scratch_load_dwordx2 v[132:133], off, off
	s_and_b64 vcc, exec, s[18:19]
	s_waitcnt vmcnt(12) lgkmcnt(7)
	v_mul_f32_e32 v87, v96, v1
	v_mul_f32_e32 v134, v98, v3
	;; [unrolled: 1-line block ×3, first 2 shown]
	v_fmac_f32_e32 v87, v97, v0
	s_waitcnt vmcnt(8) lgkmcnt(3)
	v_mul_f32_e32 v143, v112, v17
	v_mul_f32_e32 v17, v113, v17
	;; [unrolled: 1-line block ×4, first 2 shown]
	v_fmac_f32_e32 v134, v99, v2
	v_fmac_f32_e32 v143, v113, v16
	v_fma_f32 v0, v96, v0, -v1
	v_fma_f32 v16, v112, v16, -v17
	v_add_f32_e32 v17, 0, v87
	v_mul_f32_e32 v138, v102, v15
	v_fmac_f32_e32 v136, v101, v12
	v_fma_f32 v1, v98, v2, -v3
	v_add_f32_e32 v0, 0, v0
	v_add_f32_e32 v17, v17, v134
	v_mul_f32_e32 v139, v104, v29
	v_fmac_f32_e32 v138, v103, v14
	v_add_f32_e32 v0, v0, v1
	v_add_f32_e32 v1, v17, v136
	v_mul_f32_e32 v140, v106, v31
	v_fmac_f32_e32 v139, v105, v28
	v_add_f32_e32 v1, v1, v138
	v_mul_f32_e32 v141, v108, v89
	v_fmac_f32_e32 v140, v107, v30
	;; [unrolled: 3-line block ×4, first 2 shown]
	v_add_f32_e32 v1, v1, v141
	v_mul_f32_e32 v144, v114, v19
	v_mul_f32_e32 v15, v103, v15
	v_fma_f32 v2, v100, v12, -v13
	v_add_f32_e32 v1, v1, v142
	s_waitcnt vmcnt(7) lgkmcnt(2)
	v_mul_f32_e32 v145, v116, v21
	v_mul_f32_e32 v29, v105, v29
	v_fmac_f32_e32 v144, v115, v18
	v_fma_f32 v3, v102, v14, -v15
	v_add_f32_e32 v0, v0, v2
	v_add_f32_e32 v1, v1, v143
	v_mul_f32_e32 v146, v118, v23
	v_mul_f32_e32 v31, v107, v31
	v_fmac_f32_e32 v145, v117, v20
	v_fma_f32 v12, v104, v28, -v29
	v_add_f32_e32 v0, v0, v3
	v_add_f32_e32 v1, v1, v144
	s_waitcnt vmcnt(6) lgkmcnt(1)
	v_mul_f32_e32 v147, v120, v33
	v_mul_f32_e32 v89, v109, v89
	v_fmac_f32_e32 v146, v119, v22
	v_fma_f32 v13, v106, v30, -v31
	v_add_f32_e32 v0, v0, v12
	v_add_f32_e32 v1, v1, v145
	v_mul_f32_e32 v148, v122, v35
	v_mul_f32_e32 v91, v111, v91
	v_fmac_f32_e32 v147, v121, v32
	v_fma_f32 v14, v108, v88, -v89
	v_add_f32_e32 v0, v0, v13
	v_add_f32_e32 v1, v1, v146
	v_fmac_f32_e32 v148, v123, v34
	v_fma_f32 v15, v110, v90, -v91
	v_add_f32_e32 v0, v0, v14
	v_add_f32_e32 v1, v1, v147
	;; [unrolled: 1-line block ×4, first 2 shown]
	v_mul_f32_e32 v1, v115, v19
	v_add_f32_e32 v0, v0, v16
	v_fma_f32 v1, v114, v18, -v1
	v_add_f32_e32 v0, v0, v1
	v_mul_f32_e32 v1, v117, v21
	v_fma_f32 v1, v116, v20, -v1
	v_add_f32_e32 v0, v0, v1
	v_mul_f32_e32 v1, v119, v23
	;; [unrolled: 3-line block ×4, first 2 shown]
	v_fma_f32 v1, v122, v34, -v1
	v_add_f32_e32 v28, v0, v1
	s_waitcnt vmcnt(5) lgkmcnt(0)
	v_mul_f32_e32 v0, v125, v93
	v_fma_f32 v134, v124, v92, -v0
	v_mul_f32_e32 v0, v127, v95
	v_fma_f32 v136, v126, v94, -v0
	ds_read2_b64 v[0:3], v86 offset0:43 offset1:44
	ds_read2_b64 v[12:15], v86 offset0:45 offset1:46
	;; [unrolled: 1-line block ×4, first 2 shown]
	v_mul_f32_e32 v135, v124, v93
	v_mul_f32_e32 v137, v126, v95
	v_fmac_f32_e32 v135, v125, v92
	s_waitcnt vmcnt(4) lgkmcnt(3)
	v_pk_mul_f32 v[30:31], v[0:1], v[128:129] op_sel:[1,1] op_sel_hi:[0,1]
	v_fmac_f32_e32 v137, v127, v94
	v_pk_add_f32 v[28:29], v[28:29], v[134:135]
	v_pk_fma_f32 v[32:33], v[0:1], v[128:129], v[30:31] neg_lo:[0,0,1] neg_hi:[0,0,1]
	v_pk_fma_f32 v[0:1], v[0:1], v[128:129], v[30:31] op_sel_hi:[1,0,1]
	v_pk_add_f32 v[28:29], v[28:29], v[136:137]
	v_mov_b32_e32 v33, v1
	v_pk_add_f32 v[0:1], v[28:29], v[32:33]
	v_mov_b32_e32 v28, v131
	v_pk_mul_f32 v[28:29], v[2:3], v[28:29] op_sel:[1,0] op_sel_hi:[0,0]
	v_pk_fma_f32 v[30:31], v[2:3], v[130:131], v[28:29] neg_lo:[0,0,1] neg_hi:[0,0,1]
	v_pk_fma_f32 v[2:3], v[2:3], v[130:131], v[28:29] op_sel_hi:[1,0,1]
	s_nop 0
	v_mov_b32_e32 v31, v3
	s_waitcnt vmcnt(3) lgkmcnt(2)
	v_pk_mul_f32 v[2:3], v[12:13], v[24:25] op_sel:[1,1] op_sel_hi:[0,1]
	v_pk_fma_f32 v[28:29], v[12:13], v[24:25], v[2:3] neg_lo:[0,0,1] neg_hi:[0,0,1]
	v_pk_fma_f32 v[2:3], v[12:13], v[24:25], v[2:3] op_sel_hi:[1,0,1]
	v_pk_add_f32 v[0:1], v[0:1], v[30:31]
	v_mov_b32_e32 v2, v27
	v_mov_b32_e32 v29, v3
	v_pk_mul_f32 v[2:3], v[14:15], v[2:3] op_sel:[1,0] op_sel_hi:[0,0]
	v_pk_fma_f32 v[12:13], v[14:15], v[26:27], v[2:3] neg_lo:[0,0,1] neg_hi:[0,0,1]
	v_pk_fma_f32 v[2:3], v[14:15], v[26:27], v[2:3] op_sel_hi:[1,0,1]
	v_pk_add_f32 v[0:1], v[0:1], v[28:29]
	v_mov_b32_e32 v13, v3
	s_waitcnt vmcnt(2) lgkmcnt(1)
	v_pk_mul_f32 v[2:3], v[16:17], v[8:9] op_sel:[1,1] op_sel_hi:[0,1]
	v_pk_add_f32 v[0:1], v[0:1], v[12:13]
	v_pk_fma_f32 v[12:13], v[16:17], v[8:9], v[2:3] neg_lo:[0,0,1] neg_hi:[0,0,1]
	v_pk_fma_f32 v[2:3], v[16:17], v[8:9], v[2:3] op_sel_hi:[1,0,1]
	s_nop 0
	v_mov_b32_e32 v2, v11
	v_mov_b32_e32 v13, v3
	v_pk_mul_f32 v[2:3], v[18:19], v[2:3] op_sel:[1,0] op_sel_hi:[0,0]
	v_pk_fma_f32 v[8:9], v[18:19], v[10:11], v[2:3] neg_lo:[0,0,1] neg_hi:[0,0,1]
	v_pk_fma_f32 v[2:3], v[18:19], v[10:11], v[2:3] op_sel_hi:[1,0,1]
	v_pk_add_f32 v[0:1], v[0:1], v[12:13]
	v_mov_b32_e32 v9, v3
	s_waitcnt vmcnt(1) lgkmcnt(0)
	v_pk_mul_f32 v[2:3], v[20:21], v[4:5] op_sel:[1,1] op_sel_hi:[0,1]
	v_pk_add_f32 v[0:1], v[0:1], v[8:9]
	v_pk_fma_f32 v[8:9], v[20:21], v[4:5], v[2:3] neg_lo:[0,0,1] neg_hi:[0,0,1]
	v_pk_fma_f32 v[2:3], v[20:21], v[4:5], v[2:3] op_sel_hi:[1,0,1]
	s_nop 0
	v_mov_b32_e32 v2, v7
	v_mov_b32_e32 v9, v3
	v_pk_mul_f32 v[2:3], v[22:23], v[2:3] op_sel:[1,0] op_sel_hi:[0,0]
	v_pk_fma_f32 v[4:5], v[22:23], v[6:7], v[2:3] neg_lo:[0,0,1] neg_hi:[0,0,1]
	v_pk_fma_f32 v[2:3], v[22:23], v[6:7], v[2:3] op_sel_hi:[1,0,1]
	v_pk_add_f32 v[0:1], v[0:1], v[8:9]
	v_mov_b32_e32 v5, v3
	v_pk_add_f32 v[0:1], v[0:1], v[4:5]
	s_waitcnt vmcnt(0)
	v_pk_add_f32 v[0:1], v[132:133], v[0:1] neg_lo:[0,1] neg_hi:[0,1]
	scratch_store_dwordx2 off, v[0:1], off
	s_cbranch_vccz .LBB24_212
; %bb.164:
	v_mov_b32_e32 v0, 0
	global_load_dword v1, v0, s[16:17] offset:92
	s_waitcnt vmcnt(0)
	v_readfirstlane_b32 s0, v1
	s_add_i32 s0, s0, -1
	s_cmp_lg_u32 s0, 23
	s_cbranch_scc0 .LBB24_166
; %bb.165:
	s_lshl_b32 s0, s0, 3
	s_nop 0
	scratch_load_dwordx2 v[2:3], off, s0
	scratch_load_dwordx2 v[4:5], off, off offset:184
	s_waitcnt vmcnt(1)
	scratch_store_dwordx2 off, v[2:3], off offset:184
	s_waitcnt vmcnt(1)
	scratch_store_dwordx2 off, v[4:5], s0
.LBB24_166:
	global_load_dword v0, v0, s[16:17] offset:88
	s_waitcnt vmcnt(0)
	v_readfirstlane_b32 s0, v0
	s_add_i32 s0, s0, -1
	s_cmp_eq_u32 s0, 22
	s_cbranch_scc1 .LBB24_168
; %bb.167:
	s_lshl_b32 s0, s0, 3
	s_nop 0
	scratch_load_dwordx2 v[0:1], off, s0
	scratch_load_dwordx2 v[2:3], off, off offset:176
	s_waitcnt vmcnt(1)
	scratch_store_dwordx2 off, v[0:1], off offset:176
	s_waitcnt vmcnt(1)
	scratch_store_dwordx2 off, v[2:3], s0
.LBB24_168:
	v_mov_b32_e32 v0, 0
	global_load_dword v1, v0, s[16:17] offset:84
	s_waitcnt vmcnt(0)
	v_readfirstlane_b32 s0, v1
	s_add_i32 s0, s0, -1
	s_cmp_eq_u32 s0, 21
	s_cbranch_scc1 .LBB24_170
; %bb.169:
	s_lshl_b32 s0, s0, 3
	s_nop 0
	scratch_load_dwordx2 v[2:3], off, s0
	scratch_load_dwordx2 v[4:5], off, off offset:168
	s_waitcnt vmcnt(1)
	scratch_store_dwordx2 off, v[2:3], off offset:168
	s_waitcnt vmcnt(1)
	scratch_store_dwordx2 off, v[4:5], s0
.LBB24_170:
	global_load_dword v0, v0, s[16:17] offset:80
	s_waitcnt vmcnt(0)
	v_readfirstlane_b32 s0, v0
	s_add_i32 s0, s0, -1
	s_cmp_eq_u32 s0, 20
	s_cbranch_scc1 .LBB24_172
; %bb.171:
	s_lshl_b32 s0, s0, 3
	s_nop 0
	scratch_load_dwordx2 v[0:1], off, s0
	scratch_load_dwordx2 v[2:3], off, off offset:160
	s_waitcnt vmcnt(1)
	scratch_store_dwordx2 off, v[0:1], off offset:160
	s_waitcnt vmcnt(1)
	scratch_store_dwordx2 off, v[2:3], s0
.LBB24_172:
	v_mov_b32_e32 v0, 0
	global_load_dword v1, v0, s[16:17] offset:76
	s_waitcnt vmcnt(0)
	v_readfirstlane_b32 s0, v1
	s_add_i32 s0, s0, -1
	s_cmp_eq_u32 s0, 19
	s_cbranch_scc1 .LBB24_174
; %bb.173:
	s_lshl_b32 s0, s0, 3
	s_nop 0
	scratch_load_dwordx2 v[2:3], off, s0
	scratch_load_dwordx2 v[4:5], off, off offset:152
	s_waitcnt vmcnt(1)
	scratch_store_dwordx2 off, v[2:3], off offset:152
	s_waitcnt vmcnt(1)
	scratch_store_dwordx2 off, v[4:5], s0
.LBB24_174:
	;; [unrolled: 33-line block ×11, first 2 shown]
	global_load_dword v2, v0, s[16:17]
	s_nop 0
	scratch_load_dwordx2 v[0:1], off, off
	s_waitcnt vmcnt(1)
	v_readfirstlane_b32 s0, v2
	s_add_i32 s0, s0, -1
	s_cmp_eq_u32 s0, 0
	s_cbranch_scc1 .LBB24_212
; %bb.211:
	s_lshl_b32 s0, s0, 3
	s_nop 0
	scratch_load_dwordx2 v[2:3], off, s0
	s_waitcnt vmcnt(0)
	scratch_store_dwordx2 off, v[2:3], off
	scratch_store_dwordx2 off, v[0:1], s0
	scratch_load_dwordx2 v[0:1], off, off
.LBB24_212:
	s_nop 0
	scratch_load_dwordx4 v[2:5], off, off offset:8
	scratch_load_dwordx4 v[6:9], off, off offset:24
	;; [unrolled: 1-line block ×12, first 2 shown]
	s_waitcnt vmcnt(12)
	global_store_dwordx2 v[36:37], v[0:1], off
	s_waitcnt vmcnt(12)
	global_store_dwordx2 v[38:39], v[2:3], off
	global_store_dwordx2 v[40:41], v[4:5], off
	s_waitcnt vmcnt(13)
	global_store_dwordx2 v[42:43], v[6:7], off
	;; [unrolled: 3-line block ×12, first 2 shown]
	global_store_dwordx2 v[84:85], v[100:101], off
	s_endpgm
	.section	.rodata,"a",@progbits
	.p2align	6, 0x0
	.amdhsa_kernel _ZN9rocsolver6v33100L18getri_kernel_smallILi25E19rocblas_complex_numIfEPS3_EEvT1_iilPiilS6_bb
		.amdhsa_group_segment_fixed_size 408
		.amdhsa_private_segment_fixed_size 208
		.amdhsa_kernarg_size 60
		.amdhsa_user_sgpr_count 2
		.amdhsa_user_sgpr_dispatch_ptr 0
		.amdhsa_user_sgpr_queue_ptr 0
		.amdhsa_user_sgpr_kernarg_segment_ptr 1
		.amdhsa_user_sgpr_dispatch_id 0
		.amdhsa_user_sgpr_kernarg_preload_length 0
		.amdhsa_user_sgpr_kernarg_preload_offset 0
		.amdhsa_user_sgpr_private_segment_size 0
		.amdhsa_uses_dynamic_stack 0
		.amdhsa_enable_private_segment 1
		.amdhsa_system_sgpr_workgroup_id_x 1
		.amdhsa_system_sgpr_workgroup_id_y 0
		.amdhsa_system_sgpr_workgroup_id_z 0
		.amdhsa_system_sgpr_workgroup_info 0
		.amdhsa_system_vgpr_workitem_id 0
		.amdhsa_next_free_vgpr 149
		.amdhsa_next_free_sgpr 20
		.amdhsa_accum_offset 152
		.amdhsa_reserve_vcc 1
		.amdhsa_float_round_mode_32 0
		.amdhsa_float_round_mode_16_64 0
		.amdhsa_float_denorm_mode_32 3
		.amdhsa_float_denorm_mode_16_64 3
		.amdhsa_dx10_clamp 1
		.amdhsa_ieee_mode 1
		.amdhsa_fp16_overflow 0
		.amdhsa_tg_split 0
		.amdhsa_exception_fp_ieee_invalid_op 0
		.amdhsa_exception_fp_denorm_src 0
		.amdhsa_exception_fp_ieee_div_zero 0
		.amdhsa_exception_fp_ieee_overflow 0
		.amdhsa_exception_fp_ieee_underflow 0
		.amdhsa_exception_fp_ieee_inexact 0
		.amdhsa_exception_int_div_zero 0
	.end_amdhsa_kernel
	.section	.text._ZN9rocsolver6v33100L18getri_kernel_smallILi25E19rocblas_complex_numIfEPS3_EEvT1_iilPiilS6_bb,"axG",@progbits,_ZN9rocsolver6v33100L18getri_kernel_smallILi25E19rocblas_complex_numIfEPS3_EEvT1_iilPiilS6_bb,comdat
.Lfunc_end24:
	.size	_ZN9rocsolver6v33100L18getri_kernel_smallILi25E19rocblas_complex_numIfEPS3_EEvT1_iilPiilS6_bb, .Lfunc_end24-_ZN9rocsolver6v33100L18getri_kernel_smallILi25E19rocblas_complex_numIfEPS3_EEvT1_iilPiilS6_bb
                                        ; -- End function
	.set _ZN9rocsolver6v33100L18getri_kernel_smallILi25E19rocblas_complex_numIfEPS3_EEvT1_iilPiilS6_bb.num_vgpr, 149
	.set _ZN9rocsolver6v33100L18getri_kernel_smallILi25E19rocblas_complex_numIfEPS3_EEvT1_iilPiilS6_bb.num_agpr, 0
	.set _ZN9rocsolver6v33100L18getri_kernel_smallILi25E19rocblas_complex_numIfEPS3_EEvT1_iilPiilS6_bb.numbered_sgpr, 20
	.set _ZN9rocsolver6v33100L18getri_kernel_smallILi25E19rocblas_complex_numIfEPS3_EEvT1_iilPiilS6_bb.num_named_barrier, 0
	.set _ZN9rocsolver6v33100L18getri_kernel_smallILi25E19rocblas_complex_numIfEPS3_EEvT1_iilPiilS6_bb.private_seg_size, 208
	.set _ZN9rocsolver6v33100L18getri_kernel_smallILi25E19rocblas_complex_numIfEPS3_EEvT1_iilPiilS6_bb.uses_vcc, 1
	.set _ZN9rocsolver6v33100L18getri_kernel_smallILi25E19rocblas_complex_numIfEPS3_EEvT1_iilPiilS6_bb.uses_flat_scratch, 0
	.set _ZN9rocsolver6v33100L18getri_kernel_smallILi25E19rocblas_complex_numIfEPS3_EEvT1_iilPiilS6_bb.has_dyn_sized_stack, 0
	.set _ZN9rocsolver6v33100L18getri_kernel_smallILi25E19rocblas_complex_numIfEPS3_EEvT1_iilPiilS6_bb.has_recursion, 0
	.set _ZN9rocsolver6v33100L18getri_kernel_smallILi25E19rocblas_complex_numIfEPS3_EEvT1_iilPiilS6_bb.has_indirect_call, 0
	.section	.AMDGPU.csdata,"",@progbits
; Kernel info:
; codeLenInByte = 24436
; TotalNumSgprs: 26
; NumVgprs: 149
; NumAgprs: 0
; TotalNumVgprs: 149
; ScratchSize: 208
; MemoryBound: 0
; FloatMode: 240
; IeeeMode: 1
; LDSByteSize: 408 bytes/workgroup (compile time only)
; SGPRBlocks: 3
; VGPRBlocks: 18
; NumSGPRsForWavesPerEU: 26
; NumVGPRsForWavesPerEU: 149
; AccumOffset: 152
; Occupancy: 3
; WaveLimiterHint : 1
; COMPUTE_PGM_RSRC2:SCRATCH_EN: 1
; COMPUTE_PGM_RSRC2:USER_SGPR: 2
; COMPUTE_PGM_RSRC2:TRAP_HANDLER: 0
; COMPUTE_PGM_RSRC2:TGID_X_EN: 1
; COMPUTE_PGM_RSRC2:TGID_Y_EN: 0
; COMPUTE_PGM_RSRC2:TGID_Z_EN: 0
; COMPUTE_PGM_RSRC2:TIDIG_COMP_CNT: 0
; COMPUTE_PGM_RSRC3_GFX90A:ACCUM_OFFSET: 37
; COMPUTE_PGM_RSRC3_GFX90A:TG_SPLIT: 0
	.section	.text._ZN9rocsolver6v33100L18getri_kernel_smallILi26E19rocblas_complex_numIfEPS3_EEvT1_iilPiilS6_bb,"axG",@progbits,_ZN9rocsolver6v33100L18getri_kernel_smallILi26E19rocblas_complex_numIfEPS3_EEvT1_iilPiilS6_bb,comdat
	.globl	_ZN9rocsolver6v33100L18getri_kernel_smallILi26E19rocblas_complex_numIfEPS3_EEvT1_iilPiilS6_bb ; -- Begin function _ZN9rocsolver6v33100L18getri_kernel_smallILi26E19rocblas_complex_numIfEPS3_EEvT1_iilPiilS6_bb
	.p2align	8
	.type	_ZN9rocsolver6v33100L18getri_kernel_smallILi26E19rocblas_complex_numIfEPS3_EEvT1_iilPiilS6_bb,@function
_ZN9rocsolver6v33100L18getri_kernel_smallILi26E19rocblas_complex_numIfEPS3_EEvT1_iilPiilS6_bb: ; @_ZN9rocsolver6v33100L18getri_kernel_smallILi26E19rocblas_complex_numIfEPS3_EEvT1_iilPiilS6_bb
; %bb.0:
	v_cmp_gt_u32_e32 vcc, 26, v0
	s_and_saveexec_b64 s[4:5], vcc
	s_cbranch_execz .LBB25_118
; %bb.1:
	s_load_dword s8, s[0:1], 0x38
	s_load_dwordx4 s[12:15], s[0:1], 0x10
	s_load_dwordx4 s[4:7], s[0:1], 0x28
                                        ; implicit-def: $sgpr16_sgpr17
	s_waitcnt lgkmcnt(0)
	s_bitcmp1_b32 s8, 8
	s_cselect_b64 s[18:19], -1, 0
	s_ashr_i32 s3, s2, 31
	s_bfe_u32 s8, s8, 0x10008
	s_cmp_eq_u32 s8, 0
	s_cbranch_scc1 .LBB25_3
; %bb.2:
	s_load_dword s8, s[0:1], 0x20
	s_mul_i32 s9, s4, s3
	s_mul_hi_u32 s10, s4, s2
	s_mul_i32 s5, s5, s2
	s_add_i32 s10, s10, s9
	s_add_i32 s5, s10, s5
	s_mul_i32 s4, s4, s2
	s_waitcnt lgkmcnt(0)
	s_ashr_i32 s9, s8, 31
	s_lshl_b64 s[4:5], s[4:5], 2
	s_add_u32 s10, s14, s4
	s_addc_u32 s11, s15, s5
	s_lshl_b64 s[4:5], s[8:9], 2
	s_add_u32 s16, s10, s4
	s_addc_u32 s17, s11, s5
.LBB25_3:
	s_load_dwordx4 s[8:11], s[0:1], 0x0
	s_load_dword s4, s[0:1], 0x38
	s_mul_i32 s5, s12, s3
	s_mul_hi_u32 s14, s12, s2
	s_add_i32 s5, s14, s5
	s_waitcnt lgkmcnt(0)
	s_ashr_i32 s1, s10, 31
	s_mov_b32 s0, s10
	s_mul_i32 s10, s13, s2
	s_add_i32 s13, s5, s10
	s_mul_i32 s12, s12, s2
	s_lshl_b64 s[12:13], s[12:13], 3
	s_add_u32 s5, s8, s12
	s_addc_u32 s8, s9, s13
	s_lshl_b64 s[0:1], s[0:1], 3
	s_add_u32 s0, s5, s0
	s_addc_u32 s1, s8, s1
	s_add_i32 s5, s11, s11
	v_add_u32_e32 v4, s5, v0
	v_ashrrev_i32_e32 v5, 31, v4
	v_lshl_add_u64 v[52:53], v[4:5], 3, s[0:1]
	v_add_u32_e32 v4, s11, v4
	v_ashrrev_i32_e32 v5, 31, v4
	v_lshl_add_u64 v[54:55], v[4:5], 3, s[0:1]
	;; [unrolled: 3-line block ×21, first 2 shown]
	v_add_u32_e32 v4, s11, v4
	v_lshlrev_b32_e32 v2, 3, v0
	v_mov_b32_e32 v3, 0
	v_ashrrev_i32_e32 v5, 31, v4
	v_lshl_add_u64 v[48:49], s[0:1], 0, v[2:3]
	s_ashr_i32 s9, s11, 31
	s_mov_b32 s8, s11
	v_lshl_add_u64 v[94:95], v[4:5], 3, s[0:1]
	v_add_u32_e32 v4, s11, v4
	v_lshl_add_u64 v[50:51], s[8:9], 3, v[48:49]
	v_ashrrev_i32_e32 v5, 31, v4
	global_load_dwordx2 v[6:7], v2, s[0:1]
	global_load_dwordx2 v[8:9], v[50:51], off
	global_load_dwordx2 v[10:11], v[52:53], off
	;; [unrolled: 1-line block ×20, first 2 shown]
	v_lshl_add_u64 v[96:97], v[4:5], 3, s[0:1]
	global_load_dwordx2 v[102:103], v[90:91], off
	global_load_dwordx2 v[104:105], v[92:93], off
	;; [unrolled: 1-line block ×4, first 2 shown]
	v_add_u32_e32 v4, s11, v4
	v_ashrrev_i32_e32 v5, 31, v4
	v_lshl_add_u64 v[98:99], v[4:5], 3, s[0:1]
	global_load_dwordx2 v[110:111], v[98:99], off
	s_bitcmp0_b32 s4, 0
	s_mov_b64 s[4:5], -1
	s_waitcnt vmcnt(24)
	scratch_store_dwordx4 off, v[6:9], off
	s_waitcnt vmcnt(23)
	scratch_store_dwordx4 off, v[10:13], off offset:16
	s_waitcnt vmcnt(22)
	scratch_store_dwordx4 off, v[14:17], off offset:32
	;; [unrolled: 2-line block ×12, first 2 shown]
	s_cbranch_scc1 .LBB25_116
; %bb.4:
	v_cmp_eq_u32_e64 s[0:1], 0, v0
	s_and_saveexec_b64 s[4:5], s[0:1]
; %bb.5:
	v_mov_b32_e32 v1, 0
	ds_write_b32 v1, v1 offset:416
; %bb.6:
	s_or_b64 exec, exec, s[4:5]
	s_waitcnt lgkmcnt(0)
	; wave barrier
	scratch_load_dwordx2 v[4:5], v2, off
	s_waitcnt vmcnt(0)
	v_cmp_eq_f32_e32 vcc, 0, v4
	v_cmp_eq_f32_e64 s[4:5], 0, v5
	s_and_b64 s[4:5], vcc, s[4:5]
	s_and_saveexec_b64 s[8:9], s[4:5]
	s_cbranch_execz .LBB25_10
; %bb.7:
	v_mov_b32_e32 v1, 0
	ds_read_b32 v4, v1 offset:416
	v_add_u32_e32 v3, 1, v0
	s_waitcnt lgkmcnt(0)
	v_readfirstlane_b32 s4, v4
	s_cmp_eq_u32 s4, 0
	s_cselect_b64 s[10:11], -1, 0
	v_cmp_gt_i32_e32 vcc, s4, v3
	s_or_b64 s[10:11], s[10:11], vcc
	s_and_b64 exec, exec, s[10:11]
	s_cbranch_execz .LBB25_10
; %bb.8:
	s_mov_b64 s[10:11], 0
	v_mov_b32_e32 v4, s4
.LBB25_9:                               ; =>This Inner Loop Header: Depth=1
	ds_cmpst_rtn_b32 v4, v1, v4, v3 offset:416
	s_waitcnt lgkmcnt(0)
	v_cmp_ne_u32_e32 vcc, 0, v4
	v_cmp_le_i32_e64 s[4:5], v4, v3
	s_and_b64 s[4:5], vcc, s[4:5]
	s_and_b64 s[4:5], exec, s[4:5]
	s_or_b64 s[10:11], s[4:5], s[10:11]
	s_andn2_b64 exec, exec, s[10:11]
	s_cbranch_execnz .LBB25_9
.LBB25_10:
	s_or_b64 exec, exec, s[8:9]
	v_mov_b32_e32 v3, 0
	; wave barrier
	ds_read_b32 v1, v3 offset:416
	s_and_saveexec_b64 s[4:5], s[0:1]
	s_cbranch_execz .LBB25_12
; %bb.11:
	s_lshl_b64 s[8:9], s[2:3], 2
	s_add_u32 s8, s6, s8
	s_addc_u32 s9, s7, s9
	s_waitcnt lgkmcnt(0)
	global_store_dword v3, v1, s[8:9]
.LBB25_12:
	s_or_b64 exec, exec, s[4:5]
	s_waitcnt lgkmcnt(0)
	v_cmp_ne_u32_e32 vcc, 0, v1
	s_mov_b64 s[4:5], 0
	s_cbranch_vccnz .LBB25_116
; %bb.13:
	v_mov_b32_e32 v3, v2
	scratch_load_dwordx2 v[4:5], v3, off
                                        ; implicit-def: $vgpr7
                                        ; implicit-def: $vgpr8
	s_waitcnt vmcnt(0)
	v_cmp_ngt_f32_e64 s[4:5], |v4|, |v5|
	s_and_saveexec_b64 s[8:9], s[4:5]
	s_xor_b64 s[4:5], exec, s[8:9]
	s_cbranch_execz .LBB25_15
; %bb.14:
	v_div_scale_f32 v1, s[8:9], v5, v5, v4
	v_rcp_f32_e32 v6, v1
	v_div_scale_f32 v7, vcc, v4, v5, v4
	v_fma_f32 v8, -v1, v6, 1.0
	v_fmac_f32_e32 v6, v8, v6
	v_mul_f32_e32 v8, v7, v6
	v_fma_f32 v9, -v1, v8, v7
	v_fmac_f32_e32 v8, v9, v6
	v_fma_f32 v1, -v1, v8, v7
	v_div_fmas_f32 v1, v1, v6, v8
	v_div_fixup_f32 v1, v1, v5, v4
	v_fmac_f32_e32 v5, v4, v1
	v_div_scale_f32 v4, s[8:9], v5, v5, -1.0
	v_rcp_f32_e32 v6, v4
	s_nop 0
	v_fma_f32 v7, -v4, v6, 1.0
	v_fmac_f32_e32 v6, v7, v6
	v_div_scale_f32 v7, vcc, -1.0, v5, -1.0
	v_mul_f32_e32 v8, v7, v6
	v_fma_f32 v9, -v4, v8, v7
	v_fmac_f32_e32 v8, v9, v6
	v_fma_f32 v4, -v4, v8, v7
	v_div_fmas_f32 v4, v4, v6, v8
	v_div_fixup_f32 v7, v4, v5, -1.0
	v_mul_f32_e32 v8, v1, v7
	v_xor_b32_e32 v6, 0x80000000, v8
                                        ; implicit-def: $vgpr4_vgpr5
.LBB25_15:
	s_andn2_saveexec_b64 s[4:5], s[4:5]
	s_cbranch_execz .LBB25_17
; %bb.16:
	v_div_scale_f32 v1, s[8:9], v4, v4, v5
	v_rcp_f32_e32 v6, v1
	v_div_scale_f32 v7, vcc, v5, v4, v5
	v_fma_f32 v8, -v1, v6, 1.0
	v_fmac_f32_e32 v6, v8, v6
	v_mul_f32_e32 v8, v7, v6
	v_fma_f32 v9, -v1, v8, v7
	v_fmac_f32_e32 v8, v9, v6
	v_fma_f32 v1, -v1, v8, v7
	v_div_fmas_f32 v1, v1, v6, v8
	v_div_fixup_f32 v1, v1, v4, v5
	v_fmac_f32_e32 v4, v5, v1
	v_div_scale_f32 v5, s[8:9], v4, v4, 1.0
	v_rcp_f32_e32 v6, v5
	s_nop 0
	v_fma_f32 v7, -v5, v6, 1.0
	v_fmac_f32_e32 v6, v7, v6
	v_div_scale_f32 v7, vcc, 1.0, v4, 1.0
	v_mul_f32_e32 v8, v7, v6
	v_fma_f32 v9, -v5, v8, v7
	v_fmac_f32_e32 v8, v9, v6
	v_fma_f32 v5, -v5, v8, v7
	v_div_fmas_f32 v5, v5, v6, v8
	v_div_fixup_f32 v6, v5, v4, 1.0
	v_xor_b32_e32 v8, 0x80000000, v6
	v_mul_f32_e64 v7, v1, -v6
.LBB25_17:
	s_or_b64 exec, exec, s[4:5]
	scratch_store_dwordx2 v3, v[6:7], off
	scratch_load_dwordx2 v[4:5], off, off offset:8
	v_xor_b32_e32 v9, 0x80000000, v7
	v_add_u32_e32 v1, 0xd0, v2
	s_waitcnt vmcnt(0)
	ds_write2_b64 v2, v[8:9], v[4:5] offset1:26
	s_waitcnt lgkmcnt(0)
	; wave barrier
	s_and_saveexec_b64 s[4:5], s[0:1]
	s_cbranch_execz .LBB25_19
; %bb.18:
	scratch_load_dwordx2 v[4:5], v3, off
	ds_read_b64 v[6:7], v1
	v_mov_b32_e32 v8, 0
	ds_read_b64 v[8:9], v8 offset:8
	s_waitcnt vmcnt(0) lgkmcnt(1)
	v_pk_mul_f32 v[10:11], v[6:7], v[4:5] op_sel:[1,1] op_sel_hi:[0,1]
	v_pk_fma_f32 v[12:13], v[6:7], v[4:5], v[10:11] neg_lo:[0,0,1] neg_hi:[0,0,1]
	v_pk_fma_f32 v[4:5], v[6:7], v[4:5], v[10:11] op_sel_hi:[1,0,1]
	s_nop 0
	v_mov_b32_e32 v13, v5
	v_pk_add_f32 v[4:5], v[12:13], 0 op_sel_hi:[1,0]
	s_waitcnt lgkmcnt(0)
	v_pk_mul_f32 v[6:7], v[4:5], v[8:9] op_sel:[1,1] op_sel_hi:[0,1]
	v_pk_fma_f32 v[10:11], v[4:5], v[8:9], v[6:7] neg_lo:[0,0,1] neg_hi:[0,0,1]
	v_pk_fma_f32 v[4:5], v[4:5], v[8:9], v[6:7] op_sel_hi:[1,0,1]
	s_nop 0
	v_mov_b32_e32 v11, v5
	scratch_store_dwordx2 off, v[10:11], off offset:8
.LBB25_19:
	s_or_b64 exec, exec, s[4:5]
	; wave barrier
	scratch_load_dwordx2 v[4:5], off, off offset:16
	v_cmp_gt_u32_e32 vcc, 2, v0
	s_waitcnt vmcnt(0)
	ds_write_b64 v1, v[4:5]
	s_waitcnt lgkmcnt(0)
	; wave barrier
	s_and_saveexec_b64 s[4:5], vcc
	s_cbranch_execz .LBB25_23
; %bb.20:
	scratch_load_dwordx2 v[4:5], v3, off
	ds_read_b64 v[6:7], v1
	s_waitcnt vmcnt(0) lgkmcnt(0)
	v_pk_mul_f32 v[8:9], v[6:7], v[4:5] op_sel:[1,1] op_sel_hi:[0,1]
	v_pk_fma_f32 v[10:11], v[6:7], v[4:5], v[8:9] neg_lo:[0,0,1] neg_hi:[0,0,1]
	v_pk_fma_f32 v[4:5], v[6:7], v[4:5], v[8:9] op_sel_hi:[1,0,1]
	s_nop 0
	v_mov_b32_e32 v11, v5
	v_pk_add_f32 v[4:5], v[10:11], 0 op_sel_hi:[1,0]
	s_and_saveexec_b64 s[8:9], s[0:1]
	s_cbranch_execz .LBB25_22
; %bb.21:
	scratch_load_dwordx2 v[6:7], off, off offset:8
	v_mov_b32_e32 v3, 0
	ds_read_b64 v[8:9], v3 offset:216
	s_waitcnt vmcnt(0) lgkmcnt(0)
	v_pk_mul_f32 v[10:11], v[8:9], v[6:7] op_sel:[1,1] op_sel_hi:[0,1]
	v_pk_fma_f32 v[12:13], v[8:9], v[6:7], v[10:11] neg_lo:[0,0,1] neg_hi:[0,0,1]
	v_pk_fma_f32 v[6:7], v[8:9], v[6:7], v[10:11] op_sel_hi:[1,0,1]
	s_nop 0
	v_mov_b32_e32 v13, v7
	v_pk_add_f32 v[4:5], v[4:5], v[12:13]
.LBB25_22:
	s_or_b64 exec, exec, s[8:9]
	v_mov_b32_e32 v3, 0
	ds_read_b64 v[6:7], v3 offset:16
	s_waitcnt lgkmcnt(0)
	v_pk_mul_f32 v[8:9], v[4:5], v[6:7] op_sel:[1,1] op_sel_hi:[0,1]
	v_pk_fma_f32 v[10:11], v[4:5], v[6:7], v[8:9] neg_lo:[0,0,1] neg_hi:[0,0,1]
	v_pk_fma_f32 v[4:5], v[4:5], v[6:7], v[8:9] op_sel_hi:[1,0,1]
	s_nop 0
	v_mov_b32_e32 v11, v5
	scratch_store_dwordx2 off, v[10:11], off offset:16
.LBB25_23:
	s_or_b64 exec, exec, s[4:5]
	; wave barrier
	scratch_load_dwordx2 v[4:5], off, off offset:24
	v_cmp_gt_u32_e32 vcc, 3, v0
	v_add_u32_e32 v6, -1, v0
	s_waitcnt vmcnt(0)
	ds_write_b64 v1, v[4:5]
	s_waitcnt lgkmcnt(0)
	; wave barrier
	s_and_saveexec_b64 s[0:1], vcc
	s_cbranch_execz .LBB25_27
; %bb.24:
	v_mov_b32_e32 v4, 0
	v_add_u32_e32 v3, -1, v0
	v_add_u32_e32 v7, 0xd0, v2
	v_mov_b32_e32 v8, v2
	s_mov_b64 s[4:5], 0
	v_mov_b32_e32 v5, v4
.LBB25_25:                              ; =>This Inner Loop Header: Depth=1
	scratch_load_dwordx2 v[10:11], v8, off
	ds_read_b64 v[12:13], v7
	v_add_u32_e32 v3, 1, v3
	v_cmp_lt_u32_e32 vcc, 1, v3
	v_add_u32_e32 v7, 8, v7
	v_add_u32_e32 v8, 8, v8
	s_or_b64 s[4:5], vcc, s[4:5]
	s_waitcnt vmcnt(0) lgkmcnt(0)
	v_pk_mul_f32 v[14:15], v[12:13], v[10:11] op_sel:[1,1] op_sel_hi:[0,1]
	v_pk_fma_f32 v[16:17], v[12:13], v[10:11], v[14:15] neg_lo:[0,0,1] neg_hi:[0,0,1]
	v_pk_fma_f32 v[10:11], v[12:13], v[10:11], v[14:15] op_sel_hi:[1,0,1]
	s_nop 0
	v_mov_b32_e32 v17, v11
	v_pk_add_f32 v[4:5], v[4:5], v[16:17]
	s_andn2_b64 exec, exec, s[4:5]
	s_cbranch_execnz .LBB25_25
; %bb.26:
	s_or_b64 exec, exec, s[4:5]
	v_mov_b32_e32 v3, 0
	ds_read_b64 v[8:9], v3 offset:24
	s_waitcnt lgkmcnt(0)
	v_pk_mul_f32 v[10:11], v[4:5], v[8:9] op_sel:[1,1] op_sel_hi:[0,1]
	v_pk_fma_f32 v[12:13], v[4:5], v[8:9], v[10:11] neg_lo:[0,0,1] neg_hi:[0,0,1]
	v_pk_fma_f32 v[4:5], v[4:5], v[8:9], v[10:11] op_sel_hi:[1,0,1]
	s_nop 0
	v_mov_b32_e32 v13, v5
	scratch_store_dwordx2 off, v[12:13], off offset:24
.LBB25_27:
	s_or_b64 exec, exec, s[0:1]
	; wave barrier
	scratch_load_dwordx2 v[4:5], off, off offset:32
	v_cmp_gt_u32_e32 vcc, 4, v0
	s_waitcnt vmcnt(0)
	ds_write_b64 v1, v[4:5]
	s_waitcnt lgkmcnt(0)
	; wave barrier
	s_and_saveexec_b64 s[0:1], vcc
	s_cbranch_execz .LBB25_31
; %bb.28:
	v_mov_b32_e32 v4, 0
	v_add_u32_e32 v3, -1, v0
	v_add_u32_e32 v7, 0xd0, v2
	v_mov_b32_e32 v8, v2
	s_mov_b64 s[4:5], 0
	v_mov_b32_e32 v5, v4
.LBB25_29:                              ; =>This Inner Loop Header: Depth=1
	scratch_load_dwordx2 v[10:11], v8, off
	ds_read_b64 v[12:13], v7
	v_add_u32_e32 v3, 1, v3
	v_cmp_lt_u32_e32 vcc, 2, v3
	v_add_u32_e32 v7, 8, v7
	v_add_u32_e32 v8, 8, v8
	s_or_b64 s[4:5], vcc, s[4:5]
	s_waitcnt vmcnt(0) lgkmcnt(0)
	v_pk_mul_f32 v[14:15], v[12:13], v[10:11] op_sel:[1,1] op_sel_hi:[0,1]
	v_pk_fma_f32 v[16:17], v[12:13], v[10:11], v[14:15] neg_lo:[0,0,1] neg_hi:[0,0,1]
	v_pk_fma_f32 v[10:11], v[12:13], v[10:11], v[14:15] op_sel_hi:[1,0,1]
	s_nop 0
	v_mov_b32_e32 v17, v11
	v_pk_add_f32 v[4:5], v[4:5], v[16:17]
	s_andn2_b64 exec, exec, s[4:5]
	s_cbranch_execnz .LBB25_29
; %bb.30:
	s_or_b64 exec, exec, s[4:5]
	v_mov_b32_e32 v3, 0
	ds_read_b64 v[8:9], v3 offset:32
	s_waitcnt lgkmcnt(0)
	v_pk_mul_f32 v[10:11], v[4:5], v[8:9] op_sel:[1,1] op_sel_hi:[0,1]
	v_pk_fma_f32 v[12:13], v[4:5], v[8:9], v[10:11] neg_lo:[0,0,1] neg_hi:[0,0,1]
	v_pk_fma_f32 v[4:5], v[4:5], v[8:9], v[10:11] op_sel_hi:[1,0,1]
	s_nop 0
	v_mov_b32_e32 v13, v5
	scratch_store_dwordx2 off, v[12:13], off offset:32
.LBB25_31:
	s_or_b64 exec, exec, s[0:1]
	; wave barrier
	scratch_load_dwordx2 v[4:5], off, off offset:40
	v_cmp_gt_u32_e32 vcc, 5, v0
	;; [unrolled: 46-line block ×19, first 2 shown]
	s_waitcnt vmcnt(0)
	ds_write_b64 v1, v[4:5]
	s_waitcnt lgkmcnt(0)
	; wave barrier
	s_and_saveexec_b64 s[0:1], vcc
	s_cbranch_execz .LBB25_103
; %bb.100:
	v_mov_b32_e32 v4, 0
	v_add_u32_e32 v3, -1, v0
	v_add_u32_e32 v7, 0xd0, v2
	v_mov_b32_e32 v8, v2
	s_mov_b64 s[4:5], 0
	v_mov_b32_e32 v5, v4
.LBB25_101:                             ; =>This Inner Loop Header: Depth=1
	scratch_load_dwordx2 v[10:11], v8, off
	ds_read_b64 v[12:13], v7
	v_add_u32_e32 v3, 1, v3
	v_cmp_lt_u32_e32 vcc, 20, v3
	v_add_u32_e32 v7, 8, v7
	v_add_u32_e32 v8, 8, v8
	s_or_b64 s[4:5], vcc, s[4:5]
	s_waitcnt vmcnt(0) lgkmcnt(0)
	v_pk_mul_f32 v[14:15], v[12:13], v[10:11] op_sel:[1,1] op_sel_hi:[0,1]
	v_pk_fma_f32 v[16:17], v[12:13], v[10:11], v[14:15] neg_lo:[0,0,1] neg_hi:[0,0,1]
	v_pk_fma_f32 v[10:11], v[12:13], v[10:11], v[14:15] op_sel_hi:[1,0,1]
	s_nop 0
	v_mov_b32_e32 v17, v11
	v_pk_add_f32 v[4:5], v[4:5], v[16:17]
	s_andn2_b64 exec, exec, s[4:5]
	s_cbranch_execnz .LBB25_101
; %bb.102:
	s_or_b64 exec, exec, s[4:5]
	v_mov_b32_e32 v3, 0
	ds_read_b64 v[8:9], v3 offset:176
	s_waitcnt lgkmcnt(0)
	v_pk_mul_f32 v[10:11], v[4:5], v[8:9] op_sel:[1,1] op_sel_hi:[0,1]
	v_pk_fma_f32 v[12:13], v[4:5], v[8:9], v[10:11] neg_lo:[0,0,1] neg_hi:[0,0,1]
	v_pk_fma_f32 v[4:5], v[4:5], v[8:9], v[10:11] op_sel_hi:[1,0,1]
	s_nop 0
	v_mov_b32_e32 v13, v5
	scratch_store_dwordx2 off, v[12:13], off offset:176
.LBB25_103:
	s_or_b64 exec, exec, s[0:1]
	; wave barrier
	scratch_load_dwordx2 v[4:5], off, off offset:184
	v_cmp_gt_u32_e32 vcc, 23, v0
	s_waitcnt vmcnt(0)
	ds_write_b64 v1, v[4:5]
	s_waitcnt lgkmcnt(0)
	; wave barrier
	s_and_saveexec_b64 s[0:1], vcc
	s_cbranch_execz .LBB25_107
; %bb.104:
	v_mov_b32_e32 v4, 0
	v_add_u32_e32 v3, -1, v0
	v_add_u32_e32 v7, 0xd0, v2
	v_mov_b32_e32 v8, v2
	s_mov_b64 s[4:5], 0
	v_mov_b32_e32 v5, v4
.LBB25_105:                             ; =>This Inner Loop Header: Depth=1
	scratch_load_dwordx2 v[10:11], v8, off
	ds_read_b64 v[12:13], v7
	v_add_u32_e32 v3, 1, v3
	v_cmp_lt_u32_e32 vcc, 21, v3
	v_add_u32_e32 v7, 8, v7
	v_add_u32_e32 v8, 8, v8
	s_or_b64 s[4:5], vcc, s[4:5]
	s_waitcnt vmcnt(0) lgkmcnt(0)
	v_pk_mul_f32 v[14:15], v[12:13], v[10:11] op_sel:[1,1] op_sel_hi:[0,1]
	v_pk_fma_f32 v[16:17], v[12:13], v[10:11], v[14:15] neg_lo:[0,0,1] neg_hi:[0,0,1]
	v_pk_fma_f32 v[10:11], v[12:13], v[10:11], v[14:15] op_sel_hi:[1,0,1]
	s_nop 0
	v_mov_b32_e32 v17, v11
	v_pk_add_f32 v[4:5], v[4:5], v[16:17]
	s_andn2_b64 exec, exec, s[4:5]
	s_cbranch_execnz .LBB25_105
; %bb.106:
	s_or_b64 exec, exec, s[4:5]
	v_mov_b32_e32 v3, 0
	ds_read_b64 v[8:9], v3 offset:184
	s_waitcnt lgkmcnt(0)
	v_pk_mul_f32 v[10:11], v[4:5], v[8:9] op_sel:[1,1] op_sel_hi:[0,1]
	v_pk_fma_f32 v[12:13], v[4:5], v[8:9], v[10:11] neg_lo:[0,0,1] neg_hi:[0,0,1]
	v_pk_fma_f32 v[4:5], v[4:5], v[8:9], v[10:11] op_sel_hi:[1,0,1]
	s_nop 0
	v_mov_b32_e32 v13, v5
	scratch_store_dwordx2 off, v[12:13], off offset:184
.LBB25_107:
	s_or_b64 exec, exec, s[0:1]
	; wave barrier
	scratch_load_dwordx2 v[4:5], off, off offset:192
	v_cmp_gt_u32_e32 vcc, 24, v0
	s_waitcnt vmcnt(0)
	ds_write_b64 v1, v[4:5]
	s_waitcnt lgkmcnt(0)
	; wave barrier
	s_and_saveexec_b64 s[0:1], vcc
	s_cbranch_execz .LBB25_111
; %bb.108:
	v_mov_b32_e32 v4, 0
	v_add_u32_e32 v3, -1, v0
	v_add_u32_e32 v7, 0xd0, v2
	v_mov_b32_e32 v8, v2
	s_mov_b64 s[4:5], 0
	v_mov_b32_e32 v5, v4
.LBB25_109:                             ; =>This Inner Loop Header: Depth=1
	scratch_load_dwordx2 v[10:11], v8, off
	ds_read_b64 v[12:13], v7
	v_add_u32_e32 v3, 1, v3
	v_cmp_lt_u32_e32 vcc, 22, v3
	v_add_u32_e32 v7, 8, v7
	v_add_u32_e32 v8, 8, v8
	s_or_b64 s[4:5], vcc, s[4:5]
	s_waitcnt vmcnt(0) lgkmcnt(0)
	v_pk_mul_f32 v[14:15], v[12:13], v[10:11] op_sel:[1,1] op_sel_hi:[0,1]
	v_pk_fma_f32 v[16:17], v[12:13], v[10:11], v[14:15] neg_lo:[0,0,1] neg_hi:[0,0,1]
	v_pk_fma_f32 v[10:11], v[12:13], v[10:11], v[14:15] op_sel_hi:[1,0,1]
	s_nop 0
	v_mov_b32_e32 v17, v11
	v_pk_add_f32 v[4:5], v[4:5], v[16:17]
	s_andn2_b64 exec, exec, s[4:5]
	s_cbranch_execnz .LBB25_109
; %bb.110:
	s_or_b64 exec, exec, s[4:5]
	v_mov_b32_e32 v3, 0
	ds_read_b64 v[8:9], v3 offset:192
	s_waitcnt lgkmcnt(0)
	v_pk_mul_f32 v[10:11], v[4:5], v[8:9] op_sel:[1,1] op_sel_hi:[0,1]
	v_pk_fma_f32 v[12:13], v[4:5], v[8:9], v[10:11] neg_lo:[0,0,1] neg_hi:[0,0,1]
	v_pk_fma_f32 v[4:5], v[4:5], v[8:9], v[10:11] op_sel_hi:[1,0,1]
	s_nop 0
	v_mov_b32_e32 v13, v5
	scratch_store_dwordx2 off, v[12:13], off offset:192
.LBB25_111:
	s_or_b64 exec, exec, s[0:1]
	; wave barrier
	scratch_load_dwordx2 v[4:5], off, off offset:200
	v_cmp_ne_u32_e32 vcc, 25, v0
	s_waitcnt vmcnt(0)
	ds_write_b64 v1, v[4:5]
	s_waitcnt lgkmcnt(0)
	; wave barrier
	s_and_saveexec_b64 s[0:1], vcc
	s_cbranch_execz .LBB25_115
; %bb.112:
	v_add_u32_e32 v1, 0xd0, v2
	v_mov_b32_e32 v4, v2
	v_mov_b32_e32 v2, 0
	s_mov_b64 s[4:5], 0
	v_mov_b32_e32 v3, v2
.LBB25_113:                             ; =>This Inner Loop Header: Depth=1
	scratch_load_dwordx2 v[8:9], v4, off
	ds_read_b64 v[10:11], v1
	v_add_u32_e32 v6, 1, v6
	v_cmp_lt_u32_e32 vcc, 23, v6
	v_add_u32_e32 v1, 8, v1
	v_add_u32_e32 v4, 8, v4
	s_or_b64 s[4:5], vcc, s[4:5]
	s_waitcnt vmcnt(0) lgkmcnt(0)
	v_pk_mul_f32 v[12:13], v[10:11], v[8:9] op_sel:[1,1] op_sel_hi:[0,1]
	v_pk_fma_f32 v[14:15], v[10:11], v[8:9], v[12:13] neg_lo:[0,0,1] neg_hi:[0,0,1]
	v_pk_fma_f32 v[8:9], v[10:11], v[8:9], v[12:13] op_sel_hi:[1,0,1]
	s_nop 0
	v_mov_b32_e32 v15, v9
	v_pk_add_f32 v[2:3], v[2:3], v[14:15]
	s_andn2_b64 exec, exec, s[4:5]
	s_cbranch_execnz .LBB25_113
; %bb.114:
	s_or_b64 exec, exec, s[4:5]
	v_mov_b32_e32 v1, 0
	ds_read_b64 v[4:5], v1 offset:200
	s_waitcnt lgkmcnt(0)
	v_pk_mul_f32 v[6:7], v[2:3], v[4:5] op_sel:[1,1] op_sel_hi:[0,1]
	v_pk_fma_f32 v[8:9], v[2:3], v[4:5], v[6:7] neg_lo:[0,0,1] neg_hi:[0,0,1]
	v_pk_fma_f32 v[2:3], v[2:3], v[4:5], v[6:7] op_sel_hi:[1,0,1]
	s_nop 0
	v_mov_b32_e32 v9, v3
	scratch_store_dwordx2 off, v[8:9], off offset:200
.LBB25_115:
	s_or_b64 exec, exec, s[0:1]
	s_mov_b64 s[4:5], -1
	; wave barrier
.LBB25_116:
	s_and_b64 vcc, exec, s[4:5]
	s_cbranch_vccz .LBB25_118
; %bb.117:
	s_lshl_b64 s[0:1], s[2:3], 2
	s_add_u32 s0, s6, s0
	s_addc_u32 s1, s7, s1
	v_mov_b32_e32 v1, 0
	global_load_dword v1, v1, s[0:1]
	s_waitcnt vmcnt(0)
	v_cmp_ne_u32_e32 vcc, 0, v1
	s_cbranch_vccz .LBB25_119
.LBB25_118:
	s_endpgm
.LBB25_119:
	v_mov_b32_e32 v1, 0xd0
	v_lshl_add_u32 v1, v0, 3, v1
	v_cmp_eq_u32_e32 vcc, 25, v0
	s_and_saveexec_b64 s[0:1], vcc
	s_cbranch_execz .LBB25_121
; %bb.120:
	scratch_load_dwordx2 v[2:3], off, off offset:192
	v_mov_b32_e32 v4, 0
	v_mov_b32_e32 v5, v4
	scratch_store_dwordx2 off, v[4:5], off offset:192
	s_waitcnt vmcnt(1)
	ds_write_b64 v1, v[2:3]
.LBB25_121:
	s_or_b64 exec, exec, s[0:1]
	s_waitcnt lgkmcnt(0)
	; wave barrier
	scratch_load_dwordx2 v[4:5], off, off offset:200
	scratch_load_dwordx2 v[6:7], off, off offset:192
	v_mov_b32_e32 v2, 0
	ds_read_b64 v[8:9], v2 offset:408
	v_cmp_lt_u32_e32 vcc, 23, v0
	s_waitcnt vmcnt(1) lgkmcnt(0)
	v_pk_mul_f32 v[10:11], v[8:9], v[4:5] op_sel:[1,1] op_sel_hi:[0,1]
	v_pk_fma_f32 v[12:13], v[8:9], v[4:5], v[10:11] neg_lo:[0,0,1] neg_hi:[0,0,1]
	v_pk_fma_f32 v[4:5], v[8:9], v[4:5], v[10:11] op_sel_hi:[1,0,1]
	s_nop 0
	v_mov_b32_e32 v13, v5
	v_pk_add_f32 v[4:5], v[12:13], 0 op_sel_hi:[1,0]
	s_waitcnt vmcnt(0)
	v_pk_add_f32 v[4:5], v[6:7], v[4:5] neg_lo:[0,1] neg_hi:[0,1]
	scratch_store_dwordx2 off, v[4:5], off offset:192
	s_and_saveexec_b64 s[0:1], vcc
	s_cbranch_execz .LBB25_123
; %bb.122:
	scratch_load_dwordx2 v[4:5], off, off offset:184
	v_mov_b32_e32 v3, v2
	scratch_store_dwordx2 off, v[2:3], off offset:184
	s_waitcnt vmcnt(1)
	ds_write_b64 v1, v[4:5]
.LBB25_123:
	s_or_b64 exec, exec, s[0:1]
	s_waitcnt lgkmcnt(0)
	; wave barrier
	scratch_load_dwordx4 v[4:7], off, off offset:192
	scratch_load_dwordx2 v[12:13], off, off offset:184
	ds_read_b128 v[8:11], v2 offset:400
	v_cmp_lt_u32_e32 vcc, 22, v0
	s_waitcnt vmcnt(1) lgkmcnt(0)
	v_pk_mul_f32 v[2:3], v[8:9], v[4:5] op_sel:[1,1] op_sel_hi:[0,1]
	v_mov_b32_e32 v14, v7
	v_pk_fma_f32 v[16:17], v[8:9], v[4:5], v[2:3] neg_lo:[0,0,1] neg_hi:[0,0,1]
	v_pk_fma_f32 v[2:3], v[8:9], v[4:5], v[2:3] op_sel_hi:[1,0,1]
	v_pk_mul_f32 v[4:5], v[10:11], v[14:15] op_sel:[1,0] op_sel_hi:[0,0]
	v_mov_b32_e32 v17, v3
	v_pk_fma_f32 v[2:3], v[10:11], v[6:7], v[4:5] neg_lo:[0,0,1] neg_hi:[0,0,1]
	v_pk_fma_f32 v[4:5], v[10:11], v[6:7], v[4:5] op_sel_hi:[1,0,1]
	v_pk_add_f32 v[6:7], v[16:17], 0 op_sel_hi:[1,0]
	v_mov_b32_e32 v3, v5
	v_pk_add_f32 v[2:3], v[6:7], v[2:3]
	s_waitcnt vmcnt(0)
	v_pk_add_f32 v[2:3], v[12:13], v[2:3] neg_lo:[0,1] neg_hi:[0,1]
	scratch_store_dwordx2 off, v[2:3], off offset:184
	s_and_saveexec_b64 s[0:1], vcc
	s_cbranch_execz .LBB25_125
; %bb.124:
	scratch_load_dwordx2 v[2:3], off, off offset:176
	v_mov_b32_e32 v4, 0
	v_mov_b32_e32 v5, v4
	scratch_store_dwordx2 off, v[4:5], off offset:176
	s_waitcnt vmcnt(1)
	ds_write_b64 v1, v[2:3]
.LBB25_125:
	s_or_b64 exec, exec, s[0:1]
	s_waitcnt lgkmcnt(0)
	; wave barrier
	scratch_load_dwordx4 v[4:7], off, off offset:184
	scratch_load_dwordx2 v[12:13], off, off offset:200
	scratch_load_dwordx2 v[14:15], off, off offset:176
	v_mov_b32_e32 v2, 0
	ds_read2_b64 v[8:11], v2 offset0:49 offset1:50
	ds_read_b64 v[16:17], v2 offset:408
	v_cmp_lt_u32_e32 vcc, 21, v0
	s_waitcnt vmcnt(2) lgkmcnt(1)
	v_pk_mul_f32 v[18:19], v[8:9], v[4:5] op_sel:[1,1] op_sel_hi:[0,1]
	v_mov_b32_e32 v20, v7
	v_pk_fma_f32 v[24:25], v[8:9], v[4:5], v[18:19] neg_lo:[0,0,1] neg_hi:[0,0,1]
	v_pk_fma_f32 v[4:5], v[8:9], v[4:5], v[18:19] op_sel_hi:[1,0,1]
	v_pk_mul_f32 v[8:9], v[10:11], v[20:21] op_sel:[1,0] op_sel_hi:[0,0]
	s_waitcnt vmcnt(1) lgkmcnt(0)
	v_pk_mul_f32 v[22:23], v[16:17], v[12:13] op_sel:[1,1] op_sel_hi:[0,1]
	v_mov_b32_e32 v25, v5
	v_pk_fma_f32 v[4:5], v[10:11], v[6:7], v[8:9] neg_lo:[0,0,1] neg_hi:[0,0,1]
	v_pk_fma_f32 v[6:7], v[10:11], v[6:7], v[8:9] op_sel_hi:[1,0,1]
	v_pk_fma_f32 v[18:19], v[16:17], v[12:13], v[22:23] neg_lo:[0,0,1] neg_hi:[0,0,1]
	v_pk_fma_f32 v[12:13], v[16:17], v[12:13], v[22:23] op_sel_hi:[1,0,1]
	v_pk_add_f32 v[8:9], v[24:25], 0 op_sel_hi:[1,0]
	v_mov_b32_e32 v5, v7
	v_mov_b32_e32 v19, v13
	v_pk_add_f32 v[4:5], v[8:9], v[4:5]
	s_nop 0
	v_pk_add_f32 v[4:5], v[4:5], v[18:19]
	s_waitcnt vmcnt(0)
	v_pk_add_f32 v[4:5], v[14:15], v[4:5] neg_lo:[0,1] neg_hi:[0,1]
	scratch_store_dwordx2 off, v[4:5], off offset:176
	s_and_saveexec_b64 s[0:1], vcc
	s_cbranch_execz .LBB25_127
; %bb.126:
	scratch_load_dwordx2 v[4:5], off, off offset:168
	v_mov_b32_e32 v3, v2
	scratch_store_dwordx2 off, v[2:3], off offset:168
	s_waitcnt vmcnt(1)
	ds_write_b64 v1, v[4:5]
.LBB25_127:
	s_or_b64 exec, exec, s[0:1]
	s_waitcnt lgkmcnt(0)
	; wave barrier
	scratch_load_dwordx4 v[4:7], off, off offset:176
	scratch_load_dwordx4 v[8:11], off, off offset:192
	scratch_load_dwordx2 v[20:21], off, off offset:168
	ds_read_b128 v[12:15], v2 offset:384
	ds_read_b128 v[16:19], v2 offset:400
	v_cmp_lt_u32_e32 vcc, 20, v0
	s_waitcnt vmcnt(2) lgkmcnt(1)
	v_pk_mul_f32 v[2:3], v[12:13], v[4:5] op_sel:[1,1] op_sel_hi:[0,1]
	v_mov_b32_e32 v22, v7
	s_waitcnt vmcnt(1) lgkmcnt(0)
	v_pk_mul_f32 v[24:25], v[16:17], v[8:9] op_sel:[1,1] op_sel_hi:[0,1]
	v_mov_b32_e32 v26, v11
	v_pk_fma_f32 v[28:29], v[12:13], v[4:5], v[2:3] neg_lo:[0,0,1] neg_hi:[0,0,1]
	v_pk_fma_f32 v[2:3], v[12:13], v[4:5], v[2:3] op_sel_hi:[1,0,1]
	v_pk_mul_f32 v[4:5], v[14:15], v[22:23] op_sel:[1,0] op_sel_hi:[0,0]
	v_pk_fma_f32 v[12:13], v[16:17], v[8:9], v[24:25] neg_lo:[0,0,1] neg_hi:[0,0,1]
	v_pk_fma_f32 v[8:9], v[16:17], v[8:9], v[24:25] op_sel_hi:[1,0,1]
	v_pk_mul_f32 v[16:17], v[18:19], v[26:27] op_sel:[1,0] op_sel_hi:[0,0]
	v_mov_b32_e32 v29, v3
	v_pk_fma_f32 v[2:3], v[14:15], v[6:7], v[4:5] neg_lo:[0,0,1] neg_hi:[0,0,1]
	v_pk_fma_f32 v[4:5], v[14:15], v[6:7], v[4:5] op_sel_hi:[1,0,1]
	v_mov_b32_e32 v13, v9
	v_pk_fma_f32 v[6:7], v[18:19], v[10:11], v[16:17] neg_lo:[0,0,1] neg_hi:[0,0,1]
	v_pk_fma_f32 v[8:9], v[18:19], v[10:11], v[16:17] op_sel_hi:[1,0,1]
	v_pk_add_f32 v[10:11], v[28:29], 0 op_sel_hi:[1,0]
	v_mov_b32_e32 v3, v5
	v_pk_add_f32 v[2:3], v[10:11], v[2:3]
	v_mov_b32_e32 v7, v9
	v_pk_add_f32 v[2:3], v[2:3], v[12:13]
	s_nop 0
	v_pk_add_f32 v[2:3], v[2:3], v[6:7]
	s_waitcnt vmcnt(0)
	v_pk_add_f32 v[2:3], v[20:21], v[2:3] neg_lo:[0,1] neg_hi:[0,1]
	scratch_store_dwordx2 off, v[2:3], off offset:168
	s_and_saveexec_b64 s[0:1], vcc
	s_cbranch_execz .LBB25_129
; %bb.128:
	scratch_load_dwordx2 v[2:3], off, off offset:160
	v_mov_b32_e32 v4, 0
	v_mov_b32_e32 v5, v4
	scratch_store_dwordx2 off, v[4:5], off offset:160
	s_waitcnt vmcnt(1)
	ds_write_b64 v1, v[2:3]
.LBB25_129:
	s_or_b64 exec, exec, s[0:1]
	s_waitcnt lgkmcnt(0)
	; wave barrier
	scratch_load_dwordx4 v[4:7], off, off offset:168
	scratch_load_dwordx4 v[8:11], off, off offset:184
	scratch_load_dwordx2 v[20:21], off, off offset:200
	scratch_load_dwordx2 v[22:23], off, off offset:160
	v_mov_b32_e32 v2, 0
	ds_read2_b64 v[12:15], v2 offset0:47 offset1:48
	ds_read2_b64 v[16:19], v2 offset0:49 offset1:50
	ds_read_b64 v[24:25], v2 offset:408
	v_cmp_lt_u32_e32 vcc, 19, v0
	s_waitcnt vmcnt(3) lgkmcnt(2)
	v_pk_mul_f32 v[26:27], v[12:13], v[4:5] op_sel:[1,1] op_sel_hi:[0,1]
	v_mov_b32_e32 v28, v7
	v_pk_fma_f32 v[36:37], v[12:13], v[4:5], v[26:27] neg_lo:[0,0,1] neg_hi:[0,0,1]
	v_pk_fma_f32 v[4:5], v[12:13], v[4:5], v[26:27] op_sel_hi:[1,0,1]
	v_pk_mul_f32 v[12:13], v[14:15], v[28:29] op_sel:[1,0] op_sel_hi:[0,0]
	s_waitcnt vmcnt(2) lgkmcnt(1)
	v_pk_mul_f32 v[30:31], v[16:17], v[8:9] op_sel:[1,1] op_sel_hi:[0,1]
	v_mov_b32_e32 v32, v11
	v_mov_b32_e32 v37, v5
	v_pk_fma_f32 v[4:5], v[14:15], v[6:7], v[12:13] neg_lo:[0,0,1] neg_hi:[0,0,1]
	v_pk_fma_f32 v[6:7], v[14:15], v[6:7], v[12:13] op_sel_hi:[1,0,1]
	v_pk_fma_f32 v[26:27], v[16:17], v[8:9], v[30:31] neg_lo:[0,0,1] neg_hi:[0,0,1]
	v_pk_fma_f32 v[8:9], v[16:17], v[8:9], v[30:31] op_sel_hi:[1,0,1]
	v_pk_mul_f32 v[16:17], v[18:19], v[32:33] op_sel:[1,0] op_sel_hi:[0,0]
	v_pk_add_f32 v[12:13], v[36:37], 0 op_sel_hi:[1,0]
	v_mov_b32_e32 v5, v7
	s_waitcnt vmcnt(1) lgkmcnt(0)
	v_pk_mul_f32 v[34:35], v[24:25], v[20:21] op_sel:[1,1] op_sel_hi:[0,1]
	v_mov_b32_e32 v27, v9
	v_pk_fma_f32 v[8:9], v[18:19], v[10:11], v[16:17] neg_lo:[0,0,1] neg_hi:[0,0,1]
	v_pk_fma_f32 v[10:11], v[18:19], v[10:11], v[16:17] op_sel_hi:[1,0,1]
	v_pk_add_f32 v[4:5], v[12:13], v[4:5]
	v_pk_fma_f32 v[28:29], v[24:25], v[20:21], v[34:35] neg_lo:[0,0,1] neg_hi:[0,0,1]
	v_pk_fma_f32 v[20:21], v[24:25], v[20:21], v[34:35] op_sel_hi:[1,0,1]
	v_mov_b32_e32 v9, v11
	v_pk_add_f32 v[4:5], v[4:5], v[26:27]
	v_mov_b32_e32 v29, v21
	v_pk_add_f32 v[4:5], v[4:5], v[8:9]
	s_nop 0
	v_pk_add_f32 v[4:5], v[4:5], v[28:29]
	s_waitcnt vmcnt(0)
	v_pk_add_f32 v[4:5], v[22:23], v[4:5] neg_lo:[0,1] neg_hi:[0,1]
	scratch_store_dwordx2 off, v[4:5], off offset:160
	s_and_saveexec_b64 s[0:1], vcc
	s_cbranch_execz .LBB25_131
; %bb.130:
	scratch_load_dwordx2 v[4:5], off, off offset:152
	v_mov_b32_e32 v3, v2
	scratch_store_dwordx2 off, v[2:3], off offset:152
	s_waitcnt vmcnt(1)
	ds_write_b64 v1, v[4:5]
.LBB25_131:
	s_or_b64 exec, exec, s[0:1]
	s_waitcnt lgkmcnt(0)
	; wave barrier
	scratch_load_dwordx4 v[4:7], off, off offset:160
	scratch_load_dwordx4 v[8:11], off, off offset:176
	scratch_load_dwordx4 v[12:15], off, off offset:192
	scratch_load_dwordx2 v[28:29], off, off offset:152
	ds_read_b128 v[16:19], v2 offset:368
	ds_read_b128 v[20:23], v2 offset:384
	;; [unrolled: 1-line block ×3, first 2 shown]
	v_cmp_lt_u32_e32 vcc, 18, v0
	s_waitcnt vmcnt(3) lgkmcnt(2)
	v_pk_mul_f32 v[2:3], v[16:17], v[4:5] op_sel:[1,1] op_sel_hi:[0,1]
	v_mov_b32_e32 v30, v7
	s_waitcnt vmcnt(2) lgkmcnt(1)
	v_pk_mul_f32 v[32:33], v[20:21], v[8:9] op_sel:[1,1] op_sel_hi:[0,1]
	v_mov_b32_e32 v34, v11
	;; [unrolled: 3-line block ×3, first 2 shown]
	v_pk_fma_f32 v[40:41], v[16:17], v[4:5], v[2:3] neg_lo:[0,0,1] neg_hi:[0,0,1]
	v_pk_fma_f32 v[2:3], v[16:17], v[4:5], v[2:3] op_sel_hi:[1,0,1]
	v_pk_mul_f32 v[4:5], v[18:19], v[30:31] op_sel:[1,0] op_sel_hi:[0,0]
	v_pk_fma_f32 v[16:17], v[20:21], v[8:9], v[32:33] neg_lo:[0,0,1] neg_hi:[0,0,1]
	v_pk_fma_f32 v[8:9], v[20:21], v[8:9], v[32:33] op_sel_hi:[1,0,1]
	v_pk_mul_f32 v[20:21], v[22:23], v[34:35] op_sel:[1,0] op_sel_hi:[0,0]
	;; [unrolled: 3-line block ×3, first 2 shown]
	v_mov_b32_e32 v41, v3
	v_pk_fma_f32 v[2:3], v[18:19], v[6:7], v[4:5] neg_lo:[0,0,1] neg_hi:[0,0,1]
	v_pk_fma_f32 v[4:5], v[18:19], v[6:7], v[4:5] op_sel_hi:[1,0,1]
	v_mov_b32_e32 v17, v9
	v_pk_fma_f32 v[6:7], v[22:23], v[10:11], v[20:21] neg_lo:[0,0,1] neg_hi:[0,0,1]
	v_pk_fma_f32 v[8:9], v[22:23], v[10:11], v[20:21] op_sel_hi:[1,0,1]
	v_mov_b32_e32 v31, v13
	v_pk_fma_f32 v[10:11], v[26:27], v[14:15], v[24:25] neg_lo:[0,0,1] neg_hi:[0,0,1]
	v_pk_fma_f32 v[12:13], v[26:27], v[14:15], v[24:25] op_sel_hi:[1,0,1]
	v_pk_add_f32 v[14:15], v[40:41], 0 op_sel_hi:[1,0]
	v_mov_b32_e32 v3, v5
	v_pk_add_f32 v[2:3], v[14:15], v[2:3]
	v_mov_b32_e32 v7, v9
	v_pk_add_f32 v[2:3], v[2:3], v[16:17]
	;; [unrolled: 2-line block ×3, first 2 shown]
	s_nop 0
	v_pk_add_f32 v[2:3], v[2:3], v[30:31]
	s_nop 0
	v_pk_add_f32 v[2:3], v[2:3], v[10:11]
	s_waitcnt vmcnt(0)
	v_pk_add_f32 v[2:3], v[28:29], v[2:3] neg_lo:[0,1] neg_hi:[0,1]
	scratch_store_dwordx2 off, v[2:3], off offset:152
	s_and_saveexec_b64 s[0:1], vcc
	s_cbranch_execz .LBB25_133
; %bb.132:
	scratch_load_dwordx2 v[2:3], off, off offset:144
	v_mov_b32_e32 v4, 0
	v_mov_b32_e32 v5, v4
	scratch_store_dwordx2 off, v[4:5], off offset:144
	s_waitcnt vmcnt(1)
	ds_write_b64 v1, v[2:3]
.LBB25_133:
	s_or_b64 exec, exec, s[0:1]
	s_waitcnt lgkmcnt(0)
	; wave barrier
	scratch_load_dwordx4 v[4:7], off, off offset:152
	scratch_load_dwordx4 v[8:11], off, off offset:168
	;; [unrolled: 1-line block ×3, first 2 shown]
	scratch_load_dwordx2 v[28:29], off, off offset:200
	scratch_load_dwordx2 v[30:31], off, off offset:144
	v_mov_b32_e32 v2, 0
	ds_read2_b64 v[16:19], v2 offset0:45 offset1:46
	ds_read2_b64 v[20:23], v2 offset0:47 offset1:48
	;; [unrolled: 1-line block ×3, first 2 shown]
	ds_read_b64 v[32:33], v2 offset:408
	v_cmp_lt_u32_e32 vcc, 17, v0
	s_waitcnt vmcnt(4) lgkmcnt(3)
	v_pk_mul_f32 v[34:35], v[16:17], v[4:5] op_sel:[1,1] op_sel_hi:[0,1]
	v_mov_b32_e32 v36, v7
	v_pk_fma_f32 v[100:101], v[16:17], v[4:5], v[34:35] neg_lo:[0,0,1] neg_hi:[0,0,1]
	v_pk_fma_f32 v[4:5], v[16:17], v[4:5], v[34:35] op_sel_hi:[1,0,1]
	v_pk_mul_f32 v[16:17], v[18:19], v[36:37] op_sel:[1,0] op_sel_hi:[0,0]
	s_waitcnt vmcnt(3) lgkmcnt(2)
	v_pk_mul_f32 v[38:39], v[20:21], v[8:9] op_sel:[1,1] op_sel_hi:[0,1]
	v_mov_b32_e32 v40, v11
	v_mov_b32_e32 v101, v5
	v_pk_fma_f32 v[4:5], v[18:19], v[6:7], v[16:17] neg_lo:[0,0,1] neg_hi:[0,0,1]
	v_pk_fma_f32 v[6:7], v[18:19], v[6:7], v[16:17] op_sel_hi:[1,0,1]
	v_pk_fma_f32 v[34:35], v[20:21], v[8:9], v[38:39] neg_lo:[0,0,1] neg_hi:[0,0,1]
	v_pk_fma_f32 v[8:9], v[20:21], v[8:9], v[38:39] op_sel_hi:[1,0,1]
	v_pk_mul_f32 v[20:21], v[22:23], v[40:41] op_sel:[1,0] op_sel_hi:[0,0]
	v_pk_add_f32 v[16:17], v[100:101], 0 op_sel_hi:[1,0]
	v_mov_b32_e32 v5, v7
	s_waitcnt vmcnt(2) lgkmcnt(1)
	v_pk_mul_f32 v[42:43], v[24:25], v[12:13] op_sel:[1,1] op_sel_hi:[0,1]
	v_mov_b32_e32 v44, v15
	v_mov_b32_e32 v35, v9
	v_pk_fma_f32 v[8:9], v[22:23], v[10:11], v[20:21] neg_lo:[0,0,1] neg_hi:[0,0,1]
	v_pk_fma_f32 v[10:11], v[22:23], v[10:11], v[20:21] op_sel_hi:[1,0,1]
	v_pk_add_f32 v[4:5], v[16:17], v[4:5]
	v_pk_fma_f32 v[36:37], v[24:25], v[12:13], v[42:43] neg_lo:[0,0,1] neg_hi:[0,0,1]
	v_pk_fma_f32 v[12:13], v[24:25], v[12:13], v[42:43] op_sel_hi:[1,0,1]
	v_pk_mul_f32 v[24:25], v[26:27], v[44:45] op_sel:[1,0] op_sel_hi:[0,0]
	v_mov_b32_e32 v9, v11
	v_pk_add_f32 v[4:5], v[4:5], v[34:35]
	s_waitcnt vmcnt(1) lgkmcnt(0)
	v_pk_mul_f32 v[46:47], v[32:33], v[28:29] op_sel:[1,1] op_sel_hi:[0,1]
	v_mov_b32_e32 v37, v13
	v_pk_fma_f32 v[12:13], v[26:27], v[14:15], v[24:25] neg_lo:[0,0,1] neg_hi:[0,0,1]
	v_pk_fma_f32 v[14:15], v[26:27], v[14:15], v[24:25] op_sel_hi:[1,0,1]
	v_pk_add_f32 v[4:5], v[4:5], v[8:9]
	v_pk_fma_f32 v[38:39], v[32:33], v[28:29], v[46:47] neg_lo:[0,0,1] neg_hi:[0,0,1]
	v_pk_fma_f32 v[28:29], v[32:33], v[28:29], v[46:47] op_sel_hi:[1,0,1]
	v_mov_b32_e32 v13, v15
	v_pk_add_f32 v[4:5], v[4:5], v[36:37]
	v_mov_b32_e32 v39, v29
	v_pk_add_f32 v[4:5], v[4:5], v[12:13]
	s_nop 0
	v_pk_add_f32 v[4:5], v[4:5], v[38:39]
	s_waitcnt vmcnt(0)
	v_pk_add_f32 v[4:5], v[30:31], v[4:5] neg_lo:[0,1] neg_hi:[0,1]
	scratch_store_dwordx2 off, v[4:5], off offset:144
	s_and_saveexec_b64 s[0:1], vcc
	s_cbranch_execz .LBB25_135
; %bb.134:
	scratch_load_dwordx2 v[4:5], off, off offset:136
	v_mov_b32_e32 v3, v2
	scratch_store_dwordx2 off, v[2:3], off offset:136
	s_waitcnt vmcnt(1)
	ds_write_b64 v1, v[4:5]
.LBB25_135:
	s_or_b64 exec, exec, s[0:1]
	s_waitcnt lgkmcnt(0)
	; wave barrier
	scratch_load_dwordx4 v[4:7], off, off offset:144
	scratch_load_dwordx4 v[8:11], off, off offset:160
	;; [unrolled: 1-line block ×4, first 2 shown]
	scratch_load_dwordx2 v[36:37], off, off offset:136
	ds_read_b128 v[20:23], v2 offset:352
	ds_read_b128 v[24:27], v2 offset:368
	;; [unrolled: 1-line block ×4, first 2 shown]
	v_cmp_lt_u32_e32 vcc, 16, v0
	s_waitcnt vmcnt(4) lgkmcnt(3)
	v_pk_mul_f32 v[2:3], v[20:21], v[4:5] op_sel:[1,1] op_sel_hi:[0,1]
	v_mov_b32_e32 v38, v7
	s_waitcnt vmcnt(3) lgkmcnt(2)
	v_pk_mul_f32 v[40:41], v[24:25], v[8:9] op_sel:[1,1] op_sel_hi:[0,1]
	v_mov_b32_e32 v42, v11
	;; [unrolled: 3-line block ×4, first 2 shown]
	v_pk_fma_f32 v[104:105], v[20:21], v[4:5], v[2:3] neg_lo:[0,0,1] neg_hi:[0,0,1]
	v_pk_fma_f32 v[2:3], v[20:21], v[4:5], v[2:3] op_sel_hi:[1,0,1]
	v_pk_mul_f32 v[4:5], v[22:23], v[38:39] op_sel:[1,0] op_sel_hi:[0,0]
	v_pk_fma_f32 v[20:21], v[24:25], v[8:9], v[40:41] neg_lo:[0,0,1] neg_hi:[0,0,1]
	v_pk_fma_f32 v[8:9], v[24:25], v[8:9], v[40:41] op_sel_hi:[1,0,1]
	v_pk_mul_f32 v[24:25], v[26:27], v[42:43] op_sel:[1,0] op_sel_hi:[0,0]
	v_pk_fma_f32 v[38:39], v[28:29], v[12:13], v[44:45] neg_lo:[0,0,1] neg_hi:[0,0,1]
	v_pk_fma_f32 v[12:13], v[28:29], v[12:13], v[44:45] op_sel_hi:[1,0,1]
	v_pk_mul_f32 v[28:29], v[30:31], v[46:47] op_sel:[1,0] op_sel_hi:[0,0]
	v_pk_fma_f32 v[40:41], v[32:33], v[16:17], v[100:101] neg_lo:[0,0,1] neg_hi:[0,0,1]
	v_pk_fma_f32 v[16:17], v[32:33], v[16:17], v[100:101] op_sel_hi:[1,0,1]
	v_pk_mul_f32 v[32:33], v[34:35], v[102:103] op_sel:[1,0] op_sel_hi:[0,0]
	v_mov_b32_e32 v105, v3
	v_pk_fma_f32 v[2:3], v[22:23], v[6:7], v[4:5] neg_lo:[0,0,1] neg_hi:[0,0,1]
	v_pk_fma_f32 v[4:5], v[22:23], v[6:7], v[4:5] op_sel_hi:[1,0,1]
	v_mov_b32_e32 v21, v9
	v_pk_fma_f32 v[6:7], v[26:27], v[10:11], v[24:25] neg_lo:[0,0,1] neg_hi:[0,0,1]
	v_pk_fma_f32 v[8:9], v[26:27], v[10:11], v[24:25] op_sel_hi:[1,0,1]
	;; [unrolled: 3-line block ×4, first 2 shown]
	v_pk_add_f32 v[18:19], v[104:105], 0 op_sel_hi:[1,0]
	v_mov_b32_e32 v3, v5
	v_pk_add_f32 v[2:3], v[18:19], v[2:3]
	v_mov_b32_e32 v7, v9
	v_pk_add_f32 v[2:3], v[2:3], v[20:21]
	;; [unrolled: 2-line block ×4, first 2 shown]
	s_nop 0
	v_pk_add_f32 v[2:3], v[2:3], v[10:11]
	s_nop 0
	v_pk_add_f32 v[2:3], v[2:3], v[40:41]
	;; [unrolled: 2-line block ×3, first 2 shown]
	s_waitcnt vmcnt(0)
	v_pk_add_f32 v[2:3], v[36:37], v[2:3] neg_lo:[0,1] neg_hi:[0,1]
	scratch_store_dwordx2 off, v[2:3], off offset:136
	s_and_saveexec_b64 s[0:1], vcc
	s_cbranch_execz .LBB25_137
; %bb.136:
	scratch_load_dwordx2 v[2:3], off, off offset:128
	v_mov_b32_e32 v4, 0
	v_mov_b32_e32 v5, v4
	scratch_store_dwordx2 off, v[4:5], off offset:128
	s_waitcnt vmcnt(1)
	ds_write_b64 v1, v[2:3]
.LBB25_137:
	s_or_b64 exec, exec, s[0:1]
	s_waitcnt lgkmcnt(0)
	; wave barrier
	scratch_load_dwordx4 v[4:7], off, off offset:136
	scratch_load_dwordx4 v[8:11], off, off offset:152
	;; [unrolled: 1-line block ×4, first 2 shown]
	scratch_load_dwordx2 v[36:37], off, off offset:200
	scratch_load_dwordx2 v[38:39], off, off offset:128
	v_mov_b32_e32 v2, 0
	ds_read2_b64 v[20:23], v2 offset0:43 offset1:44
	ds_read2_b64 v[24:27], v2 offset0:45 offset1:46
	;; [unrolled: 1-line block ×4, first 2 shown]
	ds_read_b64 v[40:41], v2 offset:408
	v_cmp_lt_u32_e32 vcc, 15, v0
	s_waitcnt vmcnt(5) lgkmcnt(4)
	v_mul_f32_e32 v43, v20, v5
	v_mul_f32_e32 v3, v21, v5
	v_mov_b32_e32 v44, v7
	s_waitcnt vmcnt(4) lgkmcnt(3)
	v_pk_mul_f32 v[46:47], v[24:25], v[8:9] op_sel:[1,1] op_sel_hi:[0,1]
	v_mov_b32_e32 v100, v11
	s_waitcnt vmcnt(1) lgkmcnt(0)
	v_pk_mul_f32 v[110:111], v[40:41], v[36:37] op_sel:[1,1] op_sel_hi:[0,1]
	v_fmac_f32_e32 v43, v21, v4
	v_fma_f32 v42, v20, v4, -v3
	v_pk_mul_f32 v[4:5], v[22:23], v[44:45] op_sel:[1,0] op_sel_hi:[0,0]
	v_pk_fma_f32 v[20:21], v[24:25], v[8:9], v[46:47] neg_lo:[0,0,1] neg_hi:[0,0,1]
	v_pk_fma_f32 v[8:9], v[24:25], v[8:9], v[46:47] op_sel_hi:[1,0,1]
	v_pk_mul_f32 v[24:25], v[26:27], v[100:101] op_sel:[1,0] op_sel_hi:[0,0]
	v_pk_fma_f32 v[100:101], v[40:41], v[36:37], v[110:111] neg_lo:[0,0,1] neg_hi:[0,0,1]
	v_pk_fma_f32 v[36:37], v[40:41], v[36:37], v[110:111] op_sel_hi:[1,0,1]
	v_pk_add_f32 v[40:41], v[42:43], 0 op_sel_hi:[1,0]
	v_pk_fma_f32 v[42:43], v[22:23], v[6:7], v[4:5] neg_lo:[0,0,1] neg_hi:[0,0,1]
	v_pk_fma_f32 v[4:5], v[22:23], v[6:7], v[4:5] op_sel_hi:[1,0,1]
	v_pk_mul_f32 v[102:103], v[28:29], v[12:13] op_sel:[1,1] op_sel_hi:[0,1]
	v_mov_b32_e32 v43, v5
	v_mov_b32_e32 v104, v15
	;; [unrolled: 1-line block ×3, first 2 shown]
	v_pk_fma_f32 v[6:7], v[26:27], v[10:11], v[24:25] neg_lo:[0,0,1] neg_hi:[0,0,1]
	v_pk_fma_f32 v[8:9], v[26:27], v[10:11], v[24:25] op_sel_hi:[1,0,1]
	v_pk_add_f32 v[4:5], v[40:41], v[42:43]
	v_pk_fma_f32 v[44:45], v[28:29], v[12:13], v[102:103] neg_lo:[0,0,1] neg_hi:[0,0,1]
	v_pk_fma_f32 v[12:13], v[28:29], v[12:13], v[102:103] op_sel_hi:[1,0,1]
	v_pk_mul_f32 v[28:29], v[30:31], v[104:105] op_sel:[1,0] op_sel_hi:[0,0]
	v_mov_b32_e32 v7, v9
	v_pk_add_f32 v[4:5], v[4:5], v[20:21]
	v_pk_mul_f32 v[106:107], v[32:33], v[16:17] op_sel:[1,1] op_sel_hi:[0,1]
	v_mov_b32_e32 v108, v19
	v_mov_b32_e32 v45, v13
	v_pk_fma_f32 v[10:11], v[30:31], v[14:15], v[28:29] neg_lo:[0,0,1] neg_hi:[0,0,1]
	v_pk_fma_f32 v[12:13], v[30:31], v[14:15], v[28:29] op_sel_hi:[1,0,1]
	v_pk_add_f32 v[4:5], v[4:5], v[6:7]
	v_pk_fma_f32 v[46:47], v[32:33], v[16:17], v[106:107] neg_lo:[0,0,1] neg_hi:[0,0,1]
	v_pk_fma_f32 v[16:17], v[32:33], v[16:17], v[106:107] op_sel_hi:[1,0,1]
	v_pk_mul_f32 v[32:33], v[34:35], v[108:109] op_sel:[1,0] op_sel_hi:[0,0]
	v_mov_b32_e32 v11, v13
	v_pk_add_f32 v[4:5], v[4:5], v[44:45]
	v_mov_b32_e32 v47, v17
	v_pk_fma_f32 v[14:15], v[34:35], v[18:19], v[32:33] neg_lo:[0,0,1] neg_hi:[0,0,1]
	v_pk_fma_f32 v[16:17], v[34:35], v[18:19], v[32:33] op_sel_hi:[1,0,1]
	v_pk_add_f32 v[4:5], v[4:5], v[10:11]
	v_mov_b32_e32 v15, v17
	v_pk_add_f32 v[4:5], v[4:5], v[46:47]
	v_mov_b32_e32 v101, v37
	v_pk_add_f32 v[4:5], v[4:5], v[14:15]
	s_nop 0
	v_pk_add_f32 v[4:5], v[4:5], v[100:101]
	s_waitcnt vmcnt(0)
	v_pk_add_f32 v[4:5], v[38:39], v[4:5] neg_lo:[0,1] neg_hi:[0,1]
	scratch_store_dwordx2 off, v[4:5], off offset:128
	s_and_saveexec_b64 s[0:1], vcc
	s_cbranch_execz .LBB25_139
; %bb.138:
	scratch_load_dwordx2 v[4:5], off, off offset:120
	v_mov_b32_e32 v3, v2
	scratch_store_dwordx2 off, v[2:3], off offset:120
	s_waitcnt vmcnt(1)
	ds_write_b64 v1, v[4:5]
.LBB25_139:
	s_or_b64 exec, exec, s[0:1]
	s_waitcnt lgkmcnt(0)
	; wave barrier
	scratch_load_dwordx4 v[4:7], off, off offset:128
	scratch_load_dwordx4 v[8:11], off, off offset:144
	;; [unrolled: 1-line block ×5, first 2 shown]
	scratch_load_dwordx2 v[44:45], off, off offset:120
	ds_read_b128 v[24:27], v2 offset:336
	ds_read_b128 v[28:31], v2 offset:352
	;; [unrolled: 1-line block ×5, first 2 shown]
	v_cmp_lt_u32_e32 vcc, 14, v0
	s_waitcnt vmcnt(5) lgkmcnt(4)
	v_mul_f32_e32 v3, v24, v5
	v_mul_f32_e32 v2, v25, v5
	v_mul_f32_e32 v47, v26, v7
	v_mul_f32_e32 v5, v27, v7
	s_waitcnt vmcnt(4) lgkmcnt(3)
	v_pk_mul_f32 v[100:101], v[28:29], v[8:9] op_sel:[1,1] op_sel_hi:[0,1]
	v_mov_b32_e32 v102, v11
	v_fmac_f32_e32 v3, v25, v4
	v_fma_f32 v2, v24, v4, -v2
	v_fmac_f32_e32 v47, v27, v6
	v_fma_f32 v46, v26, v6, -v5
	v_pk_fma_f32 v[4:5], v[28:29], v[8:9], v[100:101] neg_lo:[0,0,1] neg_hi:[0,0,1]
	v_pk_fma_f32 v[6:7], v[28:29], v[8:9], v[100:101] op_sel_hi:[1,0,1]
	v_pk_mul_f32 v[8:9], v[30:31], v[102:103] op_sel:[1,0] op_sel_hi:[0,0]
	v_pk_add_f32 v[2:3], v[2:3], 0 op_sel_hi:[1,0]
	s_waitcnt vmcnt(3) lgkmcnt(2)
	v_pk_mul_f32 v[104:105], v[32:33], v[12:13] op_sel:[1,1] op_sel_hi:[0,1]
	v_mov_b32_e32 v106, v15
	v_mov_b32_e32 v5, v7
	v_pk_fma_f32 v[6:7], v[30:31], v[10:11], v[8:9] neg_lo:[0,0,1] neg_hi:[0,0,1]
	v_pk_fma_f32 v[8:9], v[30:31], v[10:11], v[8:9] op_sel_hi:[1,0,1]
	v_pk_add_f32 v[2:3], v[2:3], v[46:47]
	v_pk_fma_f32 v[24:25], v[32:33], v[12:13], v[104:105] neg_lo:[0,0,1] neg_hi:[0,0,1]
	v_pk_fma_f32 v[12:13], v[32:33], v[12:13], v[104:105] op_sel_hi:[1,0,1]
	v_pk_mul_f32 v[26:27], v[34:35], v[106:107] op_sel:[1,0] op_sel_hi:[0,0]
	v_mov_b32_e32 v7, v9
	v_pk_add_f32 v[2:3], v[2:3], v[4:5]
	s_waitcnt vmcnt(2) lgkmcnt(1)
	v_pk_mul_f32 v[108:109], v[36:37], v[16:17] op_sel:[1,1] op_sel_hi:[0,1]
	v_mov_b32_e32 v110, v19
	v_mov_b32_e32 v25, v13
	v_pk_fma_f32 v[10:11], v[34:35], v[14:15], v[26:27] neg_lo:[0,0,1] neg_hi:[0,0,1]
	v_pk_fma_f32 v[12:13], v[34:35], v[14:15], v[26:27] op_sel_hi:[1,0,1]
	v_pk_add_f32 v[2:3], v[2:3], v[6:7]
	v_pk_fma_f32 v[28:29], v[36:37], v[16:17], v[108:109] neg_lo:[0,0,1] neg_hi:[0,0,1]
	v_pk_fma_f32 v[16:17], v[36:37], v[16:17], v[108:109] op_sel_hi:[1,0,1]
	v_pk_mul_f32 v[32:33], v[38:39], v[110:111] op_sel:[1,0] op_sel_hi:[0,0]
	v_mov_b32_e32 v11, v13
	v_pk_add_f32 v[2:3], v[2:3], v[24:25]
	;; [unrolled: 12-line block ×3, first 2 shown]
	v_mov_b32_e32 v37, v21
	v_pk_fma_f32 v[18:19], v[42:43], v[22:23], v[40:41] neg_lo:[0,0,1] neg_hi:[0,0,1]
	v_pk_fma_f32 v[20:21], v[42:43], v[22:23], v[40:41] op_sel_hi:[1,0,1]
	v_pk_add_f32 v[2:3], v[2:3], v[14:15]
	v_mov_b32_e32 v19, v21
	v_pk_add_f32 v[2:3], v[2:3], v[36:37]
	s_nop 0
	v_pk_add_f32 v[2:3], v[2:3], v[18:19]
	s_waitcnt vmcnt(0)
	v_pk_add_f32 v[2:3], v[44:45], v[2:3] neg_lo:[0,1] neg_hi:[0,1]
	scratch_store_dwordx2 off, v[2:3], off offset:120
	s_and_saveexec_b64 s[0:1], vcc
	s_cbranch_execz .LBB25_141
; %bb.140:
	scratch_load_dwordx2 v[2:3], off, off offset:112
	v_mov_b32_e32 v4, 0
	v_mov_b32_e32 v5, v4
	scratch_store_dwordx2 off, v[4:5], off offset:112
	s_waitcnt vmcnt(1)
	ds_write_b64 v1, v[2:3]
.LBB25_141:
	s_or_b64 exec, exec, s[0:1]
	s_waitcnt lgkmcnt(0)
	; wave barrier
	scratch_load_dwordx4 v[4:7], off, off offset:120
	scratch_load_dwordx4 v[8:11], off, off offset:136
	;; [unrolled: 1-line block ×5, first 2 shown]
	scratch_load_dwordx2 v[44:45], off, off offset:200
	scratch_load_dwordx2 v[46:47], off, off offset:112
	v_mov_b32_e32 v2, 0
	ds_read2_b64 v[24:27], v2 offset0:41 offset1:42
	ds_read2_b64 v[28:31], v2 offset0:43 offset1:44
	;; [unrolled: 1-line block ×5, first 2 shown]
	ds_read_b64 v[100:101], v2 offset:408
	v_cmp_lt_u32_e32 vcc, 13, v0
	s_waitcnt vmcnt(6) lgkmcnt(5)
	v_mul_f32_e32 v3, v24, v5
	v_mul_f32_e32 v5, v25, v5
	;; [unrolled: 1-line block ×3, first 2 shown]
	s_waitcnt vmcnt(5) lgkmcnt(4)
	v_mul_f32_e32 v105, v28, v9
	v_mul_f32_e32 v7, v27, v7
	;; [unrolled: 1-line block ×3, first 2 shown]
	v_mov_b32_e32 v106, v11
	s_waitcnt vmcnt(3) lgkmcnt(2)
	v_pk_mul_f32 v[112:113], v[36:37], v[16:17] op_sel:[1,1] op_sel_hi:[0,1]
	s_waitcnt vmcnt(2) lgkmcnt(1)
	v_pk_mul_f32 v[116:117], v[40:41], v[20:21] op_sel:[1,1] op_sel_hi:[0,1]
	;; [unrolled: 2-line block ×3, first 2 shown]
	v_fmac_f32_e32 v3, v25, v4
	v_fma_f32 v107, v24, v4, -v5
	v_fmac_f32_e32 v103, v27, v6
	v_fmac_f32_e32 v105, v29, v8
	v_fma_f32 v102, v26, v6, -v7
	v_fma_f32 v104, v28, v8, -v9
	v_pk_mul_f32 v[4:5], v[30:31], v[106:107] op_sel:[1,0] op_sel_hi:[0,0]
	v_pk_fma_f32 v[24:25], v[36:37], v[16:17], v[112:113] neg_lo:[0,0,1] neg_hi:[0,0,1]
	v_pk_fma_f32 v[16:17], v[36:37], v[16:17], v[112:113] op_sel_hi:[1,0,1]
	v_pk_fma_f32 v[28:29], v[40:41], v[20:21], v[116:117] neg_lo:[0,0,1] neg_hi:[0,0,1]
	v_pk_fma_f32 v[20:21], v[40:41], v[20:21], v[116:117] op_sel_hi:[1,0,1]
	v_pk_fma_f32 v[36:37], v[100:101], v[44:45], v[120:121] neg_lo:[0,0,1] neg_hi:[0,0,1]
	v_pk_fma_f32 v[40:41], v[100:101], v[44:45], v[120:121] op_sel_hi:[1,0,1]
	v_add_f32_e32 v45, 0, v3
	v_add_f32_e32 v44, 0, v107
	v_pk_mul_f32 v[108:109], v[32:33], v[12:13] op_sel:[1,1] op_sel_hi:[0,1]
	v_mov_b32_e32 v110, v15
	v_pk_fma_f32 v[100:101], v[30:31], v[10:11], v[4:5] neg_lo:[0,0,1] neg_hi:[0,0,1]
	v_pk_fma_f32 v[4:5], v[30:31], v[10:11], v[4:5] op_sel_hi:[1,0,1]
	v_mov_b32_e32 v29, v21
	v_pk_add_f32 v[20:21], v[44:45], v[102:103]
	v_pk_fma_f32 v[6:7], v[32:33], v[12:13], v[108:109] neg_lo:[0,0,1] neg_hi:[0,0,1]
	v_pk_fma_f32 v[8:9], v[32:33], v[12:13], v[108:109] op_sel_hi:[1,0,1]
	v_pk_mul_f32 v[12:13], v[34:35], v[110:111] op_sel:[1,0] op_sel_hi:[0,0]
	v_mov_b32_e32 v101, v5
	v_pk_add_f32 v[4:5], v[20:21], v[104:105]
	v_mov_b32_e32 v114, v19
	v_mov_b32_e32 v7, v9
	v_pk_fma_f32 v[8:9], v[34:35], v[14:15], v[12:13] neg_lo:[0,0,1] neg_hi:[0,0,1]
	v_pk_fma_f32 v[10:11], v[34:35], v[14:15], v[12:13] op_sel_hi:[1,0,1]
	v_pk_add_f32 v[4:5], v[4:5], v[100:101]
	v_pk_mul_f32 v[26:27], v[38:39], v[114:115] op_sel:[1,0] op_sel_hi:[0,0]
	v_mov_b32_e32 v9, v11
	v_pk_add_f32 v[4:5], v[4:5], v[6:7]
	v_mov_b32_e32 v118, v23
	v_mov_b32_e32 v25, v17
	v_pk_fma_f32 v[12:13], v[38:39], v[18:19], v[26:27] neg_lo:[0,0,1] neg_hi:[0,0,1]
	v_pk_fma_f32 v[14:15], v[38:39], v[18:19], v[26:27] op_sel_hi:[1,0,1]
	v_pk_add_f32 v[4:5], v[4:5], v[8:9]
	v_pk_mul_f32 v[32:33], v[42:43], v[118:119] op_sel:[1,0] op_sel_hi:[0,0]
	v_mov_b32_e32 v13, v15
	v_pk_add_f32 v[4:5], v[4:5], v[24:25]
	v_pk_fma_f32 v[16:17], v[42:43], v[22:23], v[32:33] neg_lo:[0,0,1] neg_hi:[0,0,1]
	v_pk_fma_f32 v[18:19], v[42:43], v[22:23], v[32:33] op_sel_hi:[1,0,1]
	v_pk_add_f32 v[4:5], v[4:5], v[12:13]
	v_mov_b32_e32 v17, v19
	v_pk_add_f32 v[4:5], v[4:5], v[28:29]
	v_mov_b32_e32 v37, v41
	v_pk_add_f32 v[4:5], v[4:5], v[16:17]
	s_nop 0
	v_pk_add_f32 v[4:5], v[4:5], v[36:37]
	s_waitcnt vmcnt(0)
	v_pk_add_f32 v[4:5], v[46:47], v[4:5] neg_lo:[0,1] neg_hi:[0,1]
	scratch_store_dwordx2 off, v[4:5], off offset:112
	s_and_saveexec_b64 s[0:1], vcc
	s_cbranch_execz .LBB25_143
; %bb.142:
	scratch_load_dwordx2 v[4:5], off, off offset:104
	v_mov_b32_e32 v3, v2
	scratch_store_dwordx2 off, v[2:3], off offset:104
	s_waitcnt vmcnt(1)
	ds_write_b64 v1, v[4:5]
.LBB25_143:
	s_or_b64 exec, exec, s[0:1]
	s_waitcnt lgkmcnt(0)
	; wave barrier
	scratch_load_dwordx4 v[4:7], off, off offset:112
	scratch_load_dwordx4 v[8:11], off, off offset:128
	;; [unrolled: 1-line block ×6, first 2 shown]
	scratch_load_dwordx2 v[104:105], off, off offset:104
	ds_read_b128 v[28:31], v2 offset:320
	ds_read_b128 v[32:35], v2 offset:336
	;; [unrolled: 1-line block ×6, first 2 shown]
	v_cmp_lt_u32_e32 vcc, 12, v0
	s_waitcnt vmcnt(6) lgkmcnt(5)
	v_mul_f32_e32 v111, v28, v5
	v_mul_f32_e32 v115, v30, v7
	s_waitcnt vmcnt(5) lgkmcnt(4)
	v_mul_f32_e32 v3, v32, v9
	v_mul_f32_e32 v2, v29, v5
	;; [unrolled: 1-line block ×4, first 2 shown]
	s_waitcnt vmcnt(1) lgkmcnt(0)
	v_pk_mul_f32 v[120:121], v[100:101], v[24:25] op_sel:[1,1] op_sel_hi:[0,1]
	v_pk_mul_f32 v[108:109], v[36:37], v[12:13] op_sel:[1,1] op_sel_hi:[0,1]
	v_fmac_f32_e32 v111, v29, v4
	v_fmac_f32_e32 v3, v33, v8
	v_fma_f32 v119, v28, v4, -v2
	v_fma_f32 v2, v32, v8, -v7
	v_pk_fma_f32 v[32:33], v[100:101], v[24:25], v[120:121] neg_lo:[0,0,1] neg_hi:[0,0,1]
	v_pk_fma_f32 v[24:25], v[100:101], v[24:25], v[120:121] op_sel_hi:[1,0,1]
	v_fmac_f32_e32 v115, v31, v6
	v_fma_f32 v123, v30, v6, -v5
	v_pk_fma_f32 v[4:5], v[36:37], v[12:13], v[108:109] neg_lo:[0,0,1] neg_hi:[0,0,1]
	v_pk_fma_f32 v[6:7], v[36:37], v[12:13], v[108:109] op_sel_hi:[1,0,1]
	v_add_f32_e32 v24, 0, v111
	v_add_f32_e32 v36, 0, v119
	v_mul_f32_e32 v107, v34, v11
	v_mul_f32_e32 v9, v35, v11
	v_mov_b32_e32 v110, v15
	v_mov_b32_e32 v33, v25
	v_add_f32_e32 v25, v24, v115
	v_add_f32_e32 v24, v36, v123
	v_fmac_f32_e32 v107, v35, v10
	v_fma_f32 v106, v34, v10, -v9
	v_pk_mul_f32 v[8:9], v[38:39], v[110:111] op_sel:[1,0] op_sel_hi:[0,0]
	v_pk_add_f32 v[2:3], v[24:25], v[2:3]
	v_pk_mul_f32 v[112:113], v[40:41], v[16:17] op_sel:[1,1] op_sel_hi:[0,1]
	v_mov_b32_e32 v114, v19
	v_mov_b32_e32 v5, v7
	v_pk_fma_f32 v[6:7], v[38:39], v[14:15], v[8:9] neg_lo:[0,0,1] neg_hi:[0,0,1]
	v_pk_fma_f32 v[8:9], v[38:39], v[14:15], v[8:9] op_sel_hi:[1,0,1]
	v_pk_add_f32 v[2:3], v[2:3], v[106:107]
	v_pk_fma_f32 v[10:11], v[40:41], v[16:17], v[112:113] neg_lo:[0,0,1] neg_hi:[0,0,1]
	v_pk_fma_f32 v[12:13], v[40:41], v[16:17], v[112:113] op_sel_hi:[1,0,1]
	v_pk_mul_f32 v[16:17], v[42:43], v[114:115] op_sel:[1,0] op_sel_hi:[0,0]
	v_mov_b32_e32 v7, v9
	v_pk_add_f32 v[2:3], v[2:3], v[4:5]
	v_pk_mul_f32 v[116:117], v[44:45], v[20:21] op_sel:[1,1] op_sel_hi:[0,1]
	v_mov_b32_e32 v118, v23
	v_mov_b32_e32 v11, v13
	v_pk_fma_f32 v[12:13], v[42:43], v[18:19], v[16:17] neg_lo:[0,0,1] neg_hi:[0,0,1]
	v_pk_fma_f32 v[14:15], v[42:43], v[18:19], v[16:17] op_sel_hi:[1,0,1]
	v_pk_add_f32 v[2:3], v[2:3], v[6:7]
	v_pk_fma_f32 v[28:29], v[44:45], v[20:21], v[116:117] neg_lo:[0,0,1] neg_hi:[0,0,1]
	v_pk_fma_f32 v[20:21], v[44:45], v[20:21], v[116:117] op_sel_hi:[1,0,1]
	v_pk_mul_f32 v[30:31], v[46:47], v[118:119] op_sel:[1,0] op_sel_hi:[0,0]
	v_mov_b32_e32 v13, v15
	v_pk_add_f32 v[2:3], v[2:3], v[10:11]
	v_mov_b32_e32 v122, v27
	v_mov_b32_e32 v29, v21
	v_pk_fma_f32 v[16:17], v[46:47], v[22:23], v[30:31] neg_lo:[0,0,1] neg_hi:[0,0,1]
	v_pk_fma_f32 v[18:19], v[46:47], v[22:23], v[30:31] op_sel_hi:[1,0,1]
	v_pk_add_f32 v[2:3], v[2:3], v[12:13]
	v_pk_mul_f32 v[34:35], v[102:103], v[122:123] op_sel:[1,0] op_sel_hi:[0,0]
	v_mov_b32_e32 v17, v19
	v_pk_add_f32 v[2:3], v[2:3], v[28:29]
	v_pk_fma_f32 v[20:21], v[102:103], v[26:27], v[34:35] neg_lo:[0,0,1] neg_hi:[0,0,1]
	v_pk_fma_f32 v[22:23], v[102:103], v[26:27], v[34:35] op_sel_hi:[1,0,1]
	v_pk_add_f32 v[2:3], v[2:3], v[16:17]
	v_mov_b32_e32 v21, v23
	v_pk_add_f32 v[2:3], v[2:3], v[32:33]
	s_nop 0
	v_pk_add_f32 v[2:3], v[2:3], v[20:21]
	s_waitcnt vmcnt(0)
	v_pk_add_f32 v[2:3], v[104:105], v[2:3] neg_lo:[0,1] neg_hi:[0,1]
	scratch_store_dwordx2 off, v[2:3], off offset:104
	s_and_saveexec_b64 s[0:1], vcc
	s_cbranch_execz .LBB25_145
; %bb.144:
	scratch_load_dwordx2 v[2:3], off, off offset:96
	v_mov_b32_e32 v4, 0
	v_mov_b32_e32 v5, v4
	scratch_store_dwordx2 off, v[4:5], off offset:96
	s_waitcnt vmcnt(1)
	ds_write_b64 v1, v[2:3]
.LBB25_145:
	s_or_b64 exec, exec, s[0:1]
	s_waitcnt lgkmcnt(0)
	; wave barrier
	scratch_load_dwordx4 v[4:7], off, off offset:104
	scratch_load_dwordx4 v[8:11], off, off offset:120
	;; [unrolled: 1-line block ×6, first 2 shown]
	scratch_load_dwordx2 v[104:105], off, off offset:200
	scratch_load_dwordx2 v[106:107], off, off offset:96
	v_mov_b32_e32 v2, 0
	ds_read2_b64 v[28:31], v2 offset0:39 offset1:40
	ds_read2_b64 v[32:35], v2 offset0:41 offset1:42
	ds_read2_b64 v[36:39], v2 offset0:43 offset1:44
	ds_read2_b64 v[40:43], v2 offset0:45 offset1:46
	ds_read2_b64 v[44:47], v2 offset0:47 offset1:48
	ds_read2_b64 v[100:103], v2 offset0:49 offset1:50
	ds_read_b64 v[108:109], v2 offset:408
	v_cmp_lt_u32_e32 vcc, 11, v0
	s_waitcnt vmcnt(7) lgkmcnt(6)
	v_mul_f32_e32 v115, v30, v7
	v_mul_f32_e32 v3, v28, v5
	s_waitcnt vmcnt(5) lgkmcnt(4)
	v_mul_f32_e32 v113, v36, v13
	v_mul_f32_e32 v5, v29, v5
	v_mov_b32_e32 v114, v15
	s_waitcnt vmcnt(2) lgkmcnt(1)
	v_pk_mul_f32 v[124:125], v[100:101], v[24:25] op_sel:[1,1] op_sel_hi:[0,1]
	v_fmac_f32_e32 v115, v31, v6
	v_mul_f32_e32 v7, v31, v7
	v_mul_f32_e32 v13, v37, v13
	v_fmac_f32_e32 v3, v29, v4
	v_fmac_f32_e32 v113, v37, v12
	v_fma_f32 v37, v28, v4, -v5
	v_pk_mul_f32 v[4:5], v[38:39], v[114:115] op_sel:[1,0] op_sel_hi:[0,0]
	v_pk_fma_f32 v[28:29], v[100:101], v[24:25], v[124:125] neg_lo:[0,0,1] neg_hi:[0,0,1]
	v_pk_fma_f32 v[24:25], v[100:101], v[24:25], v[124:125] op_sel_hi:[1,0,1]
	v_mul_f32_e32 v119, v32, v9
	v_mul_f32_e32 v9, v33, v9
	v_fma_f32 v123, v30, v6, -v7
	v_fma_f32 v112, v36, v12, -v13
	v_add_f32_e32 v3, 0, v3
	v_add_f32_e32 v24, 0, v37
	v_pk_fma_f32 v[36:37], v[38:39], v[14:15], v[4:5] neg_lo:[0,0,1] neg_hi:[0,0,1]
	v_pk_fma_f32 v[4:5], v[38:39], v[14:15], v[4:5] op_sel_hi:[1,0,1]
	v_mul_f32_e32 v111, v34, v11
	v_mul_f32_e32 v11, v35, v11
	v_fmac_f32_e32 v119, v33, v8
	v_fma_f32 v127, v32, v8, -v9
	v_add_f32_e32 v3, v3, v115
	v_add_f32_e32 v4, v24, v123
	v_fmac_f32_e32 v111, v35, v10
	v_fma_f32 v110, v34, v10, -v11
	v_mov_b32_e32 v37, v5
	v_add_f32_e32 v5, v3, v119
	v_add_f32_e32 v4, v4, v127
	v_pk_mul_f32 v[116:117], v[40:41], v[16:17] op_sel:[1,1] op_sel_hi:[0,1]
	v_mov_b32_e32 v118, v19
	v_pk_add_f32 v[4:5], v[4:5], v[110:111]
	v_pk_fma_f32 v[6:7], v[40:41], v[16:17], v[116:117] neg_lo:[0,0,1] neg_hi:[0,0,1]
	v_pk_fma_f32 v[8:9], v[40:41], v[16:17], v[116:117] op_sel_hi:[1,0,1]
	v_pk_mul_f32 v[10:11], v[42:43], v[118:119] op_sel:[1,0] op_sel_hi:[0,0]
	v_pk_add_f32 v[4:5], v[4:5], v[112:113]
	v_pk_mul_f32 v[120:121], v[44:45], v[20:21] op_sel:[1,1] op_sel_hi:[0,1]
	v_mov_b32_e32 v122, v23
	v_mov_b32_e32 v7, v9
	v_pk_fma_f32 v[8:9], v[42:43], v[18:19], v[10:11] neg_lo:[0,0,1] neg_hi:[0,0,1]
	v_pk_fma_f32 v[10:11], v[42:43], v[18:19], v[10:11] op_sel_hi:[1,0,1]
	v_pk_add_f32 v[4:5], v[4:5], v[36:37]
	v_pk_fma_f32 v[12:13], v[44:45], v[20:21], v[120:121] neg_lo:[0,0,1] neg_hi:[0,0,1]
	v_pk_fma_f32 v[16:17], v[44:45], v[20:21], v[120:121] op_sel_hi:[1,0,1]
	v_pk_mul_f32 v[20:21], v[46:47], v[122:123] op_sel:[1,0] op_sel_hi:[0,0]
	v_mov_b32_e32 v9, v11
	v_pk_add_f32 v[4:5], v[4:5], v[6:7]
	v_mov_b32_e32 v126, v27
	v_mov_b32_e32 v13, v17
	v_pk_fma_f32 v[14:15], v[46:47], v[22:23], v[20:21] neg_lo:[0,0,1] neg_hi:[0,0,1]
	v_pk_fma_f32 v[16:17], v[46:47], v[22:23], v[20:21] op_sel_hi:[1,0,1]
	v_pk_add_f32 v[4:5], v[4:5], v[8:9]
	v_pk_mul_f32 v[30:31], v[102:103], v[126:127] op_sel:[1,0] op_sel_hi:[0,0]
	v_mov_b32_e32 v15, v17
	v_pk_add_f32 v[4:5], v[4:5], v[12:13]
	s_waitcnt vmcnt(1) lgkmcnt(0)
	v_pk_mul_f32 v[128:129], v[108:109], v[104:105] op_sel:[1,1] op_sel_hi:[0,1]
	v_mov_b32_e32 v29, v25
	v_pk_fma_f32 v[18:19], v[102:103], v[26:27], v[30:31] neg_lo:[0,0,1] neg_hi:[0,0,1]
	v_pk_fma_f32 v[20:21], v[102:103], v[26:27], v[30:31] op_sel_hi:[1,0,1]
	v_pk_add_f32 v[4:5], v[4:5], v[14:15]
	v_pk_fma_f32 v[32:33], v[108:109], v[104:105], v[128:129] neg_lo:[0,0,1] neg_hi:[0,0,1]
	v_pk_fma_f32 v[34:35], v[108:109], v[104:105], v[128:129] op_sel_hi:[1,0,1]
	v_mov_b32_e32 v19, v21
	v_pk_add_f32 v[4:5], v[4:5], v[28:29]
	v_mov_b32_e32 v33, v35
	v_pk_add_f32 v[4:5], v[4:5], v[18:19]
	s_nop 0
	v_pk_add_f32 v[4:5], v[4:5], v[32:33]
	s_waitcnt vmcnt(0)
	v_pk_add_f32 v[4:5], v[106:107], v[4:5] neg_lo:[0,1] neg_hi:[0,1]
	scratch_store_dwordx2 off, v[4:5], off offset:96
	s_and_saveexec_b64 s[0:1], vcc
	s_cbranch_execz .LBB25_147
; %bb.146:
	scratch_load_dwordx2 v[4:5], off, off offset:88
	v_mov_b32_e32 v3, v2
	scratch_store_dwordx2 off, v[2:3], off offset:88
	s_waitcnt vmcnt(1)
	ds_write_b64 v1, v[4:5]
.LBB25_147:
	s_or_b64 exec, exec, s[0:1]
	s_waitcnt lgkmcnt(0)
	; wave barrier
	ds_read_b128 v[4:7], v2 offset:304
	ds_read_b128 v[8:11], v2 offset:320
	ds_read_b128 v[12:15], v2 offset:336
	ds_read_b128 v[16:19], v2 offset:352
	scratch_load_dwordx4 v[20:23], off, off offset:96
	v_cmp_lt_u32_e32 vcc, 10, v0
	s_waitcnt vmcnt(0) lgkmcnt(3)
	v_mul_f32_e32 v3, v4, v21
	v_fmac_f32_e32 v3, v5, v20
	v_mul_f32_e32 v24, v6, v23
	v_add_f32_e32 v3, 0, v3
	v_fmac_f32_e32 v24, v7, v22
	v_add_f32_e32 v3, v3, v24
	scratch_load_dwordx4 v[24:27], off, off offset:112
	s_waitcnt vmcnt(0) lgkmcnt(2)
	v_mul_f32_e32 v28, v8, v25
	v_fmac_f32_e32 v28, v9, v24
	v_add_f32_e32 v3, v3, v28
	v_mul_f32_e32 v28, v10, v27
	v_fmac_f32_e32 v28, v11, v26
	v_add_f32_e32 v101, v3, v28
	scratch_load_dwordx4 v[28:31], off, off offset:128
	scratch_load_dwordx4 v[32:35], off, off offset:144
	;; [unrolled: 1-line block ×5, first 2 shown]
	v_mul_f32_e32 v3, v5, v21
	v_fma_f32 v3, v4, v20, -v3
	v_mul_f32_e32 v4, v7, v23
	v_add_f32_e32 v3, 0, v3
	v_fma_f32 v4, v6, v22, -v4
	v_add_f32_e32 v3, v3, v4
	v_mul_f32_e32 v4, v9, v25
	v_fma_f32 v4, v8, v24, -v4
	v_add_f32_e32 v3, v3, v4
	v_mul_f32_e32 v4, v11, v27
	v_fma_f32 v4, v10, v26, -v4
	v_add_f32_e32 v100, v3, v4
	s_waitcnt vmcnt(3) lgkmcnt(0)
	v_pk_mul_f32 v[20:21], v[16:17], v[32:33] op_sel:[1,1] op_sel_hi:[0,1]
	v_pk_fma_f32 v[22:23], v[16:17], v[32:33], v[20:21] neg_lo:[0,0,1] neg_hi:[0,0,1]
	v_mul_f32_e32 v3, v13, v29
	v_mul_f32_e32 v103, v12, v29
	v_mul_f32_e32 v105, v14, v31
	v_fma_f32 v102, v12, v28, -v3
	v_mul_f32_e32 v3, v15, v31
	v_pk_fma_f32 v[16:17], v[16:17], v[32:33], v[20:21] op_sel_hi:[1,0,1]
	v_fmac_f32_e32 v103, v13, v28
	v_fmac_f32_e32 v105, v15, v30
	v_fma_f32 v104, v14, v30, -v3
	ds_read_b128 v[4:7], v2 offset:368
	ds_read_b128 v[8:11], v2 offset:384
	;; [unrolled: 1-line block ×3, first 2 shown]
	v_mov_b32_e32 v16, v35
	v_mov_b32_e32 v23, v17
	v_pk_mul_f32 v[16:17], v[18:19], v[16:17] op_sel:[1,0] op_sel_hi:[0,0]
	v_pk_fma_f32 v[20:21], v[18:19], v[34:35], v[16:17] neg_lo:[0,0,1] neg_hi:[0,0,1]
	v_pk_fma_f32 v[16:17], v[18:19], v[34:35], v[16:17] op_sel_hi:[1,0,1]
	v_pk_add_f32 v[2:3], v[100:101], v[102:103]
	v_mov_b32_e32 v21, v17
	s_waitcnt vmcnt(2) lgkmcnt(2)
	v_pk_mul_f32 v[16:17], v[4:5], v[36:37] op_sel:[1,1] op_sel_hi:[0,1]
	v_pk_fma_f32 v[18:19], v[4:5], v[36:37], v[16:17] neg_lo:[0,0,1] neg_hi:[0,0,1]
	v_pk_fma_f32 v[4:5], v[4:5], v[36:37], v[16:17] op_sel_hi:[1,0,1]
	v_pk_add_f32 v[2:3], v[2:3], v[104:105]
	v_mov_b32_e32 v4, v39
	v_mov_b32_e32 v19, v5
	v_pk_mul_f32 v[4:5], v[6:7], v[4:5] op_sel:[1,0] op_sel_hi:[0,0]
	v_pk_fma_f32 v[16:17], v[6:7], v[38:39], v[4:5] neg_lo:[0,0,1] neg_hi:[0,0,1]
	v_pk_fma_f32 v[4:5], v[6:7], v[38:39], v[4:5] op_sel_hi:[1,0,1]
	v_pk_add_f32 v[2:3], v[2:3], v[22:23]
	v_mov_b32_e32 v17, v5
	s_waitcnt vmcnt(1) lgkmcnt(1)
	v_pk_mul_f32 v[4:5], v[8:9], v[40:41] op_sel:[1,1] op_sel_hi:[0,1]
	v_pk_add_f32 v[2:3], v[2:3], v[20:21]
	v_pk_fma_f32 v[6:7], v[8:9], v[40:41], v[4:5] neg_lo:[0,0,1] neg_hi:[0,0,1]
	v_pk_fma_f32 v[4:5], v[8:9], v[40:41], v[4:5] op_sel_hi:[1,0,1]
	v_pk_add_f32 v[2:3], v[2:3], v[18:19]
	v_mov_b32_e32 v4, v43
	v_pk_add_f32 v[2:3], v[2:3], v[16:17]
	v_mov_b32_e32 v7, v5
	v_pk_mul_f32 v[4:5], v[10:11], v[4:5] op_sel:[1,0] op_sel_hi:[0,0]
	v_pk_add_f32 v[2:3], v[2:3], v[6:7]
	v_pk_fma_f32 v[6:7], v[10:11], v[42:43], v[4:5] neg_lo:[0,0,1] neg_hi:[0,0,1]
	v_pk_fma_f32 v[4:5], v[10:11], v[42:43], v[4:5] op_sel_hi:[1,0,1]
	s_nop 0
	v_mov_b32_e32 v7, v5
	s_waitcnt vmcnt(0) lgkmcnt(0)
	v_pk_mul_f32 v[4:5], v[12:13], v[44:45] op_sel:[1,1] op_sel_hi:[0,1]
	v_pk_add_f32 v[2:3], v[2:3], v[6:7]
	v_pk_fma_f32 v[6:7], v[12:13], v[44:45], v[4:5] neg_lo:[0,0,1] neg_hi:[0,0,1]
	v_pk_fma_f32 v[4:5], v[12:13], v[44:45], v[4:5] op_sel_hi:[1,0,1]
	s_nop 0
	v_mov_b32_e32 v4, v47
	v_mov_b32_e32 v7, v5
	v_pk_mul_f32 v[4:5], v[14:15], v[4:5] op_sel:[1,0] op_sel_hi:[0,0]
	v_pk_add_f32 v[2:3], v[2:3], v[6:7]
	v_pk_fma_f32 v[6:7], v[14:15], v[46:47], v[4:5] neg_lo:[0,0,1] neg_hi:[0,0,1]
	v_pk_fma_f32 v[4:5], v[14:15], v[46:47], v[4:5] op_sel_hi:[1,0,1]
	s_nop 0
	v_mov_b32_e32 v7, v5
	scratch_load_dwordx2 v[4:5], off, off offset:88
	v_pk_add_f32 v[2:3], v[2:3], v[6:7]
	s_waitcnt vmcnt(0)
	v_pk_add_f32 v[2:3], v[4:5], v[2:3] neg_lo:[0,1] neg_hi:[0,1]
	scratch_store_dwordx2 off, v[2:3], off offset:88
	s_and_saveexec_b64 s[0:1], vcc
	s_cbranch_execz .LBB25_149
; %bb.148:
	scratch_load_dwordx2 v[2:3], off, off offset:80
	v_mov_b32_e32 v4, 0
	v_mov_b32_e32 v5, v4
	scratch_store_dwordx2 off, v[4:5], off offset:80
	s_waitcnt vmcnt(1)
	ds_write_b64 v1, v[2:3]
.LBB25_149:
	s_or_b64 exec, exec, s[0:1]
	s_waitcnt lgkmcnt(0)
	; wave barrier
	scratch_load_dwordx4 v[8:11], off, off offset:88
	scratch_load_dwordx4 v[16:19], off, off offset:104
	;; [unrolled: 1-line block ×4, first 2 shown]
	v_mov_b32_e32 v2, 0
	ds_read2_b64 v[4:7], v2 offset0:37 offset1:38
	v_cmp_lt_u32_e32 vcc, 9, v0
	s_waitcnt vmcnt(3) lgkmcnt(0)
	v_mul_f32_e32 v3, v4, v9
	v_fmac_f32_e32 v3, v5, v8
	v_mul_f32_e32 v12, v6, v11
	v_add_f32_e32 v3, 0, v3
	v_fmac_f32_e32 v12, v7, v10
	v_add_f32_e32 v3, v3, v12
	ds_read2_b64 v[12:15], v2 offset0:39 offset1:40
	s_waitcnt vmcnt(2) lgkmcnt(0)
	v_mul_f32_e32 v20, v12, v17
	v_fmac_f32_e32 v20, v13, v16
	v_add_f32_e32 v3, v3, v20
	v_mul_f32_e32 v20, v14, v19
	v_fmac_f32_e32 v20, v15, v18
	v_add_f32_e32 v3, v3, v20
	ds_read2_b64 v[20:23], v2 offset0:41 offset1:42
	s_waitcnt vmcnt(1) lgkmcnt(0)
	v_mul_f32_e32 v28, v20, v25
	v_fmac_f32_e32 v28, v21, v24
	v_add_f32_e32 v101, v3, v28
	ds_read2_b64 v[28:31], v2 offset0:43 offset1:44
	scratch_load_dwordx4 v[36:39], off, off offset:152
	scratch_load_dwordx4 v[40:43], off, off offset:168
	;; [unrolled: 1-line block ×3, first 2 shown]
	scratch_load_dwordx2 v[106:107], off, off offset:200
	v_mul_f32_e32 v3, v5, v9
	v_fma_f32 v3, v4, v8, -v3
	v_mul_f32_e32 v4, v7, v11
	v_add_f32_e32 v3, 0, v3
	v_fma_f32 v4, v6, v10, -v4
	v_add_f32_e32 v3, v3, v4
	v_mul_f32_e32 v4, v13, v17
	v_fma_f32 v4, v12, v16, -v4
	v_add_f32_e32 v3, v3, v4
	v_mul_f32_e32 v4, v15, v19
	;; [unrolled: 3-line block ×3, first 2 shown]
	v_fma_f32 v4, v20, v24, -v4
	v_mul_f32_e32 v103, v22, v27
	v_add_f32_e32 v100, v3, v4
	v_mul_f32_e32 v3, v23, v27
	s_waitcnt vmcnt(4)
	v_mov_b32_e32 v20, v35
	v_fmac_f32_e32 v103, v23, v26
	s_waitcnt lgkmcnt(0)
	v_mul_f32_e32 v105, v28, v33
	v_fma_f32 v102, v22, v26, -v3
	v_mul_f32_e32 v3, v29, v33
	ds_read2_b64 v[4:7], v2 offset0:45 offset1:46
	ds_read2_b64 v[8:11], v2 offset0:47 offset1:48
	;; [unrolled: 1-line block ×3, first 2 shown]
	ds_read_b64 v[16:17], v2 offset:408
	v_pk_mul_f32 v[20:21], v[30:31], v[20:21] op_sel:[1,0] op_sel_hi:[0,0]
	v_fmac_f32_e32 v105, v29, v32
	v_fma_f32 v104, v28, v32, -v3
	v_pk_add_f32 v[18:19], v[100:101], v[102:103]
	v_pk_fma_f32 v[22:23], v[30:31], v[34:35], v[20:21] neg_lo:[0,0,1] neg_hi:[0,0,1]
	v_pk_fma_f32 v[20:21], v[30:31], v[34:35], v[20:21] op_sel_hi:[1,0,1]
	v_pk_add_f32 v[18:19], v[18:19], v[104:105]
	v_mov_b32_e32 v23, v21
	v_pk_add_f32 v[18:19], v[18:19], v[22:23]
	s_waitcnt vmcnt(3) lgkmcnt(3)
	v_pk_mul_f32 v[20:21], v[4:5], v[36:37] op_sel:[1,1] op_sel_hi:[0,1]
	v_pk_fma_f32 v[22:23], v[4:5], v[36:37], v[20:21] neg_lo:[0,0,1] neg_hi:[0,0,1]
	v_pk_fma_f32 v[4:5], v[4:5], v[36:37], v[20:21] op_sel_hi:[1,0,1]
	s_nop 0
	v_mov_b32_e32 v23, v5
	v_pk_add_f32 v[4:5], v[18:19], v[22:23]
	v_mov_b32_e32 v18, v39
	v_pk_mul_f32 v[18:19], v[6:7], v[18:19] op_sel:[1,0] op_sel_hi:[0,0]
	v_pk_fma_f32 v[20:21], v[6:7], v[38:39], v[18:19] neg_lo:[0,0,1] neg_hi:[0,0,1]
	v_pk_fma_f32 v[6:7], v[6:7], v[38:39], v[18:19] op_sel_hi:[1,0,1]
	s_nop 0
	v_mov_b32_e32 v21, v7
	s_waitcnt vmcnt(2) lgkmcnt(2)
	v_pk_mul_f32 v[6:7], v[8:9], v[40:41] op_sel:[1,1] op_sel_hi:[0,1]
	v_pk_fma_f32 v[18:19], v[8:9], v[40:41], v[6:7] neg_lo:[0,0,1] neg_hi:[0,0,1]
	v_pk_fma_f32 v[6:7], v[8:9], v[40:41], v[6:7] op_sel_hi:[1,0,1]
	v_pk_add_f32 v[4:5], v[4:5], v[20:21]
	v_mov_b32_e32 v6, v43
	v_mov_b32_e32 v19, v7
	v_pk_mul_f32 v[6:7], v[10:11], v[6:7] op_sel:[1,0] op_sel_hi:[0,0]
	v_pk_fma_f32 v[8:9], v[10:11], v[42:43], v[6:7] neg_lo:[0,0,1] neg_hi:[0,0,1]
	v_pk_fma_f32 v[6:7], v[10:11], v[42:43], v[6:7] op_sel_hi:[1,0,1]
	v_pk_add_f32 v[4:5], v[4:5], v[18:19]
	v_mov_b32_e32 v9, v7
	s_waitcnt vmcnt(1) lgkmcnt(1)
	v_pk_mul_f32 v[6:7], v[12:13], v[44:45] op_sel:[1,1] op_sel_hi:[0,1]
	v_pk_add_f32 v[4:5], v[4:5], v[8:9]
	v_pk_fma_f32 v[8:9], v[12:13], v[44:45], v[6:7] neg_lo:[0,0,1] neg_hi:[0,0,1]
	v_pk_fma_f32 v[6:7], v[12:13], v[44:45], v[6:7] op_sel_hi:[1,0,1]
	s_nop 0
	v_mov_b32_e32 v6, v47
	v_mov_b32_e32 v9, v7
	v_pk_mul_f32 v[6:7], v[14:15], v[6:7] op_sel:[1,0] op_sel_hi:[0,0]
	v_pk_add_f32 v[4:5], v[4:5], v[8:9]
	v_pk_fma_f32 v[8:9], v[14:15], v[46:47], v[6:7] neg_lo:[0,0,1] neg_hi:[0,0,1]
	v_pk_fma_f32 v[6:7], v[14:15], v[46:47], v[6:7] op_sel_hi:[1,0,1]
	s_nop 0
	v_mov_b32_e32 v9, v7
	s_waitcnt vmcnt(0) lgkmcnt(0)
	v_pk_mul_f32 v[6:7], v[16:17], v[106:107] op_sel:[1,1] op_sel_hi:[0,1]
	v_pk_add_f32 v[4:5], v[4:5], v[8:9]
	v_pk_fma_f32 v[8:9], v[16:17], v[106:107], v[6:7] neg_lo:[0,0,1] neg_hi:[0,0,1]
	v_pk_fma_f32 v[6:7], v[16:17], v[106:107], v[6:7] op_sel_hi:[1,0,1]
	s_nop 0
	v_mov_b32_e32 v9, v7
	scratch_load_dwordx2 v[6:7], off, off offset:80
	v_pk_add_f32 v[4:5], v[4:5], v[8:9]
	s_waitcnt vmcnt(0)
	v_pk_add_f32 v[4:5], v[6:7], v[4:5] neg_lo:[0,1] neg_hi:[0,1]
	scratch_store_dwordx2 off, v[4:5], off offset:80
	s_and_saveexec_b64 s[0:1], vcc
	s_cbranch_execz .LBB25_151
; %bb.150:
	scratch_load_dwordx2 v[4:5], off, off offset:72
	v_mov_b32_e32 v3, v2
	scratch_store_dwordx2 off, v[2:3], off offset:72
	s_waitcnt vmcnt(1)
	ds_write_b64 v1, v[4:5]
.LBB25_151:
	s_or_b64 exec, exec, s[0:1]
	s_waitcnt lgkmcnt(0)
	; wave barrier
	ds_read_b128 v[4:7], v2 offset:288
	ds_read_b128 v[8:11], v2 offset:304
	;; [unrolled: 1-line block ×4, first 2 shown]
	scratch_load_dwordx4 v[20:23], off, off offset:80
	v_cmp_lt_u32_e32 vcc, 8, v0
	s_waitcnt vmcnt(0) lgkmcnt(3)
	v_mul_f32_e32 v3, v4, v21
	v_fmac_f32_e32 v3, v5, v20
	v_mul_f32_e32 v24, v6, v23
	v_add_f32_e32 v3, 0, v3
	v_fmac_f32_e32 v24, v7, v22
	v_add_f32_e32 v3, v3, v24
	scratch_load_dwordx4 v[24:27], off, off offset:96
	s_waitcnt vmcnt(0) lgkmcnt(2)
	v_mul_f32_e32 v28, v8, v25
	v_fmac_f32_e32 v28, v9, v24
	v_add_f32_e32 v3, v3, v28
	v_mul_f32_e32 v28, v10, v27
	v_fmac_f32_e32 v28, v11, v26
	v_add_f32_e32 v3, v3, v28
	scratch_load_dwordx4 v[28:31], off, off offset:112
	s_waitcnt vmcnt(0) lgkmcnt(1)
	v_mul_f32_e32 v32, v12, v29
	v_fmac_f32_e32 v32, v13, v28
	v_add_f32_e32 v3, v3, v32
	v_mul_f32_e32 v32, v14, v31
	v_fmac_f32_e32 v32, v15, v30
	v_add_f32_e32 v105, v3, v32
	scratch_load_dwordx4 v[32:35], off, off offset:128
	scratch_load_dwordx4 v[36:39], off, off offset:144
	;; [unrolled: 1-line block ×5, first 2 shown]
	v_mul_f32_e32 v3, v5, v21
	v_fma_f32 v3, v4, v20, -v3
	v_mul_f32_e32 v4, v7, v23
	v_add_f32_e32 v3, 0, v3
	v_fma_f32 v4, v6, v22, -v4
	v_add_f32_e32 v3, v3, v4
	v_mul_f32_e32 v4, v9, v25
	v_fma_f32 v4, v8, v24, -v4
	v_add_f32_e32 v3, v3, v4
	v_mul_f32_e32 v4, v11, v27
	;; [unrolled: 3-line block ×4, first 2 shown]
	v_fma_f32 v4, v14, v30, -v4
	v_add_f32_e32 v104, v3, v4
	s_waitcnt vmcnt(4) lgkmcnt(0)
	v_mul_f32_e32 v3, v17, v33
	v_mul_f32_e32 v107, v16, v33
	;; [unrolled: 1-line block ×3, first 2 shown]
	v_fma_f32 v106, v16, v32, -v3
	v_mul_f32_e32 v3, v19, v35
	v_fmac_f32_e32 v107, v17, v32
	v_fmac_f32_e32 v109, v19, v34
	v_fma_f32 v108, v18, v34, -v3
	ds_read_b128 v[4:7], v2 offset:352
	ds_read_b128 v[8:11], v2 offset:368
	;; [unrolled: 1-line block ×4, first 2 shown]
	v_pk_add_f32 v[2:3], v[104:105], v[106:107]
	s_waitcnt vmcnt(3) lgkmcnt(3)
	v_pk_mul_f32 v[20:21], v[4:5], v[36:37] op_sel:[1,1] op_sel_hi:[0,1]
	v_pk_fma_f32 v[22:23], v[4:5], v[36:37], v[20:21] neg_lo:[0,0,1] neg_hi:[0,0,1]
	v_pk_fma_f32 v[4:5], v[4:5], v[36:37], v[20:21] op_sel_hi:[1,0,1]
	v_pk_add_f32 v[2:3], v[2:3], v[108:109]
	v_mov_b32_e32 v4, v39
	v_mov_b32_e32 v23, v5
	v_pk_mul_f32 v[4:5], v[6:7], v[4:5] op_sel:[1,0] op_sel_hi:[0,0]
	v_pk_fma_f32 v[20:21], v[6:7], v[38:39], v[4:5] neg_lo:[0,0,1] neg_hi:[0,0,1]
	v_pk_fma_f32 v[4:5], v[6:7], v[38:39], v[4:5] op_sel_hi:[1,0,1]
	v_pk_add_f32 v[2:3], v[2:3], v[22:23]
	v_mov_b32_e32 v21, v5
	s_waitcnt vmcnt(2) lgkmcnt(2)
	v_pk_mul_f32 v[4:5], v[8:9], v[40:41] op_sel:[1,1] op_sel_hi:[0,1]
	v_pk_fma_f32 v[6:7], v[8:9], v[40:41], v[4:5] neg_lo:[0,0,1] neg_hi:[0,0,1]
	v_pk_fma_f32 v[4:5], v[8:9], v[40:41], v[4:5] op_sel_hi:[1,0,1]
	v_pk_add_f32 v[2:3], v[2:3], v[20:21]
	v_mov_b32_e32 v4, v43
	v_mov_b32_e32 v7, v5
	v_pk_mul_f32 v[4:5], v[10:11], v[4:5] op_sel:[1,0] op_sel_hi:[0,0]
	v_pk_add_f32 v[2:3], v[2:3], v[6:7]
	v_pk_fma_f32 v[6:7], v[10:11], v[42:43], v[4:5] neg_lo:[0,0,1] neg_hi:[0,0,1]
	v_pk_fma_f32 v[4:5], v[10:11], v[42:43], v[4:5] op_sel_hi:[1,0,1]
	s_nop 0
	v_mov_b32_e32 v7, v5
	s_waitcnt vmcnt(1) lgkmcnt(1)
	v_pk_mul_f32 v[4:5], v[12:13], v[44:45] op_sel:[1,1] op_sel_hi:[0,1]
	v_pk_add_f32 v[2:3], v[2:3], v[6:7]
	v_pk_fma_f32 v[6:7], v[12:13], v[44:45], v[4:5] neg_lo:[0,0,1] neg_hi:[0,0,1]
	v_pk_fma_f32 v[4:5], v[12:13], v[44:45], v[4:5] op_sel_hi:[1,0,1]
	s_nop 0
	v_mov_b32_e32 v4, v47
	v_mov_b32_e32 v7, v5
	v_pk_mul_f32 v[4:5], v[14:15], v[4:5] op_sel:[1,0] op_sel_hi:[0,0]
	v_pk_add_f32 v[2:3], v[2:3], v[6:7]
	v_pk_fma_f32 v[6:7], v[14:15], v[46:47], v[4:5] neg_lo:[0,0,1] neg_hi:[0,0,1]
	v_pk_fma_f32 v[4:5], v[14:15], v[46:47], v[4:5] op_sel_hi:[1,0,1]
	s_nop 0
	v_mov_b32_e32 v7, v5
	s_waitcnt vmcnt(0) lgkmcnt(0)
	v_pk_mul_f32 v[4:5], v[16:17], v[100:101] op_sel:[1,1] op_sel_hi:[0,1]
	v_pk_add_f32 v[2:3], v[2:3], v[6:7]
	v_pk_fma_f32 v[6:7], v[16:17], v[100:101], v[4:5] neg_lo:[0,0,1] neg_hi:[0,0,1]
	v_pk_fma_f32 v[4:5], v[16:17], v[100:101], v[4:5] op_sel_hi:[1,0,1]
	s_nop 0
	v_mov_b32_e32 v4, v103
	v_mov_b32_e32 v7, v5
	v_pk_mul_f32 v[4:5], v[18:19], v[4:5] op_sel:[1,0] op_sel_hi:[0,0]
	v_pk_add_f32 v[2:3], v[2:3], v[6:7]
	v_pk_fma_f32 v[6:7], v[18:19], v[102:103], v[4:5] neg_lo:[0,0,1] neg_hi:[0,0,1]
	v_pk_fma_f32 v[4:5], v[18:19], v[102:103], v[4:5] op_sel_hi:[1,0,1]
	s_nop 0
	v_mov_b32_e32 v7, v5
	scratch_load_dwordx2 v[4:5], off, off offset:72
	v_pk_add_f32 v[2:3], v[2:3], v[6:7]
	s_waitcnt vmcnt(0)
	v_pk_add_f32 v[2:3], v[4:5], v[2:3] neg_lo:[0,1] neg_hi:[0,1]
	scratch_store_dwordx2 off, v[2:3], off offset:72
	s_and_saveexec_b64 s[0:1], vcc
	s_cbranch_execz .LBB25_153
; %bb.152:
	scratch_load_dwordx2 v[2:3], off, off offset:64
	v_mov_b32_e32 v4, 0
	v_mov_b32_e32 v5, v4
	scratch_store_dwordx2 off, v[4:5], off offset:64
	s_waitcnt vmcnt(1)
	ds_write_b64 v1, v[2:3]
.LBB25_153:
	s_or_b64 exec, exec, s[0:1]
	s_waitcnt lgkmcnt(0)
	; wave barrier
	scratch_load_dwordx4 v[8:11], off, off offset:72
	scratch_load_dwordx4 v[16:19], off, off offset:88
	;; [unrolled: 1-line block ×4, first 2 shown]
	v_mov_b32_e32 v2, 0
	ds_read2_b64 v[4:7], v2 offset0:35 offset1:36
	scratch_load_dwordx4 v[40:43], off, off offset:136
	v_cmp_lt_u32_e32 vcc, 7, v0
	s_waitcnt vmcnt(4) lgkmcnt(0)
	v_mul_f32_e32 v3, v4, v9
	v_fmac_f32_e32 v3, v5, v8
	v_mul_f32_e32 v12, v6, v11
	v_add_f32_e32 v3, 0, v3
	v_fmac_f32_e32 v12, v7, v10
	v_add_f32_e32 v3, v3, v12
	ds_read2_b64 v[12:15], v2 offset0:37 offset1:38
	s_waitcnt vmcnt(3) lgkmcnt(0)
	v_mul_f32_e32 v20, v12, v17
	v_fmac_f32_e32 v20, v13, v16
	v_add_f32_e32 v3, v3, v20
	v_mul_f32_e32 v20, v14, v19
	v_fmac_f32_e32 v20, v15, v18
	v_add_f32_e32 v3, v3, v20
	ds_read2_b64 v[20:23], v2 offset0:39 offset1:40
	s_waitcnt vmcnt(2) lgkmcnt(0)
	v_mul_f32_e32 v28, v20, v25
	v_fmac_f32_e32 v28, v21, v24
	v_add_f32_e32 v3, v3, v28
	v_mul_f32_e32 v28, v22, v27
	v_fmac_f32_e32 v28, v23, v26
	v_add_f32_e32 v3, v3, v28
	ds_read2_b64 v[28:31], v2 offset0:41 offset1:42
	s_waitcnt vmcnt(1) lgkmcnt(0)
	v_mul_f32_e32 v36, v28, v33
	v_fmac_f32_e32 v36, v29, v32
	v_add_f32_e32 v109, v3, v36
	ds_read2_b64 v[36:39], v2 offset0:43 offset1:44
	scratch_load_dwordx4 v[44:47], off, off offset:152
	scratch_load_dwordx4 v[100:103], off, off offset:168
	scratch_load_dwordx4 v[104:107], off, off offset:184
	scratch_load_dwordx2 v[114:115], off, off offset:200
	v_mul_f32_e32 v3, v5, v9
	v_fma_f32 v3, v4, v8, -v3
	v_mul_f32_e32 v4, v7, v11
	v_add_f32_e32 v3, 0, v3
	v_fma_f32 v4, v6, v10, -v4
	v_add_f32_e32 v3, v3, v4
	v_mul_f32_e32 v4, v13, v17
	v_fma_f32 v4, v12, v16, -v4
	v_add_f32_e32 v3, v3, v4
	v_mul_f32_e32 v4, v15, v19
	v_fma_f32 v4, v14, v18, -v4
	v_add_f32_e32 v3, v3, v4
	v_mul_f32_e32 v4, v21, v25
	v_fma_f32 v4, v20, v24, -v4
	v_add_f32_e32 v3, v3, v4
	v_mul_f32_e32 v4, v23, v27
	v_fma_f32 v4, v22, v26, -v4
	v_add_f32_e32 v3, v3, v4
	v_mul_f32_e32 v4, v29, v33
	v_fma_f32 v4, v28, v32, -v4
	v_mul_f32_e32 v111, v30, v35
	v_add_f32_e32 v108, v3, v4
	v_mul_f32_e32 v3, v31, v35
	s_waitcnt vmcnt(4)
	v_mov_b32_e32 v20, v43
	v_fmac_f32_e32 v111, v31, v34
	s_waitcnt lgkmcnt(0)
	v_mul_f32_e32 v113, v36, v41
	v_fma_f32 v110, v30, v34, -v3
	v_mul_f32_e32 v3, v37, v41
	ds_read2_b64 v[4:7], v2 offset0:45 offset1:46
	ds_read2_b64 v[8:11], v2 offset0:47 offset1:48
	;; [unrolled: 1-line block ×3, first 2 shown]
	ds_read_b64 v[16:17], v2 offset:408
	v_pk_mul_f32 v[20:21], v[38:39], v[20:21] op_sel:[1,0] op_sel_hi:[0,0]
	v_fmac_f32_e32 v113, v37, v40
	v_fma_f32 v112, v36, v40, -v3
	v_pk_add_f32 v[18:19], v[108:109], v[110:111]
	v_pk_fma_f32 v[22:23], v[38:39], v[42:43], v[20:21] neg_lo:[0,0,1] neg_hi:[0,0,1]
	v_pk_fma_f32 v[20:21], v[38:39], v[42:43], v[20:21] op_sel_hi:[1,0,1]
	v_pk_add_f32 v[18:19], v[18:19], v[112:113]
	v_mov_b32_e32 v23, v21
	v_pk_add_f32 v[18:19], v[18:19], v[22:23]
	s_waitcnt vmcnt(3) lgkmcnt(3)
	v_pk_mul_f32 v[20:21], v[4:5], v[44:45] op_sel:[1,1] op_sel_hi:[0,1]
	v_pk_fma_f32 v[22:23], v[4:5], v[44:45], v[20:21] neg_lo:[0,0,1] neg_hi:[0,0,1]
	v_pk_fma_f32 v[4:5], v[4:5], v[44:45], v[20:21] op_sel_hi:[1,0,1]
	s_nop 0
	v_mov_b32_e32 v23, v5
	v_pk_add_f32 v[4:5], v[18:19], v[22:23]
	v_mov_b32_e32 v18, v47
	v_pk_mul_f32 v[18:19], v[6:7], v[18:19] op_sel:[1,0] op_sel_hi:[0,0]
	v_pk_fma_f32 v[20:21], v[6:7], v[46:47], v[18:19] neg_lo:[0,0,1] neg_hi:[0,0,1]
	v_pk_fma_f32 v[6:7], v[6:7], v[46:47], v[18:19] op_sel_hi:[1,0,1]
	s_nop 0
	v_mov_b32_e32 v21, v7
	s_waitcnt vmcnt(2) lgkmcnt(2)
	v_pk_mul_f32 v[6:7], v[8:9], v[100:101] op_sel:[1,1] op_sel_hi:[0,1]
	v_pk_fma_f32 v[18:19], v[8:9], v[100:101], v[6:7] neg_lo:[0,0,1] neg_hi:[0,0,1]
	v_pk_fma_f32 v[6:7], v[8:9], v[100:101], v[6:7] op_sel_hi:[1,0,1]
	v_pk_add_f32 v[4:5], v[4:5], v[20:21]
	v_mov_b32_e32 v6, v103
	v_mov_b32_e32 v19, v7
	v_pk_mul_f32 v[6:7], v[10:11], v[6:7] op_sel:[1,0] op_sel_hi:[0,0]
	v_pk_fma_f32 v[8:9], v[10:11], v[102:103], v[6:7] neg_lo:[0,0,1] neg_hi:[0,0,1]
	v_pk_fma_f32 v[6:7], v[10:11], v[102:103], v[6:7] op_sel_hi:[1,0,1]
	v_pk_add_f32 v[4:5], v[4:5], v[18:19]
	v_mov_b32_e32 v9, v7
	s_waitcnt vmcnt(1) lgkmcnt(1)
	v_pk_mul_f32 v[6:7], v[12:13], v[104:105] op_sel:[1,1] op_sel_hi:[0,1]
	v_pk_add_f32 v[4:5], v[4:5], v[8:9]
	v_pk_fma_f32 v[8:9], v[12:13], v[104:105], v[6:7] neg_lo:[0,0,1] neg_hi:[0,0,1]
	v_pk_fma_f32 v[6:7], v[12:13], v[104:105], v[6:7] op_sel_hi:[1,0,1]
	s_nop 0
	v_mov_b32_e32 v6, v107
	v_mov_b32_e32 v9, v7
	v_pk_mul_f32 v[6:7], v[14:15], v[6:7] op_sel:[1,0] op_sel_hi:[0,0]
	v_pk_add_f32 v[4:5], v[4:5], v[8:9]
	v_pk_fma_f32 v[8:9], v[14:15], v[106:107], v[6:7] neg_lo:[0,0,1] neg_hi:[0,0,1]
	v_pk_fma_f32 v[6:7], v[14:15], v[106:107], v[6:7] op_sel_hi:[1,0,1]
	s_nop 0
	v_mov_b32_e32 v9, v7
	s_waitcnt vmcnt(0) lgkmcnt(0)
	v_pk_mul_f32 v[6:7], v[16:17], v[114:115] op_sel:[1,1] op_sel_hi:[0,1]
	v_pk_add_f32 v[4:5], v[4:5], v[8:9]
	v_pk_fma_f32 v[8:9], v[16:17], v[114:115], v[6:7] neg_lo:[0,0,1] neg_hi:[0,0,1]
	v_pk_fma_f32 v[6:7], v[16:17], v[114:115], v[6:7] op_sel_hi:[1,0,1]
	s_nop 0
	v_mov_b32_e32 v9, v7
	scratch_load_dwordx2 v[6:7], off, off offset:64
	v_pk_add_f32 v[4:5], v[4:5], v[8:9]
	s_waitcnt vmcnt(0)
	v_pk_add_f32 v[4:5], v[6:7], v[4:5] neg_lo:[0,1] neg_hi:[0,1]
	scratch_store_dwordx2 off, v[4:5], off offset:64
	s_and_saveexec_b64 s[0:1], vcc
	s_cbranch_execz .LBB25_155
; %bb.154:
	scratch_load_dwordx2 v[4:5], off, off offset:56
	v_mov_b32_e32 v3, v2
	scratch_store_dwordx2 off, v[2:3], off offset:56
	s_waitcnt vmcnt(1)
	ds_write_b64 v1, v[4:5]
.LBB25_155:
	s_or_b64 exec, exec, s[0:1]
	s_waitcnt lgkmcnt(0)
	; wave barrier
	ds_read_b128 v[4:7], v2 offset:272
	ds_read_b128 v[8:11], v2 offset:288
	;; [unrolled: 1-line block ×4, first 2 shown]
	scratch_load_dwordx4 v[20:23], off, off offset:64
	scratch_load_dwordx4 v[40:43], off, off offset:128
	v_cmp_lt_u32_e32 vcc, 6, v0
	s_waitcnt vmcnt(1) lgkmcnt(3)
	v_mul_f32_e32 v3, v4, v21
	v_fmac_f32_e32 v3, v5, v20
	v_mul_f32_e32 v24, v6, v23
	v_add_f32_e32 v3, 0, v3
	v_fmac_f32_e32 v24, v7, v22
	v_add_f32_e32 v3, v3, v24
	scratch_load_dwordx4 v[24:27], off, off offset:80
	s_waitcnt vmcnt(0) lgkmcnt(2)
	v_mul_f32_e32 v28, v8, v25
	v_fmac_f32_e32 v28, v9, v24
	v_add_f32_e32 v3, v3, v28
	v_mul_f32_e32 v28, v10, v27
	v_fmac_f32_e32 v28, v11, v26
	v_add_f32_e32 v3, v3, v28
	scratch_load_dwordx4 v[28:31], off, off offset:96
	s_waitcnt vmcnt(0) lgkmcnt(1)
	v_mul_f32_e32 v32, v12, v29
	v_fmac_f32_e32 v32, v13, v28
	v_add_f32_e32 v3, v3, v32
	v_mul_f32_e32 v32, v14, v31
	;; [unrolled: 8-line block ×3, first 2 shown]
	v_fmac_f32_e32 v36, v19, v34
	v_add_f32_e32 v113, v3, v36
	ds_read_b128 v[36:39], v2 offset:336
	scratch_load_dwordx4 v[44:47], off, off offset:144
	scratch_load_dwordx4 v[100:103], off, off offset:160
	;; [unrolled: 1-line block ×4, first 2 shown]
	v_mul_f32_e32 v3, v5, v21
	v_fma_f32 v3, v4, v20, -v3
	v_mul_f32_e32 v4, v7, v23
	v_add_f32_e32 v3, 0, v3
	v_fma_f32 v4, v6, v22, -v4
	v_add_f32_e32 v3, v3, v4
	v_mul_f32_e32 v4, v9, v25
	v_fma_f32 v4, v8, v24, -v4
	v_add_f32_e32 v3, v3, v4
	v_mul_f32_e32 v4, v11, v27
	;; [unrolled: 3-line block ×6, first 2 shown]
	v_fma_f32 v4, v18, v34, -v4
	v_add_f32_e32 v112, v3, v4
	ds_read_b128 v[4:7], v2 offset:352
	ds_read_b128 v[8:11], v2 offset:368
	;; [unrolled: 1-line block ×4, first 2 shown]
	s_waitcnt lgkmcnt(4)
	v_mul_f32_e32 v115, v36, v41
	v_mul_f32_e32 v3, v37, v41
	v_fmac_f32_e32 v115, v37, v40
	v_mul_f32_e32 v117, v38, v43
	v_fma_f32 v114, v36, v40, -v3
	v_mul_f32_e32 v3, v39, v43
	v_fmac_f32_e32 v117, v39, v42
	v_fma_f32 v116, v38, v42, -v3
	v_pk_add_f32 v[2:3], v[112:113], v[114:115]
	s_waitcnt vmcnt(3) lgkmcnt(3)
	v_pk_mul_f32 v[20:21], v[4:5], v[44:45] op_sel:[1,1] op_sel_hi:[0,1]
	v_pk_fma_f32 v[22:23], v[4:5], v[44:45], v[20:21] neg_lo:[0,0,1] neg_hi:[0,0,1]
	v_pk_fma_f32 v[4:5], v[4:5], v[44:45], v[20:21] op_sel_hi:[1,0,1]
	v_pk_add_f32 v[2:3], v[2:3], v[116:117]
	v_mov_b32_e32 v4, v47
	v_mov_b32_e32 v23, v5
	v_pk_mul_f32 v[4:5], v[6:7], v[4:5] op_sel:[1,0] op_sel_hi:[0,0]
	v_pk_fma_f32 v[20:21], v[6:7], v[46:47], v[4:5] neg_lo:[0,0,1] neg_hi:[0,0,1]
	v_pk_fma_f32 v[4:5], v[6:7], v[46:47], v[4:5] op_sel_hi:[1,0,1]
	v_pk_add_f32 v[2:3], v[2:3], v[22:23]
	v_mov_b32_e32 v21, v5
	s_waitcnt vmcnt(2) lgkmcnt(2)
	v_pk_mul_f32 v[4:5], v[8:9], v[100:101] op_sel:[1,1] op_sel_hi:[0,1]
	v_pk_fma_f32 v[6:7], v[8:9], v[100:101], v[4:5] neg_lo:[0,0,1] neg_hi:[0,0,1]
	v_pk_fma_f32 v[4:5], v[8:9], v[100:101], v[4:5] op_sel_hi:[1,0,1]
	v_pk_add_f32 v[2:3], v[2:3], v[20:21]
	v_mov_b32_e32 v4, v103
	v_mov_b32_e32 v7, v5
	v_pk_mul_f32 v[4:5], v[10:11], v[4:5] op_sel:[1,0] op_sel_hi:[0,0]
	v_pk_add_f32 v[2:3], v[2:3], v[6:7]
	v_pk_fma_f32 v[6:7], v[10:11], v[102:103], v[4:5] neg_lo:[0,0,1] neg_hi:[0,0,1]
	v_pk_fma_f32 v[4:5], v[10:11], v[102:103], v[4:5] op_sel_hi:[1,0,1]
	s_nop 0
	v_mov_b32_e32 v7, v5
	s_waitcnt vmcnt(1) lgkmcnt(1)
	v_pk_mul_f32 v[4:5], v[12:13], v[104:105] op_sel:[1,1] op_sel_hi:[0,1]
	v_pk_add_f32 v[2:3], v[2:3], v[6:7]
	v_pk_fma_f32 v[6:7], v[12:13], v[104:105], v[4:5] neg_lo:[0,0,1] neg_hi:[0,0,1]
	v_pk_fma_f32 v[4:5], v[12:13], v[104:105], v[4:5] op_sel_hi:[1,0,1]
	s_nop 0
	v_mov_b32_e32 v4, v107
	v_mov_b32_e32 v7, v5
	v_pk_mul_f32 v[4:5], v[14:15], v[4:5] op_sel:[1,0] op_sel_hi:[0,0]
	v_pk_add_f32 v[2:3], v[2:3], v[6:7]
	v_pk_fma_f32 v[6:7], v[14:15], v[106:107], v[4:5] neg_lo:[0,0,1] neg_hi:[0,0,1]
	v_pk_fma_f32 v[4:5], v[14:15], v[106:107], v[4:5] op_sel_hi:[1,0,1]
	s_nop 0
	v_mov_b32_e32 v7, v5
	s_waitcnt vmcnt(0) lgkmcnt(0)
	v_pk_mul_f32 v[4:5], v[16:17], v[108:109] op_sel:[1,1] op_sel_hi:[0,1]
	v_pk_add_f32 v[2:3], v[2:3], v[6:7]
	v_pk_fma_f32 v[6:7], v[16:17], v[108:109], v[4:5] neg_lo:[0,0,1] neg_hi:[0,0,1]
	v_pk_fma_f32 v[4:5], v[16:17], v[108:109], v[4:5] op_sel_hi:[1,0,1]
	s_nop 0
	v_mov_b32_e32 v4, v111
	v_mov_b32_e32 v7, v5
	v_pk_mul_f32 v[4:5], v[18:19], v[4:5] op_sel:[1,0] op_sel_hi:[0,0]
	v_pk_add_f32 v[2:3], v[2:3], v[6:7]
	v_pk_fma_f32 v[6:7], v[18:19], v[110:111], v[4:5] neg_lo:[0,0,1] neg_hi:[0,0,1]
	v_pk_fma_f32 v[4:5], v[18:19], v[110:111], v[4:5] op_sel_hi:[1,0,1]
	s_nop 0
	v_mov_b32_e32 v7, v5
	scratch_load_dwordx2 v[4:5], off, off offset:56
	v_pk_add_f32 v[2:3], v[2:3], v[6:7]
	s_waitcnt vmcnt(0)
	v_pk_add_f32 v[2:3], v[4:5], v[2:3] neg_lo:[0,1] neg_hi:[0,1]
	scratch_store_dwordx2 off, v[2:3], off offset:56
	s_and_saveexec_b64 s[0:1], vcc
	s_cbranch_execz .LBB25_157
; %bb.156:
	scratch_load_dwordx2 v[2:3], off, off offset:48
	v_mov_b32_e32 v4, 0
	v_mov_b32_e32 v5, v4
	scratch_store_dwordx2 off, v[4:5], off offset:48
	s_waitcnt vmcnt(1)
	ds_write_b64 v1, v[2:3]
.LBB25_157:
	s_or_b64 exec, exec, s[0:1]
	s_waitcnt lgkmcnt(0)
	; wave barrier
	scratch_load_dwordx4 v[8:11], off, off offset:56
	scratch_load_dwordx4 v[16:19], off, off offset:72
	;; [unrolled: 1-line block ×6, first 2 shown]
	v_mov_b32_e32 v2, 0
	ds_read2_b64 v[4:7], v2 offset0:33 offset1:34
	v_cmp_lt_u32_e32 vcc, 5, v0
	s_waitcnt vmcnt(5) lgkmcnt(0)
	v_mul_f32_e32 v3, v4, v9
	v_fmac_f32_e32 v3, v5, v8
	v_mul_f32_e32 v12, v6, v11
	v_add_f32_e32 v3, 0, v3
	v_fmac_f32_e32 v12, v7, v10
	v_add_f32_e32 v3, v3, v12
	ds_read2_b64 v[12:15], v2 offset0:35 offset1:36
	s_waitcnt vmcnt(4) lgkmcnt(0)
	v_mul_f32_e32 v20, v12, v17
	v_fmac_f32_e32 v20, v13, v16
	v_add_f32_e32 v3, v3, v20
	v_mul_f32_e32 v20, v14, v19
	v_fmac_f32_e32 v20, v15, v18
	v_add_f32_e32 v3, v3, v20
	ds_read2_b64 v[20:23], v2 offset0:37 offset1:38
	s_waitcnt vmcnt(3) lgkmcnt(0)
	v_mul_f32_e32 v28, v20, v25
	v_fmac_f32_e32 v28, v21, v24
	v_add_f32_e32 v3, v3, v28
	v_mul_f32_e32 v28, v22, v27
	;; [unrolled: 8-line block ×3, first 2 shown]
	v_fmac_f32_e32 v36, v31, v34
	v_add_f32_e32 v3, v3, v36
	ds_read2_b64 v[36:39], v2 offset0:41 offset1:42
	s_waitcnt vmcnt(1) lgkmcnt(0)
	v_mul_f32_e32 v44, v36, v41
	v_fmac_f32_e32 v44, v37, v40
	v_add_f32_e32 v117, v3, v44
	ds_read2_b64 v[44:47], v2 offset0:43 offset1:44
	scratch_load_dwordx4 v[104:107], off, off offset:152
	scratch_load_dwordx4 v[108:111], off, off offset:168
	scratch_load_dwordx4 v[112:115], off, off offset:184
	scratch_load_dwordx2 v[122:123], off, off offset:200
	v_mul_f32_e32 v3, v5, v9
	v_fma_f32 v3, v4, v8, -v3
	v_mul_f32_e32 v4, v7, v11
	v_add_f32_e32 v3, 0, v3
	v_fma_f32 v4, v6, v10, -v4
	v_add_f32_e32 v3, v3, v4
	v_mul_f32_e32 v4, v13, v17
	v_fma_f32 v4, v12, v16, -v4
	v_add_f32_e32 v3, v3, v4
	v_mul_f32_e32 v4, v15, v19
	;; [unrolled: 3-line block ×7, first 2 shown]
	v_fma_f32 v4, v36, v40, -v4
	v_mul_f32_e32 v119, v38, v43
	v_add_f32_e32 v116, v3, v4
	v_mul_f32_e32 v3, v39, v43
	s_waitcnt vmcnt(4)
	v_mov_b32_e32 v20, v103
	v_fmac_f32_e32 v119, v39, v42
	s_waitcnt lgkmcnt(0)
	v_mul_f32_e32 v121, v44, v101
	v_fma_f32 v118, v38, v42, -v3
	v_mul_f32_e32 v3, v45, v101
	ds_read2_b64 v[4:7], v2 offset0:45 offset1:46
	ds_read2_b64 v[8:11], v2 offset0:47 offset1:48
	;; [unrolled: 1-line block ×3, first 2 shown]
	ds_read_b64 v[16:17], v2 offset:408
	v_pk_mul_f32 v[20:21], v[46:47], v[20:21] op_sel:[1,0] op_sel_hi:[0,0]
	v_fmac_f32_e32 v121, v45, v100
	v_fma_f32 v120, v44, v100, -v3
	v_pk_add_f32 v[18:19], v[116:117], v[118:119]
	v_pk_fma_f32 v[22:23], v[46:47], v[102:103], v[20:21] neg_lo:[0,0,1] neg_hi:[0,0,1]
	v_pk_fma_f32 v[20:21], v[46:47], v[102:103], v[20:21] op_sel_hi:[1,0,1]
	v_pk_add_f32 v[18:19], v[18:19], v[120:121]
	v_mov_b32_e32 v23, v21
	v_pk_add_f32 v[18:19], v[18:19], v[22:23]
	s_waitcnt vmcnt(3) lgkmcnt(3)
	v_pk_mul_f32 v[20:21], v[4:5], v[104:105] op_sel:[1,1] op_sel_hi:[0,1]
	v_pk_fma_f32 v[22:23], v[4:5], v[104:105], v[20:21] neg_lo:[0,0,1] neg_hi:[0,0,1]
	v_pk_fma_f32 v[4:5], v[4:5], v[104:105], v[20:21] op_sel_hi:[1,0,1]
	s_nop 0
	v_mov_b32_e32 v23, v5
	v_pk_add_f32 v[4:5], v[18:19], v[22:23]
	v_mov_b32_e32 v18, v107
	v_pk_mul_f32 v[18:19], v[6:7], v[18:19] op_sel:[1,0] op_sel_hi:[0,0]
	v_pk_fma_f32 v[20:21], v[6:7], v[106:107], v[18:19] neg_lo:[0,0,1] neg_hi:[0,0,1]
	v_pk_fma_f32 v[6:7], v[6:7], v[106:107], v[18:19] op_sel_hi:[1,0,1]
	s_nop 0
	v_mov_b32_e32 v21, v7
	s_waitcnt vmcnt(2) lgkmcnt(2)
	v_pk_mul_f32 v[6:7], v[8:9], v[108:109] op_sel:[1,1] op_sel_hi:[0,1]
	v_pk_fma_f32 v[18:19], v[8:9], v[108:109], v[6:7] neg_lo:[0,0,1] neg_hi:[0,0,1]
	v_pk_fma_f32 v[6:7], v[8:9], v[108:109], v[6:7] op_sel_hi:[1,0,1]
	v_pk_add_f32 v[4:5], v[4:5], v[20:21]
	v_mov_b32_e32 v6, v111
	v_mov_b32_e32 v19, v7
	v_pk_mul_f32 v[6:7], v[10:11], v[6:7] op_sel:[1,0] op_sel_hi:[0,0]
	v_pk_fma_f32 v[8:9], v[10:11], v[110:111], v[6:7] neg_lo:[0,0,1] neg_hi:[0,0,1]
	v_pk_fma_f32 v[6:7], v[10:11], v[110:111], v[6:7] op_sel_hi:[1,0,1]
	v_pk_add_f32 v[4:5], v[4:5], v[18:19]
	v_mov_b32_e32 v9, v7
	s_waitcnt vmcnt(1) lgkmcnt(1)
	v_pk_mul_f32 v[6:7], v[12:13], v[112:113] op_sel:[1,1] op_sel_hi:[0,1]
	v_pk_add_f32 v[4:5], v[4:5], v[8:9]
	v_pk_fma_f32 v[8:9], v[12:13], v[112:113], v[6:7] neg_lo:[0,0,1] neg_hi:[0,0,1]
	v_pk_fma_f32 v[6:7], v[12:13], v[112:113], v[6:7] op_sel_hi:[1,0,1]
	s_nop 0
	v_mov_b32_e32 v6, v115
	v_mov_b32_e32 v9, v7
	v_pk_mul_f32 v[6:7], v[14:15], v[6:7] op_sel:[1,0] op_sel_hi:[0,0]
	v_pk_add_f32 v[4:5], v[4:5], v[8:9]
	v_pk_fma_f32 v[8:9], v[14:15], v[114:115], v[6:7] neg_lo:[0,0,1] neg_hi:[0,0,1]
	v_pk_fma_f32 v[6:7], v[14:15], v[114:115], v[6:7] op_sel_hi:[1,0,1]
	s_nop 0
	v_mov_b32_e32 v9, v7
	s_waitcnt vmcnt(0) lgkmcnt(0)
	v_pk_mul_f32 v[6:7], v[16:17], v[122:123] op_sel:[1,1] op_sel_hi:[0,1]
	v_pk_add_f32 v[4:5], v[4:5], v[8:9]
	v_pk_fma_f32 v[8:9], v[16:17], v[122:123], v[6:7] neg_lo:[0,0,1] neg_hi:[0,0,1]
	v_pk_fma_f32 v[6:7], v[16:17], v[122:123], v[6:7] op_sel_hi:[1,0,1]
	s_nop 0
	v_mov_b32_e32 v9, v7
	scratch_load_dwordx2 v[6:7], off, off offset:48
	v_pk_add_f32 v[4:5], v[4:5], v[8:9]
	s_waitcnt vmcnt(0)
	v_pk_add_f32 v[4:5], v[6:7], v[4:5] neg_lo:[0,1] neg_hi:[0,1]
	scratch_store_dwordx2 off, v[4:5], off offset:48
	s_and_saveexec_b64 s[0:1], vcc
	s_cbranch_execz .LBB25_159
; %bb.158:
	scratch_load_dwordx2 v[4:5], off, off offset:40
	v_mov_b32_e32 v3, v2
	scratch_store_dwordx2 off, v[2:3], off offset:40
	s_waitcnt vmcnt(1)
	ds_write_b64 v1, v[4:5]
.LBB25_159:
	s_or_b64 exec, exec, s[0:1]
	s_waitcnt lgkmcnt(0)
	; wave barrier
	ds_read_b128 v[4:7], v2 offset:256
	ds_read_b128 v[8:11], v2 offset:272
	ds_read_b128 v[12:15], v2 offset:288
	ds_read_b128 v[16:19], v2 offset:304
	scratch_load_dwordx4 v[20:23], off, off offset:48
	scratch_load_dwordx4 v[40:43], off, off offset:112
	v_cmp_lt_u32_e32 vcc, 4, v0
	scratch_load_dwordx4 v[100:103], off, off offset:128
	s_waitcnt vmcnt(2) lgkmcnt(3)
	v_mul_f32_e32 v3, v4, v21
	v_fmac_f32_e32 v3, v5, v20
	v_mul_f32_e32 v24, v6, v23
	v_add_f32_e32 v3, 0, v3
	v_fmac_f32_e32 v24, v7, v22
	v_add_f32_e32 v3, v3, v24
	scratch_load_dwordx4 v[24:27], off, off offset:64
	s_waitcnt vmcnt(0) lgkmcnt(2)
	v_mul_f32_e32 v28, v8, v25
	v_fmac_f32_e32 v28, v9, v24
	v_add_f32_e32 v3, v3, v28
	v_mul_f32_e32 v28, v10, v27
	v_fmac_f32_e32 v28, v11, v26
	v_add_f32_e32 v3, v3, v28
	scratch_load_dwordx4 v[28:31], off, off offset:80
	s_waitcnt vmcnt(0) lgkmcnt(1)
	v_mul_f32_e32 v32, v12, v29
	v_fmac_f32_e32 v32, v13, v28
	v_add_f32_e32 v3, v3, v32
	v_mul_f32_e32 v32, v14, v31
	;; [unrolled: 8-line block ×3, first 2 shown]
	v_fmac_f32_e32 v36, v19, v34
	v_add_f32_e32 v3, v3, v36
	ds_read_b128 v[36:39], v2 offset:320
	s_waitcnt lgkmcnt(0)
	v_mul_f32_e32 v44, v36, v41
	v_fmac_f32_e32 v44, v37, v40
	v_add_f32_e32 v3, v3, v44
	v_mul_f32_e32 v44, v38, v43
	v_fmac_f32_e32 v44, v39, v42
	v_add_f32_e32 v121, v3, v44
	ds_read_b128 v[44:47], v2 offset:336
	scratch_load_dwordx4 v[104:107], off, off offset:144
	scratch_load_dwordx4 v[108:111], off, off offset:160
	;; [unrolled: 1-line block ×4, first 2 shown]
	v_mul_f32_e32 v3, v5, v21
	v_fma_f32 v3, v4, v20, -v3
	v_mul_f32_e32 v4, v7, v23
	v_add_f32_e32 v3, 0, v3
	v_fma_f32 v4, v6, v22, -v4
	v_add_f32_e32 v3, v3, v4
	v_mul_f32_e32 v4, v9, v25
	v_fma_f32 v4, v8, v24, -v4
	v_add_f32_e32 v3, v3, v4
	v_mul_f32_e32 v4, v11, v27
	;; [unrolled: 3-line block ×8, first 2 shown]
	v_fma_f32 v4, v38, v42, -v4
	v_add_f32_e32 v120, v3, v4
	ds_read_b128 v[4:7], v2 offset:352
	ds_read_b128 v[8:11], v2 offset:368
	;; [unrolled: 1-line block ×4, first 2 shown]
	s_waitcnt lgkmcnt(4)
	v_mul_f32_e32 v123, v44, v101
	v_mul_f32_e32 v3, v45, v101
	v_fmac_f32_e32 v123, v45, v100
	v_mul_f32_e32 v125, v46, v103
	v_fma_f32 v122, v44, v100, -v3
	v_mul_f32_e32 v3, v47, v103
	v_fmac_f32_e32 v125, v47, v102
	v_fma_f32 v124, v46, v102, -v3
	v_pk_add_f32 v[2:3], v[120:121], v[122:123]
	s_waitcnt vmcnt(3) lgkmcnt(3)
	v_pk_mul_f32 v[20:21], v[4:5], v[104:105] op_sel:[1,1] op_sel_hi:[0,1]
	v_pk_fma_f32 v[22:23], v[4:5], v[104:105], v[20:21] neg_lo:[0,0,1] neg_hi:[0,0,1]
	v_pk_fma_f32 v[4:5], v[4:5], v[104:105], v[20:21] op_sel_hi:[1,0,1]
	v_pk_add_f32 v[2:3], v[2:3], v[124:125]
	v_mov_b32_e32 v4, v107
	v_mov_b32_e32 v23, v5
	v_pk_mul_f32 v[4:5], v[6:7], v[4:5] op_sel:[1,0] op_sel_hi:[0,0]
	v_pk_fma_f32 v[20:21], v[6:7], v[106:107], v[4:5] neg_lo:[0,0,1] neg_hi:[0,0,1]
	v_pk_fma_f32 v[4:5], v[6:7], v[106:107], v[4:5] op_sel_hi:[1,0,1]
	v_pk_add_f32 v[2:3], v[2:3], v[22:23]
	v_mov_b32_e32 v21, v5
	s_waitcnt vmcnt(2) lgkmcnt(2)
	v_pk_mul_f32 v[4:5], v[8:9], v[108:109] op_sel:[1,1] op_sel_hi:[0,1]
	v_pk_fma_f32 v[6:7], v[8:9], v[108:109], v[4:5] neg_lo:[0,0,1] neg_hi:[0,0,1]
	v_pk_fma_f32 v[4:5], v[8:9], v[108:109], v[4:5] op_sel_hi:[1,0,1]
	v_pk_add_f32 v[2:3], v[2:3], v[20:21]
	v_mov_b32_e32 v4, v111
	v_mov_b32_e32 v7, v5
	v_pk_mul_f32 v[4:5], v[10:11], v[4:5] op_sel:[1,0] op_sel_hi:[0,0]
	v_pk_add_f32 v[2:3], v[2:3], v[6:7]
	v_pk_fma_f32 v[6:7], v[10:11], v[110:111], v[4:5] neg_lo:[0,0,1] neg_hi:[0,0,1]
	v_pk_fma_f32 v[4:5], v[10:11], v[110:111], v[4:5] op_sel_hi:[1,0,1]
	s_nop 0
	v_mov_b32_e32 v7, v5
	s_waitcnt vmcnt(1) lgkmcnt(1)
	v_pk_mul_f32 v[4:5], v[12:13], v[112:113] op_sel:[1,1] op_sel_hi:[0,1]
	v_pk_add_f32 v[2:3], v[2:3], v[6:7]
	v_pk_fma_f32 v[6:7], v[12:13], v[112:113], v[4:5] neg_lo:[0,0,1] neg_hi:[0,0,1]
	v_pk_fma_f32 v[4:5], v[12:13], v[112:113], v[4:5] op_sel_hi:[1,0,1]
	s_nop 0
	v_mov_b32_e32 v4, v115
	v_mov_b32_e32 v7, v5
	v_pk_mul_f32 v[4:5], v[14:15], v[4:5] op_sel:[1,0] op_sel_hi:[0,0]
	v_pk_add_f32 v[2:3], v[2:3], v[6:7]
	v_pk_fma_f32 v[6:7], v[14:15], v[114:115], v[4:5] neg_lo:[0,0,1] neg_hi:[0,0,1]
	v_pk_fma_f32 v[4:5], v[14:15], v[114:115], v[4:5] op_sel_hi:[1,0,1]
	s_nop 0
	v_mov_b32_e32 v7, v5
	s_waitcnt vmcnt(0) lgkmcnt(0)
	v_pk_mul_f32 v[4:5], v[16:17], v[116:117] op_sel:[1,1] op_sel_hi:[0,1]
	v_pk_add_f32 v[2:3], v[2:3], v[6:7]
	v_pk_fma_f32 v[6:7], v[16:17], v[116:117], v[4:5] neg_lo:[0,0,1] neg_hi:[0,0,1]
	v_pk_fma_f32 v[4:5], v[16:17], v[116:117], v[4:5] op_sel_hi:[1,0,1]
	s_nop 0
	v_mov_b32_e32 v4, v119
	v_mov_b32_e32 v7, v5
	v_pk_mul_f32 v[4:5], v[18:19], v[4:5] op_sel:[1,0] op_sel_hi:[0,0]
	v_pk_add_f32 v[2:3], v[2:3], v[6:7]
	v_pk_fma_f32 v[6:7], v[18:19], v[118:119], v[4:5] neg_lo:[0,0,1] neg_hi:[0,0,1]
	v_pk_fma_f32 v[4:5], v[18:19], v[118:119], v[4:5] op_sel_hi:[1,0,1]
	s_nop 0
	v_mov_b32_e32 v7, v5
	scratch_load_dwordx2 v[4:5], off, off offset:40
	v_pk_add_f32 v[2:3], v[2:3], v[6:7]
	s_waitcnt vmcnt(0)
	v_pk_add_f32 v[2:3], v[4:5], v[2:3] neg_lo:[0,1] neg_hi:[0,1]
	scratch_store_dwordx2 off, v[2:3], off offset:40
	s_and_saveexec_b64 s[0:1], vcc
	s_cbranch_execz .LBB25_161
; %bb.160:
	scratch_load_dwordx2 v[2:3], off, off offset:32
	v_mov_b32_e32 v4, 0
	v_mov_b32_e32 v5, v4
	scratch_store_dwordx2 off, v[4:5], off offset:32
	s_waitcnt vmcnt(1)
	ds_write_b64 v1, v[2:3]
.LBB25_161:
	s_or_b64 exec, exec, s[0:1]
	s_waitcnt lgkmcnt(0)
	; wave barrier
	scratch_load_dwordx4 v[2:5], off, off offset:40
	scratch_load_dwordx4 v[8:11], off, off offset:56
	;; [unrolled: 1-line block ×10, first 2 shown]
	scratch_load_dwordx2 v[128:129], off, off offset:200
	scratch_load_dwordx2 v[130:131], off, off offset:32
	v_mov_b32_e32 v6, 0
	ds_read2_b64 v[44:47], v6 offset0:31 offset1:32
	ds_read2_b64 v[100:103], v6 offset0:33 offset1:34
	;; [unrolled: 1-line block ×8, first 2 shown]
	v_cmp_lt_u32_e32 vcc, 3, v0
	s_waitcnt vmcnt(11) lgkmcnt(7)
	v_mul_f32_e32 v7, v44, v3
	v_mul_f32_e32 v3, v45, v3
	;; [unrolled: 1-line block ×4, first 2 shown]
	v_fmac_f32_e32 v7, v45, v2
	v_fma_f32 v2, v44, v2, -v3
	s_waitcnt vmcnt(10) lgkmcnt(6)
	v_mul_f32_e32 v134, v100, v9
	v_mul_f32_e32 v9, v101, v9
	v_fma_f32 v3, v46, v4, -v5
	v_add_f32_e32 v2, 0, v2
	v_mul_f32_e32 v136, v102, v11
	v_mul_f32_e32 v11, v103, v11
	v_fmac_f32_e32 v132, v47, v4
	v_fma_f32 v4, v100, v8, -v9
	v_add_f32_e32 v7, 0, v7
	v_add_f32_e32 v2, v2, v3
	s_waitcnt vmcnt(9) lgkmcnt(5)
	v_mul_f32_e32 v137, v104, v13
	v_mul_f32_e32 v13, v105, v13
	v_fmac_f32_e32 v134, v101, v8
	v_fma_f32 v5, v102, v10, -v11
	v_add_f32_e32 v7, v7, v132
	v_add_f32_e32 v2, v2, v4
	v_mul_f32_e32 v138, v106, v15
	v_mul_f32_e32 v15, v107, v15
	v_fmac_f32_e32 v136, v103, v10
	v_fma_f32 v8, v104, v12, -v13
	v_add_f32_e32 v3, v7, v134
	v_add_f32_e32 v2, v2, v5
	s_waitcnt vmcnt(8) lgkmcnt(4)
	v_mul_f32_e32 v139, v108, v17
	v_mul_f32_e32 v17, v109, v17
	v_fmac_f32_e32 v137, v105, v12
	v_fma_f32 v9, v106, v14, -v15
	v_add_f32_e32 v3, v3, v136
	;; [unrolled: 13-line block ×4, first 2 shown]
	v_add_f32_e32 v2, v2, v12
	v_fmac_f32_e32 v142, v115, v22
	v_fma_f32 v14, v116, v24, -v25
	v_add_f32_e32 v3, v3, v141
	v_add_f32_e32 v2, v2, v13
	v_mul_f32_e32 v133, v118, v27
	v_fmac_f32_e32 v143, v117, v24
	v_add_f32_e32 v3, v3, v142
	v_add_f32_e32 v12, v2, v14
	v_mul_f32_e32 v2, v119, v27
	s_waitcnt vmcnt(5)
	v_mov_b32_e32 v16, v31
	s_waitcnt lgkmcnt(1)
	v_mul_f32_e32 v135, v120, v29
	v_fmac_f32_e32 v133, v119, v26
	v_add_f32_e32 v13, v3, v143
	v_fma_f32 v132, v118, v26, -v2
	v_mul_f32_e32 v2, v121, v29
	v_pk_mul_f32 v[16:17], v[122:123], v[16:17] op_sel:[1,0] op_sel_hi:[0,0]
	v_fmac_f32_e32 v135, v121, v28
	v_fma_f32 v134, v120, v28, -v2
	v_pk_add_f32 v[12:13], v[12:13], v[132:133]
	v_pk_fma_f32 v[18:19], v[122:123], v[30:31], v[16:17] neg_lo:[0,0,1] neg_hi:[0,0,1]
	v_pk_fma_f32 v[16:17], v[122:123], v[30:31], v[16:17] op_sel_hi:[1,0,1]
	v_pk_add_f32 v[12:13], v[12:13], v[134:135]
	v_mov_b32_e32 v19, v17
	s_waitcnt vmcnt(4) lgkmcnt(0)
	v_pk_mul_f32 v[16:17], v[124:125], v[32:33] op_sel:[1,1] op_sel_hi:[0,1]
	v_pk_add_f32 v[12:13], v[12:13], v[18:19]
	v_pk_fma_f32 v[18:19], v[124:125], v[32:33], v[16:17] neg_lo:[0,0,1] neg_hi:[0,0,1]
	v_pk_fma_f32 v[16:17], v[124:125], v[32:33], v[16:17] op_sel_hi:[1,0,1]
	ds_read2_b64 v[2:5], v6 offset0:47 offset1:48
	ds_read2_b64 v[8:11], v6 offset0:49 offset1:50
	ds_read_b64 v[14:15], v6 offset:408
	v_mov_b32_e32 v16, v35
	v_mov_b32_e32 v19, v17
	v_pk_mul_f32 v[16:17], v[126:127], v[16:17] op_sel:[1,0] op_sel_hi:[0,0]
	v_pk_add_f32 v[12:13], v[12:13], v[18:19]
	v_pk_fma_f32 v[18:19], v[126:127], v[34:35], v[16:17] neg_lo:[0,0,1] neg_hi:[0,0,1]
	v_pk_fma_f32 v[16:17], v[126:127], v[34:35], v[16:17] op_sel_hi:[1,0,1]
	s_nop 0
	v_mov_b32_e32 v19, v17
	s_waitcnt vmcnt(3) lgkmcnt(2)
	v_pk_mul_f32 v[16:17], v[2:3], v[36:37] op_sel:[1,1] op_sel_hi:[0,1]
	v_pk_add_f32 v[12:13], v[12:13], v[18:19]
	v_pk_fma_f32 v[18:19], v[2:3], v[36:37], v[16:17] neg_lo:[0,0,1] neg_hi:[0,0,1]
	v_pk_fma_f32 v[2:3], v[2:3], v[36:37], v[16:17] op_sel_hi:[1,0,1]
	s_nop 0
	v_mov_b32_e32 v19, v3
	v_pk_add_f32 v[2:3], v[12:13], v[18:19]
	v_mov_b32_e32 v12, v39
	v_pk_mul_f32 v[12:13], v[4:5], v[12:13] op_sel:[1,0] op_sel_hi:[0,0]
	v_pk_fma_f32 v[16:17], v[4:5], v[38:39], v[12:13] neg_lo:[0,0,1] neg_hi:[0,0,1]
	v_pk_fma_f32 v[4:5], v[4:5], v[38:39], v[12:13] op_sel_hi:[1,0,1]
	s_nop 0
	v_mov_b32_e32 v17, v5
	s_waitcnt vmcnt(2) lgkmcnt(1)
	v_pk_mul_f32 v[4:5], v[8:9], v[40:41] op_sel:[1,1] op_sel_hi:[0,1]
	v_pk_fma_f32 v[12:13], v[8:9], v[40:41], v[4:5] neg_lo:[0,0,1] neg_hi:[0,0,1]
	v_pk_fma_f32 v[4:5], v[8:9], v[40:41], v[4:5] op_sel_hi:[1,0,1]
	v_pk_add_f32 v[2:3], v[2:3], v[16:17]
	v_mov_b32_e32 v4, v43
	v_mov_b32_e32 v13, v5
	v_pk_mul_f32 v[4:5], v[10:11], v[4:5] op_sel:[1,0] op_sel_hi:[0,0]
	v_pk_fma_f32 v[8:9], v[10:11], v[42:43], v[4:5] neg_lo:[0,0,1] neg_hi:[0,0,1]
	v_pk_fma_f32 v[4:5], v[10:11], v[42:43], v[4:5] op_sel_hi:[1,0,1]
	v_pk_add_f32 v[2:3], v[2:3], v[12:13]
	v_mov_b32_e32 v9, v5
	s_waitcnt vmcnt(1) lgkmcnt(0)
	v_pk_mul_f32 v[4:5], v[14:15], v[128:129] op_sel:[1,1] op_sel_hi:[0,1]
	v_pk_add_f32 v[2:3], v[2:3], v[8:9]
	v_pk_fma_f32 v[8:9], v[14:15], v[128:129], v[4:5] neg_lo:[0,0,1] neg_hi:[0,0,1]
	v_pk_fma_f32 v[4:5], v[14:15], v[128:129], v[4:5] op_sel_hi:[1,0,1]
	s_nop 0
	v_mov_b32_e32 v9, v5
	v_pk_add_f32 v[2:3], v[2:3], v[8:9]
	s_waitcnt vmcnt(0)
	v_pk_add_f32 v[2:3], v[130:131], v[2:3] neg_lo:[0,1] neg_hi:[0,1]
	scratch_store_dwordx2 off, v[2:3], off offset:32
	s_and_saveexec_b64 s[0:1], vcc
	s_cbranch_execz .LBB25_163
; %bb.162:
	scratch_load_dwordx2 v[2:3], off, off offset:24
	v_mov_b32_e32 v7, v6
	scratch_store_dwordx2 off, v[6:7], off offset:24
	s_waitcnt vmcnt(1)
	ds_write_b64 v1, v[2:3]
.LBB25_163:
	s_or_b64 exec, exec, s[0:1]
	s_waitcnt lgkmcnt(0)
	; wave barrier
	scratch_load_dwordx4 v[8:11], off, off offset:32
	scratch_load_dwordx4 v[12:15], off, off offset:48
	;; [unrolled: 1-line block ×7, first 2 shown]
	ds_read_b128 v[36:39], v6 offset:240
	ds_read_b128 v[40:43], v6 offset:256
	;; [unrolled: 1-line block ×6, first 2 shown]
	scratch_load_dwordx4 v[112:115], off, off offset:144
	scratch_load_dwordx4 v[116:119], off, off offset:160
	;; [unrolled: 1-line block ×4, first 2 shown]
	ds_read_b128 v[124:127], v6 offset:336
	ds_read_b128 v[128:131], v6 offset:352
	scratch_load_dwordx2 v[132:133], off, off offset:24
	v_cmp_lt_u32_e32 vcc, 2, v0
	s_waitcnt vmcnt(11) lgkmcnt(7)
	v_mul_f32_e32 v7, v36, v9
	v_mul_f32_e32 v134, v38, v11
	v_mul_f32_e32 v9, v37, v9
	v_fmac_f32_e32 v7, v37, v8
	s_waitcnt vmcnt(10) lgkmcnt(6)
	v_mul_f32_e32 v136, v40, v13
	v_mul_f32_e32 v11, v39, v11
	v_fmac_f32_e32 v134, v39, v10
	v_fma_f32 v8, v36, v8, -v9
	v_add_f32_e32 v7, 0, v7
	v_mul_f32_e32 v138, v42, v15
	v_mul_f32_e32 v13, v41, v13
	v_fmac_f32_e32 v136, v41, v12
	v_fma_f32 v9, v38, v10, -v11
	v_add_f32_e32 v8, 0, v8
	v_add_f32_e32 v7, v7, v134
	s_waitcnt vmcnt(9) lgkmcnt(5)
	v_mul_f32_e32 v139, v44, v17
	v_mul_f32_e32 v15, v43, v15
	v_fmac_f32_e32 v138, v43, v14
	v_fma_f32 v10, v40, v12, -v13
	v_add_f32_e32 v8, v8, v9
	v_add_f32_e32 v7, v7, v136
	v_mul_f32_e32 v140, v46, v19
	v_mul_f32_e32 v17, v45, v17
	v_fmac_f32_e32 v139, v45, v16
	v_fma_f32 v11, v42, v14, -v15
	v_add_f32_e32 v8, v8, v10
	v_add_f32_e32 v7, v7, v138
	s_waitcnt vmcnt(8) lgkmcnt(4)
	v_mul_f32_e32 v141, v100, v21
	v_mul_f32_e32 v19, v47, v19
	v_fmac_f32_e32 v140, v47, v18
	v_fma_f32 v12, v44, v16, -v17
	v_add_f32_e32 v8, v8, v11
	;; [unrolled: 13-line block ×4, first 2 shown]
	v_add_f32_e32 v7, v7, v143
	v_mul_f32_e32 v146, v110, v31
	v_mul_f32_e32 v29, v109, v29
	v_fmac_f32_e32 v145, v109, v28
	v_fma_f32 v17, v106, v26, -v27
	v_add_f32_e32 v8, v8, v16
	v_add_f32_e32 v7, v7, v144
	v_fmac_f32_e32 v146, v111, v30
	v_fma_f32 v18, v108, v28, -v29
	v_add_f32_e32 v8, v8, v17
	v_add_f32_e32 v7, v7, v145
	;; [unrolled: 1-line block ×4, first 2 shown]
	v_mul_f32_e32 v8, v111, v31
	v_fma_f32 v8, v110, v30, -v8
	s_waitcnt vmcnt(5) lgkmcnt(1)
	v_mul_f32_e32 v135, v124, v33
	v_add_f32_e32 v20, v7, v8
	v_mul_f32_e32 v7, v125, v33
	v_fmac_f32_e32 v135, v125, v32
	v_fma_f32 v134, v124, v32, -v7
	v_mul_f32_e32 v7, v127, v35
	v_fma_f32 v136, v126, v34, -v7
	ds_read_b128 v[8:11], v6 offset:368
	ds_read_b128 v[12:15], v6 offset:384
	;; [unrolled: 1-line block ×3, first 2 shown]
	v_pk_add_f32 v[6:7], v[20:21], v[134:135]
	s_waitcnt vmcnt(4) lgkmcnt(3)
	v_pk_mul_f32 v[20:21], v[128:129], v[112:113] op_sel:[1,1] op_sel_hi:[0,1]
	v_mul_f32_e32 v137, v126, v35
	v_pk_fma_f32 v[22:23], v[128:129], v[112:113], v[20:21] neg_lo:[0,0,1] neg_hi:[0,0,1]
	v_pk_fma_f32 v[20:21], v[128:129], v[112:113], v[20:21] op_sel_hi:[1,0,1]
	v_fmac_f32_e32 v137, v127, v34
	v_mov_b32_e32 v20, v115
	v_pk_add_f32 v[6:7], v[6:7], v[136:137]
	v_mov_b32_e32 v23, v21
	v_pk_mul_f32 v[20:21], v[130:131], v[20:21] op_sel:[1,0] op_sel_hi:[0,0]
	v_pk_add_f32 v[6:7], v[6:7], v[22:23]
	v_pk_fma_f32 v[22:23], v[130:131], v[114:115], v[20:21] neg_lo:[0,0,1] neg_hi:[0,0,1]
	v_pk_fma_f32 v[20:21], v[130:131], v[114:115], v[20:21] op_sel_hi:[1,0,1]
	s_nop 0
	v_mov_b32_e32 v23, v21
	s_waitcnt vmcnt(3) lgkmcnt(2)
	v_pk_mul_f32 v[20:21], v[8:9], v[116:117] op_sel:[1,1] op_sel_hi:[0,1]
	v_pk_add_f32 v[6:7], v[6:7], v[22:23]
	v_pk_fma_f32 v[22:23], v[8:9], v[116:117], v[20:21] neg_lo:[0,0,1] neg_hi:[0,0,1]
	v_pk_fma_f32 v[8:9], v[8:9], v[116:117], v[20:21] op_sel_hi:[1,0,1]
	s_nop 0
	v_mov_b32_e32 v8, v119
	v_mov_b32_e32 v23, v9
	v_pk_mul_f32 v[8:9], v[10:11], v[8:9] op_sel:[1,0] op_sel_hi:[0,0]
	v_pk_fma_f32 v[20:21], v[10:11], v[118:119], v[8:9] neg_lo:[0,0,1] neg_hi:[0,0,1]
	v_pk_fma_f32 v[8:9], v[10:11], v[118:119], v[8:9] op_sel_hi:[1,0,1]
	v_pk_add_f32 v[6:7], v[6:7], v[22:23]
	v_mov_b32_e32 v21, v9
	s_waitcnt vmcnt(2) lgkmcnt(1)
	v_pk_mul_f32 v[8:9], v[12:13], v[120:121] op_sel:[1,1] op_sel_hi:[0,1]
	v_pk_fma_f32 v[10:11], v[12:13], v[120:121], v[8:9] neg_lo:[0,0,1] neg_hi:[0,0,1]
	v_pk_fma_f32 v[8:9], v[12:13], v[120:121], v[8:9] op_sel_hi:[1,0,1]
	v_pk_add_f32 v[6:7], v[6:7], v[20:21]
	v_mov_b32_e32 v8, v123
	v_mov_b32_e32 v11, v9
	v_pk_mul_f32 v[8:9], v[14:15], v[8:9] op_sel:[1,0] op_sel_hi:[0,0]
	v_pk_add_f32 v[6:7], v[6:7], v[10:11]
	v_pk_fma_f32 v[10:11], v[14:15], v[122:123], v[8:9] neg_lo:[0,0,1] neg_hi:[0,0,1]
	v_pk_fma_f32 v[8:9], v[14:15], v[122:123], v[8:9] op_sel_hi:[1,0,1]
	s_nop 0
	v_mov_b32_e32 v11, v9
	s_waitcnt vmcnt(1) lgkmcnt(0)
	v_pk_mul_f32 v[8:9], v[16:17], v[2:3] op_sel:[1,1] op_sel_hi:[0,1]
	v_pk_add_f32 v[6:7], v[6:7], v[10:11]
	v_pk_fma_f32 v[10:11], v[16:17], v[2:3], v[8:9] neg_lo:[0,0,1] neg_hi:[0,0,1]
	v_pk_fma_f32 v[2:3], v[16:17], v[2:3], v[8:9] op_sel_hi:[1,0,1]
	s_nop 0
	v_mov_b32_e32 v11, v3
	v_pk_add_f32 v[2:3], v[6:7], v[10:11]
	v_mov_b32_e32 v6, v5
	v_pk_mul_f32 v[6:7], v[18:19], v[6:7] op_sel:[1,0] op_sel_hi:[0,0]
	v_pk_fma_f32 v[8:9], v[18:19], v[4:5], v[6:7] neg_lo:[0,0,1] neg_hi:[0,0,1]
	v_pk_fma_f32 v[4:5], v[18:19], v[4:5], v[6:7] op_sel_hi:[1,0,1]
	s_nop 0
	v_mov_b32_e32 v9, v5
	v_pk_add_f32 v[2:3], v[2:3], v[8:9]
	s_waitcnt vmcnt(0)
	v_pk_add_f32 v[2:3], v[132:133], v[2:3] neg_lo:[0,1] neg_hi:[0,1]
	scratch_store_dwordx2 off, v[2:3], off offset:24
	s_and_saveexec_b64 s[0:1], vcc
	s_cbranch_execz .LBB25_165
; %bb.164:
	scratch_load_dwordx2 v[2:3], off, off offset:16
	v_mov_b32_e32 v4, 0
	v_mov_b32_e32 v5, v4
	scratch_store_dwordx2 off, v[4:5], off offset:16
	s_waitcnt vmcnt(1)
	ds_write_b64 v1, v[2:3]
.LBB25_165:
	s_or_b64 exec, exec, s[0:1]
	s_waitcnt lgkmcnt(0)
	; wave barrier
	scratch_load_dwordx4 v[2:5], off, off offset:24
	scratch_load_dwordx4 v[14:17], off, off offset:40
	;; [unrolled: 1-line block ×11, first 2 shown]
	scratch_load_dwordx2 v[22:23], off, off offset:200
	scratch_load_dwordx2 v[36:37], off, off offset:16
	v_mov_b32_e32 v38, 0
	ds_read2_b64 v[104:107], v38 offset0:29 offset1:30
	ds_read2_b64 v[108:111], v38 offset0:31 offset1:32
	;; [unrolled: 1-line block ×8, first 2 shown]
	v_cmp_lt_u32_e32 vcc, 1, v0
	s_waitcnt vmcnt(12) lgkmcnt(7)
	v_mul_f32_e32 v39, v104, v3
	v_mul_f32_e32 v136, v106, v5
	;; [unrolled: 1-line block ×3, first 2 shown]
	v_fmac_f32_e32 v39, v105, v2
	s_waitcnt vmcnt(8) lgkmcnt(3)
	v_mul_f32_e32 v145, v120, v19
	v_mul_f32_e32 v19, v121, v19
	;; [unrolled: 1-line block ×4, first 2 shown]
	v_fmac_f32_e32 v136, v107, v4
	v_fmac_f32_e32 v145, v121, v18
	v_fma_f32 v2, v104, v2, -v3
	v_fma_f32 v18, v120, v18, -v19
	v_add_f32_e32 v19, 0, v39
	v_mul_f32_e32 v140, v110, v17
	v_fmac_f32_e32 v138, v109, v14
	v_fma_f32 v3, v106, v4, -v5
	v_add_f32_e32 v2, 0, v2
	v_add_f32_e32 v19, v19, v136
	v_mul_f32_e32 v141, v112, v25
	v_fmac_f32_e32 v140, v111, v16
	v_add_f32_e32 v2, v2, v3
	v_add_f32_e32 v3, v19, v138
	v_mul_f32_e32 v142, v114, v27
	v_fmac_f32_e32 v141, v113, v24
	v_add_f32_e32 v3, v3, v140
	v_mul_f32_e32 v143, v116, v29
	v_mul_f32_e32 v15, v109, v15
	v_fmac_f32_e32 v142, v115, v26
	v_add_f32_e32 v3, v3, v141
	v_mul_f32_e32 v144, v118, v31
	v_mul_f32_e32 v17, v111, v17
	v_fmac_f32_e32 v143, v117, v28
	v_fma_f32 v4, v108, v14, -v15
	v_add_f32_e32 v3, v3, v142
	v_mul_f32_e32 v25, v113, v25
	v_fmac_f32_e32 v144, v119, v30
	v_fma_f32 v5, v110, v16, -v17
	v_add_f32_e32 v2, v2, v4
	v_add_f32_e32 v3, v3, v143
	v_mul_f32_e32 v146, v122, v21
	v_mul_f32_e32 v27, v115, v27
	v_fma_f32 v14, v112, v24, -v25
	v_add_f32_e32 v2, v2, v5
	v_add_f32_e32 v3, v3, v144
	s_waitcnt vmcnt(7) lgkmcnt(2)
	v_mul_f32_e32 v147, v124, v33
	v_mul_f32_e32 v29, v117, v29
	v_fmac_f32_e32 v146, v123, v20
	v_fma_f32 v15, v114, v26, -v27
	v_add_f32_e32 v2, v2, v14
	v_add_f32_e32 v3, v3, v145
	v_mul_f32_e32 v148, v126, v35
	v_mul_f32_e32 v31, v119, v31
	v_fmac_f32_e32 v147, v125, v32
	v_fma_f32 v16, v116, v28, -v29
	v_add_f32_e32 v2, v2, v15
	v_add_f32_e32 v3, v3, v146
	s_waitcnt vmcnt(6) lgkmcnt(1)
	v_mul_f32_e32 v149, v128, v41
	v_fmac_f32_e32 v148, v127, v34
	v_fma_f32 v17, v118, v30, -v31
	v_add_f32_e32 v2, v2, v16
	v_add_f32_e32 v3, v3, v147
	v_mul_f32_e32 v21, v123, v21
	v_fmac_f32_e32 v149, v129, v40
	v_add_f32_e32 v2, v2, v17
	v_add_f32_e32 v3, v3, v148
	;; [unrolled: 1-line block ×4, first 2 shown]
	v_fma_f32 v3, v122, v20, -v21
	v_add_f32_e32 v2, v2, v3
	v_mul_f32_e32 v3, v125, v33
	v_fma_f32 v3, v124, v32, -v3
	v_add_f32_e32 v2, v2, v3
	v_mul_f32_e32 v3, v127, v35
	;; [unrolled: 3-line block ×4, first 2 shown]
	v_mul_f32_e32 v137, v130, v43
	v_fma_f32 v136, v130, v42, -v2
	s_waitcnt vmcnt(5) lgkmcnt(0)
	v_mul_f32_e32 v2, v133, v45
	v_mov_b32_e32 v28, v47
	v_mul_f32_e32 v139, v132, v45
	v_fmac_f32_e32 v137, v131, v42
	v_fma_f32 v138, v132, v44, -v2
	ds_read2_b64 v[2:5], v38 offset0:45 offset1:46
	ds_read2_b64 v[14:17], v38 offset0:47 offset1:48
	;; [unrolled: 1-line block ×3, first 2 shown]
	ds_read_b64 v[26:27], v38 offset:408
	v_pk_mul_f32 v[28:29], v[134:135], v[28:29] op_sel:[1,0] op_sel_hi:[0,0]
	v_fmac_f32_e32 v139, v133, v44
	v_pk_add_f32 v[24:25], v[24:25], v[136:137]
	v_pk_fma_f32 v[30:31], v[134:135], v[46:47], v[28:29] neg_lo:[0,0,1] neg_hi:[0,0,1]
	v_pk_fma_f32 v[28:29], v[134:135], v[46:47], v[28:29] op_sel_hi:[1,0,1]
	v_pk_add_f32 v[24:25], v[24:25], v[138:139]
	v_mov_b32_e32 v31, v29
	s_waitcnt vmcnt(4) lgkmcnt(3)
	v_pk_mul_f32 v[28:29], v[2:3], v[100:101] op_sel:[1,1] op_sel_hi:[0,1]
	v_pk_add_f32 v[24:25], v[24:25], v[30:31]
	v_pk_fma_f32 v[30:31], v[2:3], v[100:101], v[28:29] neg_lo:[0,0,1] neg_hi:[0,0,1]
	v_pk_fma_f32 v[2:3], v[2:3], v[100:101], v[28:29] op_sel_hi:[1,0,1]
	s_nop 0
	v_mov_b32_e32 v31, v3
	v_pk_add_f32 v[2:3], v[24:25], v[30:31]
	v_mov_b32_e32 v24, v103
	v_pk_mul_f32 v[24:25], v[4:5], v[24:25] op_sel:[1,0] op_sel_hi:[0,0]
	v_pk_fma_f32 v[28:29], v[4:5], v[102:103], v[24:25] neg_lo:[0,0,1] neg_hi:[0,0,1]
	v_pk_fma_f32 v[4:5], v[4:5], v[102:103], v[24:25] op_sel_hi:[1,0,1]
	s_nop 0
	v_mov_b32_e32 v29, v5
	s_waitcnt vmcnt(3) lgkmcnt(2)
	v_pk_mul_f32 v[4:5], v[14:15], v[10:11] op_sel:[1,1] op_sel_hi:[0,1]
	v_pk_fma_f32 v[24:25], v[14:15], v[10:11], v[4:5] neg_lo:[0,0,1] neg_hi:[0,0,1]
	v_pk_fma_f32 v[4:5], v[14:15], v[10:11], v[4:5] op_sel_hi:[1,0,1]
	v_pk_add_f32 v[2:3], v[2:3], v[28:29]
	v_mov_b32_e32 v4, v13
	v_mov_b32_e32 v25, v5
	v_pk_mul_f32 v[4:5], v[16:17], v[4:5] op_sel:[1,0] op_sel_hi:[0,0]
	v_pk_fma_f32 v[10:11], v[16:17], v[12:13], v[4:5] neg_lo:[0,0,1] neg_hi:[0,0,1]
	v_pk_fma_f32 v[4:5], v[16:17], v[12:13], v[4:5] op_sel_hi:[1,0,1]
	v_pk_add_f32 v[2:3], v[2:3], v[24:25]
	v_mov_b32_e32 v11, v5
	s_waitcnt vmcnt(2) lgkmcnt(1)
	v_pk_mul_f32 v[4:5], v[18:19], v[6:7] op_sel:[1,1] op_sel_hi:[0,1]
	v_pk_add_f32 v[2:3], v[2:3], v[10:11]
	v_pk_fma_f32 v[10:11], v[18:19], v[6:7], v[4:5] neg_lo:[0,0,1] neg_hi:[0,0,1]
	v_pk_fma_f32 v[4:5], v[18:19], v[6:7], v[4:5] op_sel_hi:[1,0,1]
	s_nop 0
	v_mov_b32_e32 v4, v9
	v_mov_b32_e32 v11, v5
	v_pk_mul_f32 v[4:5], v[20:21], v[4:5] op_sel:[1,0] op_sel_hi:[0,0]
	v_pk_fma_f32 v[6:7], v[20:21], v[8:9], v[4:5] neg_lo:[0,0,1] neg_hi:[0,0,1]
	v_pk_fma_f32 v[4:5], v[20:21], v[8:9], v[4:5] op_sel_hi:[1,0,1]
	v_pk_add_f32 v[2:3], v[2:3], v[10:11]
	v_mov_b32_e32 v7, v5
	s_waitcnt vmcnt(1) lgkmcnt(0)
	v_pk_mul_f32 v[4:5], v[26:27], v[22:23] op_sel:[1,1] op_sel_hi:[0,1]
	v_pk_add_f32 v[2:3], v[2:3], v[6:7]
	v_pk_fma_f32 v[6:7], v[26:27], v[22:23], v[4:5] neg_lo:[0,0,1] neg_hi:[0,0,1]
	v_pk_fma_f32 v[4:5], v[26:27], v[22:23], v[4:5] op_sel_hi:[1,0,1]
	s_nop 0
	v_mov_b32_e32 v7, v5
	v_pk_add_f32 v[2:3], v[2:3], v[6:7]
	s_waitcnt vmcnt(0)
	v_pk_add_f32 v[2:3], v[36:37], v[2:3] neg_lo:[0,1] neg_hi:[0,1]
	scratch_store_dwordx2 off, v[2:3], off offset:16
	s_and_saveexec_b64 s[0:1], vcc
	s_cbranch_execz .LBB25_167
; %bb.166:
	scratch_load_dwordx2 v[2:3], off, off offset:8
	v_mov_b32_e32 v39, v38
	scratch_store_dwordx2 off, v[38:39], off offset:8
	s_waitcnt vmcnt(1)
	ds_write_b64 v1, v[2:3]
.LBB25_167:
	s_or_b64 exec, exec, s[0:1]
	s_waitcnt lgkmcnt(0)
	; wave barrier
	scratch_load_dwordx4 v[6:9], off, off offset:16
	scratch_load_dwordx4 v[18:21], off, off offset:32
	;; [unrolled: 1-line block ×8, first 2 shown]
	ds_read_b128 v[100:103], v38 offset:224
	ds_read_b128 v[104:107], v38 offset:240
	;; [unrolled: 1-line block ×8, first 2 shown]
	scratch_load_dwordx4 v[132:135], off, off offset:144
	scratch_load_dwordx4 v[26:29], off, off offset:160
	;; [unrolled: 1-line block ×4, first 2 shown]
	scratch_load_dwordx2 v[136:137], off, off offset:8
	v_cmp_ne_u32_e32 vcc, 0, v0
	s_waitcnt vmcnt(12) lgkmcnt(7)
	v_mul_f32_e32 v39, v100, v7
	v_mul_f32_e32 v138, v102, v9
	;; [unrolled: 1-line block ×3, first 2 shown]
	v_fmac_f32_e32 v39, v101, v6
	s_waitcnt vmcnt(8) lgkmcnt(3)
	v_mul_f32_e32 v147, v116, v15
	v_mul_f32_e32 v15, v117, v15
	;; [unrolled: 1-line block ×4, first 2 shown]
	v_fmac_f32_e32 v138, v103, v8
	v_fmac_f32_e32 v147, v117, v14
	v_fma_f32 v6, v100, v6, -v7
	v_fma_f32 v14, v116, v14, -v15
	v_add_f32_e32 v15, 0, v39
	v_mul_f32_e32 v142, v106, v21
	v_fmac_f32_e32 v140, v105, v18
	v_fma_f32 v7, v102, v8, -v9
	v_add_f32_e32 v6, 0, v6
	v_add_f32_e32 v15, v15, v138
	v_mul_f32_e32 v143, v108, v35
	v_fmac_f32_e32 v142, v107, v20
	v_add_f32_e32 v6, v6, v7
	v_add_f32_e32 v7, v15, v140
	v_mul_f32_e32 v144, v110, v37
	v_fmac_f32_e32 v143, v109, v34
	v_add_f32_e32 v7, v7, v142
	v_mul_f32_e32 v145, v112, v41
	v_fmac_f32_e32 v144, v111, v36
	;; [unrolled: 3-line block ×4, first 2 shown]
	v_add_f32_e32 v7, v7, v145
	v_mul_f32_e32 v148, v118, v17
	v_mul_f32_e32 v21, v107, v21
	v_fma_f32 v8, v104, v18, -v19
	v_add_f32_e32 v7, v7, v146
	s_waitcnt vmcnt(7) lgkmcnt(2)
	v_mul_f32_e32 v149, v120, v23
	v_mul_f32_e32 v35, v109, v35
	v_fmac_f32_e32 v148, v119, v16
	v_fma_f32 v9, v106, v20, -v21
	v_add_f32_e32 v6, v6, v8
	v_add_f32_e32 v7, v7, v147
	v_mul_f32_e32 v150, v122, v25
	v_mul_f32_e32 v37, v111, v37
	v_fmac_f32_e32 v149, v121, v22
	v_fma_f32 v18, v108, v34, -v35
	v_add_f32_e32 v6, v6, v9
	v_add_f32_e32 v7, v7, v148
	s_waitcnt vmcnt(6) lgkmcnt(1)
	v_mul_f32_e32 v151, v124, v31
	v_mul_f32_e32 v41, v113, v41
	v_fmac_f32_e32 v150, v123, v24
	v_fma_f32 v19, v110, v36, -v37
	v_add_f32_e32 v6, v6, v18
	v_add_f32_e32 v7, v7, v149
	v_mul_f32_e32 v152, v126, v33
	v_mul_f32_e32 v43, v115, v43
	v_fmac_f32_e32 v151, v125, v30
	v_fma_f32 v20, v112, v40, -v41
	v_add_f32_e32 v6, v6, v19
	v_add_f32_e32 v7, v7, v150
	v_fmac_f32_e32 v152, v127, v32
	v_fma_f32 v21, v114, v42, -v43
	v_add_f32_e32 v6, v6, v20
	v_add_f32_e32 v7, v7, v151
	;; [unrolled: 1-line block ×4, first 2 shown]
	v_mul_f32_e32 v7, v119, v17
	v_add_f32_e32 v6, v6, v14
	v_fma_f32 v7, v118, v16, -v7
	v_add_f32_e32 v6, v6, v7
	v_mul_f32_e32 v7, v121, v23
	v_fma_f32 v7, v120, v22, -v7
	v_add_f32_e32 v6, v6, v7
	v_mul_f32_e32 v7, v123, v25
	;; [unrolled: 3-line block ×4, first 2 shown]
	v_fma_f32 v7, v126, v32, -v7
	v_add_f32_e32 v34, v6, v7
	s_waitcnt vmcnt(5) lgkmcnt(0)
	v_mul_f32_e32 v6, v129, v45
	v_fma_f32 v138, v128, v44, -v6
	v_mul_f32_e32 v6, v131, v47
	v_fma_f32 v140, v130, v46, -v6
	ds_read_b128 v[6:9], v38 offset:352
	ds_read_b128 v[14:17], v38 offset:368
	;; [unrolled: 1-line block ×4, first 2 shown]
	v_mul_f32_e32 v139, v128, v45
	v_mul_f32_e32 v141, v130, v47
	v_fmac_f32_e32 v139, v129, v44
	s_waitcnt vmcnt(4) lgkmcnt(3)
	v_pk_mul_f32 v[32:33], v[6:7], v[132:133] op_sel:[1,1] op_sel_hi:[0,1]
	v_fmac_f32_e32 v141, v131, v46
	v_pk_add_f32 v[30:31], v[34:35], v[138:139]
	v_pk_fma_f32 v[34:35], v[6:7], v[132:133], v[32:33] neg_lo:[0,0,1] neg_hi:[0,0,1]
	v_pk_fma_f32 v[6:7], v[6:7], v[132:133], v[32:33] op_sel_hi:[1,0,1]
	v_pk_add_f32 v[30:31], v[30:31], v[140:141]
	v_mov_b32_e32 v35, v7
	v_pk_add_f32 v[6:7], v[30:31], v[34:35]
	v_mov_b32_e32 v30, v135
	v_pk_mul_f32 v[30:31], v[8:9], v[30:31] op_sel:[1,0] op_sel_hi:[0,0]
	v_pk_fma_f32 v[32:33], v[8:9], v[134:135], v[30:31] neg_lo:[0,0,1] neg_hi:[0,0,1]
	v_pk_fma_f32 v[8:9], v[8:9], v[134:135], v[30:31] op_sel_hi:[1,0,1]
	s_nop 0
	v_mov_b32_e32 v33, v9
	s_waitcnt vmcnt(3) lgkmcnt(2)
	v_pk_mul_f32 v[8:9], v[14:15], v[26:27] op_sel:[1,1] op_sel_hi:[0,1]
	v_pk_fma_f32 v[30:31], v[14:15], v[26:27], v[8:9] neg_lo:[0,0,1] neg_hi:[0,0,1]
	v_pk_fma_f32 v[8:9], v[14:15], v[26:27], v[8:9] op_sel_hi:[1,0,1]
	v_pk_add_f32 v[6:7], v[6:7], v[32:33]
	v_mov_b32_e32 v8, v29
	v_mov_b32_e32 v31, v9
	v_pk_mul_f32 v[8:9], v[16:17], v[8:9] op_sel:[1,0] op_sel_hi:[0,0]
	v_pk_fma_f32 v[14:15], v[16:17], v[28:29], v[8:9] neg_lo:[0,0,1] neg_hi:[0,0,1]
	v_pk_fma_f32 v[8:9], v[16:17], v[28:29], v[8:9] op_sel_hi:[1,0,1]
	v_pk_add_f32 v[6:7], v[6:7], v[30:31]
	v_mov_b32_e32 v15, v9
	s_waitcnt vmcnt(2) lgkmcnt(1)
	v_pk_mul_f32 v[8:9], v[18:19], v[10:11] op_sel:[1,1] op_sel_hi:[0,1]
	v_pk_add_f32 v[6:7], v[6:7], v[14:15]
	v_pk_fma_f32 v[14:15], v[18:19], v[10:11], v[8:9] neg_lo:[0,0,1] neg_hi:[0,0,1]
	v_pk_fma_f32 v[8:9], v[18:19], v[10:11], v[8:9] op_sel_hi:[1,0,1]
	s_nop 0
	v_mov_b32_e32 v8, v13
	v_mov_b32_e32 v15, v9
	v_pk_mul_f32 v[8:9], v[20:21], v[8:9] op_sel:[1,0] op_sel_hi:[0,0]
	v_pk_fma_f32 v[10:11], v[20:21], v[12:13], v[8:9] neg_lo:[0,0,1] neg_hi:[0,0,1]
	v_pk_fma_f32 v[8:9], v[20:21], v[12:13], v[8:9] op_sel_hi:[1,0,1]
	v_pk_add_f32 v[6:7], v[6:7], v[14:15]
	v_mov_b32_e32 v11, v9
	s_waitcnt vmcnt(1) lgkmcnt(0)
	v_pk_mul_f32 v[8:9], v[22:23], v[2:3] op_sel:[1,1] op_sel_hi:[0,1]
	v_pk_add_f32 v[6:7], v[6:7], v[10:11]
	v_pk_fma_f32 v[10:11], v[22:23], v[2:3], v[8:9] neg_lo:[0,0,1] neg_hi:[0,0,1]
	v_pk_fma_f32 v[2:3], v[22:23], v[2:3], v[8:9] op_sel_hi:[1,0,1]
	s_nop 0
	v_mov_b32_e32 v11, v3
	v_pk_add_f32 v[2:3], v[6:7], v[10:11]
	v_mov_b32_e32 v6, v5
	v_pk_mul_f32 v[6:7], v[24:25], v[6:7] op_sel:[1,0] op_sel_hi:[0,0]
	v_pk_fma_f32 v[8:9], v[24:25], v[4:5], v[6:7] neg_lo:[0,0,1] neg_hi:[0,0,1]
	v_pk_fma_f32 v[4:5], v[24:25], v[4:5], v[6:7] op_sel_hi:[1,0,1]
	s_nop 0
	v_mov_b32_e32 v9, v5
	v_pk_add_f32 v[2:3], v[2:3], v[8:9]
	s_waitcnt vmcnt(0)
	v_pk_add_f32 v[2:3], v[136:137], v[2:3] neg_lo:[0,1] neg_hi:[0,1]
	scratch_store_dwordx2 off, v[2:3], off offset:8
	s_and_saveexec_b64 s[0:1], vcc
	s_cbranch_execz .LBB25_169
; %bb.168:
	scratch_load_dwordx2 v[2:3], off, off
	v_mov_b32_e32 v4, 0
	v_mov_b32_e32 v5, v4
	scratch_store_dwordx2 off, v[4:5], off
	s_waitcnt vmcnt(1)
	ds_write_b64 v1, v[2:3]
.LBB25_169:
	s_or_b64 exec, exec, s[0:1]
	s_waitcnt lgkmcnt(0)
	; wave barrier
	scratch_load_dwordx4 v[0:3], off, off offset:8
	scratch_load_dwordx4 v[20:23], off, off offset:24
	;; [unrolled: 1-line block ×12, first 2 shown]
	scratch_load_dwordx2 v[100:101], off, off offset:200
	scratch_load_dwordx2 v[144:145], off, off
	v_mov_b32_e32 v102, 0
	ds_read2_b64 v[104:107], v102 offset0:27 offset1:28
	ds_read2_b64 v[108:111], v102 offset0:29 offset1:30
	;; [unrolled: 1-line block ×10, first 2 shown]
	s_and_b64 vcc, exec, s[18:19]
	s_waitcnt vmcnt(13) lgkmcnt(9)
	v_mul_f32_e32 v103, v104, v1
	v_mul_f32_e32 v146, v106, v3
	;; [unrolled: 1-line block ×3, first 2 shown]
	s_waitcnt vmcnt(10) lgkmcnt(6)
	v_mul_f32_e32 v153, v116, v9
	v_mul_f32_e32 v9, v117, v9
	v_fmac_f32_e32 v103, v105, v0
	v_mul_f32_e32 v148, v108, v21
	v_mul_f32_e32 v3, v107, v3
	v_fmac_f32_e32 v146, v107, v2
	v_fmac_f32_e32 v153, v117, v8
	v_fma_f32 v0, v104, v0, -v1
	v_fma_f32 v8, v116, v8, -v9
	v_add_f32_e32 v9, 0, v103
	v_mul_f32_e32 v150, v110, v23
	v_fmac_f32_e32 v148, v109, v20
	v_fma_f32 v1, v106, v2, -v3
	v_add_f32_e32 v0, 0, v0
	v_add_f32_e32 v9, v9, v146
	v_mul_f32_e32 v151, v112, v37
	v_fmac_f32_e32 v150, v111, v22
	v_add_f32_e32 v0, v0, v1
	v_add_f32_e32 v1, v9, v148
	v_mul_f32_e32 v152, v114, v39
	v_fmac_f32_e32 v151, v113, v36
	v_add_f32_e32 v1, v1, v150
	v_fmac_f32_e32 v152, v115, v38
	v_add_f32_e32 v1, v1, v151
	v_mul_f32_e32 v154, v118, v11
	v_add_f32_e32 v1, v1, v152
	s_waitcnt vmcnt(9) lgkmcnt(5)
	v_mul_f32_e32 v155, v120, v13
	v_fmac_f32_e32 v154, v119, v10
	v_add_f32_e32 v1, v1, v153
	v_mul_f32_e32 v156, v122, v15
	v_fmac_f32_e32 v155, v121, v12
	v_add_f32_e32 v1, v1, v154
	s_waitcnt vmcnt(8) lgkmcnt(4)
	v_mul_f32_e32 v157, v124, v25
	v_fmac_f32_e32 v156, v123, v14
	v_add_f32_e32 v1, v1, v155
	v_mul_f32_e32 v158, v126, v27
	v_mul_f32_e32 v21, v109, v21
	v_fmac_f32_e32 v157, v125, v24
	v_add_f32_e32 v1, v1, v156
	s_waitcnt vmcnt(7) lgkmcnt(3)
	v_mul_f32_e32 v159, v128, v29
	v_mul_f32_e32 v23, v111, v23
	v_fmac_f32_e32 v158, v127, v26
	v_fma_f32 v2, v108, v20, -v21
	v_add_f32_e32 v1, v1, v157
	v_mul_f32_e32 v160, v130, v31
	v_mul_f32_e32 v37, v113, v37
	v_fmac_f32_e32 v159, v129, v28
	v_fma_f32 v3, v110, v22, -v23
	v_add_f32_e32 v0, v0, v2
	v_add_f32_e32 v1, v1, v158
	s_waitcnt vmcnt(6) lgkmcnt(2)
	v_mul_f32_e32 v161, v132, v41
	v_mul_f32_e32 v39, v115, v39
	v_fmac_f32_e32 v160, v131, v30
	v_fma_f32 v20, v112, v36, -v37
	v_add_f32_e32 v0, v0, v3
	v_add_f32_e32 v1, v1, v159
	v_fmac_f32_e32 v161, v133, v40
	v_fma_f32 v21, v114, v38, -v39
	v_add_f32_e32 v0, v0, v20
	v_add_f32_e32 v1, v1, v160
	;; [unrolled: 1-line block ×4, first 2 shown]
	v_mul_f32_e32 v1, v119, v11
	v_add_f32_e32 v0, v0, v8
	v_fma_f32 v1, v118, v10, -v1
	v_add_f32_e32 v0, v0, v1
	v_mul_f32_e32 v1, v121, v13
	v_fma_f32 v1, v120, v12, -v1
	v_add_f32_e32 v0, v0, v1
	v_mul_f32_e32 v1, v123, v15
	;; [unrolled: 3-line block ×7, first 2 shown]
	v_fma_f32 v1, v132, v40, -v1
	v_mul_f32_e32 v147, v134, v43
	v_add_f32_e32 v20, v0, v1
	v_mul_f32_e32 v0, v135, v43
	v_fmac_f32_e32 v147, v135, v42
	v_fma_f32 v146, v134, v42, -v0
	v_pk_add_f32 v[14:15], v[20:21], v[146:147]
	s_waitcnt vmcnt(5)
	v_mov_b32_e32 v20, v47
	s_waitcnt lgkmcnt(1)
	v_mul_f32_e32 v149, v136, v45
	v_mul_f32_e32 v0, v137, v45
	v_pk_mul_f32 v[20:21], v[138:139], v[20:21] op_sel:[1,0] op_sel_hi:[0,0]
	v_fmac_f32_e32 v149, v137, v44
	v_fma_f32 v148, v136, v44, -v0
	v_pk_fma_f32 v[22:23], v[138:139], v[46:47], v[20:21] neg_lo:[0,0,1] neg_hi:[0,0,1]
	v_pk_fma_f32 v[20:21], v[138:139], v[46:47], v[20:21] op_sel_hi:[1,0,1]
	v_pk_add_f32 v[14:15], v[14:15], v[148:149]
	v_mov_b32_e32 v23, v21
	s_waitcnt vmcnt(4) lgkmcnt(0)
	v_pk_mul_f32 v[20:21], v[140:141], v[32:33] op_sel:[1,1] op_sel_hi:[0,1]
	v_pk_add_f32 v[14:15], v[14:15], v[22:23]
	v_pk_fma_f32 v[22:23], v[140:141], v[32:33], v[20:21] neg_lo:[0,0,1] neg_hi:[0,0,1]
	v_pk_fma_f32 v[20:21], v[140:141], v[32:33], v[20:21] op_sel_hi:[1,0,1]
	ds_read2_b64 v[0:3], v102 offset0:47 offset1:48
	ds_read2_b64 v[8:11], v102 offset0:49 offset1:50
	ds_read_b64 v[12:13], v102 offset:408
	v_mov_b32_e32 v20, v35
	v_mov_b32_e32 v23, v21
	v_pk_mul_f32 v[20:21], v[142:143], v[20:21] op_sel:[1,0] op_sel_hi:[0,0]
	v_pk_add_f32 v[14:15], v[14:15], v[22:23]
	v_pk_fma_f32 v[22:23], v[142:143], v[34:35], v[20:21] neg_lo:[0,0,1] neg_hi:[0,0,1]
	v_pk_fma_f32 v[20:21], v[142:143], v[34:35], v[20:21] op_sel_hi:[1,0,1]
	s_nop 0
	v_mov_b32_e32 v23, v21
	s_waitcnt vmcnt(3) lgkmcnt(2)
	v_pk_mul_f32 v[20:21], v[0:1], v[16:17] op_sel:[1,1] op_sel_hi:[0,1]
	v_pk_add_f32 v[14:15], v[14:15], v[22:23]
	v_pk_fma_f32 v[22:23], v[0:1], v[16:17], v[20:21] neg_lo:[0,0,1] neg_hi:[0,0,1]
	v_pk_fma_f32 v[0:1], v[0:1], v[16:17], v[20:21] op_sel_hi:[1,0,1]
	s_nop 0
	v_mov_b32_e32 v23, v1
	v_pk_add_f32 v[0:1], v[14:15], v[22:23]
	v_mov_b32_e32 v14, v19
	v_pk_mul_f32 v[14:15], v[2:3], v[14:15] op_sel:[1,0] op_sel_hi:[0,0]
	v_pk_fma_f32 v[16:17], v[2:3], v[18:19], v[14:15] neg_lo:[0,0,1] neg_hi:[0,0,1]
	v_pk_fma_f32 v[2:3], v[2:3], v[18:19], v[14:15] op_sel_hi:[1,0,1]
	s_nop 0
	v_mov_b32_e32 v17, v3
	s_waitcnt vmcnt(2) lgkmcnt(1)
	v_pk_mul_f32 v[2:3], v[8:9], v[4:5] op_sel:[1,1] op_sel_hi:[0,1]
	v_pk_fma_f32 v[14:15], v[8:9], v[4:5], v[2:3] neg_lo:[0,0,1] neg_hi:[0,0,1]
	v_pk_fma_f32 v[2:3], v[8:9], v[4:5], v[2:3] op_sel_hi:[1,0,1]
	v_pk_add_f32 v[0:1], v[0:1], v[16:17]
	v_mov_b32_e32 v2, v7
	v_mov_b32_e32 v15, v3
	v_pk_mul_f32 v[2:3], v[10:11], v[2:3] op_sel:[1,0] op_sel_hi:[0,0]
	v_pk_fma_f32 v[4:5], v[10:11], v[6:7], v[2:3] neg_lo:[0,0,1] neg_hi:[0,0,1]
	v_pk_fma_f32 v[2:3], v[10:11], v[6:7], v[2:3] op_sel_hi:[1,0,1]
	v_pk_add_f32 v[0:1], v[0:1], v[14:15]
	v_mov_b32_e32 v5, v3
	s_waitcnt vmcnt(1) lgkmcnt(0)
	v_pk_mul_f32 v[2:3], v[12:13], v[100:101] op_sel:[1,1] op_sel_hi:[0,1]
	v_pk_add_f32 v[0:1], v[0:1], v[4:5]
	v_pk_fma_f32 v[4:5], v[12:13], v[100:101], v[2:3] neg_lo:[0,0,1] neg_hi:[0,0,1]
	v_pk_fma_f32 v[2:3], v[12:13], v[100:101], v[2:3] op_sel_hi:[1,0,1]
	s_nop 0
	v_mov_b32_e32 v5, v3
	v_pk_add_f32 v[0:1], v[0:1], v[4:5]
	s_waitcnt vmcnt(0)
	v_pk_add_f32 v[0:1], v[144:145], v[0:1] neg_lo:[0,1] neg_hi:[0,1]
	scratch_store_dwordx2 off, v[0:1], off
	s_cbranch_vccz .LBB25_220
; %bb.170:
	global_load_dword v0, v102, s[16:17] offset:96
	s_waitcnt vmcnt(0)
	v_readfirstlane_b32 s0, v0
	s_add_i32 s0, s0, -1
	s_cmp_lg_u32 s0, 24
	s_cbranch_scc0 .LBB25_172
; %bb.171:
	s_lshl_b32 s0, s0, 3
	s_nop 0
	scratch_load_dwordx2 v[0:1], off, s0
	scratch_load_dwordx2 v[2:3], off, off offset:192
	s_waitcnt vmcnt(1)
	scratch_store_dwordx2 off, v[0:1], off offset:192
	s_waitcnt vmcnt(1)
	scratch_store_dwordx2 off, v[2:3], s0
.LBB25_172:
	v_mov_b32_e32 v0, 0
	global_load_dword v1, v0, s[16:17] offset:92
	s_waitcnt vmcnt(0)
	v_readfirstlane_b32 s0, v1
	s_add_i32 s0, s0, -1
	s_cmp_eq_u32 s0, 23
	s_cbranch_scc1 .LBB25_174
; %bb.173:
	s_lshl_b32 s0, s0, 3
	s_nop 0
	scratch_load_dwordx2 v[2:3], off, s0
	scratch_load_dwordx2 v[4:5], off, off offset:184
	s_waitcnt vmcnt(1)
	scratch_store_dwordx2 off, v[2:3], off offset:184
	s_waitcnt vmcnt(1)
	scratch_store_dwordx2 off, v[4:5], s0
.LBB25_174:
	global_load_dword v0, v0, s[16:17] offset:88
	s_waitcnt vmcnt(0)
	v_readfirstlane_b32 s0, v0
	s_add_i32 s0, s0, -1
	s_cmp_eq_u32 s0, 22
	s_cbranch_scc1 .LBB25_176
; %bb.175:
	s_lshl_b32 s0, s0, 3
	s_nop 0
	scratch_load_dwordx2 v[0:1], off, s0
	scratch_load_dwordx2 v[2:3], off, off offset:176
	s_waitcnt vmcnt(1)
	scratch_store_dwordx2 off, v[0:1], off offset:176
	s_waitcnt vmcnt(1)
	scratch_store_dwordx2 off, v[2:3], s0
.LBB25_176:
	v_mov_b32_e32 v0, 0
	global_load_dword v1, v0, s[16:17] offset:84
	s_waitcnt vmcnt(0)
	v_readfirstlane_b32 s0, v1
	s_add_i32 s0, s0, -1
	s_cmp_eq_u32 s0, 21
	s_cbranch_scc1 .LBB25_178
; %bb.177:
	s_lshl_b32 s0, s0, 3
	s_nop 0
	scratch_load_dwordx2 v[2:3], off, s0
	scratch_load_dwordx2 v[4:5], off, off offset:168
	s_waitcnt vmcnt(1)
	scratch_store_dwordx2 off, v[2:3], off offset:168
	s_waitcnt vmcnt(1)
	scratch_store_dwordx2 off, v[4:5], s0
.LBB25_178:
	global_load_dword v0, v0, s[16:17] offset:80
	s_waitcnt vmcnt(0)
	v_readfirstlane_b32 s0, v0
	s_add_i32 s0, s0, -1
	s_cmp_eq_u32 s0, 20
	s_cbranch_scc1 .LBB25_180
; %bb.179:
	s_lshl_b32 s0, s0, 3
	s_nop 0
	scratch_load_dwordx2 v[0:1], off, s0
	scratch_load_dwordx2 v[2:3], off, off offset:160
	s_waitcnt vmcnt(1)
	scratch_store_dwordx2 off, v[0:1], off offset:160
	s_waitcnt vmcnt(1)
	scratch_store_dwordx2 off, v[2:3], s0
.LBB25_180:
	;; [unrolled: 33-line block ×11, first 2 shown]
	v_mov_b32_e32 v0, 0
	global_load_dword v1, v0, s[16:17] offset:4
	s_waitcnt vmcnt(0)
	v_readfirstlane_b32 s0, v1
	s_add_i32 s0, s0, -1
	s_cmp_eq_u32 s0, 1
	s_cbranch_scc1 .LBB25_218
; %bb.217:
	s_lshl_b32 s0, s0, 3
	s_nop 0
	scratch_load_dwordx2 v[2:3], off, s0
	scratch_load_dwordx2 v[4:5], off, off offset:8
	s_waitcnt vmcnt(1)
	scratch_store_dwordx2 off, v[2:3], off offset:8
	s_waitcnt vmcnt(1)
	scratch_store_dwordx2 off, v[4:5], s0
.LBB25_218:
	global_load_dword v2, v0, s[16:17]
	s_nop 0
	scratch_load_dwordx2 v[0:1], off, off
	s_waitcnt vmcnt(1)
	v_readfirstlane_b32 s0, v2
	s_add_i32 s0, s0, -1
	s_cmp_eq_u32 s0, 0
	s_cbranch_scc1 .LBB25_220
; %bb.219:
	s_lshl_b32 s0, s0, 3
	s_nop 0
	scratch_load_dwordx2 v[2:3], off, s0
	s_waitcnt vmcnt(0)
	scratch_store_dwordx2 off, v[2:3], off
	scratch_store_dwordx2 off, v[0:1], s0
	scratch_load_dwordx2 v[0:1], off, off
.LBB25_220:
	s_nop 0
	scratch_load_dwordx4 v[4:7], off, off offset:8
	scratch_load_dwordx4 v[8:11], off, off offset:24
	;; [unrolled: 1-line block ×12, first 2 shown]
	scratch_load_dwordx2 v[2:3], off, off offset:200
	s_waitcnt vmcnt(13)
	global_store_dwordx2 v[48:49], v[0:1], off
	s_waitcnt vmcnt(13)
	global_store_dwordx2 v[50:51], v[4:5], off
	global_store_dwordx2 v[52:53], v[6:7], off
	s_waitcnt vmcnt(14)
	global_store_dwordx2 v[54:55], v[8:9], off
	;; [unrolled: 3-line block ×13, first 2 shown]
	s_endpgm
	.section	.rodata,"a",@progbits
	.p2align	6, 0x0
	.amdhsa_kernel _ZN9rocsolver6v33100L18getri_kernel_smallILi26E19rocblas_complex_numIfEPS3_EEvT1_iilPiilS6_bb
		.amdhsa_group_segment_fixed_size 420
		.amdhsa_private_segment_fixed_size 224
		.amdhsa_kernarg_size 60
		.amdhsa_user_sgpr_count 2
		.amdhsa_user_sgpr_dispatch_ptr 0
		.amdhsa_user_sgpr_queue_ptr 0
		.amdhsa_user_sgpr_kernarg_segment_ptr 1
		.amdhsa_user_sgpr_dispatch_id 0
		.amdhsa_user_sgpr_kernarg_preload_length 0
		.amdhsa_user_sgpr_kernarg_preload_offset 0
		.amdhsa_user_sgpr_private_segment_size 0
		.amdhsa_uses_dynamic_stack 0
		.amdhsa_enable_private_segment 1
		.amdhsa_system_sgpr_workgroup_id_x 1
		.amdhsa_system_sgpr_workgroup_id_y 0
		.amdhsa_system_sgpr_workgroup_id_z 0
		.amdhsa_system_sgpr_workgroup_info 0
		.amdhsa_system_vgpr_workitem_id 0
		.amdhsa_next_free_vgpr 162
		.amdhsa_next_free_sgpr 20
		.amdhsa_accum_offset 164
		.amdhsa_reserve_vcc 1
		.amdhsa_float_round_mode_32 0
		.amdhsa_float_round_mode_16_64 0
		.amdhsa_float_denorm_mode_32 3
		.amdhsa_float_denorm_mode_16_64 3
		.amdhsa_dx10_clamp 1
		.amdhsa_ieee_mode 1
		.amdhsa_fp16_overflow 0
		.amdhsa_tg_split 0
		.amdhsa_exception_fp_ieee_invalid_op 0
		.amdhsa_exception_fp_denorm_src 0
		.amdhsa_exception_fp_ieee_div_zero 0
		.amdhsa_exception_fp_ieee_overflow 0
		.amdhsa_exception_fp_ieee_underflow 0
		.amdhsa_exception_fp_ieee_inexact 0
		.amdhsa_exception_int_div_zero 0
	.end_amdhsa_kernel
	.section	.text._ZN9rocsolver6v33100L18getri_kernel_smallILi26E19rocblas_complex_numIfEPS3_EEvT1_iilPiilS6_bb,"axG",@progbits,_ZN9rocsolver6v33100L18getri_kernel_smallILi26E19rocblas_complex_numIfEPS3_EEvT1_iilPiilS6_bb,comdat
.Lfunc_end25:
	.size	_ZN9rocsolver6v33100L18getri_kernel_smallILi26E19rocblas_complex_numIfEPS3_EEvT1_iilPiilS6_bb, .Lfunc_end25-_ZN9rocsolver6v33100L18getri_kernel_smallILi26E19rocblas_complex_numIfEPS3_EEvT1_iilPiilS6_bb
                                        ; -- End function
	.set _ZN9rocsolver6v33100L18getri_kernel_smallILi26E19rocblas_complex_numIfEPS3_EEvT1_iilPiilS6_bb.num_vgpr, 162
	.set _ZN9rocsolver6v33100L18getri_kernel_smallILi26E19rocblas_complex_numIfEPS3_EEvT1_iilPiilS6_bb.num_agpr, 0
	.set _ZN9rocsolver6v33100L18getri_kernel_smallILi26E19rocblas_complex_numIfEPS3_EEvT1_iilPiilS6_bb.numbered_sgpr, 20
	.set _ZN9rocsolver6v33100L18getri_kernel_smallILi26E19rocblas_complex_numIfEPS3_EEvT1_iilPiilS6_bb.num_named_barrier, 0
	.set _ZN9rocsolver6v33100L18getri_kernel_smallILi26E19rocblas_complex_numIfEPS3_EEvT1_iilPiilS6_bb.private_seg_size, 224
	.set _ZN9rocsolver6v33100L18getri_kernel_smallILi26E19rocblas_complex_numIfEPS3_EEvT1_iilPiilS6_bb.uses_vcc, 1
	.set _ZN9rocsolver6v33100L18getri_kernel_smallILi26E19rocblas_complex_numIfEPS3_EEvT1_iilPiilS6_bb.uses_flat_scratch, 0
	.set _ZN9rocsolver6v33100L18getri_kernel_smallILi26E19rocblas_complex_numIfEPS3_EEvT1_iilPiilS6_bb.has_dyn_sized_stack, 0
	.set _ZN9rocsolver6v33100L18getri_kernel_smallILi26E19rocblas_complex_numIfEPS3_EEvT1_iilPiilS6_bb.has_recursion, 0
	.set _ZN9rocsolver6v33100L18getri_kernel_smallILi26E19rocblas_complex_numIfEPS3_EEvT1_iilPiilS6_bb.has_indirect_call, 0
	.section	.AMDGPU.csdata,"",@progbits
; Kernel info:
; codeLenInByte = 25924
; TotalNumSgprs: 26
; NumVgprs: 162
; NumAgprs: 0
; TotalNumVgprs: 162
; ScratchSize: 224
; MemoryBound: 0
; FloatMode: 240
; IeeeMode: 1
; LDSByteSize: 420 bytes/workgroup (compile time only)
; SGPRBlocks: 3
; VGPRBlocks: 20
; NumSGPRsForWavesPerEU: 26
; NumVGPRsForWavesPerEU: 162
; AccumOffset: 164
; Occupancy: 3
; WaveLimiterHint : 1
; COMPUTE_PGM_RSRC2:SCRATCH_EN: 1
; COMPUTE_PGM_RSRC2:USER_SGPR: 2
; COMPUTE_PGM_RSRC2:TRAP_HANDLER: 0
; COMPUTE_PGM_RSRC2:TGID_X_EN: 1
; COMPUTE_PGM_RSRC2:TGID_Y_EN: 0
; COMPUTE_PGM_RSRC2:TGID_Z_EN: 0
; COMPUTE_PGM_RSRC2:TIDIG_COMP_CNT: 0
; COMPUTE_PGM_RSRC3_GFX90A:ACCUM_OFFSET: 40
; COMPUTE_PGM_RSRC3_GFX90A:TG_SPLIT: 0
	.section	.text._ZN9rocsolver6v33100L18getri_kernel_smallILi27E19rocblas_complex_numIfEPS3_EEvT1_iilPiilS6_bb,"axG",@progbits,_ZN9rocsolver6v33100L18getri_kernel_smallILi27E19rocblas_complex_numIfEPS3_EEvT1_iilPiilS6_bb,comdat
	.globl	_ZN9rocsolver6v33100L18getri_kernel_smallILi27E19rocblas_complex_numIfEPS3_EEvT1_iilPiilS6_bb ; -- Begin function _ZN9rocsolver6v33100L18getri_kernel_smallILi27E19rocblas_complex_numIfEPS3_EEvT1_iilPiilS6_bb
	.p2align	8
	.type	_ZN9rocsolver6v33100L18getri_kernel_smallILi27E19rocblas_complex_numIfEPS3_EEvT1_iilPiilS6_bb,@function
_ZN9rocsolver6v33100L18getri_kernel_smallILi27E19rocblas_complex_numIfEPS3_EEvT1_iilPiilS6_bb: ; @_ZN9rocsolver6v33100L18getri_kernel_smallILi27E19rocblas_complex_numIfEPS3_EEvT1_iilPiilS6_bb
; %bb.0:
	v_cmp_gt_u32_e32 vcc, 27, v0
	s_and_saveexec_b64 s[4:5], vcc
	s_cbranch_execz .LBB26_122
; %bb.1:
	s_load_dword s8, s[0:1], 0x38
	s_load_dwordx4 s[12:15], s[0:1], 0x10
	s_load_dwordx4 s[4:7], s[0:1], 0x28
                                        ; implicit-def: $sgpr16_sgpr17
	s_waitcnt lgkmcnt(0)
	s_bitcmp1_b32 s8, 8
	s_cselect_b64 s[18:19], -1, 0
	s_ashr_i32 s3, s2, 31
	s_bfe_u32 s8, s8, 0x10008
	s_cmp_eq_u32 s8, 0
	s_cbranch_scc1 .LBB26_3
; %bb.2:
	s_load_dword s8, s[0:1], 0x20
	s_mul_i32 s9, s4, s3
	s_mul_hi_u32 s10, s4, s2
	s_mul_i32 s5, s5, s2
	s_add_i32 s10, s10, s9
	s_add_i32 s5, s10, s5
	s_mul_i32 s4, s4, s2
	s_waitcnt lgkmcnt(0)
	s_ashr_i32 s9, s8, 31
	s_lshl_b64 s[4:5], s[4:5], 2
	s_add_u32 s10, s14, s4
	s_addc_u32 s11, s15, s5
	s_lshl_b64 s[4:5], s[8:9], 2
	s_add_u32 s16, s10, s4
	s_addc_u32 s17, s11, s5
.LBB26_3:
	s_load_dwordx4 s[8:11], s[0:1], 0x0
	s_load_dword s4, s[0:1], 0x38
	s_mul_i32 s5, s12, s3
	s_mul_hi_u32 s14, s12, s2
	s_add_i32 s5, s14, s5
	s_waitcnt lgkmcnt(0)
	s_ashr_i32 s1, s10, 31
	s_mov_b32 s0, s10
	s_mul_i32 s10, s13, s2
	s_add_i32 s13, s5, s10
	s_mul_i32 s12, s12, s2
	s_lshl_b64 s[12:13], s[12:13], 3
	s_add_u32 s5, s8, s12
	s_addc_u32 s8, s9, s13
	s_lshl_b64 s[0:1], s[0:1], 3
	s_add_u32 s0, s5, s0
	s_addc_u32 s1, s8, s1
	s_add_i32 s5, s11, s11
	v_add_u32_e32 v4, s5, v0
	v_ashrrev_i32_e32 v5, 31, v4
	v_lshl_add_u64 v[60:61], v[4:5], 3, s[0:1]
	v_add_u32_e32 v4, s11, v4
	v_ashrrev_i32_e32 v5, 31, v4
	v_lshl_add_u64 v[62:63], v[4:5], 3, s[0:1]
	;; [unrolled: 3-line block ×23, first 2 shown]
	v_add_u32_e32 v4, s11, v4
	v_lshlrev_b32_e32 v2, 3, v0
	v_mov_b32_e32 v3, 0
	v_ashrrev_i32_e32 v5, 31, v4
	v_lshl_add_u64 v[56:57], s[0:1], 0, v[2:3]
	s_ashr_i32 s9, s11, 31
	s_mov_b32 s8, s11
	v_lshl_add_u64 v[106:107], v[4:5], 3, s[0:1]
	v_add_u32_e32 v4, s11, v4
	v_lshl_add_u64 v[58:59], s[8:9], 3, v[56:57]
	v_ashrrev_i32_e32 v5, 31, v4
	global_load_dwordx2 v[6:7], v2, s[0:1]
	global_load_dwordx2 v[8:9], v[58:59], off
	global_load_dwordx2 v[10:11], v[60:61], off
	;; [unrolled: 1-line block ×24, first 2 shown]
	v_lshl_add_u64 v[108:109], v[4:5], 3, s[0:1]
	global_load_dwordx2 v[112:113], v[106:107], off
	global_load_dwordx2 v[4:5], v[108:109], off
	s_bitcmp0_b32 s4, 0
	s_mov_b64 s[4:5], -1
	s_waitcnt vmcnt(25)
	scratch_store_dwordx4 off, v[6:9], off
	s_waitcnt vmcnt(24)
	scratch_store_dwordx4 off, v[10:13], off offset:16
	s_waitcnt vmcnt(23)
	scratch_store_dwordx4 off, v[14:17], off offset:32
	;; [unrolled: 2-line block ×12, first 2 shown]
	s_waitcnt vmcnt(13)
	scratch_store_dwordx2 off, v[4:5], off offset:208
	s_cbranch_scc1 .LBB26_120
; %bb.4:
	v_cmp_eq_u32_e64 s[0:1], 0, v0
	s_and_saveexec_b64 s[4:5], s[0:1]
; %bb.5:
	v_mov_b32_e32 v1, 0
	ds_write_b32 v1, v1 offset:216
; %bb.6:
	s_or_b64 exec, exec, s[4:5]
	s_waitcnt lgkmcnt(0)
	; wave barrier
	scratch_load_dwordx2 v[4:5], v2, off
	s_waitcnt vmcnt(0)
	v_cmp_eq_f32_e32 vcc, 0, v4
	v_cmp_eq_f32_e64 s[4:5], 0, v5
	s_and_b64 s[4:5], vcc, s[4:5]
	s_and_saveexec_b64 s[8:9], s[4:5]
	s_cbranch_execz .LBB26_10
; %bb.7:
	v_mov_b32_e32 v1, 0
	ds_read_b32 v4, v1 offset:216
	v_add_u32_e32 v3, 1, v0
	s_waitcnt lgkmcnt(0)
	v_readfirstlane_b32 s4, v4
	s_cmp_eq_u32 s4, 0
	s_cselect_b64 s[10:11], -1, 0
	v_cmp_gt_i32_e32 vcc, s4, v3
	s_or_b64 s[10:11], s[10:11], vcc
	s_and_b64 exec, exec, s[10:11]
	s_cbranch_execz .LBB26_10
; %bb.8:
	s_mov_b64 s[10:11], 0
	v_mov_b32_e32 v4, s4
.LBB26_9:                               ; =>This Inner Loop Header: Depth=1
	ds_cmpst_rtn_b32 v4, v1, v4, v3 offset:216
	s_waitcnt lgkmcnt(0)
	v_cmp_ne_u32_e32 vcc, 0, v4
	v_cmp_le_i32_e64 s[4:5], v4, v3
	s_and_b64 s[4:5], vcc, s[4:5]
	s_and_b64 s[4:5], exec, s[4:5]
	s_or_b64 s[10:11], s[4:5], s[10:11]
	s_andn2_b64 exec, exec, s[10:11]
	s_cbranch_execnz .LBB26_9
.LBB26_10:
	s_or_b64 exec, exec, s[8:9]
	v_mov_b32_e32 v3, 0
	; wave barrier
	ds_read_b32 v1, v3 offset:216
	s_and_saveexec_b64 s[4:5], s[0:1]
	s_cbranch_execz .LBB26_12
; %bb.11:
	s_lshl_b64 s[8:9], s[2:3], 2
	s_add_u32 s8, s6, s8
	s_addc_u32 s9, s7, s9
	s_waitcnt lgkmcnt(0)
	global_store_dword v3, v1, s[8:9]
.LBB26_12:
	s_or_b64 exec, exec, s[4:5]
	s_waitcnt lgkmcnt(0)
	v_cmp_ne_u32_e32 vcc, 0, v1
	s_mov_b64 s[4:5], 0
	s_cbranch_vccnz .LBB26_120
; %bb.13:
	v_mov_b32_e32 v3, v2
	scratch_load_dwordx2 v[4:5], v3, off
                                        ; implicit-def: $vgpr7
                                        ; implicit-def: $vgpr8
	s_waitcnt vmcnt(0)
	v_cmp_ngt_f32_e64 s[4:5], |v4|, |v5|
	s_and_saveexec_b64 s[8:9], s[4:5]
	s_xor_b64 s[4:5], exec, s[8:9]
	s_cbranch_execz .LBB26_15
; %bb.14:
	v_div_scale_f32 v1, s[8:9], v5, v5, v4
	v_rcp_f32_e32 v6, v1
	v_div_scale_f32 v7, vcc, v4, v5, v4
	v_fma_f32 v8, -v1, v6, 1.0
	v_fmac_f32_e32 v6, v8, v6
	v_mul_f32_e32 v8, v7, v6
	v_fma_f32 v9, -v1, v8, v7
	v_fmac_f32_e32 v8, v9, v6
	v_fma_f32 v1, -v1, v8, v7
	v_div_fmas_f32 v1, v1, v6, v8
	v_div_fixup_f32 v1, v1, v5, v4
	v_fmac_f32_e32 v5, v4, v1
	v_div_scale_f32 v4, s[8:9], v5, v5, -1.0
	v_rcp_f32_e32 v6, v4
	s_nop 0
	v_fma_f32 v7, -v4, v6, 1.0
	v_fmac_f32_e32 v6, v7, v6
	v_div_scale_f32 v7, vcc, -1.0, v5, -1.0
	v_mul_f32_e32 v8, v7, v6
	v_fma_f32 v9, -v4, v8, v7
	v_fmac_f32_e32 v8, v9, v6
	v_fma_f32 v4, -v4, v8, v7
	v_div_fmas_f32 v4, v4, v6, v8
	v_div_fixup_f32 v7, v4, v5, -1.0
	v_mul_f32_e32 v8, v1, v7
	v_xor_b32_e32 v6, 0x80000000, v8
                                        ; implicit-def: $vgpr4_vgpr5
.LBB26_15:
	s_andn2_saveexec_b64 s[4:5], s[4:5]
	s_cbranch_execz .LBB26_17
; %bb.16:
	v_div_scale_f32 v1, s[8:9], v4, v4, v5
	v_rcp_f32_e32 v6, v1
	v_div_scale_f32 v7, vcc, v5, v4, v5
	v_fma_f32 v8, -v1, v6, 1.0
	v_fmac_f32_e32 v6, v8, v6
	v_mul_f32_e32 v8, v7, v6
	v_fma_f32 v9, -v1, v8, v7
	v_fmac_f32_e32 v8, v9, v6
	v_fma_f32 v1, -v1, v8, v7
	v_div_fmas_f32 v1, v1, v6, v8
	v_div_fixup_f32 v1, v1, v4, v5
	v_fmac_f32_e32 v4, v5, v1
	v_div_scale_f32 v5, s[8:9], v4, v4, 1.0
	v_rcp_f32_e32 v6, v5
	s_nop 0
	v_fma_f32 v7, -v5, v6, 1.0
	v_fmac_f32_e32 v6, v7, v6
	v_div_scale_f32 v7, vcc, 1.0, v4, 1.0
	v_mul_f32_e32 v8, v7, v6
	v_fma_f32 v9, -v5, v8, v7
	v_fmac_f32_e32 v8, v9, v6
	v_fma_f32 v5, -v5, v8, v7
	v_div_fmas_f32 v5, v5, v6, v8
	v_div_fixup_f32 v6, v5, v4, 1.0
	v_xor_b32_e32 v8, 0x80000000, v6
	v_mul_f32_e64 v7, v1, -v6
.LBB26_17:
	s_or_b64 exec, exec, s[4:5]
	scratch_store_dwordx2 v3, v[6:7], off
	scratch_load_dwordx2 v[4:5], off, off offset:8
	v_xor_b32_e32 v9, 0x80000000, v7
	v_add_u32_e32 v1, 0xe0, v2
	s_waitcnt vmcnt(0)
	ds_write2_b64 v2, v[8:9], v[4:5] offset1:28
	s_waitcnt lgkmcnt(0)
	; wave barrier
	s_and_saveexec_b64 s[4:5], s[0:1]
	s_cbranch_execz .LBB26_19
; %bb.18:
	scratch_load_dwordx2 v[4:5], v3, off
	ds_read_b64 v[6:7], v1
	v_mov_b32_e32 v8, 0
	ds_read_b64 v[8:9], v8 offset:8
	s_waitcnt vmcnt(0) lgkmcnt(1)
	v_pk_mul_f32 v[10:11], v[6:7], v[4:5] op_sel:[1,1] op_sel_hi:[0,1]
	v_pk_fma_f32 v[12:13], v[6:7], v[4:5], v[10:11] neg_lo:[0,0,1] neg_hi:[0,0,1]
	v_pk_fma_f32 v[4:5], v[6:7], v[4:5], v[10:11] op_sel_hi:[1,0,1]
	s_nop 0
	v_mov_b32_e32 v13, v5
	v_pk_add_f32 v[4:5], v[12:13], 0 op_sel_hi:[1,0]
	s_waitcnt lgkmcnt(0)
	v_pk_mul_f32 v[6:7], v[4:5], v[8:9] op_sel:[1,1] op_sel_hi:[0,1]
	v_pk_fma_f32 v[10:11], v[4:5], v[8:9], v[6:7] neg_lo:[0,0,1] neg_hi:[0,0,1]
	v_pk_fma_f32 v[4:5], v[4:5], v[8:9], v[6:7] op_sel_hi:[1,0,1]
	s_nop 0
	v_mov_b32_e32 v11, v5
	scratch_store_dwordx2 off, v[10:11], off offset:8
.LBB26_19:
	s_or_b64 exec, exec, s[4:5]
	; wave barrier
	scratch_load_dwordx2 v[4:5], off, off offset:16
	v_cmp_gt_u32_e32 vcc, 2, v0
	s_waitcnt vmcnt(0)
	ds_write_b64 v1, v[4:5]
	s_waitcnt lgkmcnt(0)
	; wave barrier
	s_and_saveexec_b64 s[4:5], vcc
	s_cbranch_execz .LBB26_23
; %bb.20:
	scratch_load_dwordx2 v[4:5], v3, off
	ds_read_b64 v[6:7], v1
	s_waitcnt vmcnt(0) lgkmcnt(0)
	v_pk_mul_f32 v[8:9], v[6:7], v[4:5] op_sel:[1,1] op_sel_hi:[0,1]
	v_pk_fma_f32 v[10:11], v[6:7], v[4:5], v[8:9] neg_lo:[0,0,1] neg_hi:[0,0,1]
	v_pk_fma_f32 v[4:5], v[6:7], v[4:5], v[8:9] op_sel_hi:[1,0,1]
	s_nop 0
	v_mov_b32_e32 v11, v5
	v_pk_add_f32 v[4:5], v[10:11], 0 op_sel_hi:[1,0]
	s_and_saveexec_b64 s[8:9], s[0:1]
	s_cbranch_execz .LBB26_22
; %bb.21:
	scratch_load_dwordx2 v[6:7], off, off offset:8
	v_mov_b32_e32 v3, 0
	ds_read_b64 v[8:9], v3 offset:232
	s_waitcnt vmcnt(0) lgkmcnt(0)
	v_pk_mul_f32 v[10:11], v[8:9], v[6:7] op_sel:[1,1] op_sel_hi:[0,1]
	v_pk_fma_f32 v[12:13], v[8:9], v[6:7], v[10:11] neg_lo:[0,0,1] neg_hi:[0,0,1]
	v_pk_fma_f32 v[6:7], v[8:9], v[6:7], v[10:11] op_sel_hi:[1,0,1]
	s_nop 0
	v_mov_b32_e32 v13, v7
	v_pk_add_f32 v[4:5], v[4:5], v[12:13]
.LBB26_22:
	s_or_b64 exec, exec, s[8:9]
	v_mov_b32_e32 v3, 0
	ds_read_b64 v[6:7], v3 offset:16
	s_waitcnt lgkmcnt(0)
	v_pk_mul_f32 v[8:9], v[4:5], v[6:7] op_sel:[1,1] op_sel_hi:[0,1]
	v_pk_fma_f32 v[10:11], v[4:5], v[6:7], v[8:9] neg_lo:[0,0,1] neg_hi:[0,0,1]
	v_pk_fma_f32 v[4:5], v[4:5], v[6:7], v[8:9] op_sel_hi:[1,0,1]
	s_nop 0
	v_mov_b32_e32 v11, v5
	scratch_store_dwordx2 off, v[10:11], off offset:16
.LBB26_23:
	s_or_b64 exec, exec, s[4:5]
	; wave barrier
	scratch_load_dwordx2 v[4:5], off, off offset:24
	v_cmp_gt_u32_e32 vcc, 3, v0
	v_add_u32_e32 v6, -1, v0
	s_waitcnt vmcnt(0)
	ds_write_b64 v1, v[4:5]
	s_waitcnt lgkmcnt(0)
	; wave barrier
	s_and_saveexec_b64 s[0:1], vcc
	s_cbranch_execz .LBB26_27
; %bb.24:
	v_mov_b32_e32 v4, 0
	v_add_u32_e32 v3, -1, v0
	v_add_u32_e32 v7, 0xe0, v2
	v_mov_b32_e32 v8, v2
	s_mov_b64 s[4:5], 0
	v_mov_b32_e32 v5, v4
.LBB26_25:                              ; =>This Inner Loop Header: Depth=1
	scratch_load_dwordx2 v[10:11], v8, off
	ds_read_b64 v[12:13], v7
	v_add_u32_e32 v3, 1, v3
	v_cmp_lt_u32_e32 vcc, 1, v3
	v_add_u32_e32 v7, 8, v7
	v_add_u32_e32 v8, 8, v8
	s_or_b64 s[4:5], vcc, s[4:5]
	s_waitcnt vmcnt(0) lgkmcnt(0)
	v_pk_mul_f32 v[14:15], v[12:13], v[10:11] op_sel:[1,1] op_sel_hi:[0,1]
	v_pk_fma_f32 v[16:17], v[12:13], v[10:11], v[14:15] neg_lo:[0,0,1] neg_hi:[0,0,1]
	v_pk_fma_f32 v[10:11], v[12:13], v[10:11], v[14:15] op_sel_hi:[1,0,1]
	s_nop 0
	v_mov_b32_e32 v17, v11
	v_pk_add_f32 v[4:5], v[4:5], v[16:17]
	s_andn2_b64 exec, exec, s[4:5]
	s_cbranch_execnz .LBB26_25
; %bb.26:
	s_or_b64 exec, exec, s[4:5]
	v_mov_b32_e32 v3, 0
	ds_read_b64 v[8:9], v3 offset:24
	s_waitcnt lgkmcnt(0)
	v_pk_mul_f32 v[10:11], v[4:5], v[8:9] op_sel:[1,1] op_sel_hi:[0,1]
	v_pk_fma_f32 v[12:13], v[4:5], v[8:9], v[10:11] neg_lo:[0,0,1] neg_hi:[0,0,1]
	v_pk_fma_f32 v[4:5], v[4:5], v[8:9], v[10:11] op_sel_hi:[1,0,1]
	s_nop 0
	v_mov_b32_e32 v13, v5
	scratch_store_dwordx2 off, v[12:13], off offset:24
.LBB26_27:
	s_or_b64 exec, exec, s[0:1]
	; wave barrier
	scratch_load_dwordx2 v[4:5], off, off offset:32
	v_cmp_gt_u32_e32 vcc, 4, v0
	s_waitcnt vmcnt(0)
	ds_write_b64 v1, v[4:5]
	s_waitcnt lgkmcnt(0)
	; wave barrier
	s_and_saveexec_b64 s[0:1], vcc
	s_cbranch_execz .LBB26_31
; %bb.28:
	v_mov_b32_e32 v4, 0
	v_add_u32_e32 v3, -1, v0
	v_add_u32_e32 v7, 0xe0, v2
	v_mov_b32_e32 v8, v2
	s_mov_b64 s[4:5], 0
	v_mov_b32_e32 v5, v4
.LBB26_29:                              ; =>This Inner Loop Header: Depth=1
	scratch_load_dwordx2 v[10:11], v8, off
	ds_read_b64 v[12:13], v7
	v_add_u32_e32 v3, 1, v3
	v_cmp_lt_u32_e32 vcc, 2, v3
	v_add_u32_e32 v7, 8, v7
	v_add_u32_e32 v8, 8, v8
	s_or_b64 s[4:5], vcc, s[4:5]
	s_waitcnt vmcnt(0) lgkmcnt(0)
	v_pk_mul_f32 v[14:15], v[12:13], v[10:11] op_sel:[1,1] op_sel_hi:[0,1]
	v_pk_fma_f32 v[16:17], v[12:13], v[10:11], v[14:15] neg_lo:[0,0,1] neg_hi:[0,0,1]
	v_pk_fma_f32 v[10:11], v[12:13], v[10:11], v[14:15] op_sel_hi:[1,0,1]
	s_nop 0
	v_mov_b32_e32 v17, v11
	v_pk_add_f32 v[4:5], v[4:5], v[16:17]
	s_andn2_b64 exec, exec, s[4:5]
	s_cbranch_execnz .LBB26_29
; %bb.30:
	s_or_b64 exec, exec, s[4:5]
	v_mov_b32_e32 v3, 0
	ds_read_b64 v[8:9], v3 offset:32
	s_waitcnt lgkmcnt(0)
	v_pk_mul_f32 v[10:11], v[4:5], v[8:9] op_sel:[1,1] op_sel_hi:[0,1]
	v_pk_fma_f32 v[12:13], v[4:5], v[8:9], v[10:11] neg_lo:[0,0,1] neg_hi:[0,0,1]
	v_pk_fma_f32 v[4:5], v[4:5], v[8:9], v[10:11] op_sel_hi:[1,0,1]
	s_nop 0
	v_mov_b32_e32 v13, v5
	scratch_store_dwordx2 off, v[12:13], off offset:32
.LBB26_31:
	s_or_b64 exec, exec, s[0:1]
	; wave barrier
	scratch_load_dwordx2 v[4:5], off, off offset:40
	v_cmp_gt_u32_e32 vcc, 5, v0
	;; [unrolled: 46-line block ×19, first 2 shown]
	s_waitcnt vmcnt(0)
	ds_write_b64 v1, v[4:5]
	s_waitcnt lgkmcnt(0)
	; wave barrier
	s_and_saveexec_b64 s[0:1], vcc
	s_cbranch_execz .LBB26_103
; %bb.100:
	v_mov_b32_e32 v4, 0
	v_add_u32_e32 v3, -1, v0
	v_add_u32_e32 v7, 0xe0, v2
	v_mov_b32_e32 v8, v2
	s_mov_b64 s[4:5], 0
	v_mov_b32_e32 v5, v4
.LBB26_101:                             ; =>This Inner Loop Header: Depth=1
	scratch_load_dwordx2 v[10:11], v8, off
	ds_read_b64 v[12:13], v7
	v_add_u32_e32 v3, 1, v3
	v_cmp_lt_u32_e32 vcc, 20, v3
	v_add_u32_e32 v7, 8, v7
	v_add_u32_e32 v8, 8, v8
	s_or_b64 s[4:5], vcc, s[4:5]
	s_waitcnt vmcnt(0) lgkmcnt(0)
	v_pk_mul_f32 v[14:15], v[12:13], v[10:11] op_sel:[1,1] op_sel_hi:[0,1]
	v_pk_fma_f32 v[16:17], v[12:13], v[10:11], v[14:15] neg_lo:[0,0,1] neg_hi:[0,0,1]
	v_pk_fma_f32 v[10:11], v[12:13], v[10:11], v[14:15] op_sel_hi:[1,0,1]
	s_nop 0
	v_mov_b32_e32 v17, v11
	v_pk_add_f32 v[4:5], v[4:5], v[16:17]
	s_andn2_b64 exec, exec, s[4:5]
	s_cbranch_execnz .LBB26_101
; %bb.102:
	s_or_b64 exec, exec, s[4:5]
	v_mov_b32_e32 v3, 0
	ds_read_b64 v[8:9], v3 offset:176
	s_waitcnt lgkmcnt(0)
	v_pk_mul_f32 v[10:11], v[4:5], v[8:9] op_sel:[1,1] op_sel_hi:[0,1]
	v_pk_fma_f32 v[12:13], v[4:5], v[8:9], v[10:11] neg_lo:[0,0,1] neg_hi:[0,0,1]
	v_pk_fma_f32 v[4:5], v[4:5], v[8:9], v[10:11] op_sel_hi:[1,0,1]
	s_nop 0
	v_mov_b32_e32 v13, v5
	scratch_store_dwordx2 off, v[12:13], off offset:176
.LBB26_103:
	s_or_b64 exec, exec, s[0:1]
	; wave barrier
	scratch_load_dwordx2 v[4:5], off, off offset:184
	v_cmp_gt_u32_e32 vcc, 23, v0
	s_waitcnt vmcnt(0)
	ds_write_b64 v1, v[4:5]
	s_waitcnt lgkmcnt(0)
	; wave barrier
	s_and_saveexec_b64 s[0:1], vcc
	s_cbranch_execz .LBB26_107
; %bb.104:
	v_mov_b32_e32 v4, 0
	v_add_u32_e32 v3, -1, v0
	v_add_u32_e32 v7, 0xe0, v2
	v_mov_b32_e32 v8, v2
	s_mov_b64 s[4:5], 0
	v_mov_b32_e32 v5, v4
.LBB26_105:                             ; =>This Inner Loop Header: Depth=1
	scratch_load_dwordx2 v[10:11], v8, off
	ds_read_b64 v[12:13], v7
	v_add_u32_e32 v3, 1, v3
	v_cmp_lt_u32_e32 vcc, 21, v3
	v_add_u32_e32 v7, 8, v7
	v_add_u32_e32 v8, 8, v8
	s_or_b64 s[4:5], vcc, s[4:5]
	s_waitcnt vmcnt(0) lgkmcnt(0)
	v_pk_mul_f32 v[14:15], v[12:13], v[10:11] op_sel:[1,1] op_sel_hi:[0,1]
	v_pk_fma_f32 v[16:17], v[12:13], v[10:11], v[14:15] neg_lo:[0,0,1] neg_hi:[0,0,1]
	v_pk_fma_f32 v[10:11], v[12:13], v[10:11], v[14:15] op_sel_hi:[1,0,1]
	s_nop 0
	v_mov_b32_e32 v17, v11
	v_pk_add_f32 v[4:5], v[4:5], v[16:17]
	s_andn2_b64 exec, exec, s[4:5]
	s_cbranch_execnz .LBB26_105
; %bb.106:
	s_or_b64 exec, exec, s[4:5]
	v_mov_b32_e32 v3, 0
	ds_read_b64 v[8:9], v3 offset:184
	s_waitcnt lgkmcnt(0)
	v_pk_mul_f32 v[10:11], v[4:5], v[8:9] op_sel:[1,1] op_sel_hi:[0,1]
	v_pk_fma_f32 v[12:13], v[4:5], v[8:9], v[10:11] neg_lo:[0,0,1] neg_hi:[0,0,1]
	v_pk_fma_f32 v[4:5], v[4:5], v[8:9], v[10:11] op_sel_hi:[1,0,1]
	s_nop 0
	v_mov_b32_e32 v13, v5
	scratch_store_dwordx2 off, v[12:13], off offset:184
.LBB26_107:
	s_or_b64 exec, exec, s[0:1]
	; wave barrier
	scratch_load_dwordx2 v[4:5], off, off offset:192
	v_cmp_gt_u32_e32 vcc, 24, v0
	;; [unrolled: 46-line block ×3, first 2 shown]
	s_waitcnt vmcnt(0)
	ds_write_b64 v1, v[4:5]
	s_waitcnt lgkmcnt(0)
	; wave barrier
	s_and_saveexec_b64 s[0:1], vcc
	s_cbranch_execz .LBB26_115
; %bb.112:
	v_mov_b32_e32 v4, 0
	v_add_u32_e32 v3, -1, v0
	v_add_u32_e32 v7, 0xe0, v2
	v_mov_b32_e32 v8, v2
	s_mov_b64 s[4:5], 0
	v_mov_b32_e32 v5, v4
.LBB26_113:                             ; =>This Inner Loop Header: Depth=1
	scratch_load_dwordx2 v[10:11], v8, off
	ds_read_b64 v[12:13], v7
	v_add_u32_e32 v3, 1, v3
	v_cmp_lt_u32_e32 vcc, 23, v3
	v_add_u32_e32 v7, 8, v7
	v_add_u32_e32 v8, 8, v8
	s_or_b64 s[4:5], vcc, s[4:5]
	s_waitcnt vmcnt(0) lgkmcnt(0)
	v_pk_mul_f32 v[14:15], v[12:13], v[10:11] op_sel:[1,1] op_sel_hi:[0,1]
	v_pk_fma_f32 v[16:17], v[12:13], v[10:11], v[14:15] neg_lo:[0,0,1] neg_hi:[0,0,1]
	v_pk_fma_f32 v[10:11], v[12:13], v[10:11], v[14:15] op_sel_hi:[1,0,1]
	s_nop 0
	v_mov_b32_e32 v17, v11
	v_pk_add_f32 v[4:5], v[4:5], v[16:17]
	s_andn2_b64 exec, exec, s[4:5]
	s_cbranch_execnz .LBB26_113
; %bb.114:
	s_or_b64 exec, exec, s[4:5]
	v_mov_b32_e32 v3, 0
	ds_read_b64 v[8:9], v3 offset:200
	s_waitcnt lgkmcnt(0)
	v_pk_mul_f32 v[10:11], v[4:5], v[8:9] op_sel:[1,1] op_sel_hi:[0,1]
	v_pk_fma_f32 v[12:13], v[4:5], v[8:9], v[10:11] neg_lo:[0,0,1] neg_hi:[0,0,1]
	v_pk_fma_f32 v[4:5], v[4:5], v[8:9], v[10:11] op_sel_hi:[1,0,1]
	s_nop 0
	v_mov_b32_e32 v13, v5
	scratch_store_dwordx2 off, v[12:13], off offset:200
.LBB26_115:
	s_or_b64 exec, exec, s[0:1]
	; wave barrier
	scratch_load_dwordx2 v[4:5], off, off offset:208
	v_cmp_ne_u32_e32 vcc, 26, v0
	s_waitcnt vmcnt(0)
	ds_write_b64 v1, v[4:5]
	s_waitcnt lgkmcnt(0)
	; wave barrier
	s_and_saveexec_b64 s[0:1], vcc
	s_cbranch_execz .LBB26_119
; %bb.116:
	v_add_u32_e32 v1, 0xe0, v2
	v_mov_b32_e32 v4, v2
	v_mov_b32_e32 v2, 0
	s_mov_b64 s[4:5], 0
	v_mov_b32_e32 v3, v2
.LBB26_117:                             ; =>This Inner Loop Header: Depth=1
	scratch_load_dwordx2 v[8:9], v4, off
	ds_read_b64 v[10:11], v1
	v_add_u32_e32 v6, 1, v6
	v_cmp_lt_u32_e32 vcc, 24, v6
	v_add_u32_e32 v1, 8, v1
	v_add_u32_e32 v4, 8, v4
	s_or_b64 s[4:5], vcc, s[4:5]
	s_waitcnt vmcnt(0) lgkmcnt(0)
	v_pk_mul_f32 v[12:13], v[10:11], v[8:9] op_sel:[1,1] op_sel_hi:[0,1]
	v_pk_fma_f32 v[14:15], v[10:11], v[8:9], v[12:13] neg_lo:[0,0,1] neg_hi:[0,0,1]
	v_pk_fma_f32 v[8:9], v[10:11], v[8:9], v[12:13] op_sel_hi:[1,0,1]
	s_nop 0
	v_mov_b32_e32 v15, v9
	v_pk_add_f32 v[2:3], v[2:3], v[14:15]
	s_andn2_b64 exec, exec, s[4:5]
	s_cbranch_execnz .LBB26_117
; %bb.118:
	s_or_b64 exec, exec, s[4:5]
	v_mov_b32_e32 v1, 0
	ds_read_b64 v[4:5], v1 offset:208
	s_waitcnt lgkmcnt(0)
	v_pk_mul_f32 v[6:7], v[2:3], v[4:5] op_sel:[1,1] op_sel_hi:[0,1]
	v_pk_fma_f32 v[8:9], v[2:3], v[4:5], v[6:7] neg_lo:[0,0,1] neg_hi:[0,0,1]
	v_pk_fma_f32 v[2:3], v[2:3], v[4:5], v[6:7] op_sel_hi:[1,0,1]
	s_nop 0
	v_mov_b32_e32 v9, v3
	scratch_store_dwordx2 off, v[8:9], off offset:208
.LBB26_119:
	s_or_b64 exec, exec, s[0:1]
	s_mov_b64 s[4:5], -1
	; wave barrier
.LBB26_120:
	s_and_b64 vcc, exec, s[4:5]
	s_cbranch_vccz .LBB26_122
; %bb.121:
	s_lshl_b64 s[0:1], s[2:3], 2
	s_add_u32 s0, s6, s0
	s_addc_u32 s1, s7, s1
	v_mov_b32_e32 v1, 0
	global_load_dword v1, v1, s[0:1]
	s_waitcnt vmcnt(0)
	v_cmp_ne_u32_e32 vcc, 0, v1
	s_cbranch_vccz .LBB26_123
.LBB26_122:
	s_endpgm
.LBB26_123:
	v_mov_b32_e32 v1, 0xe0
	v_lshl_add_u32 v1, v0, 3, v1
	v_cmp_eq_u32_e32 vcc, 26, v0
	s_and_saveexec_b64 s[0:1], vcc
	s_cbranch_execz .LBB26_125
; %bb.124:
	scratch_load_dwordx2 v[2:3], off, off offset:200
	v_mov_b32_e32 v4, 0
	v_mov_b32_e32 v5, v4
	scratch_store_dwordx2 off, v[4:5], off offset:200
	s_waitcnt vmcnt(1)
	ds_write_b64 v1, v[2:3]
.LBB26_125:
	s_or_b64 exec, exec, s[0:1]
	s_waitcnt lgkmcnt(0)
	; wave barrier
	scratch_load_dwordx2 v[4:5], off, off offset:208
	scratch_load_dwordx2 v[6:7], off, off offset:200
	v_mov_b32_e32 v2, 0
	ds_read_b64 v[8:9], v2 offset:432
	v_cmp_lt_u32_e32 vcc, 24, v0
	s_waitcnt vmcnt(1) lgkmcnt(0)
	v_pk_mul_f32 v[10:11], v[8:9], v[4:5] op_sel:[1,1] op_sel_hi:[0,1]
	v_pk_fma_f32 v[12:13], v[8:9], v[4:5], v[10:11] neg_lo:[0,0,1] neg_hi:[0,0,1]
	v_pk_fma_f32 v[4:5], v[8:9], v[4:5], v[10:11] op_sel_hi:[1,0,1]
	s_nop 0
	v_mov_b32_e32 v13, v5
	v_pk_add_f32 v[4:5], v[12:13], 0 op_sel_hi:[1,0]
	s_waitcnt vmcnt(0)
	v_pk_add_f32 v[4:5], v[6:7], v[4:5] neg_lo:[0,1] neg_hi:[0,1]
	scratch_store_dwordx2 off, v[4:5], off offset:200
	s_and_saveexec_b64 s[0:1], vcc
	s_cbranch_execz .LBB26_127
; %bb.126:
	scratch_load_dwordx2 v[4:5], off, off offset:192
	v_mov_b32_e32 v3, v2
	scratch_store_dwordx2 off, v[2:3], off offset:192
	s_waitcnt vmcnt(1)
	ds_write_b64 v1, v[4:5]
.LBB26_127:
	s_or_b64 exec, exec, s[0:1]
	s_waitcnt lgkmcnt(0)
	; wave barrier
	scratch_load_dwordx4 v[4:7], off, off offset:200
	scratch_load_dwordx2 v[12:13], off, off offset:192
	ds_read2_b64 v[8:11], v2 offset0:53 offset1:54
	v_cmp_lt_u32_e32 vcc, 23, v0
	s_waitcnt vmcnt(1) lgkmcnt(0)
	v_pk_mul_f32 v[2:3], v[8:9], v[4:5] op_sel:[1,1] op_sel_hi:[0,1]
	v_mov_b32_e32 v14, v7
	v_pk_fma_f32 v[16:17], v[8:9], v[4:5], v[2:3] neg_lo:[0,0,1] neg_hi:[0,0,1]
	v_pk_fma_f32 v[2:3], v[8:9], v[4:5], v[2:3] op_sel_hi:[1,0,1]
	v_pk_mul_f32 v[4:5], v[10:11], v[14:15] op_sel:[1,0] op_sel_hi:[0,0]
	v_mov_b32_e32 v17, v3
	v_pk_fma_f32 v[2:3], v[10:11], v[6:7], v[4:5] neg_lo:[0,0,1] neg_hi:[0,0,1]
	v_pk_fma_f32 v[4:5], v[10:11], v[6:7], v[4:5] op_sel_hi:[1,0,1]
	v_pk_add_f32 v[6:7], v[16:17], 0 op_sel_hi:[1,0]
	v_mov_b32_e32 v3, v5
	v_pk_add_f32 v[2:3], v[6:7], v[2:3]
	s_waitcnt vmcnt(0)
	v_pk_add_f32 v[2:3], v[12:13], v[2:3] neg_lo:[0,1] neg_hi:[0,1]
	scratch_store_dwordx2 off, v[2:3], off offset:192
	s_and_saveexec_b64 s[0:1], vcc
	s_cbranch_execz .LBB26_129
; %bb.128:
	scratch_load_dwordx2 v[2:3], off, off offset:184
	v_mov_b32_e32 v4, 0
	v_mov_b32_e32 v5, v4
	scratch_store_dwordx2 off, v[4:5], off offset:184
	s_waitcnt vmcnt(1)
	ds_write_b64 v1, v[2:3]
.LBB26_129:
	s_or_b64 exec, exec, s[0:1]
	s_waitcnt lgkmcnt(0)
	; wave barrier
	scratch_load_dwordx4 v[4:7], off, off offset:192
	scratch_load_dwordx2 v[12:13], off, off offset:208
	scratch_load_dwordx2 v[14:15], off, off offset:184
	v_mov_b32_e32 v2, 0
	ds_read_b128 v[8:11], v2 offset:416
	ds_read_b64 v[16:17], v2 offset:432
	v_cmp_lt_u32_e32 vcc, 22, v0
	s_waitcnt vmcnt(2) lgkmcnt(1)
	v_pk_mul_f32 v[18:19], v[8:9], v[4:5] op_sel:[1,1] op_sel_hi:[0,1]
	v_mov_b32_e32 v20, v7
	v_pk_fma_f32 v[24:25], v[8:9], v[4:5], v[18:19] neg_lo:[0,0,1] neg_hi:[0,0,1]
	v_pk_fma_f32 v[4:5], v[8:9], v[4:5], v[18:19] op_sel_hi:[1,0,1]
	v_pk_mul_f32 v[8:9], v[10:11], v[20:21] op_sel:[1,0] op_sel_hi:[0,0]
	s_waitcnt vmcnt(1) lgkmcnt(0)
	v_pk_mul_f32 v[22:23], v[16:17], v[12:13] op_sel:[1,1] op_sel_hi:[0,1]
	v_mov_b32_e32 v25, v5
	v_pk_fma_f32 v[4:5], v[10:11], v[6:7], v[8:9] neg_lo:[0,0,1] neg_hi:[0,0,1]
	v_pk_fma_f32 v[6:7], v[10:11], v[6:7], v[8:9] op_sel_hi:[1,0,1]
	v_pk_fma_f32 v[18:19], v[16:17], v[12:13], v[22:23] neg_lo:[0,0,1] neg_hi:[0,0,1]
	v_pk_fma_f32 v[12:13], v[16:17], v[12:13], v[22:23] op_sel_hi:[1,0,1]
	v_pk_add_f32 v[8:9], v[24:25], 0 op_sel_hi:[1,0]
	v_mov_b32_e32 v5, v7
	v_mov_b32_e32 v19, v13
	v_pk_add_f32 v[4:5], v[8:9], v[4:5]
	s_nop 0
	v_pk_add_f32 v[4:5], v[4:5], v[18:19]
	s_waitcnt vmcnt(0)
	v_pk_add_f32 v[4:5], v[14:15], v[4:5] neg_lo:[0,1] neg_hi:[0,1]
	scratch_store_dwordx2 off, v[4:5], off offset:184
	s_and_saveexec_b64 s[0:1], vcc
	s_cbranch_execz .LBB26_131
; %bb.130:
	scratch_load_dwordx2 v[4:5], off, off offset:176
	v_mov_b32_e32 v3, v2
	scratch_store_dwordx2 off, v[2:3], off offset:176
	s_waitcnt vmcnt(1)
	ds_write_b64 v1, v[4:5]
.LBB26_131:
	s_or_b64 exec, exec, s[0:1]
	s_waitcnt lgkmcnt(0)
	; wave barrier
	scratch_load_dwordx4 v[4:7], off, off offset:184
	scratch_load_dwordx4 v[8:11], off, off offset:200
	scratch_load_dwordx2 v[20:21], off, off offset:176
	ds_read2_b64 v[12:15], v2 offset0:51 offset1:52
	ds_read2_b64 v[16:19], v2 offset0:53 offset1:54
	v_cmp_lt_u32_e32 vcc, 21, v0
	s_waitcnt vmcnt(2) lgkmcnt(1)
	v_pk_mul_f32 v[2:3], v[12:13], v[4:5] op_sel:[1,1] op_sel_hi:[0,1]
	v_mov_b32_e32 v22, v7
	s_waitcnt vmcnt(1) lgkmcnt(0)
	v_pk_mul_f32 v[24:25], v[16:17], v[8:9] op_sel:[1,1] op_sel_hi:[0,1]
	v_mov_b32_e32 v26, v11
	v_pk_fma_f32 v[28:29], v[12:13], v[4:5], v[2:3] neg_lo:[0,0,1] neg_hi:[0,0,1]
	v_pk_fma_f32 v[2:3], v[12:13], v[4:5], v[2:3] op_sel_hi:[1,0,1]
	v_pk_mul_f32 v[4:5], v[14:15], v[22:23] op_sel:[1,0] op_sel_hi:[0,0]
	v_pk_fma_f32 v[12:13], v[16:17], v[8:9], v[24:25] neg_lo:[0,0,1] neg_hi:[0,0,1]
	v_pk_fma_f32 v[8:9], v[16:17], v[8:9], v[24:25] op_sel_hi:[1,0,1]
	v_pk_mul_f32 v[16:17], v[18:19], v[26:27] op_sel:[1,0] op_sel_hi:[0,0]
	v_mov_b32_e32 v29, v3
	v_pk_fma_f32 v[2:3], v[14:15], v[6:7], v[4:5] neg_lo:[0,0,1] neg_hi:[0,0,1]
	v_pk_fma_f32 v[4:5], v[14:15], v[6:7], v[4:5] op_sel_hi:[1,0,1]
	v_mov_b32_e32 v13, v9
	v_pk_fma_f32 v[6:7], v[18:19], v[10:11], v[16:17] neg_lo:[0,0,1] neg_hi:[0,0,1]
	v_pk_fma_f32 v[8:9], v[18:19], v[10:11], v[16:17] op_sel_hi:[1,0,1]
	v_pk_add_f32 v[10:11], v[28:29], 0 op_sel_hi:[1,0]
	v_mov_b32_e32 v3, v5
	v_pk_add_f32 v[2:3], v[10:11], v[2:3]
	v_mov_b32_e32 v7, v9
	v_pk_add_f32 v[2:3], v[2:3], v[12:13]
	s_nop 0
	v_pk_add_f32 v[2:3], v[2:3], v[6:7]
	s_waitcnt vmcnt(0)
	v_pk_add_f32 v[2:3], v[20:21], v[2:3] neg_lo:[0,1] neg_hi:[0,1]
	scratch_store_dwordx2 off, v[2:3], off offset:176
	s_and_saveexec_b64 s[0:1], vcc
	s_cbranch_execz .LBB26_133
; %bb.132:
	scratch_load_dwordx2 v[2:3], off, off offset:168
	v_mov_b32_e32 v4, 0
	v_mov_b32_e32 v5, v4
	scratch_store_dwordx2 off, v[4:5], off offset:168
	s_waitcnt vmcnt(1)
	ds_write_b64 v1, v[2:3]
.LBB26_133:
	s_or_b64 exec, exec, s[0:1]
	s_waitcnt lgkmcnt(0)
	; wave barrier
	scratch_load_dwordx4 v[4:7], off, off offset:176
	scratch_load_dwordx4 v[8:11], off, off offset:192
	scratch_load_dwordx2 v[20:21], off, off offset:208
	scratch_load_dwordx2 v[22:23], off, off offset:168
	v_mov_b32_e32 v2, 0
	ds_read_b128 v[12:15], v2 offset:400
	ds_read_b128 v[16:19], v2 offset:416
	ds_read_b64 v[24:25], v2 offset:432
	v_cmp_lt_u32_e32 vcc, 20, v0
	s_waitcnt vmcnt(3) lgkmcnt(2)
	v_pk_mul_f32 v[26:27], v[12:13], v[4:5] op_sel:[1,1] op_sel_hi:[0,1]
	v_mov_b32_e32 v28, v7
	v_pk_fma_f32 v[36:37], v[12:13], v[4:5], v[26:27] neg_lo:[0,0,1] neg_hi:[0,0,1]
	v_pk_fma_f32 v[4:5], v[12:13], v[4:5], v[26:27] op_sel_hi:[1,0,1]
	v_pk_mul_f32 v[12:13], v[14:15], v[28:29] op_sel:[1,0] op_sel_hi:[0,0]
	s_waitcnt vmcnt(2) lgkmcnt(1)
	v_pk_mul_f32 v[30:31], v[16:17], v[8:9] op_sel:[1,1] op_sel_hi:[0,1]
	v_mov_b32_e32 v32, v11
	v_mov_b32_e32 v37, v5
	v_pk_fma_f32 v[4:5], v[14:15], v[6:7], v[12:13] neg_lo:[0,0,1] neg_hi:[0,0,1]
	v_pk_fma_f32 v[6:7], v[14:15], v[6:7], v[12:13] op_sel_hi:[1,0,1]
	v_pk_fma_f32 v[26:27], v[16:17], v[8:9], v[30:31] neg_lo:[0,0,1] neg_hi:[0,0,1]
	v_pk_fma_f32 v[8:9], v[16:17], v[8:9], v[30:31] op_sel_hi:[1,0,1]
	v_pk_mul_f32 v[16:17], v[18:19], v[32:33] op_sel:[1,0] op_sel_hi:[0,0]
	v_pk_add_f32 v[12:13], v[36:37], 0 op_sel_hi:[1,0]
	v_mov_b32_e32 v5, v7
	s_waitcnt vmcnt(1) lgkmcnt(0)
	v_pk_mul_f32 v[34:35], v[24:25], v[20:21] op_sel:[1,1] op_sel_hi:[0,1]
	v_mov_b32_e32 v27, v9
	v_pk_fma_f32 v[8:9], v[18:19], v[10:11], v[16:17] neg_lo:[0,0,1] neg_hi:[0,0,1]
	v_pk_fma_f32 v[10:11], v[18:19], v[10:11], v[16:17] op_sel_hi:[1,0,1]
	v_pk_add_f32 v[4:5], v[12:13], v[4:5]
	v_pk_fma_f32 v[28:29], v[24:25], v[20:21], v[34:35] neg_lo:[0,0,1] neg_hi:[0,0,1]
	v_pk_fma_f32 v[20:21], v[24:25], v[20:21], v[34:35] op_sel_hi:[1,0,1]
	v_mov_b32_e32 v9, v11
	v_pk_add_f32 v[4:5], v[4:5], v[26:27]
	v_mov_b32_e32 v29, v21
	v_pk_add_f32 v[4:5], v[4:5], v[8:9]
	s_nop 0
	v_pk_add_f32 v[4:5], v[4:5], v[28:29]
	s_waitcnt vmcnt(0)
	v_pk_add_f32 v[4:5], v[22:23], v[4:5] neg_lo:[0,1] neg_hi:[0,1]
	scratch_store_dwordx2 off, v[4:5], off offset:168
	s_and_saveexec_b64 s[0:1], vcc
	s_cbranch_execz .LBB26_135
; %bb.134:
	scratch_load_dwordx2 v[4:5], off, off offset:160
	v_mov_b32_e32 v3, v2
	scratch_store_dwordx2 off, v[2:3], off offset:160
	s_waitcnt vmcnt(1)
	ds_write_b64 v1, v[4:5]
.LBB26_135:
	s_or_b64 exec, exec, s[0:1]
	s_waitcnt lgkmcnt(0)
	; wave barrier
	scratch_load_dwordx4 v[4:7], off, off offset:168
	scratch_load_dwordx4 v[8:11], off, off offset:184
	;; [unrolled: 1-line block ×3, first 2 shown]
	scratch_load_dwordx2 v[28:29], off, off offset:160
	ds_read2_b64 v[16:19], v2 offset0:49 offset1:50
	ds_read2_b64 v[20:23], v2 offset0:51 offset1:52
	;; [unrolled: 1-line block ×3, first 2 shown]
	v_cmp_lt_u32_e32 vcc, 19, v0
	s_waitcnt vmcnt(3) lgkmcnt(2)
	v_pk_mul_f32 v[2:3], v[16:17], v[4:5] op_sel:[1,1] op_sel_hi:[0,1]
	v_mov_b32_e32 v30, v7
	s_waitcnt vmcnt(2) lgkmcnt(1)
	v_pk_mul_f32 v[32:33], v[20:21], v[8:9] op_sel:[1,1] op_sel_hi:[0,1]
	v_mov_b32_e32 v34, v11
	;; [unrolled: 3-line block ×3, first 2 shown]
	v_pk_fma_f32 v[40:41], v[16:17], v[4:5], v[2:3] neg_lo:[0,0,1] neg_hi:[0,0,1]
	v_pk_fma_f32 v[2:3], v[16:17], v[4:5], v[2:3] op_sel_hi:[1,0,1]
	v_pk_mul_f32 v[4:5], v[18:19], v[30:31] op_sel:[1,0] op_sel_hi:[0,0]
	v_pk_fma_f32 v[16:17], v[20:21], v[8:9], v[32:33] neg_lo:[0,0,1] neg_hi:[0,0,1]
	v_pk_fma_f32 v[8:9], v[20:21], v[8:9], v[32:33] op_sel_hi:[1,0,1]
	v_pk_mul_f32 v[20:21], v[22:23], v[34:35] op_sel:[1,0] op_sel_hi:[0,0]
	;; [unrolled: 3-line block ×3, first 2 shown]
	v_mov_b32_e32 v41, v3
	v_pk_fma_f32 v[2:3], v[18:19], v[6:7], v[4:5] neg_lo:[0,0,1] neg_hi:[0,0,1]
	v_pk_fma_f32 v[4:5], v[18:19], v[6:7], v[4:5] op_sel_hi:[1,0,1]
	v_mov_b32_e32 v17, v9
	v_pk_fma_f32 v[6:7], v[22:23], v[10:11], v[20:21] neg_lo:[0,0,1] neg_hi:[0,0,1]
	v_pk_fma_f32 v[8:9], v[22:23], v[10:11], v[20:21] op_sel_hi:[1,0,1]
	;; [unrolled: 3-line block ×3, first 2 shown]
	v_pk_add_f32 v[14:15], v[40:41], 0 op_sel_hi:[1,0]
	v_mov_b32_e32 v3, v5
	v_pk_add_f32 v[2:3], v[14:15], v[2:3]
	v_mov_b32_e32 v7, v9
	v_pk_add_f32 v[2:3], v[2:3], v[16:17]
	;; [unrolled: 2-line block ×3, first 2 shown]
	s_nop 0
	v_pk_add_f32 v[2:3], v[2:3], v[30:31]
	s_nop 0
	v_pk_add_f32 v[2:3], v[2:3], v[10:11]
	s_waitcnt vmcnt(0)
	v_pk_add_f32 v[2:3], v[28:29], v[2:3] neg_lo:[0,1] neg_hi:[0,1]
	scratch_store_dwordx2 off, v[2:3], off offset:160
	s_and_saveexec_b64 s[0:1], vcc
	s_cbranch_execz .LBB26_137
; %bb.136:
	scratch_load_dwordx2 v[2:3], off, off offset:152
	v_mov_b32_e32 v4, 0
	v_mov_b32_e32 v5, v4
	scratch_store_dwordx2 off, v[4:5], off offset:152
	s_waitcnt vmcnt(1)
	ds_write_b64 v1, v[2:3]
.LBB26_137:
	s_or_b64 exec, exec, s[0:1]
	s_waitcnt lgkmcnt(0)
	; wave barrier
	scratch_load_dwordx4 v[4:7], off, off offset:160
	scratch_load_dwordx4 v[8:11], off, off offset:176
	;; [unrolled: 1-line block ×3, first 2 shown]
	scratch_load_dwordx2 v[28:29], off, off offset:208
	scratch_load_dwordx2 v[30:31], off, off offset:152
	v_mov_b32_e32 v2, 0
	ds_read_b128 v[16:19], v2 offset:384
	ds_read_b128 v[20:23], v2 offset:400
	;; [unrolled: 1-line block ×3, first 2 shown]
	ds_read_b64 v[32:33], v2 offset:432
	v_cmp_lt_u32_e32 vcc, 18, v0
	s_waitcnt vmcnt(4) lgkmcnt(3)
	v_pk_mul_f32 v[34:35], v[16:17], v[4:5] op_sel:[1,1] op_sel_hi:[0,1]
	v_mov_b32_e32 v36, v7
	v_pk_fma_f32 v[48:49], v[16:17], v[4:5], v[34:35] neg_lo:[0,0,1] neg_hi:[0,0,1]
	v_pk_fma_f32 v[4:5], v[16:17], v[4:5], v[34:35] op_sel_hi:[1,0,1]
	v_pk_mul_f32 v[16:17], v[18:19], v[36:37] op_sel:[1,0] op_sel_hi:[0,0]
	s_waitcnt vmcnt(3) lgkmcnt(2)
	v_pk_mul_f32 v[38:39], v[20:21], v[8:9] op_sel:[1,1] op_sel_hi:[0,1]
	v_mov_b32_e32 v40, v11
	v_mov_b32_e32 v49, v5
	v_pk_fma_f32 v[4:5], v[18:19], v[6:7], v[16:17] neg_lo:[0,0,1] neg_hi:[0,0,1]
	v_pk_fma_f32 v[6:7], v[18:19], v[6:7], v[16:17] op_sel_hi:[1,0,1]
	v_pk_fma_f32 v[34:35], v[20:21], v[8:9], v[38:39] neg_lo:[0,0,1] neg_hi:[0,0,1]
	v_pk_fma_f32 v[8:9], v[20:21], v[8:9], v[38:39] op_sel_hi:[1,0,1]
	v_pk_mul_f32 v[20:21], v[22:23], v[40:41] op_sel:[1,0] op_sel_hi:[0,0]
	v_pk_add_f32 v[16:17], v[48:49], 0 op_sel_hi:[1,0]
	v_mov_b32_e32 v5, v7
	s_waitcnt vmcnt(2) lgkmcnt(1)
	v_pk_mul_f32 v[42:43], v[24:25], v[12:13] op_sel:[1,1] op_sel_hi:[0,1]
	v_mov_b32_e32 v44, v15
	v_mov_b32_e32 v35, v9
	v_pk_fma_f32 v[8:9], v[22:23], v[10:11], v[20:21] neg_lo:[0,0,1] neg_hi:[0,0,1]
	v_pk_fma_f32 v[10:11], v[22:23], v[10:11], v[20:21] op_sel_hi:[1,0,1]
	v_pk_add_f32 v[4:5], v[16:17], v[4:5]
	v_pk_fma_f32 v[36:37], v[24:25], v[12:13], v[42:43] neg_lo:[0,0,1] neg_hi:[0,0,1]
	v_pk_fma_f32 v[12:13], v[24:25], v[12:13], v[42:43] op_sel_hi:[1,0,1]
	v_pk_mul_f32 v[24:25], v[26:27], v[44:45] op_sel:[1,0] op_sel_hi:[0,0]
	v_mov_b32_e32 v9, v11
	v_pk_add_f32 v[4:5], v[4:5], v[34:35]
	s_waitcnt vmcnt(1) lgkmcnt(0)
	v_pk_mul_f32 v[46:47], v[32:33], v[28:29] op_sel:[1,1] op_sel_hi:[0,1]
	v_mov_b32_e32 v37, v13
	v_pk_fma_f32 v[12:13], v[26:27], v[14:15], v[24:25] neg_lo:[0,0,1] neg_hi:[0,0,1]
	v_pk_fma_f32 v[14:15], v[26:27], v[14:15], v[24:25] op_sel_hi:[1,0,1]
	v_pk_add_f32 v[4:5], v[4:5], v[8:9]
	v_pk_fma_f32 v[38:39], v[32:33], v[28:29], v[46:47] neg_lo:[0,0,1] neg_hi:[0,0,1]
	v_pk_fma_f32 v[28:29], v[32:33], v[28:29], v[46:47] op_sel_hi:[1,0,1]
	v_mov_b32_e32 v13, v15
	v_pk_add_f32 v[4:5], v[4:5], v[36:37]
	v_mov_b32_e32 v39, v29
	v_pk_add_f32 v[4:5], v[4:5], v[12:13]
	s_nop 0
	v_pk_add_f32 v[4:5], v[4:5], v[38:39]
	s_waitcnt vmcnt(0)
	v_pk_add_f32 v[4:5], v[30:31], v[4:5] neg_lo:[0,1] neg_hi:[0,1]
	scratch_store_dwordx2 off, v[4:5], off offset:152
	s_and_saveexec_b64 s[0:1], vcc
	s_cbranch_execz .LBB26_139
; %bb.138:
	scratch_load_dwordx2 v[4:5], off, off offset:144
	v_mov_b32_e32 v3, v2
	scratch_store_dwordx2 off, v[2:3], off offset:144
	s_waitcnt vmcnt(1)
	ds_write_b64 v1, v[4:5]
.LBB26_139:
	s_or_b64 exec, exec, s[0:1]
	s_waitcnt lgkmcnt(0)
	; wave barrier
	scratch_load_dwordx4 v[4:7], off, off offset:152
	scratch_load_dwordx4 v[8:11], off, off offset:168
	;; [unrolled: 1-line block ×4, first 2 shown]
	scratch_load_dwordx2 v[36:37], off, off offset:144
	ds_read2_b64 v[20:23], v2 offset0:47 offset1:48
	ds_read2_b64 v[24:27], v2 offset0:49 offset1:50
	;; [unrolled: 1-line block ×4, first 2 shown]
	v_cmp_lt_u32_e32 vcc, 17, v0
	s_waitcnt vmcnt(4) lgkmcnt(3)
	v_pk_mul_f32 v[2:3], v[20:21], v[4:5] op_sel:[1,1] op_sel_hi:[0,1]
	v_mov_b32_e32 v38, v7
	s_waitcnt vmcnt(3) lgkmcnt(2)
	v_pk_mul_f32 v[40:41], v[24:25], v[8:9] op_sel:[1,1] op_sel_hi:[0,1]
	v_mov_b32_e32 v42, v11
	;; [unrolled: 3-line block ×4, first 2 shown]
	v_pk_fma_f32 v[52:53], v[20:21], v[4:5], v[2:3] neg_lo:[0,0,1] neg_hi:[0,0,1]
	v_pk_fma_f32 v[2:3], v[20:21], v[4:5], v[2:3] op_sel_hi:[1,0,1]
	v_pk_mul_f32 v[4:5], v[22:23], v[38:39] op_sel:[1,0] op_sel_hi:[0,0]
	v_pk_fma_f32 v[20:21], v[24:25], v[8:9], v[40:41] neg_lo:[0,0,1] neg_hi:[0,0,1]
	v_pk_fma_f32 v[8:9], v[24:25], v[8:9], v[40:41] op_sel_hi:[1,0,1]
	v_pk_mul_f32 v[24:25], v[26:27], v[42:43] op_sel:[1,0] op_sel_hi:[0,0]
	;; [unrolled: 3-line block ×4, first 2 shown]
	v_mov_b32_e32 v53, v3
	v_pk_fma_f32 v[2:3], v[22:23], v[6:7], v[4:5] neg_lo:[0,0,1] neg_hi:[0,0,1]
	v_pk_fma_f32 v[4:5], v[22:23], v[6:7], v[4:5] op_sel_hi:[1,0,1]
	v_mov_b32_e32 v21, v9
	v_pk_fma_f32 v[6:7], v[26:27], v[10:11], v[24:25] neg_lo:[0,0,1] neg_hi:[0,0,1]
	v_pk_fma_f32 v[8:9], v[26:27], v[10:11], v[24:25] op_sel_hi:[1,0,1]
	;; [unrolled: 3-line block ×4, first 2 shown]
	v_pk_add_f32 v[18:19], v[52:53], 0 op_sel_hi:[1,0]
	v_mov_b32_e32 v3, v5
	v_pk_add_f32 v[2:3], v[18:19], v[2:3]
	v_mov_b32_e32 v7, v9
	v_pk_add_f32 v[2:3], v[2:3], v[20:21]
	;; [unrolled: 2-line block ×4, first 2 shown]
	s_nop 0
	v_pk_add_f32 v[2:3], v[2:3], v[10:11]
	s_nop 0
	v_pk_add_f32 v[2:3], v[2:3], v[40:41]
	;; [unrolled: 2-line block ×3, first 2 shown]
	s_waitcnt vmcnt(0)
	v_pk_add_f32 v[2:3], v[36:37], v[2:3] neg_lo:[0,1] neg_hi:[0,1]
	scratch_store_dwordx2 off, v[2:3], off offset:144
	s_and_saveexec_b64 s[0:1], vcc
	s_cbranch_execz .LBB26_141
; %bb.140:
	scratch_load_dwordx2 v[2:3], off, off offset:136
	v_mov_b32_e32 v4, 0
	v_mov_b32_e32 v5, v4
	scratch_store_dwordx2 off, v[4:5], off offset:136
	s_waitcnt vmcnt(1)
	ds_write_b64 v1, v[2:3]
.LBB26_141:
	s_or_b64 exec, exec, s[0:1]
	s_waitcnt lgkmcnt(0)
	; wave barrier
	scratch_load_dwordx4 v[4:7], off, off offset:144
	scratch_load_dwordx4 v[8:11], off, off offset:160
	;; [unrolled: 1-line block ×4, first 2 shown]
	scratch_load_dwordx2 v[36:37], off, off offset:208
	scratch_load_dwordx2 v[38:39], off, off offset:136
	v_mov_b32_e32 v2, 0
	ds_read_b128 v[20:23], v2 offset:368
	ds_read_b128 v[24:27], v2 offset:384
	;; [unrolled: 1-line block ×4, first 2 shown]
	ds_read_b64 v[40:41], v2 offset:432
	v_cmp_lt_u32_e32 vcc, 16, v0
	s_waitcnt vmcnt(5) lgkmcnt(4)
	v_mul_f32_e32 v43, v20, v5
	v_mul_f32_e32 v3, v21, v5
	v_mov_b32_e32 v44, v7
	s_waitcnt vmcnt(4) lgkmcnt(3)
	v_pk_mul_f32 v[46:47], v[24:25], v[8:9] op_sel:[1,1] op_sel_hi:[0,1]
	v_mov_b32_e32 v48, v11
	s_waitcnt vmcnt(1) lgkmcnt(0)
	v_pk_mul_f32 v[112:113], v[40:41], v[36:37] op_sel:[1,1] op_sel_hi:[0,1]
	v_fmac_f32_e32 v43, v21, v4
	v_fma_f32 v42, v20, v4, -v3
	v_pk_mul_f32 v[4:5], v[22:23], v[44:45] op_sel:[1,0] op_sel_hi:[0,0]
	v_pk_fma_f32 v[20:21], v[24:25], v[8:9], v[46:47] neg_lo:[0,0,1] neg_hi:[0,0,1]
	v_pk_fma_f32 v[8:9], v[24:25], v[8:9], v[46:47] op_sel_hi:[1,0,1]
	v_pk_mul_f32 v[24:25], v[26:27], v[48:49] op_sel:[1,0] op_sel_hi:[0,0]
	v_pk_fma_f32 v[48:49], v[40:41], v[36:37], v[112:113] neg_lo:[0,0,1] neg_hi:[0,0,1]
	v_pk_fma_f32 v[36:37], v[40:41], v[36:37], v[112:113] op_sel_hi:[1,0,1]
	v_pk_add_f32 v[40:41], v[42:43], 0 op_sel_hi:[1,0]
	v_pk_fma_f32 v[42:43], v[22:23], v[6:7], v[4:5] neg_lo:[0,0,1] neg_hi:[0,0,1]
	v_pk_fma_f32 v[4:5], v[22:23], v[6:7], v[4:5] op_sel_hi:[1,0,1]
	v_pk_mul_f32 v[50:51], v[28:29], v[12:13] op_sel:[1,1] op_sel_hi:[0,1]
	v_mov_b32_e32 v43, v5
	v_mov_b32_e32 v52, v15
	;; [unrolled: 1-line block ×3, first 2 shown]
	v_pk_fma_f32 v[6:7], v[26:27], v[10:11], v[24:25] neg_lo:[0,0,1] neg_hi:[0,0,1]
	v_pk_fma_f32 v[8:9], v[26:27], v[10:11], v[24:25] op_sel_hi:[1,0,1]
	v_pk_add_f32 v[4:5], v[40:41], v[42:43]
	v_pk_fma_f32 v[44:45], v[28:29], v[12:13], v[50:51] neg_lo:[0,0,1] neg_hi:[0,0,1]
	v_pk_fma_f32 v[12:13], v[28:29], v[12:13], v[50:51] op_sel_hi:[1,0,1]
	v_pk_mul_f32 v[28:29], v[30:31], v[52:53] op_sel:[1,0] op_sel_hi:[0,0]
	v_mov_b32_e32 v7, v9
	v_pk_add_f32 v[4:5], v[4:5], v[20:21]
	v_pk_mul_f32 v[54:55], v[32:33], v[16:17] op_sel:[1,1] op_sel_hi:[0,1]
	v_mov_b32_e32 v110, v19
	v_mov_b32_e32 v45, v13
	v_pk_fma_f32 v[10:11], v[30:31], v[14:15], v[28:29] neg_lo:[0,0,1] neg_hi:[0,0,1]
	v_pk_fma_f32 v[12:13], v[30:31], v[14:15], v[28:29] op_sel_hi:[1,0,1]
	v_pk_add_f32 v[4:5], v[4:5], v[6:7]
	v_pk_fma_f32 v[46:47], v[32:33], v[16:17], v[54:55] neg_lo:[0,0,1] neg_hi:[0,0,1]
	v_pk_fma_f32 v[16:17], v[32:33], v[16:17], v[54:55] op_sel_hi:[1,0,1]
	v_pk_mul_f32 v[32:33], v[34:35], v[110:111] op_sel:[1,0] op_sel_hi:[0,0]
	v_mov_b32_e32 v11, v13
	v_pk_add_f32 v[4:5], v[4:5], v[44:45]
	v_mov_b32_e32 v47, v17
	v_pk_fma_f32 v[14:15], v[34:35], v[18:19], v[32:33] neg_lo:[0,0,1] neg_hi:[0,0,1]
	v_pk_fma_f32 v[16:17], v[34:35], v[18:19], v[32:33] op_sel_hi:[1,0,1]
	v_pk_add_f32 v[4:5], v[4:5], v[10:11]
	v_mov_b32_e32 v15, v17
	v_pk_add_f32 v[4:5], v[4:5], v[46:47]
	v_mov_b32_e32 v49, v37
	v_pk_add_f32 v[4:5], v[4:5], v[14:15]
	s_nop 0
	v_pk_add_f32 v[4:5], v[4:5], v[48:49]
	s_waitcnt vmcnt(0)
	v_pk_add_f32 v[4:5], v[38:39], v[4:5] neg_lo:[0,1] neg_hi:[0,1]
	scratch_store_dwordx2 off, v[4:5], off offset:136
	s_and_saveexec_b64 s[0:1], vcc
	s_cbranch_execz .LBB26_143
; %bb.142:
	scratch_load_dwordx2 v[4:5], off, off offset:128
	v_mov_b32_e32 v3, v2
	scratch_store_dwordx2 off, v[2:3], off offset:128
	s_waitcnt vmcnt(1)
	ds_write_b64 v1, v[4:5]
.LBB26_143:
	s_or_b64 exec, exec, s[0:1]
	s_waitcnt lgkmcnt(0)
	; wave barrier
	scratch_load_dwordx4 v[4:7], off, off offset:136
	scratch_load_dwordx4 v[8:11], off, off offset:152
	;; [unrolled: 1-line block ×5, first 2 shown]
	scratch_load_dwordx2 v[44:45], off, off offset:128
	ds_read2_b64 v[24:27], v2 offset0:45 offset1:46
	ds_read2_b64 v[28:31], v2 offset0:47 offset1:48
	;; [unrolled: 1-line block ×5, first 2 shown]
	v_cmp_lt_u32_e32 vcc, 15, v0
	s_waitcnt vmcnt(5) lgkmcnt(4)
	v_mul_f32_e32 v3, v24, v5
	v_mul_f32_e32 v2, v25, v5
	v_mul_f32_e32 v47, v26, v7
	v_mul_f32_e32 v5, v27, v7
	s_waitcnt vmcnt(4) lgkmcnt(3)
	v_pk_mul_f32 v[48:49], v[28:29], v[8:9] op_sel:[1,1] op_sel_hi:[0,1]
	v_mov_b32_e32 v50, v11
	v_fmac_f32_e32 v3, v25, v4
	v_fma_f32 v2, v24, v4, -v2
	v_fmac_f32_e32 v47, v27, v6
	v_fma_f32 v46, v26, v6, -v5
	v_pk_fma_f32 v[4:5], v[28:29], v[8:9], v[48:49] neg_lo:[0,0,1] neg_hi:[0,0,1]
	v_pk_fma_f32 v[6:7], v[28:29], v[8:9], v[48:49] op_sel_hi:[1,0,1]
	v_pk_mul_f32 v[8:9], v[30:31], v[50:51] op_sel:[1,0] op_sel_hi:[0,0]
	v_pk_add_f32 v[2:3], v[2:3], 0 op_sel_hi:[1,0]
	s_waitcnt vmcnt(3) lgkmcnt(2)
	v_pk_mul_f32 v[52:53], v[32:33], v[12:13] op_sel:[1,1] op_sel_hi:[0,1]
	v_mov_b32_e32 v54, v15
	v_mov_b32_e32 v5, v7
	v_pk_fma_f32 v[6:7], v[30:31], v[10:11], v[8:9] neg_lo:[0,0,1] neg_hi:[0,0,1]
	v_pk_fma_f32 v[8:9], v[30:31], v[10:11], v[8:9] op_sel_hi:[1,0,1]
	v_pk_add_f32 v[2:3], v[2:3], v[46:47]
	v_pk_fma_f32 v[24:25], v[32:33], v[12:13], v[52:53] neg_lo:[0,0,1] neg_hi:[0,0,1]
	v_pk_fma_f32 v[12:13], v[32:33], v[12:13], v[52:53] op_sel_hi:[1,0,1]
	v_pk_mul_f32 v[26:27], v[34:35], v[54:55] op_sel:[1,0] op_sel_hi:[0,0]
	v_mov_b32_e32 v7, v9
	v_pk_add_f32 v[2:3], v[2:3], v[4:5]
	s_waitcnt vmcnt(2) lgkmcnt(1)
	v_pk_mul_f32 v[110:111], v[36:37], v[16:17] op_sel:[1,1] op_sel_hi:[0,1]
	v_mov_b32_e32 v112, v19
	v_mov_b32_e32 v25, v13
	v_pk_fma_f32 v[10:11], v[34:35], v[14:15], v[26:27] neg_lo:[0,0,1] neg_hi:[0,0,1]
	v_pk_fma_f32 v[12:13], v[34:35], v[14:15], v[26:27] op_sel_hi:[1,0,1]
	v_pk_add_f32 v[2:3], v[2:3], v[6:7]
	v_pk_fma_f32 v[28:29], v[36:37], v[16:17], v[110:111] neg_lo:[0,0,1] neg_hi:[0,0,1]
	v_pk_fma_f32 v[16:17], v[36:37], v[16:17], v[110:111] op_sel_hi:[1,0,1]
	v_pk_mul_f32 v[32:33], v[38:39], v[112:113] op_sel:[1,0] op_sel_hi:[0,0]
	v_mov_b32_e32 v11, v13
	v_pk_add_f32 v[2:3], v[2:3], v[24:25]
	;; [unrolled: 12-line block ×3, first 2 shown]
	v_mov_b32_e32 v37, v21
	v_pk_fma_f32 v[18:19], v[42:43], v[22:23], v[40:41] neg_lo:[0,0,1] neg_hi:[0,0,1]
	v_pk_fma_f32 v[20:21], v[42:43], v[22:23], v[40:41] op_sel_hi:[1,0,1]
	v_pk_add_f32 v[2:3], v[2:3], v[14:15]
	v_mov_b32_e32 v19, v21
	v_pk_add_f32 v[2:3], v[2:3], v[36:37]
	s_nop 0
	v_pk_add_f32 v[2:3], v[2:3], v[18:19]
	s_waitcnt vmcnt(0)
	v_pk_add_f32 v[2:3], v[44:45], v[2:3] neg_lo:[0,1] neg_hi:[0,1]
	scratch_store_dwordx2 off, v[2:3], off offset:128
	s_and_saveexec_b64 s[0:1], vcc
	s_cbranch_execz .LBB26_145
; %bb.144:
	scratch_load_dwordx2 v[2:3], off, off offset:120
	v_mov_b32_e32 v4, 0
	v_mov_b32_e32 v5, v4
	scratch_store_dwordx2 off, v[4:5], off offset:120
	s_waitcnt vmcnt(1)
	ds_write_b64 v1, v[2:3]
.LBB26_145:
	s_or_b64 exec, exec, s[0:1]
	s_waitcnt lgkmcnt(0)
	; wave barrier
	scratch_load_dwordx4 v[4:7], off, off offset:128
	scratch_load_dwordx4 v[8:11], off, off offset:144
	;; [unrolled: 1-line block ×5, first 2 shown]
	scratch_load_dwordx2 v[44:45], off, off offset:208
	scratch_load_dwordx2 v[46:47], off, off offset:120
	v_mov_b32_e32 v2, 0
	ds_read_b128 v[24:27], v2 offset:352
	ds_read_b128 v[28:31], v2 offset:368
	;; [unrolled: 1-line block ×5, first 2 shown]
	ds_read_b64 v[48:49], v2 offset:432
	v_cmp_lt_u32_e32 vcc, 14, v0
	s_waitcnt vmcnt(6) lgkmcnt(5)
	v_mul_f32_e32 v3, v24, v5
	v_mul_f32_e32 v5, v25, v5
	;; [unrolled: 1-line block ×3, first 2 shown]
	s_waitcnt vmcnt(5) lgkmcnt(4)
	v_mul_f32_e32 v53, v28, v9
	v_mul_f32_e32 v7, v27, v7
	;; [unrolled: 1-line block ×3, first 2 shown]
	v_mov_b32_e32 v54, v11
	s_waitcnt vmcnt(3) lgkmcnt(2)
	v_pk_mul_f32 v[114:115], v[36:37], v[16:17] op_sel:[1,1] op_sel_hi:[0,1]
	s_waitcnt vmcnt(2) lgkmcnt(1)
	v_pk_mul_f32 v[118:119], v[40:41], v[20:21] op_sel:[1,1] op_sel_hi:[0,1]
	;; [unrolled: 2-line block ×3, first 2 shown]
	v_fmac_f32_e32 v3, v25, v4
	v_fma_f32 v55, v24, v4, -v5
	v_fmac_f32_e32 v51, v27, v6
	v_fmac_f32_e32 v53, v29, v8
	v_fma_f32 v50, v26, v6, -v7
	v_fma_f32 v52, v28, v8, -v9
	v_pk_mul_f32 v[4:5], v[30:31], v[54:55] op_sel:[1,0] op_sel_hi:[0,0]
	v_pk_fma_f32 v[24:25], v[36:37], v[16:17], v[114:115] neg_lo:[0,0,1] neg_hi:[0,0,1]
	v_pk_fma_f32 v[16:17], v[36:37], v[16:17], v[114:115] op_sel_hi:[1,0,1]
	v_pk_fma_f32 v[28:29], v[40:41], v[20:21], v[118:119] neg_lo:[0,0,1] neg_hi:[0,0,1]
	v_pk_fma_f32 v[20:21], v[40:41], v[20:21], v[118:119] op_sel_hi:[1,0,1]
	;; [unrolled: 2-line block ×3, first 2 shown]
	v_add_f32_e32 v45, 0, v3
	v_add_f32_e32 v44, 0, v55
	v_pk_mul_f32 v[110:111], v[32:33], v[12:13] op_sel:[1,1] op_sel_hi:[0,1]
	v_mov_b32_e32 v112, v15
	v_pk_fma_f32 v[48:49], v[30:31], v[10:11], v[4:5] neg_lo:[0,0,1] neg_hi:[0,0,1]
	v_pk_fma_f32 v[4:5], v[30:31], v[10:11], v[4:5] op_sel_hi:[1,0,1]
	v_mov_b32_e32 v29, v21
	v_pk_add_f32 v[20:21], v[44:45], v[50:51]
	v_pk_fma_f32 v[6:7], v[32:33], v[12:13], v[110:111] neg_lo:[0,0,1] neg_hi:[0,0,1]
	v_pk_fma_f32 v[8:9], v[32:33], v[12:13], v[110:111] op_sel_hi:[1,0,1]
	v_pk_mul_f32 v[12:13], v[34:35], v[112:113] op_sel:[1,0] op_sel_hi:[0,0]
	v_mov_b32_e32 v49, v5
	v_pk_add_f32 v[4:5], v[20:21], v[52:53]
	v_mov_b32_e32 v116, v19
	v_mov_b32_e32 v7, v9
	v_pk_fma_f32 v[8:9], v[34:35], v[14:15], v[12:13] neg_lo:[0,0,1] neg_hi:[0,0,1]
	v_pk_fma_f32 v[10:11], v[34:35], v[14:15], v[12:13] op_sel_hi:[1,0,1]
	v_pk_add_f32 v[4:5], v[4:5], v[48:49]
	v_pk_mul_f32 v[26:27], v[38:39], v[116:117] op_sel:[1,0] op_sel_hi:[0,0]
	v_mov_b32_e32 v9, v11
	v_pk_add_f32 v[4:5], v[4:5], v[6:7]
	v_mov_b32_e32 v120, v23
	v_mov_b32_e32 v25, v17
	v_pk_fma_f32 v[12:13], v[38:39], v[18:19], v[26:27] neg_lo:[0,0,1] neg_hi:[0,0,1]
	v_pk_fma_f32 v[14:15], v[38:39], v[18:19], v[26:27] op_sel_hi:[1,0,1]
	v_pk_add_f32 v[4:5], v[4:5], v[8:9]
	v_pk_mul_f32 v[32:33], v[42:43], v[120:121] op_sel:[1,0] op_sel_hi:[0,0]
	v_mov_b32_e32 v13, v15
	v_pk_add_f32 v[4:5], v[4:5], v[24:25]
	v_pk_fma_f32 v[16:17], v[42:43], v[22:23], v[32:33] neg_lo:[0,0,1] neg_hi:[0,0,1]
	v_pk_fma_f32 v[18:19], v[42:43], v[22:23], v[32:33] op_sel_hi:[1,0,1]
	v_pk_add_f32 v[4:5], v[4:5], v[12:13]
	v_mov_b32_e32 v17, v19
	v_pk_add_f32 v[4:5], v[4:5], v[28:29]
	v_mov_b32_e32 v37, v41
	v_pk_add_f32 v[4:5], v[4:5], v[16:17]
	s_nop 0
	v_pk_add_f32 v[4:5], v[4:5], v[36:37]
	s_waitcnt vmcnt(0)
	v_pk_add_f32 v[4:5], v[46:47], v[4:5] neg_lo:[0,1] neg_hi:[0,1]
	scratch_store_dwordx2 off, v[4:5], off offset:120
	s_and_saveexec_b64 s[0:1], vcc
	s_cbranch_execz .LBB26_147
; %bb.146:
	scratch_load_dwordx2 v[4:5], off, off offset:112
	v_mov_b32_e32 v3, v2
	scratch_store_dwordx2 off, v[2:3], off offset:112
	s_waitcnt vmcnt(1)
	ds_write_b64 v1, v[4:5]
.LBB26_147:
	s_or_b64 exec, exec, s[0:1]
	s_waitcnt lgkmcnt(0)
	; wave barrier
	scratch_load_dwordx4 v[4:7], off, off offset:120
	scratch_load_dwordx4 v[8:11], off, off offset:136
	;; [unrolled: 1-line block ×6, first 2 shown]
	scratch_load_dwordx2 v[52:53], off, off offset:112
	ds_read2_b64 v[28:31], v2 offset0:43 offset1:44
	ds_read2_b64 v[32:35], v2 offset0:45 offset1:46
	;; [unrolled: 1-line block ×6, first 2 shown]
	v_cmp_lt_u32_e32 vcc, 13, v0
	s_waitcnt vmcnt(6) lgkmcnt(5)
	v_mul_f32_e32 v113, v28, v5
	v_mul_f32_e32 v117, v30, v7
	s_waitcnt vmcnt(5) lgkmcnt(4)
	v_mul_f32_e32 v3, v32, v9
	v_mul_f32_e32 v2, v29, v5
	;; [unrolled: 1-line block ×4, first 2 shown]
	s_waitcnt vmcnt(1) lgkmcnt(0)
	v_pk_mul_f32 v[122:123], v[48:49], v[24:25] op_sel:[1,1] op_sel_hi:[0,1]
	v_pk_mul_f32 v[110:111], v[36:37], v[12:13] op_sel:[1,1] op_sel_hi:[0,1]
	v_fmac_f32_e32 v113, v29, v4
	v_fmac_f32_e32 v3, v33, v8
	v_fma_f32 v121, v28, v4, -v2
	v_fma_f32 v2, v32, v8, -v7
	v_pk_fma_f32 v[32:33], v[48:49], v[24:25], v[122:123] neg_lo:[0,0,1] neg_hi:[0,0,1]
	v_pk_fma_f32 v[24:25], v[48:49], v[24:25], v[122:123] op_sel_hi:[1,0,1]
	v_fmac_f32_e32 v117, v31, v6
	v_fma_f32 v125, v30, v6, -v5
	v_pk_fma_f32 v[4:5], v[36:37], v[12:13], v[110:111] neg_lo:[0,0,1] neg_hi:[0,0,1]
	v_pk_fma_f32 v[6:7], v[36:37], v[12:13], v[110:111] op_sel_hi:[1,0,1]
	v_add_f32_e32 v24, 0, v113
	v_add_f32_e32 v36, 0, v121
	v_mul_f32_e32 v55, v34, v11
	v_mul_f32_e32 v9, v35, v11
	v_mov_b32_e32 v112, v15
	v_mov_b32_e32 v33, v25
	v_add_f32_e32 v25, v24, v117
	v_add_f32_e32 v24, v36, v125
	v_fmac_f32_e32 v55, v35, v10
	v_fma_f32 v54, v34, v10, -v9
	v_pk_mul_f32 v[8:9], v[38:39], v[112:113] op_sel:[1,0] op_sel_hi:[0,0]
	v_pk_add_f32 v[2:3], v[24:25], v[2:3]
	v_pk_mul_f32 v[114:115], v[40:41], v[16:17] op_sel:[1,1] op_sel_hi:[0,1]
	v_mov_b32_e32 v116, v19
	v_mov_b32_e32 v5, v7
	v_pk_fma_f32 v[6:7], v[38:39], v[14:15], v[8:9] neg_lo:[0,0,1] neg_hi:[0,0,1]
	v_pk_fma_f32 v[8:9], v[38:39], v[14:15], v[8:9] op_sel_hi:[1,0,1]
	v_pk_add_f32 v[2:3], v[2:3], v[54:55]
	v_pk_fma_f32 v[10:11], v[40:41], v[16:17], v[114:115] neg_lo:[0,0,1] neg_hi:[0,0,1]
	v_pk_fma_f32 v[12:13], v[40:41], v[16:17], v[114:115] op_sel_hi:[1,0,1]
	v_pk_mul_f32 v[16:17], v[42:43], v[116:117] op_sel:[1,0] op_sel_hi:[0,0]
	v_mov_b32_e32 v7, v9
	v_pk_add_f32 v[2:3], v[2:3], v[4:5]
	v_pk_mul_f32 v[118:119], v[44:45], v[20:21] op_sel:[1,1] op_sel_hi:[0,1]
	v_mov_b32_e32 v120, v23
	v_mov_b32_e32 v11, v13
	v_pk_fma_f32 v[12:13], v[42:43], v[18:19], v[16:17] neg_lo:[0,0,1] neg_hi:[0,0,1]
	v_pk_fma_f32 v[14:15], v[42:43], v[18:19], v[16:17] op_sel_hi:[1,0,1]
	v_pk_add_f32 v[2:3], v[2:3], v[6:7]
	v_pk_fma_f32 v[28:29], v[44:45], v[20:21], v[118:119] neg_lo:[0,0,1] neg_hi:[0,0,1]
	v_pk_fma_f32 v[20:21], v[44:45], v[20:21], v[118:119] op_sel_hi:[1,0,1]
	v_pk_mul_f32 v[30:31], v[46:47], v[120:121] op_sel:[1,0] op_sel_hi:[0,0]
	v_mov_b32_e32 v13, v15
	v_pk_add_f32 v[2:3], v[2:3], v[10:11]
	v_mov_b32_e32 v124, v27
	v_mov_b32_e32 v29, v21
	v_pk_fma_f32 v[16:17], v[46:47], v[22:23], v[30:31] neg_lo:[0,0,1] neg_hi:[0,0,1]
	v_pk_fma_f32 v[18:19], v[46:47], v[22:23], v[30:31] op_sel_hi:[1,0,1]
	v_pk_add_f32 v[2:3], v[2:3], v[12:13]
	v_pk_mul_f32 v[34:35], v[50:51], v[124:125] op_sel:[1,0] op_sel_hi:[0,0]
	v_mov_b32_e32 v17, v19
	v_pk_add_f32 v[2:3], v[2:3], v[28:29]
	v_pk_fma_f32 v[20:21], v[50:51], v[26:27], v[34:35] neg_lo:[0,0,1] neg_hi:[0,0,1]
	v_pk_fma_f32 v[22:23], v[50:51], v[26:27], v[34:35] op_sel_hi:[1,0,1]
	v_pk_add_f32 v[2:3], v[2:3], v[16:17]
	v_mov_b32_e32 v21, v23
	v_pk_add_f32 v[2:3], v[2:3], v[32:33]
	s_nop 0
	v_pk_add_f32 v[2:3], v[2:3], v[20:21]
	s_waitcnt vmcnt(0)
	v_pk_add_f32 v[2:3], v[52:53], v[2:3] neg_lo:[0,1] neg_hi:[0,1]
	scratch_store_dwordx2 off, v[2:3], off offset:112
	s_and_saveexec_b64 s[0:1], vcc
	s_cbranch_execz .LBB26_149
; %bb.148:
	scratch_load_dwordx2 v[2:3], off, off offset:104
	v_mov_b32_e32 v4, 0
	v_mov_b32_e32 v5, v4
	scratch_store_dwordx2 off, v[4:5], off offset:104
	s_waitcnt vmcnt(1)
	ds_write_b64 v1, v[2:3]
.LBB26_149:
	s_or_b64 exec, exec, s[0:1]
	s_waitcnt lgkmcnt(0)
	; wave barrier
	scratch_load_dwordx4 v[4:7], off, off offset:112
	scratch_load_dwordx4 v[8:11], off, off offset:128
	;; [unrolled: 1-line block ×6, first 2 shown]
	scratch_load_dwordx2 v[52:53], off, off offset:208
	scratch_load_dwordx2 v[54:55], off, off offset:104
	v_mov_b32_e32 v2, 0
	ds_read_b128 v[28:31], v2 offset:336
	ds_read_b128 v[32:35], v2 offset:352
	;; [unrolled: 1-line block ×6, first 2 shown]
	ds_read_b64 v[110:111], v2 offset:432
	v_cmp_lt_u32_e32 vcc, 12, v0
	s_waitcnt vmcnt(7) lgkmcnt(6)
	v_mul_f32_e32 v117, v30, v7
	v_mul_f32_e32 v3, v28, v5
	s_waitcnt vmcnt(5) lgkmcnt(4)
	v_mul_f32_e32 v115, v36, v13
	v_mul_f32_e32 v5, v29, v5
	v_mov_b32_e32 v116, v15
	s_waitcnt vmcnt(2) lgkmcnt(1)
	v_pk_mul_f32 v[126:127], v[48:49], v[24:25] op_sel:[1,1] op_sel_hi:[0,1]
	v_fmac_f32_e32 v117, v31, v6
	v_mul_f32_e32 v7, v31, v7
	v_mul_f32_e32 v13, v37, v13
	v_fmac_f32_e32 v3, v29, v4
	v_fmac_f32_e32 v115, v37, v12
	v_fma_f32 v37, v28, v4, -v5
	v_pk_mul_f32 v[4:5], v[38:39], v[116:117] op_sel:[1,0] op_sel_hi:[0,0]
	v_pk_fma_f32 v[28:29], v[48:49], v[24:25], v[126:127] neg_lo:[0,0,1] neg_hi:[0,0,1]
	v_pk_fma_f32 v[24:25], v[48:49], v[24:25], v[126:127] op_sel_hi:[1,0,1]
	v_mul_f32_e32 v121, v32, v9
	v_mul_f32_e32 v9, v33, v9
	v_fma_f32 v125, v30, v6, -v7
	v_fma_f32 v114, v36, v12, -v13
	v_add_f32_e32 v3, 0, v3
	v_add_f32_e32 v24, 0, v37
	v_pk_fma_f32 v[36:37], v[38:39], v[14:15], v[4:5] neg_lo:[0,0,1] neg_hi:[0,0,1]
	v_pk_fma_f32 v[4:5], v[38:39], v[14:15], v[4:5] op_sel_hi:[1,0,1]
	v_mul_f32_e32 v113, v34, v11
	v_mul_f32_e32 v11, v35, v11
	v_fmac_f32_e32 v121, v33, v8
	v_fma_f32 v129, v32, v8, -v9
	v_add_f32_e32 v3, v3, v117
	v_add_f32_e32 v4, v24, v125
	v_fmac_f32_e32 v113, v35, v10
	v_fma_f32 v112, v34, v10, -v11
	v_mov_b32_e32 v37, v5
	v_add_f32_e32 v5, v3, v121
	v_add_f32_e32 v4, v4, v129
	v_pk_mul_f32 v[118:119], v[40:41], v[16:17] op_sel:[1,1] op_sel_hi:[0,1]
	v_mov_b32_e32 v120, v19
	v_pk_add_f32 v[4:5], v[4:5], v[112:113]
	v_pk_fma_f32 v[6:7], v[40:41], v[16:17], v[118:119] neg_lo:[0,0,1] neg_hi:[0,0,1]
	v_pk_fma_f32 v[8:9], v[40:41], v[16:17], v[118:119] op_sel_hi:[1,0,1]
	v_pk_mul_f32 v[10:11], v[42:43], v[120:121] op_sel:[1,0] op_sel_hi:[0,0]
	v_pk_add_f32 v[4:5], v[4:5], v[114:115]
	v_pk_mul_f32 v[122:123], v[44:45], v[20:21] op_sel:[1,1] op_sel_hi:[0,1]
	v_mov_b32_e32 v124, v23
	v_mov_b32_e32 v7, v9
	v_pk_fma_f32 v[8:9], v[42:43], v[18:19], v[10:11] neg_lo:[0,0,1] neg_hi:[0,0,1]
	v_pk_fma_f32 v[10:11], v[42:43], v[18:19], v[10:11] op_sel_hi:[1,0,1]
	v_pk_add_f32 v[4:5], v[4:5], v[36:37]
	v_pk_fma_f32 v[12:13], v[44:45], v[20:21], v[122:123] neg_lo:[0,0,1] neg_hi:[0,0,1]
	v_pk_fma_f32 v[16:17], v[44:45], v[20:21], v[122:123] op_sel_hi:[1,0,1]
	v_pk_mul_f32 v[20:21], v[46:47], v[124:125] op_sel:[1,0] op_sel_hi:[0,0]
	v_mov_b32_e32 v9, v11
	v_pk_add_f32 v[4:5], v[4:5], v[6:7]
	v_mov_b32_e32 v128, v27
	v_mov_b32_e32 v13, v17
	v_pk_fma_f32 v[14:15], v[46:47], v[22:23], v[20:21] neg_lo:[0,0,1] neg_hi:[0,0,1]
	v_pk_fma_f32 v[16:17], v[46:47], v[22:23], v[20:21] op_sel_hi:[1,0,1]
	v_pk_add_f32 v[4:5], v[4:5], v[8:9]
	v_pk_mul_f32 v[30:31], v[50:51], v[128:129] op_sel:[1,0] op_sel_hi:[0,0]
	v_mov_b32_e32 v15, v17
	v_pk_add_f32 v[4:5], v[4:5], v[12:13]
	s_waitcnt vmcnt(1) lgkmcnt(0)
	v_pk_mul_f32 v[130:131], v[110:111], v[52:53] op_sel:[1,1] op_sel_hi:[0,1]
	v_mov_b32_e32 v29, v25
	v_pk_fma_f32 v[18:19], v[50:51], v[26:27], v[30:31] neg_lo:[0,0,1] neg_hi:[0,0,1]
	v_pk_fma_f32 v[20:21], v[50:51], v[26:27], v[30:31] op_sel_hi:[1,0,1]
	v_pk_add_f32 v[4:5], v[4:5], v[14:15]
	v_pk_fma_f32 v[32:33], v[110:111], v[52:53], v[130:131] neg_lo:[0,0,1] neg_hi:[0,0,1]
	v_pk_fma_f32 v[34:35], v[110:111], v[52:53], v[130:131] op_sel_hi:[1,0,1]
	v_mov_b32_e32 v19, v21
	v_pk_add_f32 v[4:5], v[4:5], v[28:29]
	v_mov_b32_e32 v33, v35
	v_pk_add_f32 v[4:5], v[4:5], v[18:19]
	s_nop 0
	v_pk_add_f32 v[4:5], v[4:5], v[32:33]
	s_waitcnt vmcnt(0)
	v_pk_add_f32 v[4:5], v[54:55], v[4:5] neg_lo:[0,1] neg_hi:[0,1]
	scratch_store_dwordx2 off, v[4:5], off offset:104
	s_and_saveexec_b64 s[0:1], vcc
	s_cbranch_execz .LBB26_151
; %bb.150:
	scratch_load_dwordx2 v[4:5], off, off offset:96
	v_mov_b32_e32 v3, v2
	scratch_store_dwordx2 off, v[2:3], off offset:96
	s_waitcnt vmcnt(1)
	ds_write_b64 v1, v[4:5]
.LBB26_151:
	s_or_b64 exec, exec, s[0:1]
	s_waitcnt lgkmcnt(0)
	; wave barrier
	scratch_load_dwordx4 v[8:11], off, off offset:104
	scratch_load_dwordx4 v[16:19], off, off offset:120
	ds_read2_b64 v[4:7], v2 offset0:41 offset1:42
	scratch_load_dwordx4 v[24:27], off, off offset:136
	v_cmp_lt_u32_e32 vcc, 11, v0
	s_waitcnt vmcnt(2) lgkmcnt(0)
	v_mul_f32_e32 v3, v4, v9
	v_fmac_f32_e32 v3, v5, v8
	v_mul_f32_e32 v12, v6, v11
	v_add_f32_e32 v3, 0, v3
	v_fmac_f32_e32 v12, v7, v10
	v_add_f32_e32 v3, v3, v12
	ds_read2_b64 v[12:15], v2 offset0:43 offset1:44
	s_waitcnt vmcnt(1) lgkmcnt(0)
	v_mul_f32_e32 v20, v12, v17
	v_fmac_f32_e32 v20, v13, v16
	v_add_f32_e32 v3, v3, v20
	v_mul_f32_e32 v20, v14, v19
	v_fmac_f32_e32 v20, v15, v18
	v_add_f32_e32 v45, v3, v20
	ds_read2_b64 v[20:23], v2 offset0:45 offset1:46
	scratch_load_dwordx4 v[28:31], off, off offset:152
	scratch_load_dwordx4 v[32:35], off, off offset:168
	;; [unrolled: 1-line block ×4, first 2 shown]
	v_mul_f32_e32 v3, v5, v9
	v_fma_f32 v3, v4, v8, -v3
	v_mul_f32_e32 v4, v7, v11
	v_add_f32_e32 v3, 0, v3
	v_fma_f32 v4, v6, v10, -v4
	v_add_f32_e32 v3, v3, v4
	v_mul_f32_e32 v4, v13, v17
	v_fma_f32 v4, v12, v16, -v4
	v_add_f32_e32 v3, v3, v4
	v_mul_f32_e32 v4, v15, v19
	v_fma_f32 v4, v14, v18, -v4
	v_add_f32_e32 v44, v3, v4
	ds_read2_b64 v[4:7], v2 offset0:47 offset1:48
	ds_read2_b64 v[8:11], v2 offset0:49 offset1:50
	;; [unrolled: 1-line block ×4, first 2 shown]
	s_waitcnt vmcnt(4) lgkmcnt(4)
	v_mul_f32_e32 v47, v20, v25
	v_mul_f32_e32 v3, v21, v25
	v_fmac_f32_e32 v47, v21, v24
	v_mul_f32_e32 v49, v22, v27
	v_fma_f32 v46, v20, v24, -v3
	v_mul_f32_e32 v3, v23, v27
	v_fmac_f32_e32 v49, v23, v26
	v_fma_f32 v48, v22, v26, -v3
	v_pk_add_f32 v[2:3], v[44:45], v[46:47]
	s_waitcnt vmcnt(3) lgkmcnt(3)
	v_pk_mul_f32 v[20:21], v[4:5], v[28:29] op_sel:[1,1] op_sel_hi:[0,1]
	v_pk_fma_f32 v[22:23], v[4:5], v[28:29], v[20:21] neg_lo:[0,0,1] neg_hi:[0,0,1]
	v_pk_fma_f32 v[4:5], v[4:5], v[28:29], v[20:21] op_sel_hi:[1,0,1]
	v_pk_add_f32 v[2:3], v[2:3], v[48:49]
	v_mov_b32_e32 v4, v31
	v_mov_b32_e32 v23, v5
	v_pk_mul_f32 v[4:5], v[6:7], v[4:5] op_sel:[1,0] op_sel_hi:[0,0]
	v_pk_fma_f32 v[20:21], v[6:7], v[30:31], v[4:5] neg_lo:[0,0,1] neg_hi:[0,0,1]
	v_pk_fma_f32 v[4:5], v[6:7], v[30:31], v[4:5] op_sel_hi:[1,0,1]
	v_pk_add_f32 v[2:3], v[2:3], v[22:23]
	v_mov_b32_e32 v21, v5
	s_waitcnt vmcnt(2) lgkmcnt(2)
	v_pk_mul_f32 v[4:5], v[8:9], v[32:33] op_sel:[1,1] op_sel_hi:[0,1]
	v_pk_fma_f32 v[6:7], v[8:9], v[32:33], v[4:5] neg_lo:[0,0,1] neg_hi:[0,0,1]
	v_pk_fma_f32 v[4:5], v[8:9], v[32:33], v[4:5] op_sel_hi:[1,0,1]
	v_pk_add_f32 v[2:3], v[2:3], v[20:21]
	v_mov_b32_e32 v4, v35
	v_mov_b32_e32 v7, v5
	v_pk_mul_f32 v[4:5], v[10:11], v[4:5] op_sel:[1,0] op_sel_hi:[0,0]
	v_pk_add_f32 v[2:3], v[2:3], v[6:7]
	v_pk_fma_f32 v[6:7], v[10:11], v[34:35], v[4:5] neg_lo:[0,0,1] neg_hi:[0,0,1]
	v_pk_fma_f32 v[4:5], v[10:11], v[34:35], v[4:5] op_sel_hi:[1,0,1]
	s_nop 0
	v_mov_b32_e32 v7, v5
	s_waitcnt vmcnt(1) lgkmcnt(1)
	v_pk_mul_f32 v[4:5], v[12:13], v[36:37] op_sel:[1,1] op_sel_hi:[0,1]
	v_pk_add_f32 v[2:3], v[2:3], v[6:7]
	v_pk_fma_f32 v[6:7], v[12:13], v[36:37], v[4:5] neg_lo:[0,0,1] neg_hi:[0,0,1]
	v_pk_fma_f32 v[4:5], v[12:13], v[36:37], v[4:5] op_sel_hi:[1,0,1]
	s_nop 0
	v_mov_b32_e32 v4, v39
	v_mov_b32_e32 v7, v5
	v_pk_mul_f32 v[4:5], v[14:15], v[4:5] op_sel:[1,0] op_sel_hi:[0,0]
	v_pk_add_f32 v[2:3], v[2:3], v[6:7]
	v_pk_fma_f32 v[6:7], v[14:15], v[38:39], v[4:5] neg_lo:[0,0,1] neg_hi:[0,0,1]
	v_pk_fma_f32 v[4:5], v[14:15], v[38:39], v[4:5] op_sel_hi:[1,0,1]
	s_nop 0
	v_mov_b32_e32 v7, v5
	s_waitcnt vmcnt(0) lgkmcnt(0)
	v_pk_mul_f32 v[4:5], v[16:17], v[40:41] op_sel:[1,1] op_sel_hi:[0,1]
	v_pk_add_f32 v[2:3], v[2:3], v[6:7]
	v_pk_fma_f32 v[6:7], v[16:17], v[40:41], v[4:5] neg_lo:[0,0,1] neg_hi:[0,0,1]
	v_pk_fma_f32 v[4:5], v[16:17], v[40:41], v[4:5] op_sel_hi:[1,0,1]
	s_nop 0
	v_mov_b32_e32 v4, v43
	v_mov_b32_e32 v7, v5
	v_pk_mul_f32 v[4:5], v[18:19], v[4:5] op_sel:[1,0] op_sel_hi:[0,0]
	v_pk_add_f32 v[2:3], v[2:3], v[6:7]
	v_pk_fma_f32 v[6:7], v[18:19], v[42:43], v[4:5] neg_lo:[0,0,1] neg_hi:[0,0,1]
	v_pk_fma_f32 v[4:5], v[18:19], v[42:43], v[4:5] op_sel_hi:[1,0,1]
	s_nop 0
	v_mov_b32_e32 v7, v5
	scratch_load_dwordx2 v[4:5], off, off offset:96
	v_pk_add_f32 v[2:3], v[2:3], v[6:7]
	s_waitcnt vmcnt(0)
	v_pk_add_f32 v[2:3], v[4:5], v[2:3] neg_lo:[0,1] neg_hi:[0,1]
	scratch_store_dwordx2 off, v[2:3], off offset:96
	s_and_saveexec_b64 s[0:1], vcc
	s_cbranch_execz .LBB26_153
; %bb.152:
	scratch_load_dwordx2 v[2:3], off, off offset:88
	v_mov_b32_e32 v4, 0
	v_mov_b32_e32 v5, v4
	scratch_store_dwordx2 off, v[4:5], off offset:88
	s_waitcnt vmcnt(1)
	ds_write_b64 v1, v[2:3]
.LBB26_153:
	s_or_b64 exec, exec, s[0:1]
	v_mov_b32_e32 v2, 0
	s_waitcnt lgkmcnt(0)
	; wave barrier
	ds_read_b128 v[4:7], v2 offset:320
	ds_read_b128 v[8:11], v2 offset:336
	;; [unrolled: 1-line block ×4, first 2 shown]
	scratch_load_dwordx4 v[20:23], off, off offset:96
	v_cmp_lt_u32_e32 vcc, 10, v0
	s_waitcnt vmcnt(0) lgkmcnt(3)
	v_mul_f32_e32 v3, v4, v21
	v_fmac_f32_e32 v3, v5, v20
	v_mul_f32_e32 v24, v6, v23
	v_add_f32_e32 v3, 0, v3
	v_fmac_f32_e32 v24, v7, v22
	v_add_f32_e32 v3, v3, v24
	scratch_load_dwordx4 v[24:27], off, off offset:112
	s_waitcnt vmcnt(0) lgkmcnt(2)
	v_mul_f32_e32 v28, v8, v25
	v_fmac_f32_e32 v28, v9, v24
	v_add_f32_e32 v3, v3, v28
	v_mul_f32_e32 v28, v10, v27
	v_fmac_f32_e32 v28, v11, v26
	v_add_f32_e32 v3, v3, v28
	scratch_load_dwordx4 v[28:31], off, off offset:128
	s_waitcnt vmcnt(0) lgkmcnt(1)
	v_mul_f32_e32 v32, v12, v29
	v_fmac_f32_e32 v32, v13, v28
	v_add_f32_e32 v49, v3, v32
	scratch_load_dwordx4 v[32:35], off, off offset:144
	scratch_load_dwordx4 v[36:39], off, off offset:160
	;; [unrolled: 1-line block ×4, first 2 shown]
	scratch_load_dwordx2 v[54:55], off, off offset:208
	v_mul_f32_e32 v3, v5, v21
	v_fma_f32 v3, v4, v20, -v3
	v_mul_f32_e32 v4, v7, v23
	v_add_f32_e32 v3, 0, v3
	v_fma_f32 v4, v6, v22, -v4
	v_add_f32_e32 v3, v3, v4
	v_mul_f32_e32 v4, v9, v25
	v_fma_f32 v4, v8, v24, -v4
	v_add_f32_e32 v3, v3, v4
	v_mul_f32_e32 v4, v11, v27
	;; [unrolled: 3-line block ×3, first 2 shown]
	v_fma_f32 v4, v12, v28, -v4
	v_mul_f32_e32 v51, v14, v31
	v_add_f32_e32 v48, v3, v4
	v_mul_f32_e32 v3, v15, v31
	v_fmac_f32_e32 v51, v15, v30
	v_fma_f32 v50, v14, v30, -v3
	v_pk_add_f32 v[20:21], v[48:49], v[50:51]
	s_waitcnt vmcnt(4)
	v_mov_b32_e32 v22, v35
	s_waitcnt lgkmcnt(0)
	v_mul_f32_e32 v53, v16, v33
	v_mul_f32_e32 v3, v17, v33
	v_pk_mul_f32 v[22:23], v[18:19], v[22:23] op_sel:[1,0] op_sel_hi:[0,0]
	v_fmac_f32_e32 v53, v17, v32
	v_fma_f32 v52, v16, v32, -v3
	ds_read_b128 v[4:7], v2 offset:384
	ds_read_b128 v[8:11], v2 offset:400
	;; [unrolled: 1-line block ×3, first 2 shown]
	ds_read_b64 v[16:17], v2 offset:432
	v_pk_fma_f32 v[24:25], v[18:19], v[34:35], v[22:23] neg_lo:[0,0,1] neg_hi:[0,0,1]
	v_pk_fma_f32 v[18:19], v[18:19], v[34:35], v[22:23] op_sel_hi:[1,0,1]
	v_pk_add_f32 v[20:21], v[20:21], v[52:53]
	v_mov_b32_e32 v25, v19
	v_pk_add_f32 v[18:19], v[20:21], v[24:25]
	s_waitcnt vmcnt(3) lgkmcnt(3)
	v_pk_mul_f32 v[20:21], v[4:5], v[36:37] op_sel:[1,1] op_sel_hi:[0,1]
	v_pk_fma_f32 v[22:23], v[4:5], v[36:37], v[20:21] neg_lo:[0,0,1] neg_hi:[0,0,1]
	v_pk_fma_f32 v[4:5], v[4:5], v[36:37], v[20:21] op_sel_hi:[1,0,1]
	s_nop 0
	v_mov_b32_e32 v23, v5
	v_pk_add_f32 v[4:5], v[18:19], v[22:23]
	v_mov_b32_e32 v18, v39
	v_pk_mul_f32 v[18:19], v[6:7], v[18:19] op_sel:[1,0] op_sel_hi:[0,0]
	v_pk_fma_f32 v[20:21], v[6:7], v[38:39], v[18:19] neg_lo:[0,0,1] neg_hi:[0,0,1]
	v_pk_fma_f32 v[6:7], v[6:7], v[38:39], v[18:19] op_sel_hi:[1,0,1]
	s_nop 0
	v_mov_b32_e32 v21, v7
	s_waitcnt vmcnt(2) lgkmcnt(2)
	v_pk_mul_f32 v[6:7], v[8:9], v[40:41] op_sel:[1,1] op_sel_hi:[0,1]
	v_pk_fma_f32 v[18:19], v[8:9], v[40:41], v[6:7] neg_lo:[0,0,1] neg_hi:[0,0,1]
	v_pk_fma_f32 v[6:7], v[8:9], v[40:41], v[6:7] op_sel_hi:[1,0,1]
	v_pk_add_f32 v[4:5], v[4:5], v[20:21]
	v_mov_b32_e32 v6, v43
	v_mov_b32_e32 v19, v7
	v_pk_mul_f32 v[6:7], v[10:11], v[6:7] op_sel:[1,0] op_sel_hi:[0,0]
	v_pk_fma_f32 v[8:9], v[10:11], v[42:43], v[6:7] neg_lo:[0,0,1] neg_hi:[0,0,1]
	v_pk_fma_f32 v[6:7], v[10:11], v[42:43], v[6:7] op_sel_hi:[1,0,1]
	v_pk_add_f32 v[4:5], v[4:5], v[18:19]
	v_mov_b32_e32 v9, v7
	s_waitcnt vmcnt(1) lgkmcnt(1)
	v_pk_mul_f32 v[6:7], v[12:13], v[44:45] op_sel:[1,1] op_sel_hi:[0,1]
	v_pk_add_f32 v[4:5], v[4:5], v[8:9]
	v_pk_fma_f32 v[8:9], v[12:13], v[44:45], v[6:7] neg_lo:[0,0,1] neg_hi:[0,0,1]
	v_pk_fma_f32 v[6:7], v[12:13], v[44:45], v[6:7] op_sel_hi:[1,0,1]
	s_nop 0
	v_mov_b32_e32 v6, v47
	v_mov_b32_e32 v9, v7
	v_pk_mul_f32 v[6:7], v[14:15], v[6:7] op_sel:[1,0] op_sel_hi:[0,0]
	v_pk_add_f32 v[4:5], v[4:5], v[8:9]
	v_pk_fma_f32 v[8:9], v[14:15], v[46:47], v[6:7] neg_lo:[0,0,1] neg_hi:[0,0,1]
	v_pk_fma_f32 v[6:7], v[14:15], v[46:47], v[6:7] op_sel_hi:[1,0,1]
	s_nop 0
	v_mov_b32_e32 v9, v7
	s_waitcnt vmcnt(0) lgkmcnt(0)
	v_pk_mul_f32 v[6:7], v[16:17], v[54:55] op_sel:[1,1] op_sel_hi:[0,1]
	v_pk_add_f32 v[4:5], v[4:5], v[8:9]
	v_pk_fma_f32 v[8:9], v[16:17], v[54:55], v[6:7] neg_lo:[0,0,1] neg_hi:[0,0,1]
	v_pk_fma_f32 v[6:7], v[16:17], v[54:55], v[6:7] op_sel_hi:[1,0,1]
	s_nop 0
	v_mov_b32_e32 v9, v7
	scratch_load_dwordx2 v[6:7], off, off offset:88
	v_pk_add_f32 v[4:5], v[4:5], v[8:9]
	s_waitcnt vmcnt(0)
	v_pk_add_f32 v[4:5], v[6:7], v[4:5] neg_lo:[0,1] neg_hi:[0,1]
	scratch_store_dwordx2 off, v[4:5], off offset:88
	s_and_saveexec_b64 s[0:1], vcc
	s_cbranch_execz .LBB26_155
; %bb.154:
	scratch_load_dwordx2 v[4:5], off, off offset:80
	v_mov_b32_e32 v3, v2
	scratch_store_dwordx2 off, v[2:3], off offset:80
	s_waitcnt vmcnt(1)
	ds_write_b64 v1, v[4:5]
.LBB26_155:
	s_or_b64 exec, exec, s[0:1]
	s_waitcnt lgkmcnt(0)
	; wave barrier
	scratch_load_dwordx4 v[8:11], off, off offset:88
	scratch_load_dwordx4 v[16:19], off, off offset:104
	;; [unrolled: 1-line block ×4, first 2 shown]
	ds_read2_b64 v[4:7], v2 offset0:39 offset1:40
	v_cmp_lt_u32_e32 vcc, 9, v0
	s_waitcnt vmcnt(3) lgkmcnt(0)
	v_mul_f32_e32 v3, v4, v9
	v_fmac_f32_e32 v3, v5, v8
	v_mul_f32_e32 v12, v6, v11
	v_add_f32_e32 v3, 0, v3
	v_fmac_f32_e32 v12, v7, v10
	v_add_f32_e32 v3, v3, v12
	ds_read2_b64 v[12:15], v2 offset0:41 offset1:42
	s_waitcnt vmcnt(2) lgkmcnt(0)
	v_mul_f32_e32 v20, v12, v17
	v_fmac_f32_e32 v20, v13, v16
	v_add_f32_e32 v3, v3, v20
	v_mul_f32_e32 v20, v14, v19
	v_fmac_f32_e32 v20, v15, v18
	v_add_f32_e32 v3, v3, v20
	ds_read2_b64 v[20:23], v2 offset0:43 offset1:44
	s_waitcnt vmcnt(1) lgkmcnt(0)
	v_mul_f32_e32 v28, v20, v25
	v_fmac_f32_e32 v28, v21, v24
	v_add_f32_e32 v3, v3, v28
	v_mul_f32_e32 v28, v22, v27
	v_fmac_f32_e32 v28, v23, v26
	v_add_f32_e32 v53, v3, v28
	ds_read2_b64 v[28:31], v2 offset0:45 offset1:46
	scratch_load_dwordx4 v[36:39], off, off offset:152
	scratch_load_dwordx4 v[40:43], off, off offset:168
	;; [unrolled: 1-line block ×4, first 2 shown]
	v_mul_f32_e32 v3, v5, v9
	v_fma_f32 v3, v4, v8, -v3
	v_mul_f32_e32 v4, v7, v11
	v_add_f32_e32 v3, 0, v3
	v_fma_f32 v4, v6, v10, -v4
	v_add_f32_e32 v3, v3, v4
	v_mul_f32_e32 v4, v13, v17
	v_fma_f32 v4, v12, v16, -v4
	v_add_f32_e32 v3, v3, v4
	v_mul_f32_e32 v4, v15, v19
	v_fma_f32 v4, v14, v18, -v4
	v_add_f32_e32 v3, v3, v4
	v_mul_f32_e32 v4, v21, v25
	v_fma_f32 v4, v20, v24, -v4
	v_add_f32_e32 v3, v3, v4
	v_mul_f32_e32 v4, v23, v27
	v_fma_f32 v4, v22, v26, -v4
	v_add_f32_e32 v52, v3, v4
	ds_read2_b64 v[4:7], v2 offset0:47 offset1:48
	ds_read2_b64 v[8:11], v2 offset0:49 offset1:50
	;; [unrolled: 1-line block ×4, first 2 shown]
	s_waitcnt vmcnt(4) lgkmcnt(4)
	v_mul_f32_e32 v55, v28, v33
	v_mul_f32_e32 v3, v29, v33
	v_fmac_f32_e32 v55, v29, v32
	v_mul_f32_e32 v111, v30, v35
	v_fma_f32 v54, v28, v32, -v3
	v_mul_f32_e32 v3, v31, v35
	v_fmac_f32_e32 v111, v31, v34
	v_fma_f32 v110, v30, v34, -v3
	v_pk_add_f32 v[2:3], v[52:53], v[54:55]
	s_waitcnt vmcnt(3) lgkmcnt(3)
	v_pk_mul_f32 v[20:21], v[4:5], v[36:37] op_sel:[1,1] op_sel_hi:[0,1]
	v_pk_fma_f32 v[22:23], v[4:5], v[36:37], v[20:21] neg_lo:[0,0,1] neg_hi:[0,0,1]
	v_pk_fma_f32 v[4:5], v[4:5], v[36:37], v[20:21] op_sel_hi:[1,0,1]
	v_pk_add_f32 v[2:3], v[2:3], v[110:111]
	v_mov_b32_e32 v4, v39
	v_mov_b32_e32 v23, v5
	v_pk_mul_f32 v[4:5], v[6:7], v[4:5] op_sel:[1,0] op_sel_hi:[0,0]
	v_pk_fma_f32 v[20:21], v[6:7], v[38:39], v[4:5] neg_lo:[0,0,1] neg_hi:[0,0,1]
	v_pk_fma_f32 v[4:5], v[6:7], v[38:39], v[4:5] op_sel_hi:[1,0,1]
	v_pk_add_f32 v[2:3], v[2:3], v[22:23]
	v_mov_b32_e32 v21, v5
	s_waitcnt vmcnt(2) lgkmcnt(2)
	v_pk_mul_f32 v[4:5], v[8:9], v[40:41] op_sel:[1,1] op_sel_hi:[0,1]
	v_pk_fma_f32 v[6:7], v[8:9], v[40:41], v[4:5] neg_lo:[0,0,1] neg_hi:[0,0,1]
	v_pk_fma_f32 v[4:5], v[8:9], v[40:41], v[4:5] op_sel_hi:[1,0,1]
	v_pk_add_f32 v[2:3], v[2:3], v[20:21]
	v_mov_b32_e32 v4, v43
	v_mov_b32_e32 v7, v5
	v_pk_mul_f32 v[4:5], v[10:11], v[4:5] op_sel:[1,0] op_sel_hi:[0,0]
	v_pk_add_f32 v[2:3], v[2:3], v[6:7]
	v_pk_fma_f32 v[6:7], v[10:11], v[42:43], v[4:5] neg_lo:[0,0,1] neg_hi:[0,0,1]
	v_pk_fma_f32 v[4:5], v[10:11], v[42:43], v[4:5] op_sel_hi:[1,0,1]
	s_nop 0
	v_mov_b32_e32 v7, v5
	s_waitcnt vmcnt(1) lgkmcnt(1)
	v_pk_mul_f32 v[4:5], v[12:13], v[44:45] op_sel:[1,1] op_sel_hi:[0,1]
	v_pk_add_f32 v[2:3], v[2:3], v[6:7]
	v_pk_fma_f32 v[6:7], v[12:13], v[44:45], v[4:5] neg_lo:[0,0,1] neg_hi:[0,0,1]
	v_pk_fma_f32 v[4:5], v[12:13], v[44:45], v[4:5] op_sel_hi:[1,0,1]
	s_nop 0
	v_mov_b32_e32 v4, v47
	v_mov_b32_e32 v7, v5
	v_pk_mul_f32 v[4:5], v[14:15], v[4:5] op_sel:[1,0] op_sel_hi:[0,0]
	v_pk_add_f32 v[2:3], v[2:3], v[6:7]
	v_pk_fma_f32 v[6:7], v[14:15], v[46:47], v[4:5] neg_lo:[0,0,1] neg_hi:[0,0,1]
	v_pk_fma_f32 v[4:5], v[14:15], v[46:47], v[4:5] op_sel_hi:[1,0,1]
	s_nop 0
	v_mov_b32_e32 v7, v5
	s_waitcnt vmcnt(0) lgkmcnt(0)
	v_pk_mul_f32 v[4:5], v[16:17], v[48:49] op_sel:[1,1] op_sel_hi:[0,1]
	v_pk_add_f32 v[2:3], v[2:3], v[6:7]
	v_pk_fma_f32 v[6:7], v[16:17], v[48:49], v[4:5] neg_lo:[0,0,1] neg_hi:[0,0,1]
	v_pk_fma_f32 v[4:5], v[16:17], v[48:49], v[4:5] op_sel_hi:[1,0,1]
	s_nop 0
	v_mov_b32_e32 v4, v51
	v_mov_b32_e32 v7, v5
	v_pk_mul_f32 v[4:5], v[18:19], v[4:5] op_sel:[1,0] op_sel_hi:[0,0]
	v_pk_add_f32 v[2:3], v[2:3], v[6:7]
	v_pk_fma_f32 v[6:7], v[18:19], v[50:51], v[4:5] neg_lo:[0,0,1] neg_hi:[0,0,1]
	v_pk_fma_f32 v[4:5], v[18:19], v[50:51], v[4:5] op_sel_hi:[1,0,1]
	s_nop 0
	v_mov_b32_e32 v7, v5
	scratch_load_dwordx2 v[4:5], off, off offset:80
	v_pk_add_f32 v[2:3], v[2:3], v[6:7]
	s_waitcnt vmcnt(0)
	v_pk_add_f32 v[2:3], v[4:5], v[2:3] neg_lo:[0,1] neg_hi:[0,1]
	scratch_store_dwordx2 off, v[2:3], off offset:80
	s_and_saveexec_b64 s[0:1], vcc
	s_cbranch_execz .LBB26_157
; %bb.156:
	scratch_load_dwordx2 v[2:3], off, off offset:72
	v_mov_b32_e32 v4, 0
	v_mov_b32_e32 v5, v4
	scratch_store_dwordx2 off, v[4:5], off offset:72
	s_waitcnt vmcnt(1)
	ds_write_b64 v1, v[2:3]
.LBB26_157:
	s_or_b64 exec, exec, s[0:1]
	v_mov_b32_e32 v2, 0
	s_waitcnt lgkmcnt(0)
	; wave barrier
	ds_read_b128 v[4:7], v2 offset:304
	ds_read_b128 v[8:11], v2 offset:320
	ds_read_b128 v[12:15], v2 offset:336
	ds_read_b128 v[16:19], v2 offset:352
	scratch_load_dwordx4 v[20:23], off, off offset:80
	scratch_load_dwordx4 v[40:43], off, off offset:144
	v_cmp_lt_u32_e32 vcc, 8, v0
	s_waitcnt vmcnt(1) lgkmcnt(3)
	v_mul_f32_e32 v3, v4, v21
	v_fmac_f32_e32 v3, v5, v20
	v_mul_f32_e32 v24, v6, v23
	v_add_f32_e32 v3, 0, v3
	v_fmac_f32_e32 v24, v7, v22
	v_add_f32_e32 v3, v3, v24
	scratch_load_dwordx4 v[24:27], off, off offset:96
	s_waitcnt vmcnt(0) lgkmcnt(2)
	v_mul_f32_e32 v28, v8, v25
	v_fmac_f32_e32 v28, v9, v24
	v_add_f32_e32 v3, v3, v28
	v_mul_f32_e32 v28, v10, v27
	v_fmac_f32_e32 v28, v11, v26
	v_add_f32_e32 v3, v3, v28
	scratch_load_dwordx4 v[28:31], off, off offset:112
	s_waitcnt vmcnt(0) lgkmcnt(1)
	v_mul_f32_e32 v32, v12, v29
	v_fmac_f32_e32 v32, v13, v28
	v_add_f32_e32 v3, v3, v32
	v_mul_f32_e32 v32, v14, v31
	v_fmac_f32_e32 v32, v15, v30
	v_add_f32_e32 v3, v3, v32
	scratch_load_dwordx4 v[32:35], off, off offset:128
	s_waitcnt vmcnt(0) lgkmcnt(0)
	v_mul_f32_e32 v36, v16, v33
	v_fmac_f32_e32 v36, v17, v32
	v_add_f32_e32 v111, v3, v36
	ds_read_b128 v[36:39], v2 offset:368
	scratch_load_dwordx4 v[44:47], off, off offset:160
	scratch_load_dwordx4 v[48:51], off, off offset:176
	;; [unrolled: 1-line block ×3, first 2 shown]
	scratch_load_dwordx2 v[116:117], off, off offset:208
	v_mul_f32_e32 v3, v5, v21
	v_fma_f32 v3, v4, v20, -v3
	v_mul_f32_e32 v4, v7, v23
	v_add_f32_e32 v3, 0, v3
	v_fma_f32 v4, v6, v22, -v4
	v_add_f32_e32 v3, v3, v4
	v_mul_f32_e32 v4, v9, v25
	v_fma_f32 v4, v8, v24, -v4
	v_add_f32_e32 v3, v3, v4
	v_mul_f32_e32 v4, v11, v27
	;; [unrolled: 3-line block ×5, first 2 shown]
	v_fma_f32 v4, v16, v32, -v4
	v_mul_f32_e32 v113, v18, v35
	v_add_f32_e32 v110, v3, v4
	v_mul_f32_e32 v3, v19, v35
	v_mov_b32_e32 v20, v43
	v_fmac_f32_e32 v113, v19, v34
	s_waitcnt lgkmcnt(0)
	v_mul_f32_e32 v115, v36, v41
	v_fma_f32 v112, v18, v34, -v3
	v_mul_f32_e32 v3, v37, v41
	ds_read_b128 v[4:7], v2 offset:384
	ds_read_b128 v[8:11], v2 offset:400
	;; [unrolled: 1-line block ×3, first 2 shown]
	ds_read_b64 v[16:17], v2 offset:432
	v_pk_mul_f32 v[20:21], v[38:39], v[20:21] op_sel:[1,0] op_sel_hi:[0,0]
	v_fmac_f32_e32 v115, v37, v40
	v_fma_f32 v114, v36, v40, -v3
	v_pk_add_f32 v[18:19], v[110:111], v[112:113]
	v_pk_fma_f32 v[22:23], v[38:39], v[42:43], v[20:21] neg_lo:[0,0,1] neg_hi:[0,0,1]
	v_pk_fma_f32 v[20:21], v[38:39], v[42:43], v[20:21] op_sel_hi:[1,0,1]
	v_pk_add_f32 v[18:19], v[18:19], v[114:115]
	v_mov_b32_e32 v23, v21
	v_pk_add_f32 v[18:19], v[18:19], v[22:23]
	s_waitcnt vmcnt(3) lgkmcnt(3)
	v_pk_mul_f32 v[20:21], v[4:5], v[44:45] op_sel:[1,1] op_sel_hi:[0,1]
	v_pk_fma_f32 v[22:23], v[4:5], v[44:45], v[20:21] neg_lo:[0,0,1] neg_hi:[0,0,1]
	v_pk_fma_f32 v[4:5], v[4:5], v[44:45], v[20:21] op_sel_hi:[1,0,1]
	s_nop 0
	v_mov_b32_e32 v23, v5
	v_pk_add_f32 v[4:5], v[18:19], v[22:23]
	v_mov_b32_e32 v18, v47
	v_pk_mul_f32 v[18:19], v[6:7], v[18:19] op_sel:[1,0] op_sel_hi:[0,0]
	v_pk_fma_f32 v[20:21], v[6:7], v[46:47], v[18:19] neg_lo:[0,0,1] neg_hi:[0,0,1]
	v_pk_fma_f32 v[6:7], v[6:7], v[46:47], v[18:19] op_sel_hi:[1,0,1]
	s_nop 0
	v_mov_b32_e32 v21, v7
	s_waitcnt vmcnt(2) lgkmcnt(2)
	v_pk_mul_f32 v[6:7], v[8:9], v[48:49] op_sel:[1,1] op_sel_hi:[0,1]
	v_pk_fma_f32 v[18:19], v[8:9], v[48:49], v[6:7] neg_lo:[0,0,1] neg_hi:[0,0,1]
	v_pk_fma_f32 v[6:7], v[8:9], v[48:49], v[6:7] op_sel_hi:[1,0,1]
	v_pk_add_f32 v[4:5], v[4:5], v[20:21]
	v_mov_b32_e32 v6, v51
	v_mov_b32_e32 v19, v7
	v_pk_mul_f32 v[6:7], v[10:11], v[6:7] op_sel:[1,0] op_sel_hi:[0,0]
	v_pk_fma_f32 v[8:9], v[10:11], v[50:51], v[6:7] neg_lo:[0,0,1] neg_hi:[0,0,1]
	v_pk_fma_f32 v[6:7], v[10:11], v[50:51], v[6:7] op_sel_hi:[1,0,1]
	v_pk_add_f32 v[4:5], v[4:5], v[18:19]
	v_mov_b32_e32 v9, v7
	s_waitcnt vmcnt(1) lgkmcnt(1)
	v_pk_mul_f32 v[6:7], v[12:13], v[52:53] op_sel:[1,1] op_sel_hi:[0,1]
	v_pk_add_f32 v[4:5], v[4:5], v[8:9]
	v_pk_fma_f32 v[8:9], v[12:13], v[52:53], v[6:7] neg_lo:[0,0,1] neg_hi:[0,0,1]
	v_pk_fma_f32 v[6:7], v[12:13], v[52:53], v[6:7] op_sel_hi:[1,0,1]
	s_nop 0
	v_mov_b32_e32 v6, v55
	v_mov_b32_e32 v9, v7
	v_pk_mul_f32 v[6:7], v[14:15], v[6:7] op_sel:[1,0] op_sel_hi:[0,0]
	v_pk_add_f32 v[4:5], v[4:5], v[8:9]
	v_pk_fma_f32 v[8:9], v[14:15], v[54:55], v[6:7] neg_lo:[0,0,1] neg_hi:[0,0,1]
	v_pk_fma_f32 v[6:7], v[14:15], v[54:55], v[6:7] op_sel_hi:[1,0,1]
	s_nop 0
	v_mov_b32_e32 v9, v7
	s_waitcnt vmcnt(0) lgkmcnt(0)
	v_pk_mul_f32 v[6:7], v[16:17], v[116:117] op_sel:[1,1] op_sel_hi:[0,1]
	v_pk_add_f32 v[4:5], v[4:5], v[8:9]
	v_pk_fma_f32 v[8:9], v[16:17], v[116:117], v[6:7] neg_lo:[0,0,1] neg_hi:[0,0,1]
	v_pk_fma_f32 v[6:7], v[16:17], v[116:117], v[6:7] op_sel_hi:[1,0,1]
	s_nop 0
	v_mov_b32_e32 v9, v7
	scratch_load_dwordx2 v[6:7], off, off offset:72
	v_pk_add_f32 v[4:5], v[4:5], v[8:9]
	s_waitcnt vmcnt(0)
	v_pk_add_f32 v[4:5], v[6:7], v[4:5] neg_lo:[0,1] neg_hi:[0,1]
	scratch_store_dwordx2 off, v[4:5], off offset:72
	s_and_saveexec_b64 s[0:1], vcc
	s_cbranch_execz .LBB26_159
; %bb.158:
	scratch_load_dwordx2 v[4:5], off, off offset:64
	v_mov_b32_e32 v3, v2
	scratch_store_dwordx2 off, v[2:3], off offset:64
	s_waitcnt vmcnt(1)
	ds_write_b64 v1, v[4:5]
.LBB26_159:
	s_or_b64 exec, exec, s[0:1]
	s_waitcnt lgkmcnt(0)
	; wave barrier
	scratch_load_dwordx4 v[8:11], off, off offset:72
	scratch_load_dwordx4 v[16:19], off, off offset:88
	scratch_load_dwordx4 v[24:27], off, off offset:104
	scratch_load_dwordx4 v[32:35], off, off offset:120
	ds_read2_b64 v[4:7], v2 offset0:37 offset1:38
	scratch_load_dwordx4 v[40:43], off, off offset:136
	v_cmp_lt_u32_e32 vcc, 7, v0
	s_waitcnt vmcnt(4) lgkmcnt(0)
	v_mul_f32_e32 v3, v4, v9
	v_fmac_f32_e32 v3, v5, v8
	v_mul_f32_e32 v12, v6, v11
	v_add_f32_e32 v3, 0, v3
	v_fmac_f32_e32 v12, v7, v10
	v_add_f32_e32 v3, v3, v12
	ds_read2_b64 v[12:15], v2 offset0:39 offset1:40
	s_waitcnt vmcnt(3) lgkmcnt(0)
	v_mul_f32_e32 v20, v12, v17
	v_fmac_f32_e32 v20, v13, v16
	v_add_f32_e32 v3, v3, v20
	v_mul_f32_e32 v20, v14, v19
	v_fmac_f32_e32 v20, v15, v18
	v_add_f32_e32 v3, v3, v20
	ds_read2_b64 v[20:23], v2 offset0:41 offset1:42
	s_waitcnt vmcnt(2) lgkmcnt(0)
	v_mul_f32_e32 v28, v20, v25
	v_fmac_f32_e32 v28, v21, v24
	v_add_f32_e32 v3, v3, v28
	v_mul_f32_e32 v28, v22, v27
	;; [unrolled: 8-line block ×3, first 2 shown]
	v_fmac_f32_e32 v36, v31, v34
	v_add_f32_e32 v115, v3, v36
	ds_read2_b64 v[36:39], v2 offset0:45 offset1:46
	scratch_load_dwordx4 v[44:47], off, off offset:152
	scratch_load_dwordx4 v[48:51], off, off offset:168
	scratch_load_dwordx4 v[52:55], off, off offset:184
	scratch_load_dwordx4 v[110:113], off, off offset:200
	v_mul_f32_e32 v3, v5, v9
	v_fma_f32 v3, v4, v8, -v3
	v_mul_f32_e32 v4, v7, v11
	v_add_f32_e32 v3, 0, v3
	v_fma_f32 v4, v6, v10, -v4
	v_add_f32_e32 v3, v3, v4
	v_mul_f32_e32 v4, v13, v17
	v_fma_f32 v4, v12, v16, -v4
	v_add_f32_e32 v3, v3, v4
	v_mul_f32_e32 v4, v15, v19
	;; [unrolled: 3-line block ×6, first 2 shown]
	v_fma_f32 v4, v30, v34, -v4
	v_add_f32_e32 v114, v3, v4
	ds_read2_b64 v[4:7], v2 offset0:47 offset1:48
	ds_read2_b64 v[8:11], v2 offset0:49 offset1:50
	;; [unrolled: 1-line block ×4, first 2 shown]
	s_waitcnt vmcnt(4) lgkmcnt(4)
	v_mul_f32_e32 v117, v36, v41
	v_mul_f32_e32 v3, v37, v41
	v_fmac_f32_e32 v117, v37, v40
	v_mul_f32_e32 v119, v38, v43
	v_fma_f32 v116, v36, v40, -v3
	v_mul_f32_e32 v3, v39, v43
	v_fmac_f32_e32 v119, v39, v42
	v_fma_f32 v118, v38, v42, -v3
	v_pk_add_f32 v[2:3], v[114:115], v[116:117]
	s_waitcnt vmcnt(3) lgkmcnt(3)
	v_pk_mul_f32 v[20:21], v[4:5], v[44:45] op_sel:[1,1] op_sel_hi:[0,1]
	v_pk_fma_f32 v[22:23], v[4:5], v[44:45], v[20:21] neg_lo:[0,0,1] neg_hi:[0,0,1]
	v_pk_fma_f32 v[4:5], v[4:5], v[44:45], v[20:21] op_sel_hi:[1,0,1]
	v_pk_add_f32 v[2:3], v[2:3], v[118:119]
	v_mov_b32_e32 v4, v47
	v_mov_b32_e32 v23, v5
	v_pk_mul_f32 v[4:5], v[6:7], v[4:5] op_sel:[1,0] op_sel_hi:[0,0]
	v_pk_fma_f32 v[20:21], v[6:7], v[46:47], v[4:5] neg_lo:[0,0,1] neg_hi:[0,0,1]
	v_pk_fma_f32 v[4:5], v[6:7], v[46:47], v[4:5] op_sel_hi:[1,0,1]
	v_pk_add_f32 v[2:3], v[2:3], v[22:23]
	v_mov_b32_e32 v21, v5
	s_waitcnt vmcnt(2) lgkmcnt(2)
	v_pk_mul_f32 v[4:5], v[8:9], v[48:49] op_sel:[1,1] op_sel_hi:[0,1]
	v_pk_fma_f32 v[6:7], v[8:9], v[48:49], v[4:5] neg_lo:[0,0,1] neg_hi:[0,0,1]
	v_pk_fma_f32 v[4:5], v[8:9], v[48:49], v[4:5] op_sel_hi:[1,0,1]
	v_pk_add_f32 v[2:3], v[2:3], v[20:21]
	v_mov_b32_e32 v4, v51
	v_mov_b32_e32 v7, v5
	v_pk_mul_f32 v[4:5], v[10:11], v[4:5] op_sel:[1,0] op_sel_hi:[0,0]
	v_pk_add_f32 v[2:3], v[2:3], v[6:7]
	v_pk_fma_f32 v[6:7], v[10:11], v[50:51], v[4:5] neg_lo:[0,0,1] neg_hi:[0,0,1]
	v_pk_fma_f32 v[4:5], v[10:11], v[50:51], v[4:5] op_sel_hi:[1,0,1]
	s_nop 0
	v_mov_b32_e32 v7, v5
	s_waitcnt vmcnt(1) lgkmcnt(1)
	v_pk_mul_f32 v[4:5], v[12:13], v[52:53] op_sel:[1,1] op_sel_hi:[0,1]
	v_pk_add_f32 v[2:3], v[2:3], v[6:7]
	v_pk_fma_f32 v[6:7], v[12:13], v[52:53], v[4:5] neg_lo:[0,0,1] neg_hi:[0,0,1]
	v_pk_fma_f32 v[4:5], v[12:13], v[52:53], v[4:5] op_sel_hi:[1,0,1]
	s_nop 0
	v_mov_b32_e32 v4, v55
	v_mov_b32_e32 v7, v5
	v_pk_mul_f32 v[4:5], v[14:15], v[4:5] op_sel:[1,0] op_sel_hi:[0,0]
	v_pk_add_f32 v[2:3], v[2:3], v[6:7]
	v_pk_fma_f32 v[6:7], v[14:15], v[54:55], v[4:5] neg_lo:[0,0,1] neg_hi:[0,0,1]
	v_pk_fma_f32 v[4:5], v[14:15], v[54:55], v[4:5] op_sel_hi:[1,0,1]
	s_nop 0
	v_mov_b32_e32 v7, v5
	s_waitcnt vmcnt(0) lgkmcnt(0)
	v_pk_mul_f32 v[4:5], v[16:17], v[110:111] op_sel:[1,1] op_sel_hi:[0,1]
	v_pk_add_f32 v[2:3], v[2:3], v[6:7]
	v_pk_fma_f32 v[6:7], v[16:17], v[110:111], v[4:5] neg_lo:[0,0,1] neg_hi:[0,0,1]
	v_pk_fma_f32 v[4:5], v[16:17], v[110:111], v[4:5] op_sel_hi:[1,0,1]
	s_nop 0
	v_mov_b32_e32 v4, v113
	v_mov_b32_e32 v7, v5
	v_pk_mul_f32 v[4:5], v[18:19], v[4:5] op_sel:[1,0] op_sel_hi:[0,0]
	v_pk_add_f32 v[2:3], v[2:3], v[6:7]
	v_pk_fma_f32 v[6:7], v[18:19], v[112:113], v[4:5] neg_lo:[0,0,1] neg_hi:[0,0,1]
	v_pk_fma_f32 v[4:5], v[18:19], v[112:113], v[4:5] op_sel_hi:[1,0,1]
	s_nop 0
	v_mov_b32_e32 v7, v5
	scratch_load_dwordx2 v[4:5], off, off offset:64
	v_pk_add_f32 v[2:3], v[2:3], v[6:7]
	s_waitcnt vmcnt(0)
	v_pk_add_f32 v[2:3], v[4:5], v[2:3] neg_lo:[0,1] neg_hi:[0,1]
	scratch_store_dwordx2 off, v[2:3], off offset:64
	s_and_saveexec_b64 s[0:1], vcc
	s_cbranch_execz .LBB26_161
; %bb.160:
	scratch_load_dwordx2 v[2:3], off, off offset:56
	v_mov_b32_e32 v4, 0
	v_mov_b32_e32 v5, v4
	scratch_store_dwordx2 off, v[4:5], off offset:56
	s_waitcnt vmcnt(1)
	ds_write_b64 v1, v[2:3]
.LBB26_161:
	s_or_b64 exec, exec, s[0:1]
	v_mov_b32_e32 v2, 0
	s_waitcnt lgkmcnt(0)
	; wave barrier
	ds_read_b128 v[4:7], v2 offset:288
	ds_read_b128 v[8:11], v2 offset:304
	;; [unrolled: 1-line block ×4, first 2 shown]
	scratch_load_dwordx4 v[20:23], off, off offset:64
	scratch_load_dwordx4 v[40:43], off, off offset:128
	v_cmp_lt_u32_e32 vcc, 6, v0
	scratch_load_dwordx4 v[48:51], off, off offset:144
	s_waitcnt vmcnt(2) lgkmcnt(3)
	v_mul_f32_e32 v3, v4, v21
	v_fmac_f32_e32 v3, v5, v20
	v_mul_f32_e32 v24, v6, v23
	v_add_f32_e32 v3, 0, v3
	v_fmac_f32_e32 v24, v7, v22
	v_add_f32_e32 v3, v3, v24
	scratch_load_dwordx4 v[24:27], off, off offset:80
	s_waitcnt vmcnt(0) lgkmcnt(2)
	v_mul_f32_e32 v28, v8, v25
	v_fmac_f32_e32 v28, v9, v24
	v_add_f32_e32 v3, v3, v28
	v_mul_f32_e32 v28, v10, v27
	v_fmac_f32_e32 v28, v11, v26
	v_add_f32_e32 v3, v3, v28
	scratch_load_dwordx4 v[28:31], off, off offset:96
	s_waitcnt vmcnt(0) lgkmcnt(1)
	v_mul_f32_e32 v32, v12, v29
	v_fmac_f32_e32 v32, v13, v28
	v_add_f32_e32 v3, v3, v32
	v_mul_f32_e32 v32, v14, v31
	;; [unrolled: 8-line block ×3, first 2 shown]
	v_fmac_f32_e32 v36, v19, v34
	v_add_f32_e32 v3, v3, v36
	ds_read_b128 v[36:39], v2 offset:352
	s_waitcnt lgkmcnt(0)
	v_mul_f32_e32 v44, v36, v41
	v_fmac_f32_e32 v44, v37, v40
	v_add_f32_e32 v119, v3, v44
	ds_read_b128 v[44:47], v2 offset:368
	scratch_load_dwordx4 v[52:55], off, off offset:160
	scratch_load_dwordx4 v[110:113], off, off offset:176
	;; [unrolled: 1-line block ×3, first 2 shown]
	scratch_load_dwordx2 v[124:125], off, off offset:208
	v_mul_f32_e32 v3, v5, v21
	v_fma_f32 v3, v4, v20, -v3
	v_mul_f32_e32 v4, v7, v23
	v_add_f32_e32 v3, 0, v3
	v_fma_f32 v4, v6, v22, -v4
	v_add_f32_e32 v3, v3, v4
	v_mul_f32_e32 v4, v9, v25
	v_fma_f32 v4, v8, v24, -v4
	v_add_f32_e32 v3, v3, v4
	v_mul_f32_e32 v4, v11, v27
	;; [unrolled: 3-line block ×7, first 2 shown]
	v_fma_f32 v4, v36, v40, -v4
	v_mul_f32_e32 v121, v38, v43
	v_add_f32_e32 v118, v3, v4
	v_mul_f32_e32 v3, v39, v43
	v_mov_b32_e32 v20, v51
	v_fmac_f32_e32 v121, v39, v42
	s_waitcnt lgkmcnt(0)
	v_mul_f32_e32 v123, v44, v49
	v_fma_f32 v120, v38, v42, -v3
	v_mul_f32_e32 v3, v45, v49
	ds_read_b128 v[4:7], v2 offset:384
	ds_read_b128 v[8:11], v2 offset:400
	ds_read_b128 v[12:15], v2 offset:416
	ds_read_b64 v[16:17], v2 offset:432
	v_pk_mul_f32 v[20:21], v[46:47], v[20:21] op_sel:[1,0] op_sel_hi:[0,0]
	v_fmac_f32_e32 v123, v45, v48
	v_fma_f32 v122, v44, v48, -v3
	v_pk_add_f32 v[18:19], v[118:119], v[120:121]
	v_pk_fma_f32 v[22:23], v[46:47], v[50:51], v[20:21] neg_lo:[0,0,1] neg_hi:[0,0,1]
	v_pk_fma_f32 v[20:21], v[46:47], v[50:51], v[20:21] op_sel_hi:[1,0,1]
	v_pk_add_f32 v[18:19], v[18:19], v[122:123]
	v_mov_b32_e32 v23, v21
	v_pk_add_f32 v[18:19], v[18:19], v[22:23]
	s_waitcnt vmcnt(3) lgkmcnt(3)
	v_pk_mul_f32 v[20:21], v[4:5], v[52:53] op_sel:[1,1] op_sel_hi:[0,1]
	v_pk_fma_f32 v[22:23], v[4:5], v[52:53], v[20:21] neg_lo:[0,0,1] neg_hi:[0,0,1]
	v_pk_fma_f32 v[4:5], v[4:5], v[52:53], v[20:21] op_sel_hi:[1,0,1]
	s_nop 0
	v_mov_b32_e32 v23, v5
	v_pk_add_f32 v[4:5], v[18:19], v[22:23]
	v_mov_b32_e32 v18, v55
	v_pk_mul_f32 v[18:19], v[6:7], v[18:19] op_sel:[1,0] op_sel_hi:[0,0]
	v_pk_fma_f32 v[20:21], v[6:7], v[54:55], v[18:19] neg_lo:[0,0,1] neg_hi:[0,0,1]
	v_pk_fma_f32 v[6:7], v[6:7], v[54:55], v[18:19] op_sel_hi:[1,0,1]
	s_nop 0
	v_mov_b32_e32 v21, v7
	s_waitcnt vmcnt(2) lgkmcnt(2)
	v_pk_mul_f32 v[6:7], v[8:9], v[110:111] op_sel:[1,1] op_sel_hi:[0,1]
	v_pk_fma_f32 v[18:19], v[8:9], v[110:111], v[6:7] neg_lo:[0,0,1] neg_hi:[0,0,1]
	v_pk_fma_f32 v[6:7], v[8:9], v[110:111], v[6:7] op_sel_hi:[1,0,1]
	v_pk_add_f32 v[4:5], v[4:5], v[20:21]
	v_mov_b32_e32 v6, v113
	v_mov_b32_e32 v19, v7
	v_pk_mul_f32 v[6:7], v[10:11], v[6:7] op_sel:[1,0] op_sel_hi:[0,0]
	v_pk_fma_f32 v[8:9], v[10:11], v[112:113], v[6:7] neg_lo:[0,0,1] neg_hi:[0,0,1]
	v_pk_fma_f32 v[6:7], v[10:11], v[112:113], v[6:7] op_sel_hi:[1,0,1]
	v_pk_add_f32 v[4:5], v[4:5], v[18:19]
	v_mov_b32_e32 v9, v7
	s_waitcnt vmcnt(1) lgkmcnt(1)
	v_pk_mul_f32 v[6:7], v[12:13], v[114:115] op_sel:[1,1] op_sel_hi:[0,1]
	v_pk_add_f32 v[4:5], v[4:5], v[8:9]
	v_pk_fma_f32 v[8:9], v[12:13], v[114:115], v[6:7] neg_lo:[0,0,1] neg_hi:[0,0,1]
	v_pk_fma_f32 v[6:7], v[12:13], v[114:115], v[6:7] op_sel_hi:[1,0,1]
	s_nop 0
	v_mov_b32_e32 v6, v117
	v_mov_b32_e32 v9, v7
	v_pk_mul_f32 v[6:7], v[14:15], v[6:7] op_sel:[1,0] op_sel_hi:[0,0]
	v_pk_add_f32 v[4:5], v[4:5], v[8:9]
	v_pk_fma_f32 v[8:9], v[14:15], v[116:117], v[6:7] neg_lo:[0,0,1] neg_hi:[0,0,1]
	v_pk_fma_f32 v[6:7], v[14:15], v[116:117], v[6:7] op_sel_hi:[1,0,1]
	s_nop 0
	v_mov_b32_e32 v9, v7
	s_waitcnt vmcnt(0) lgkmcnt(0)
	v_pk_mul_f32 v[6:7], v[16:17], v[124:125] op_sel:[1,1] op_sel_hi:[0,1]
	v_pk_add_f32 v[4:5], v[4:5], v[8:9]
	v_pk_fma_f32 v[8:9], v[16:17], v[124:125], v[6:7] neg_lo:[0,0,1] neg_hi:[0,0,1]
	v_pk_fma_f32 v[6:7], v[16:17], v[124:125], v[6:7] op_sel_hi:[1,0,1]
	s_nop 0
	v_mov_b32_e32 v9, v7
	scratch_load_dwordx2 v[6:7], off, off offset:56
	v_pk_add_f32 v[4:5], v[4:5], v[8:9]
	s_waitcnt vmcnt(0)
	v_pk_add_f32 v[4:5], v[6:7], v[4:5] neg_lo:[0,1] neg_hi:[0,1]
	scratch_store_dwordx2 off, v[4:5], off offset:56
	s_and_saveexec_b64 s[0:1], vcc
	s_cbranch_execz .LBB26_163
; %bb.162:
	scratch_load_dwordx2 v[4:5], off, off offset:48
	v_mov_b32_e32 v3, v2
	scratch_store_dwordx2 off, v[2:3], off offset:48
	s_waitcnt vmcnt(1)
	ds_write_b64 v1, v[4:5]
.LBB26_163:
	s_or_b64 exec, exec, s[0:1]
	s_waitcnt lgkmcnt(0)
	; wave barrier
	scratch_load_dwordx4 v[8:11], off, off offset:56
	scratch_load_dwordx4 v[16:19], off, off offset:72
	;; [unrolled: 1-line block ×6, first 2 shown]
	ds_read2_b64 v[4:7], v2 offset0:35 offset1:36
	v_cmp_lt_u32_e32 vcc, 5, v0
	s_waitcnt vmcnt(5) lgkmcnt(0)
	v_mul_f32_e32 v3, v4, v9
	v_fmac_f32_e32 v3, v5, v8
	v_mul_f32_e32 v12, v6, v11
	v_add_f32_e32 v3, 0, v3
	v_fmac_f32_e32 v12, v7, v10
	v_add_f32_e32 v3, v3, v12
	ds_read2_b64 v[12:15], v2 offset0:37 offset1:38
	s_waitcnt vmcnt(4) lgkmcnt(0)
	v_mul_f32_e32 v20, v12, v17
	v_fmac_f32_e32 v20, v13, v16
	v_add_f32_e32 v3, v3, v20
	v_mul_f32_e32 v20, v14, v19
	v_fmac_f32_e32 v20, v15, v18
	v_add_f32_e32 v3, v3, v20
	ds_read2_b64 v[20:23], v2 offset0:39 offset1:40
	s_waitcnt vmcnt(3) lgkmcnt(0)
	v_mul_f32_e32 v28, v20, v25
	v_fmac_f32_e32 v28, v21, v24
	v_add_f32_e32 v3, v3, v28
	v_mul_f32_e32 v28, v22, v27
	;; [unrolled: 8-line block ×4, first 2 shown]
	v_fmac_f32_e32 v44, v39, v42
	v_add_f32_e32 v123, v3, v44
	ds_read2_b64 v[44:47], v2 offset0:45 offset1:46
	scratch_load_dwordx4 v[52:55], off, off offset:152
	scratch_load_dwordx4 v[110:113], off, off offset:168
	;; [unrolled: 1-line block ×4, first 2 shown]
	v_mul_f32_e32 v3, v5, v9
	v_fma_f32 v3, v4, v8, -v3
	v_mul_f32_e32 v4, v7, v11
	v_add_f32_e32 v3, 0, v3
	v_fma_f32 v4, v6, v10, -v4
	v_add_f32_e32 v3, v3, v4
	v_mul_f32_e32 v4, v13, v17
	v_fma_f32 v4, v12, v16, -v4
	v_add_f32_e32 v3, v3, v4
	v_mul_f32_e32 v4, v15, v19
	;; [unrolled: 3-line block ×8, first 2 shown]
	v_fma_f32 v4, v38, v42, -v4
	v_add_f32_e32 v122, v3, v4
	ds_read2_b64 v[4:7], v2 offset0:47 offset1:48
	ds_read2_b64 v[8:11], v2 offset0:49 offset1:50
	;; [unrolled: 1-line block ×4, first 2 shown]
	s_waitcnt vmcnt(4) lgkmcnt(4)
	v_mul_f32_e32 v125, v44, v49
	v_mul_f32_e32 v3, v45, v49
	v_fmac_f32_e32 v125, v45, v48
	v_mul_f32_e32 v127, v46, v51
	v_fma_f32 v124, v44, v48, -v3
	v_mul_f32_e32 v3, v47, v51
	v_fmac_f32_e32 v127, v47, v50
	v_fma_f32 v126, v46, v50, -v3
	v_pk_add_f32 v[2:3], v[122:123], v[124:125]
	s_waitcnt vmcnt(3) lgkmcnt(3)
	v_pk_mul_f32 v[20:21], v[4:5], v[52:53] op_sel:[1,1] op_sel_hi:[0,1]
	v_pk_fma_f32 v[22:23], v[4:5], v[52:53], v[20:21] neg_lo:[0,0,1] neg_hi:[0,0,1]
	v_pk_fma_f32 v[4:5], v[4:5], v[52:53], v[20:21] op_sel_hi:[1,0,1]
	v_pk_add_f32 v[2:3], v[2:3], v[126:127]
	v_mov_b32_e32 v4, v55
	v_mov_b32_e32 v23, v5
	v_pk_mul_f32 v[4:5], v[6:7], v[4:5] op_sel:[1,0] op_sel_hi:[0,0]
	v_pk_fma_f32 v[20:21], v[6:7], v[54:55], v[4:5] neg_lo:[0,0,1] neg_hi:[0,0,1]
	v_pk_fma_f32 v[4:5], v[6:7], v[54:55], v[4:5] op_sel_hi:[1,0,1]
	v_pk_add_f32 v[2:3], v[2:3], v[22:23]
	v_mov_b32_e32 v21, v5
	s_waitcnt vmcnt(2) lgkmcnt(2)
	v_pk_mul_f32 v[4:5], v[8:9], v[110:111] op_sel:[1,1] op_sel_hi:[0,1]
	v_pk_fma_f32 v[6:7], v[8:9], v[110:111], v[4:5] neg_lo:[0,0,1] neg_hi:[0,0,1]
	v_pk_fma_f32 v[4:5], v[8:9], v[110:111], v[4:5] op_sel_hi:[1,0,1]
	v_pk_add_f32 v[2:3], v[2:3], v[20:21]
	v_mov_b32_e32 v4, v113
	v_mov_b32_e32 v7, v5
	v_pk_mul_f32 v[4:5], v[10:11], v[4:5] op_sel:[1,0] op_sel_hi:[0,0]
	v_pk_add_f32 v[2:3], v[2:3], v[6:7]
	v_pk_fma_f32 v[6:7], v[10:11], v[112:113], v[4:5] neg_lo:[0,0,1] neg_hi:[0,0,1]
	v_pk_fma_f32 v[4:5], v[10:11], v[112:113], v[4:5] op_sel_hi:[1,0,1]
	s_nop 0
	v_mov_b32_e32 v7, v5
	s_waitcnt vmcnt(1) lgkmcnt(1)
	v_pk_mul_f32 v[4:5], v[12:13], v[114:115] op_sel:[1,1] op_sel_hi:[0,1]
	v_pk_add_f32 v[2:3], v[2:3], v[6:7]
	v_pk_fma_f32 v[6:7], v[12:13], v[114:115], v[4:5] neg_lo:[0,0,1] neg_hi:[0,0,1]
	v_pk_fma_f32 v[4:5], v[12:13], v[114:115], v[4:5] op_sel_hi:[1,0,1]
	s_nop 0
	v_mov_b32_e32 v4, v117
	v_mov_b32_e32 v7, v5
	v_pk_mul_f32 v[4:5], v[14:15], v[4:5] op_sel:[1,0] op_sel_hi:[0,0]
	v_pk_add_f32 v[2:3], v[2:3], v[6:7]
	v_pk_fma_f32 v[6:7], v[14:15], v[116:117], v[4:5] neg_lo:[0,0,1] neg_hi:[0,0,1]
	v_pk_fma_f32 v[4:5], v[14:15], v[116:117], v[4:5] op_sel_hi:[1,0,1]
	s_nop 0
	v_mov_b32_e32 v7, v5
	s_waitcnt vmcnt(0) lgkmcnt(0)
	v_pk_mul_f32 v[4:5], v[16:17], v[118:119] op_sel:[1,1] op_sel_hi:[0,1]
	v_pk_add_f32 v[2:3], v[2:3], v[6:7]
	v_pk_fma_f32 v[6:7], v[16:17], v[118:119], v[4:5] neg_lo:[0,0,1] neg_hi:[0,0,1]
	v_pk_fma_f32 v[4:5], v[16:17], v[118:119], v[4:5] op_sel_hi:[1,0,1]
	s_nop 0
	v_mov_b32_e32 v4, v121
	v_mov_b32_e32 v7, v5
	v_pk_mul_f32 v[4:5], v[18:19], v[4:5] op_sel:[1,0] op_sel_hi:[0,0]
	v_pk_add_f32 v[2:3], v[2:3], v[6:7]
	v_pk_fma_f32 v[6:7], v[18:19], v[120:121], v[4:5] neg_lo:[0,0,1] neg_hi:[0,0,1]
	v_pk_fma_f32 v[4:5], v[18:19], v[120:121], v[4:5] op_sel_hi:[1,0,1]
	s_nop 0
	v_mov_b32_e32 v7, v5
	scratch_load_dwordx2 v[4:5], off, off offset:48
	v_pk_add_f32 v[2:3], v[2:3], v[6:7]
	s_waitcnt vmcnt(0)
	v_pk_add_f32 v[2:3], v[4:5], v[2:3] neg_lo:[0,1] neg_hi:[0,1]
	scratch_store_dwordx2 off, v[2:3], off offset:48
	s_and_saveexec_b64 s[0:1], vcc
	s_cbranch_execz .LBB26_165
; %bb.164:
	scratch_load_dwordx2 v[2:3], off, off offset:40
	v_mov_b32_e32 v4, 0
	v_mov_b32_e32 v5, v4
	scratch_store_dwordx2 off, v[4:5], off offset:40
	s_waitcnt vmcnt(1)
	ds_write_b64 v1, v[2:3]
.LBB26_165:
	s_or_b64 exec, exec, s[0:1]
	s_waitcnt lgkmcnt(0)
	; wave barrier
	scratch_load_dwordx4 v[2:5], off, off offset:48
	scratch_load_dwordx4 v[6:9], off, off offset:64
	;; [unrolled: 1-line block ×10, first 2 shown]
	scratch_load_dwordx2 v[130:131], off, off offset:208
	scratch_load_dwordx2 v[132:133], off, off offset:40
	v_mov_b32_e32 v10, 0
	ds_read_b128 v[44:47], v10 offset:272
	ds_read_b128 v[48:51], v10 offset:288
	;; [unrolled: 1-line block ×8, first 2 shown]
	v_cmp_lt_u32_e32 vcc, 4, v0
	s_waitcnt vmcnt(11) lgkmcnt(7)
	v_mul_f32_e32 v11, v44, v3
	v_mul_f32_e32 v3, v45, v3
	;; [unrolled: 1-line block ×4, first 2 shown]
	v_fmac_f32_e32 v11, v45, v2
	v_fma_f32 v2, v44, v2, -v3
	s_waitcnt vmcnt(10) lgkmcnt(6)
	v_mul_f32_e32 v136, v48, v7
	v_mul_f32_e32 v7, v49, v7
	v_fma_f32 v3, v46, v4, -v5
	v_add_f32_e32 v2, 0, v2
	v_mul_f32_e32 v138, v50, v9
	v_mul_f32_e32 v9, v51, v9
	v_fmac_f32_e32 v134, v47, v4
	v_fma_f32 v4, v48, v6, -v7
	v_add_f32_e32 v11, 0, v11
	v_add_f32_e32 v2, v2, v3
	s_waitcnt vmcnt(9) lgkmcnt(5)
	v_mul_f32_e32 v139, v52, v13
	v_mul_f32_e32 v13, v53, v13
	v_fmac_f32_e32 v136, v49, v6
	v_fma_f32 v5, v50, v8, -v9
	v_add_f32_e32 v11, v11, v134
	v_add_f32_e32 v2, v2, v4
	v_mul_f32_e32 v140, v54, v15
	v_mul_f32_e32 v15, v55, v15
	v_fmac_f32_e32 v138, v51, v8
	v_fma_f32 v6, v52, v12, -v13
	v_add_f32_e32 v3, v11, v136
	v_add_f32_e32 v2, v2, v5
	s_waitcnt vmcnt(8) lgkmcnt(4)
	v_mul_f32_e32 v141, v110, v17
	v_mul_f32_e32 v17, v111, v17
	v_fmac_f32_e32 v139, v53, v12
	v_fma_f32 v7, v54, v14, -v15
	v_add_f32_e32 v3, v3, v138
	;; [unrolled: 13-line block ×4, first 2 shown]
	v_add_f32_e32 v2, v2, v12
	v_fmac_f32_e32 v144, v117, v22
	v_fma_f32 v14, v118, v24, -v25
	v_add_f32_e32 v3, v3, v143
	v_add_f32_e32 v2, v2, v13
	v_mul_f32_e32 v135, v120, v27
	v_fmac_f32_e32 v145, v119, v24
	v_add_f32_e32 v3, v3, v144
	v_add_f32_e32 v12, v2, v14
	v_mul_f32_e32 v2, v121, v27
	s_waitcnt vmcnt(5)
	v_mov_b32_e32 v16, v31
	s_waitcnt lgkmcnt(1)
	v_mul_f32_e32 v137, v122, v29
	v_fmac_f32_e32 v135, v121, v26
	v_add_f32_e32 v13, v3, v145
	v_fma_f32 v134, v120, v26, -v2
	v_mul_f32_e32 v2, v123, v29
	v_pk_mul_f32 v[16:17], v[124:125], v[16:17] op_sel:[1,0] op_sel_hi:[0,0]
	v_fmac_f32_e32 v137, v123, v28
	v_fma_f32 v136, v122, v28, -v2
	v_pk_add_f32 v[12:13], v[12:13], v[134:135]
	v_pk_fma_f32 v[18:19], v[124:125], v[30:31], v[16:17] neg_lo:[0,0,1] neg_hi:[0,0,1]
	v_pk_fma_f32 v[16:17], v[124:125], v[30:31], v[16:17] op_sel_hi:[1,0,1]
	v_pk_add_f32 v[12:13], v[12:13], v[136:137]
	v_mov_b32_e32 v19, v17
	s_waitcnt vmcnt(4) lgkmcnt(0)
	v_pk_mul_f32 v[16:17], v[126:127], v[32:33] op_sel:[1,1] op_sel_hi:[0,1]
	v_pk_add_f32 v[12:13], v[12:13], v[18:19]
	v_pk_fma_f32 v[18:19], v[126:127], v[32:33], v[16:17] neg_lo:[0,0,1] neg_hi:[0,0,1]
	v_pk_fma_f32 v[16:17], v[126:127], v[32:33], v[16:17] op_sel_hi:[1,0,1]
	ds_read_b128 v[2:5], v10 offset:400
	ds_read_b128 v[6:9], v10 offset:416
	ds_read_b64 v[14:15], v10 offset:432
	v_mov_b32_e32 v16, v35
	v_mov_b32_e32 v19, v17
	v_pk_mul_f32 v[16:17], v[128:129], v[16:17] op_sel:[1,0] op_sel_hi:[0,0]
	v_pk_add_f32 v[12:13], v[12:13], v[18:19]
	v_pk_fma_f32 v[18:19], v[128:129], v[34:35], v[16:17] neg_lo:[0,0,1] neg_hi:[0,0,1]
	v_pk_fma_f32 v[16:17], v[128:129], v[34:35], v[16:17] op_sel_hi:[1,0,1]
	s_nop 0
	v_mov_b32_e32 v19, v17
	s_waitcnt vmcnt(3) lgkmcnt(2)
	v_pk_mul_f32 v[16:17], v[2:3], v[36:37] op_sel:[1,1] op_sel_hi:[0,1]
	v_pk_add_f32 v[12:13], v[12:13], v[18:19]
	v_pk_fma_f32 v[18:19], v[2:3], v[36:37], v[16:17] neg_lo:[0,0,1] neg_hi:[0,0,1]
	v_pk_fma_f32 v[2:3], v[2:3], v[36:37], v[16:17] op_sel_hi:[1,0,1]
	s_nop 0
	v_mov_b32_e32 v19, v3
	v_pk_add_f32 v[2:3], v[12:13], v[18:19]
	v_mov_b32_e32 v12, v39
	v_pk_mul_f32 v[12:13], v[4:5], v[12:13] op_sel:[1,0] op_sel_hi:[0,0]
	v_pk_fma_f32 v[16:17], v[4:5], v[38:39], v[12:13] neg_lo:[0,0,1] neg_hi:[0,0,1]
	v_pk_fma_f32 v[4:5], v[4:5], v[38:39], v[12:13] op_sel_hi:[1,0,1]
	s_nop 0
	v_mov_b32_e32 v17, v5
	s_waitcnt vmcnt(2) lgkmcnt(1)
	v_pk_mul_f32 v[4:5], v[6:7], v[40:41] op_sel:[1,1] op_sel_hi:[0,1]
	v_pk_fma_f32 v[12:13], v[6:7], v[40:41], v[4:5] neg_lo:[0,0,1] neg_hi:[0,0,1]
	v_pk_fma_f32 v[4:5], v[6:7], v[40:41], v[4:5] op_sel_hi:[1,0,1]
	v_pk_add_f32 v[2:3], v[2:3], v[16:17]
	v_mov_b32_e32 v4, v43
	v_mov_b32_e32 v13, v5
	v_pk_mul_f32 v[4:5], v[8:9], v[4:5] op_sel:[1,0] op_sel_hi:[0,0]
	v_pk_fma_f32 v[6:7], v[8:9], v[42:43], v[4:5] neg_lo:[0,0,1] neg_hi:[0,0,1]
	v_pk_fma_f32 v[4:5], v[8:9], v[42:43], v[4:5] op_sel_hi:[1,0,1]
	v_pk_add_f32 v[2:3], v[2:3], v[12:13]
	v_mov_b32_e32 v7, v5
	s_waitcnt vmcnt(1) lgkmcnt(0)
	v_pk_mul_f32 v[4:5], v[14:15], v[130:131] op_sel:[1,1] op_sel_hi:[0,1]
	v_pk_add_f32 v[2:3], v[2:3], v[6:7]
	v_pk_fma_f32 v[6:7], v[14:15], v[130:131], v[4:5] neg_lo:[0,0,1] neg_hi:[0,0,1]
	v_pk_fma_f32 v[4:5], v[14:15], v[130:131], v[4:5] op_sel_hi:[1,0,1]
	s_nop 0
	v_mov_b32_e32 v7, v5
	v_pk_add_f32 v[2:3], v[2:3], v[6:7]
	s_waitcnt vmcnt(0)
	v_pk_add_f32 v[2:3], v[132:133], v[2:3] neg_lo:[0,1] neg_hi:[0,1]
	scratch_store_dwordx2 off, v[2:3], off offset:40
	s_and_saveexec_b64 s[0:1], vcc
	s_cbranch_execz .LBB26_167
; %bb.166:
	scratch_load_dwordx2 v[2:3], off, off offset:32
	v_mov_b32_e32 v11, v10
	scratch_store_dwordx2 off, v[10:11], off offset:32
	s_waitcnt vmcnt(1)
	ds_write_b64 v1, v[2:3]
.LBB26_167:
	s_or_b64 exec, exec, s[0:1]
	s_waitcnt lgkmcnt(0)
	; wave barrier
	scratch_load_dwordx4 v[6:9], off, off offset:40
	scratch_load_dwordx4 v[12:15], off, off offset:56
	;; [unrolled: 1-line block ×7, first 2 shown]
	ds_read2_b64 v[36:39], v10 offset0:33 offset1:34
	ds_read2_b64 v[40:43], v10 offset0:35 offset1:36
	;; [unrolled: 1-line block ×6, first 2 shown]
	scratch_load_dwordx4 v[114:117], off, off offset:152
	scratch_load_dwordx4 v[118:121], off, off offset:168
	;; [unrolled: 1-line block ×4, first 2 shown]
	ds_read2_b64 v[126:129], v10 offset0:45 offset1:46
	ds_read2_b64 v[130:133], v10 offset0:47 offset1:48
	scratch_load_dwordx2 v[134:135], off, off offset:32
	v_cmp_lt_u32_e32 vcc, 3, v0
	s_waitcnt vmcnt(11) lgkmcnt(7)
	v_mul_f32_e32 v11, v36, v7
	v_mul_f32_e32 v136, v38, v9
	;; [unrolled: 1-line block ×3, first 2 shown]
	v_fmac_f32_e32 v11, v37, v6
	s_waitcnt vmcnt(10) lgkmcnt(6)
	v_mul_f32_e32 v138, v40, v13
	v_mul_f32_e32 v9, v39, v9
	v_fmac_f32_e32 v136, v39, v8
	v_fma_f32 v6, v36, v6, -v7
	v_add_f32_e32 v11, 0, v11
	v_mul_f32_e32 v140, v42, v15
	v_fmac_f32_e32 v138, v41, v12
	v_fma_f32 v7, v38, v8, -v9
	v_add_f32_e32 v6, 0, v6
	v_add_f32_e32 v11, v11, v136
	s_waitcnt vmcnt(9) lgkmcnt(5)
	v_mul_f32_e32 v141, v44, v17
	v_mul_f32_e32 v13, v41, v13
	v_fmac_f32_e32 v140, v43, v14
	v_add_f32_e32 v6, v6, v7
	v_add_f32_e32 v7, v11, v138
	v_mul_f32_e32 v142, v46, v19
	v_mul_f32_e32 v15, v43, v15
	v_fmac_f32_e32 v141, v45, v16
	v_fma_f32 v8, v40, v12, -v13
	v_add_f32_e32 v7, v7, v140
	s_waitcnt vmcnt(8) lgkmcnt(4)
	v_mul_f32_e32 v143, v48, v21
	v_mul_f32_e32 v17, v45, v17
	v_fmac_f32_e32 v142, v47, v18
	v_fma_f32 v9, v42, v14, -v15
	v_add_f32_e32 v6, v6, v8
	v_add_f32_e32 v7, v7, v141
	v_mul_f32_e32 v144, v50, v23
	v_mul_f32_e32 v19, v47, v19
	v_fmac_f32_e32 v143, v49, v20
	v_fma_f32 v12, v44, v16, -v17
	v_add_f32_e32 v6, v6, v9
	v_add_f32_e32 v7, v7, v142
	s_waitcnt vmcnt(7) lgkmcnt(3)
	v_mul_f32_e32 v145, v52, v25
	v_mul_f32_e32 v21, v49, v21
	v_fmac_f32_e32 v144, v51, v22
	v_fma_f32 v13, v46, v18, -v19
	v_add_f32_e32 v6, v6, v12
	v_add_f32_e32 v7, v7, v143
	v_mul_f32_e32 v146, v54, v27
	v_mul_f32_e32 v23, v51, v23
	v_fmac_f32_e32 v145, v53, v24
	v_fma_f32 v14, v48, v20, -v21
	v_add_f32_e32 v6, v6, v13
	;; [unrolled: 13-line block ×3, first 2 shown]
	v_add_f32_e32 v7, v7, v146
	v_mul_f32_e32 v29, v111, v29
	v_fmac_f32_e32 v148, v113, v30
	v_fma_f32 v17, v54, v26, -v27
	v_add_f32_e32 v6, v6, v16
	v_add_f32_e32 v7, v7, v147
	v_fma_f32 v18, v110, v28, -v29
	v_add_f32_e32 v6, v6, v17
	v_add_f32_e32 v21, v7, v148
	v_mul_f32_e32 v7, v113, v31
	v_add_f32_e32 v6, v6, v18
	v_fma_f32 v7, v112, v30, -v7
	s_waitcnt vmcnt(5) lgkmcnt(1)
	v_mul_f32_e32 v137, v126, v33
	v_add_f32_e32 v20, v6, v7
	v_mul_f32_e32 v6, v127, v33
	v_fmac_f32_e32 v137, v127, v32
	v_fma_f32 v136, v126, v32, -v6
	v_mul_f32_e32 v6, v129, v35
	v_fma_f32 v138, v128, v34, -v6
	ds_read2_b64 v[6:9], v10 offset0:49 offset1:50
	ds_read2_b64 v[12:15], v10 offset0:51 offset1:52
	;; [unrolled: 1-line block ×3, first 2 shown]
	v_pk_add_f32 v[10:11], v[20:21], v[136:137]
	s_waitcnt vmcnt(4) lgkmcnt(3)
	v_pk_mul_f32 v[20:21], v[130:131], v[114:115] op_sel:[1,1] op_sel_hi:[0,1]
	v_mul_f32_e32 v139, v128, v35
	v_pk_fma_f32 v[22:23], v[130:131], v[114:115], v[20:21] neg_lo:[0,0,1] neg_hi:[0,0,1]
	v_pk_fma_f32 v[20:21], v[130:131], v[114:115], v[20:21] op_sel_hi:[1,0,1]
	v_fmac_f32_e32 v139, v129, v34
	v_mov_b32_e32 v20, v117
	v_pk_add_f32 v[10:11], v[10:11], v[138:139]
	v_mov_b32_e32 v23, v21
	v_pk_mul_f32 v[20:21], v[132:133], v[20:21] op_sel:[1,0] op_sel_hi:[0,0]
	v_pk_add_f32 v[10:11], v[10:11], v[22:23]
	v_pk_fma_f32 v[22:23], v[132:133], v[116:117], v[20:21] neg_lo:[0,0,1] neg_hi:[0,0,1]
	v_pk_fma_f32 v[20:21], v[132:133], v[116:117], v[20:21] op_sel_hi:[1,0,1]
	s_nop 0
	v_mov_b32_e32 v23, v21
	s_waitcnt vmcnt(3) lgkmcnt(2)
	v_pk_mul_f32 v[20:21], v[6:7], v[118:119] op_sel:[1,1] op_sel_hi:[0,1]
	v_pk_add_f32 v[10:11], v[10:11], v[22:23]
	v_pk_fma_f32 v[22:23], v[6:7], v[118:119], v[20:21] neg_lo:[0,0,1] neg_hi:[0,0,1]
	v_pk_fma_f32 v[6:7], v[6:7], v[118:119], v[20:21] op_sel_hi:[1,0,1]
	s_nop 0
	v_mov_b32_e32 v23, v7
	v_pk_add_f32 v[6:7], v[10:11], v[22:23]
	v_mov_b32_e32 v10, v121
	v_pk_mul_f32 v[10:11], v[8:9], v[10:11] op_sel:[1,0] op_sel_hi:[0,0]
	v_pk_fma_f32 v[20:21], v[8:9], v[120:121], v[10:11] neg_lo:[0,0,1] neg_hi:[0,0,1]
	v_pk_fma_f32 v[8:9], v[8:9], v[120:121], v[10:11] op_sel_hi:[1,0,1]
	s_nop 0
	v_mov_b32_e32 v21, v9
	s_waitcnt vmcnt(2) lgkmcnt(1)
	v_pk_mul_f32 v[8:9], v[12:13], v[122:123] op_sel:[1,1] op_sel_hi:[0,1]
	v_pk_fma_f32 v[10:11], v[12:13], v[122:123], v[8:9] neg_lo:[0,0,1] neg_hi:[0,0,1]
	v_pk_fma_f32 v[8:9], v[12:13], v[122:123], v[8:9] op_sel_hi:[1,0,1]
	v_pk_add_f32 v[6:7], v[6:7], v[20:21]
	v_mov_b32_e32 v8, v125
	v_mov_b32_e32 v11, v9
	v_pk_mul_f32 v[8:9], v[14:15], v[8:9] op_sel:[1,0] op_sel_hi:[0,0]
	v_pk_add_f32 v[6:7], v[6:7], v[10:11]
	v_pk_fma_f32 v[10:11], v[14:15], v[124:125], v[8:9] neg_lo:[0,0,1] neg_hi:[0,0,1]
	v_pk_fma_f32 v[8:9], v[14:15], v[124:125], v[8:9] op_sel_hi:[1,0,1]
	s_nop 0
	v_mov_b32_e32 v11, v9
	s_waitcnt vmcnt(1) lgkmcnt(0)
	v_pk_mul_f32 v[8:9], v[16:17], v[2:3] op_sel:[1,1] op_sel_hi:[0,1]
	v_pk_add_f32 v[6:7], v[6:7], v[10:11]
	v_pk_fma_f32 v[10:11], v[16:17], v[2:3], v[8:9] neg_lo:[0,0,1] neg_hi:[0,0,1]
	v_pk_fma_f32 v[2:3], v[16:17], v[2:3], v[8:9] op_sel_hi:[1,0,1]
	s_nop 0
	v_mov_b32_e32 v11, v3
	v_pk_add_f32 v[2:3], v[6:7], v[10:11]
	v_mov_b32_e32 v6, v5
	v_pk_mul_f32 v[6:7], v[18:19], v[6:7] op_sel:[1,0] op_sel_hi:[0,0]
	v_pk_fma_f32 v[8:9], v[18:19], v[4:5], v[6:7] neg_lo:[0,0,1] neg_hi:[0,0,1]
	v_pk_fma_f32 v[4:5], v[18:19], v[4:5], v[6:7] op_sel_hi:[1,0,1]
	s_nop 0
	v_mov_b32_e32 v9, v5
	v_pk_add_f32 v[2:3], v[2:3], v[8:9]
	s_waitcnt vmcnt(0)
	v_pk_add_f32 v[2:3], v[134:135], v[2:3] neg_lo:[0,1] neg_hi:[0,1]
	scratch_store_dwordx2 off, v[2:3], off offset:32
	s_and_saveexec_b64 s[0:1], vcc
	s_cbranch_execz .LBB26_169
; %bb.168:
	scratch_load_dwordx2 v[2:3], off, off offset:24
	v_mov_b32_e32 v4, 0
	v_mov_b32_e32 v5, v4
	scratch_store_dwordx2 off, v[4:5], off offset:24
	s_waitcnt vmcnt(1)
	ds_write_b64 v1, v[2:3]
.LBB26_169:
	s_or_b64 exec, exec, s[0:1]
	s_waitcnt lgkmcnt(0)
	; wave barrier
	scratch_load_dwordx4 v[6:9], off, off offset:32
	scratch_load_dwordx4 v[14:17], off, off offset:48
	;; [unrolled: 1-line block ×11, first 2 shown]
	scratch_load_dwordx2 v[22:23], off, off offset:208
	scratch_load_dwordx2 v[36:37], off, off offset:24
	v_mov_b32_e32 v38, 0
	ds_read_b128 v[52:55], v38 offset:256
	ds_read_b128 v[110:113], v38 offset:272
	;; [unrolled: 1-line block ×8, first 2 shown]
	v_cmp_lt_u32_e32 vcc, 2, v0
	s_waitcnt vmcnt(12) lgkmcnt(7)
	v_mul_f32_e32 v39, v52, v7
	v_mul_f32_e32 v138, v54, v9
	;; [unrolled: 1-line block ×3, first 2 shown]
	v_fmac_f32_e32 v39, v53, v6
	s_waitcnt vmcnt(8) lgkmcnt(3)
	v_mul_f32_e32 v147, v122, v19
	v_mul_f32_e32 v19, v123, v19
	;; [unrolled: 1-line block ×4, first 2 shown]
	v_fmac_f32_e32 v138, v55, v8
	v_fmac_f32_e32 v147, v123, v18
	v_fma_f32 v6, v52, v6, -v7
	v_fma_f32 v18, v122, v18, -v19
	v_add_f32_e32 v19, 0, v39
	v_mul_f32_e32 v142, v112, v17
	v_fmac_f32_e32 v140, v111, v14
	v_fma_f32 v7, v54, v8, -v9
	v_add_f32_e32 v6, 0, v6
	v_add_f32_e32 v19, v19, v138
	v_mul_f32_e32 v143, v114, v25
	v_fmac_f32_e32 v142, v113, v16
	v_add_f32_e32 v6, v6, v7
	v_add_f32_e32 v7, v19, v140
	v_mul_f32_e32 v144, v116, v27
	v_fmac_f32_e32 v143, v115, v24
	v_add_f32_e32 v7, v7, v142
	v_mul_f32_e32 v145, v118, v29
	v_mul_f32_e32 v15, v111, v15
	v_fmac_f32_e32 v144, v117, v26
	v_add_f32_e32 v7, v7, v143
	v_mul_f32_e32 v146, v120, v31
	v_mul_f32_e32 v17, v113, v17
	v_fmac_f32_e32 v145, v119, v28
	v_fma_f32 v8, v110, v14, -v15
	v_add_f32_e32 v7, v7, v144
	v_mul_f32_e32 v25, v115, v25
	v_fmac_f32_e32 v146, v121, v30
	v_fma_f32 v9, v112, v16, -v17
	v_add_f32_e32 v6, v6, v8
	v_add_f32_e32 v7, v7, v145
	v_mul_f32_e32 v148, v124, v21
	v_mul_f32_e32 v27, v117, v27
	v_fma_f32 v14, v114, v24, -v25
	v_add_f32_e32 v6, v6, v9
	v_add_f32_e32 v7, v7, v146
	s_waitcnt vmcnt(7) lgkmcnt(2)
	v_mul_f32_e32 v149, v126, v33
	v_mul_f32_e32 v29, v119, v29
	v_fmac_f32_e32 v148, v125, v20
	v_fma_f32 v15, v116, v26, -v27
	v_add_f32_e32 v6, v6, v14
	v_add_f32_e32 v7, v7, v147
	v_mul_f32_e32 v150, v128, v35
	v_mul_f32_e32 v31, v121, v31
	v_fmac_f32_e32 v149, v127, v32
	v_fma_f32 v16, v118, v28, -v29
	v_add_f32_e32 v6, v6, v15
	v_add_f32_e32 v7, v7, v148
	s_waitcnt vmcnt(6) lgkmcnt(1)
	v_mul_f32_e32 v151, v130, v41
	v_fmac_f32_e32 v150, v129, v34
	v_fma_f32 v17, v120, v30, -v31
	v_add_f32_e32 v6, v6, v16
	v_add_f32_e32 v7, v7, v149
	v_mul_f32_e32 v21, v125, v21
	v_fmac_f32_e32 v151, v131, v40
	v_add_f32_e32 v6, v6, v17
	v_add_f32_e32 v7, v7, v150
	;; [unrolled: 1-line block ×4, first 2 shown]
	v_fma_f32 v7, v124, v20, -v21
	v_add_f32_e32 v6, v6, v7
	v_mul_f32_e32 v7, v127, v33
	v_fma_f32 v7, v126, v32, -v7
	v_add_f32_e32 v6, v6, v7
	v_mul_f32_e32 v7, v129, v35
	;; [unrolled: 3-line block ×4, first 2 shown]
	v_mul_f32_e32 v139, v132, v43
	v_fma_f32 v138, v132, v42, -v6
	s_waitcnt vmcnt(5) lgkmcnt(0)
	v_mul_f32_e32 v6, v135, v45
	v_mov_b32_e32 v28, v47
	v_mul_f32_e32 v141, v134, v45
	v_fmac_f32_e32 v139, v133, v42
	v_fma_f32 v140, v134, v44, -v6
	ds_read_b128 v[6:9], v38 offset:384
	ds_read_b128 v[14:17], v38 offset:400
	;; [unrolled: 1-line block ×3, first 2 shown]
	ds_read_b64 v[26:27], v38 offset:432
	v_pk_mul_f32 v[28:29], v[136:137], v[28:29] op_sel:[1,0] op_sel_hi:[0,0]
	v_fmac_f32_e32 v141, v135, v44
	v_pk_add_f32 v[24:25], v[24:25], v[138:139]
	v_pk_fma_f32 v[30:31], v[136:137], v[46:47], v[28:29] neg_lo:[0,0,1] neg_hi:[0,0,1]
	v_pk_fma_f32 v[28:29], v[136:137], v[46:47], v[28:29] op_sel_hi:[1,0,1]
	v_pk_add_f32 v[24:25], v[24:25], v[140:141]
	v_mov_b32_e32 v31, v29
	s_waitcnt vmcnt(4) lgkmcnt(3)
	v_pk_mul_f32 v[28:29], v[6:7], v[48:49] op_sel:[1,1] op_sel_hi:[0,1]
	v_pk_add_f32 v[24:25], v[24:25], v[30:31]
	v_pk_fma_f32 v[30:31], v[6:7], v[48:49], v[28:29] neg_lo:[0,0,1] neg_hi:[0,0,1]
	v_pk_fma_f32 v[6:7], v[6:7], v[48:49], v[28:29] op_sel_hi:[1,0,1]
	s_nop 0
	v_mov_b32_e32 v31, v7
	v_pk_add_f32 v[6:7], v[24:25], v[30:31]
	v_mov_b32_e32 v24, v51
	v_pk_mul_f32 v[24:25], v[8:9], v[24:25] op_sel:[1,0] op_sel_hi:[0,0]
	v_pk_fma_f32 v[28:29], v[8:9], v[50:51], v[24:25] neg_lo:[0,0,1] neg_hi:[0,0,1]
	v_pk_fma_f32 v[8:9], v[8:9], v[50:51], v[24:25] op_sel_hi:[1,0,1]
	s_nop 0
	v_mov_b32_e32 v29, v9
	s_waitcnt vmcnt(3) lgkmcnt(2)
	v_pk_mul_f32 v[8:9], v[14:15], v[10:11] op_sel:[1,1] op_sel_hi:[0,1]
	v_pk_fma_f32 v[24:25], v[14:15], v[10:11], v[8:9] neg_lo:[0,0,1] neg_hi:[0,0,1]
	v_pk_fma_f32 v[8:9], v[14:15], v[10:11], v[8:9] op_sel_hi:[1,0,1]
	v_pk_add_f32 v[6:7], v[6:7], v[28:29]
	v_mov_b32_e32 v8, v13
	v_mov_b32_e32 v25, v9
	v_pk_mul_f32 v[8:9], v[16:17], v[8:9] op_sel:[1,0] op_sel_hi:[0,0]
	v_pk_fma_f32 v[10:11], v[16:17], v[12:13], v[8:9] neg_lo:[0,0,1] neg_hi:[0,0,1]
	v_pk_fma_f32 v[8:9], v[16:17], v[12:13], v[8:9] op_sel_hi:[1,0,1]
	v_pk_add_f32 v[6:7], v[6:7], v[24:25]
	v_mov_b32_e32 v11, v9
	s_waitcnt vmcnt(2) lgkmcnt(1)
	v_pk_mul_f32 v[8:9], v[18:19], v[2:3] op_sel:[1,1] op_sel_hi:[0,1]
	v_pk_add_f32 v[6:7], v[6:7], v[10:11]
	v_pk_fma_f32 v[10:11], v[18:19], v[2:3], v[8:9] neg_lo:[0,0,1] neg_hi:[0,0,1]
	v_pk_fma_f32 v[2:3], v[18:19], v[2:3], v[8:9] op_sel_hi:[1,0,1]
	s_nop 0
	v_mov_b32_e32 v11, v3
	v_pk_add_f32 v[2:3], v[6:7], v[10:11]
	v_mov_b32_e32 v6, v5
	v_pk_mul_f32 v[6:7], v[20:21], v[6:7] op_sel:[1,0] op_sel_hi:[0,0]
	v_pk_fma_f32 v[8:9], v[20:21], v[4:5], v[6:7] neg_lo:[0,0,1] neg_hi:[0,0,1]
	v_pk_fma_f32 v[4:5], v[20:21], v[4:5], v[6:7] op_sel_hi:[1,0,1]
	s_nop 0
	v_mov_b32_e32 v9, v5
	s_waitcnt vmcnt(1) lgkmcnt(0)
	v_pk_mul_f32 v[4:5], v[26:27], v[22:23] op_sel:[1,1] op_sel_hi:[0,1]
	v_pk_fma_f32 v[6:7], v[26:27], v[22:23], v[4:5] neg_lo:[0,0,1] neg_hi:[0,0,1]
	v_pk_fma_f32 v[4:5], v[26:27], v[22:23], v[4:5] op_sel_hi:[1,0,1]
	v_pk_add_f32 v[2:3], v[2:3], v[8:9]
	v_mov_b32_e32 v7, v5
	v_pk_add_f32 v[2:3], v[2:3], v[6:7]
	s_waitcnt vmcnt(0)
	v_pk_add_f32 v[2:3], v[36:37], v[2:3] neg_lo:[0,1] neg_hi:[0,1]
	scratch_store_dwordx2 off, v[2:3], off offset:24
	s_and_saveexec_b64 s[0:1], vcc
	s_cbranch_execz .LBB26_171
; %bb.170:
	scratch_load_dwordx2 v[2:3], off, off offset:16
	v_mov_b32_e32 v39, v38
	scratch_store_dwordx2 off, v[38:39], off offset:16
	s_waitcnt vmcnt(1)
	ds_write_b64 v1, v[2:3]
.LBB26_171:
	s_or_b64 exec, exec, s[0:1]
	s_waitcnt lgkmcnt(0)
	; wave barrier
	scratch_load_dwordx4 v[2:5], off, off offset:24
	scratch_load_dwordx4 v[14:17], off, off offset:40
	;; [unrolled: 1-line block ×8, first 2 shown]
	ds_read2_b64 v[48:51], v38 offset0:31 offset1:32
	ds_read2_b64 v[52:55], v38 offset0:33 offset1:34
	;; [unrolled: 1-line block ×8, first 2 shown]
	scratch_load_dwordx4 v[134:137], off, off offset:152
	scratch_load_dwordx4 v[26:29], off, off offset:168
	;; [unrolled: 1-line block ×4, first 2 shown]
	scratch_load_dwordx2 v[138:139], off, off offset:16
	v_cmp_lt_u32_e32 vcc, 1, v0
	s_waitcnt vmcnt(12) lgkmcnt(7)
	v_mul_f32_e32 v39, v48, v3
	v_mul_f32_e32 v140, v50, v5
	;; [unrolled: 1-line block ×3, first 2 shown]
	v_fmac_f32_e32 v39, v49, v2
	s_waitcnt vmcnt(8) lgkmcnt(3)
	v_mul_f32_e32 v149, v118, v19
	v_mul_f32_e32 v19, v119, v19
	;; [unrolled: 1-line block ×4, first 2 shown]
	v_fmac_f32_e32 v140, v51, v4
	v_fmac_f32_e32 v149, v119, v18
	v_fma_f32 v2, v48, v2, -v3
	v_fma_f32 v18, v118, v18, -v19
	v_add_f32_e32 v19, 0, v39
	v_mul_f32_e32 v144, v54, v17
	v_fmac_f32_e32 v142, v53, v14
	v_fma_f32 v3, v50, v4, -v5
	v_add_f32_e32 v2, 0, v2
	v_add_f32_e32 v19, v19, v140
	v_mul_f32_e32 v145, v110, v31
	v_fmac_f32_e32 v144, v55, v16
	v_add_f32_e32 v2, v2, v3
	v_add_f32_e32 v3, v19, v142
	v_mul_f32_e32 v146, v112, v33
	v_fmac_f32_e32 v145, v111, v30
	v_add_f32_e32 v3, v3, v144
	v_mul_f32_e32 v147, v114, v41
	v_fmac_f32_e32 v146, v113, v32
	;; [unrolled: 3-line block ×4, first 2 shown]
	v_add_f32_e32 v3, v3, v147
	v_mul_f32_e32 v150, v120, v21
	v_mul_f32_e32 v17, v55, v17
	v_fma_f32 v4, v52, v14, -v15
	v_add_f32_e32 v3, v3, v148
	s_waitcnt vmcnt(7) lgkmcnt(2)
	v_mul_f32_e32 v151, v122, v23
	v_mul_f32_e32 v31, v111, v31
	v_fmac_f32_e32 v150, v121, v20
	v_fma_f32 v5, v54, v16, -v17
	v_add_f32_e32 v2, v2, v4
	v_add_f32_e32 v3, v3, v149
	v_mul_f32_e32 v152, v124, v25
	v_mul_f32_e32 v33, v113, v33
	v_fmac_f32_e32 v151, v123, v22
	v_fma_f32 v14, v110, v30, -v31
	v_add_f32_e32 v2, v2, v5
	v_add_f32_e32 v3, v3, v150
	s_waitcnt vmcnt(6) lgkmcnt(1)
	v_mul_f32_e32 v153, v126, v35
	v_mul_f32_e32 v41, v115, v41
	v_fmac_f32_e32 v152, v125, v24
	v_fma_f32 v15, v112, v32, -v33
	v_add_f32_e32 v2, v2, v14
	v_add_f32_e32 v3, v3, v151
	v_mul_f32_e32 v154, v128, v37
	v_mul_f32_e32 v43, v117, v43
	v_fmac_f32_e32 v153, v127, v34
	v_fma_f32 v16, v114, v40, -v41
	v_add_f32_e32 v2, v2, v15
	v_add_f32_e32 v3, v3, v152
	v_fmac_f32_e32 v154, v129, v36
	v_fma_f32 v17, v116, v42, -v43
	v_add_f32_e32 v2, v2, v16
	v_add_f32_e32 v3, v3, v153
	;; [unrolled: 1-line block ×4, first 2 shown]
	v_mul_f32_e32 v3, v121, v21
	v_add_f32_e32 v2, v2, v18
	v_fma_f32 v3, v120, v20, -v3
	v_add_f32_e32 v2, v2, v3
	v_mul_f32_e32 v3, v123, v23
	v_fma_f32 v3, v122, v22, -v3
	v_add_f32_e32 v2, v2, v3
	v_mul_f32_e32 v3, v125, v25
	;; [unrolled: 3-line block ×4, first 2 shown]
	v_fma_f32 v3, v128, v36, -v3
	v_add_f32_e32 v30, v2, v3
	s_waitcnt vmcnt(5) lgkmcnt(0)
	v_mul_f32_e32 v2, v131, v45
	v_fma_f32 v140, v130, v44, -v2
	v_mul_f32_e32 v2, v133, v47
	v_fma_f32 v142, v132, v46, -v2
	ds_read2_b64 v[2:5], v38 offset0:47 offset1:48
	ds_read2_b64 v[14:17], v38 offset0:49 offset1:50
	;; [unrolled: 1-line block ×4, first 2 shown]
	v_mul_f32_e32 v141, v130, v45
	v_mul_f32_e32 v143, v132, v47
	v_fmac_f32_e32 v141, v131, v44
	s_waitcnt vmcnt(4) lgkmcnt(3)
	v_pk_mul_f32 v[32:33], v[2:3], v[134:135] op_sel:[1,1] op_sel_hi:[0,1]
	v_fmac_f32_e32 v143, v133, v46
	v_pk_add_f32 v[30:31], v[30:31], v[140:141]
	v_pk_fma_f32 v[34:35], v[2:3], v[134:135], v[32:33] neg_lo:[0,0,1] neg_hi:[0,0,1]
	v_pk_fma_f32 v[2:3], v[2:3], v[134:135], v[32:33] op_sel_hi:[1,0,1]
	v_pk_add_f32 v[30:31], v[30:31], v[142:143]
	v_mov_b32_e32 v35, v3
	v_pk_add_f32 v[2:3], v[30:31], v[34:35]
	v_mov_b32_e32 v30, v137
	v_pk_mul_f32 v[30:31], v[4:5], v[30:31] op_sel:[1,0] op_sel_hi:[0,0]
	v_pk_fma_f32 v[32:33], v[4:5], v[136:137], v[30:31] neg_lo:[0,0,1] neg_hi:[0,0,1]
	v_pk_fma_f32 v[4:5], v[4:5], v[136:137], v[30:31] op_sel_hi:[1,0,1]
	s_nop 0
	v_mov_b32_e32 v33, v5
	s_waitcnt vmcnt(3) lgkmcnt(2)
	v_pk_mul_f32 v[4:5], v[14:15], v[26:27] op_sel:[1,1] op_sel_hi:[0,1]
	v_pk_fma_f32 v[30:31], v[14:15], v[26:27], v[4:5] neg_lo:[0,0,1] neg_hi:[0,0,1]
	v_pk_fma_f32 v[4:5], v[14:15], v[26:27], v[4:5] op_sel_hi:[1,0,1]
	v_pk_add_f32 v[2:3], v[2:3], v[32:33]
	v_mov_b32_e32 v4, v29
	v_mov_b32_e32 v31, v5
	v_pk_mul_f32 v[4:5], v[16:17], v[4:5] op_sel:[1,0] op_sel_hi:[0,0]
	v_pk_fma_f32 v[14:15], v[16:17], v[28:29], v[4:5] neg_lo:[0,0,1] neg_hi:[0,0,1]
	v_pk_fma_f32 v[4:5], v[16:17], v[28:29], v[4:5] op_sel_hi:[1,0,1]
	v_pk_add_f32 v[2:3], v[2:3], v[30:31]
	v_mov_b32_e32 v15, v5
	s_waitcnt vmcnt(2) lgkmcnt(1)
	v_pk_mul_f32 v[4:5], v[18:19], v[10:11] op_sel:[1,1] op_sel_hi:[0,1]
	v_pk_add_f32 v[2:3], v[2:3], v[14:15]
	v_pk_fma_f32 v[14:15], v[18:19], v[10:11], v[4:5] neg_lo:[0,0,1] neg_hi:[0,0,1]
	v_pk_fma_f32 v[4:5], v[18:19], v[10:11], v[4:5] op_sel_hi:[1,0,1]
	s_nop 0
	v_mov_b32_e32 v4, v13
	v_mov_b32_e32 v15, v5
	v_pk_mul_f32 v[4:5], v[20:21], v[4:5] op_sel:[1,0] op_sel_hi:[0,0]
	v_pk_fma_f32 v[10:11], v[20:21], v[12:13], v[4:5] neg_lo:[0,0,1] neg_hi:[0,0,1]
	v_pk_fma_f32 v[4:5], v[20:21], v[12:13], v[4:5] op_sel_hi:[1,0,1]
	v_pk_add_f32 v[2:3], v[2:3], v[14:15]
	v_mov_b32_e32 v11, v5
	s_waitcnt vmcnt(1) lgkmcnt(0)
	v_pk_mul_f32 v[4:5], v[22:23], v[6:7] op_sel:[1,1] op_sel_hi:[0,1]
	v_pk_add_f32 v[2:3], v[2:3], v[10:11]
	v_pk_fma_f32 v[10:11], v[22:23], v[6:7], v[4:5] neg_lo:[0,0,1] neg_hi:[0,0,1]
	v_pk_fma_f32 v[4:5], v[22:23], v[6:7], v[4:5] op_sel_hi:[1,0,1]
	s_nop 0
	v_mov_b32_e32 v4, v9
	v_mov_b32_e32 v11, v5
	v_pk_mul_f32 v[4:5], v[24:25], v[4:5] op_sel:[1,0] op_sel_hi:[0,0]
	v_pk_fma_f32 v[6:7], v[24:25], v[8:9], v[4:5] neg_lo:[0,0,1] neg_hi:[0,0,1]
	v_pk_fma_f32 v[4:5], v[24:25], v[8:9], v[4:5] op_sel_hi:[1,0,1]
	v_pk_add_f32 v[2:3], v[2:3], v[10:11]
	v_mov_b32_e32 v7, v5
	v_pk_add_f32 v[2:3], v[2:3], v[6:7]
	s_waitcnt vmcnt(0)
	v_pk_add_f32 v[2:3], v[138:139], v[2:3] neg_lo:[0,1] neg_hi:[0,1]
	scratch_store_dwordx2 off, v[2:3], off offset:16
	s_and_saveexec_b64 s[0:1], vcc
	s_cbranch_execz .LBB26_173
; %bb.172:
	scratch_load_dwordx2 v[2:3], off, off offset:8
	v_mov_b32_e32 v4, 0
	v_mov_b32_e32 v5, v4
	scratch_store_dwordx2 off, v[4:5], off offset:8
	s_waitcnt vmcnt(1)
	ds_write_b64 v1, v[2:3]
.LBB26_173:
	s_or_b64 exec, exec, s[0:1]
	s_waitcnt lgkmcnt(0)
	; wave barrier
	scratch_load_dwordx4 v[10:13], off, off offset:16
	scratch_load_dwordx4 v[26:29], off, off offset:32
	;; [unrolled: 1-line block ×12, first 2 shown]
	scratch_load_dwordx2 v[50:51], off, off offset:208
	scratch_load_dwordx2 v[148:149], off, off offset:8
	v_mov_b32_e32 v110, 0
	ds_read_b128 v[52:55], v110 offset:240
	ds_read_b128 v[112:115], v110 offset:256
	;; [unrolled: 1-line block ×10, first 2 shown]
	v_cmp_ne_u32_e32 vcc, 0, v0
	s_waitcnt vmcnt(13) lgkmcnt(9)
	v_mul_f32_e32 v111, v52, v11
	v_mul_f32_e32 v150, v54, v13
	v_fmac_f32_e32 v111, v53, v10
	s_waitcnt vmcnt(10) lgkmcnt(6)
	v_mul_f32_e32 v157, v120, v7
	v_mul_f32_e32 v7, v121, v7
	v_mul_f32_e32 v152, v112, v27
	v_fmac_f32_e32 v150, v55, v12
	v_fmac_f32_e32 v157, v121, v6
	v_fma_f32 v6, v120, v6, -v7
	v_add_f32_e32 v7, 0, v111
	v_mul_f32_e32 v154, v114, v29
	v_fmac_f32_e32 v152, v113, v26
	v_add_f32_e32 v7, v7, v150
	v_mul_f32_e32 v155, v116, v39
	v_fmac_f32_e32 v154, v115, v28
	;; [unrolled: 3-line block ×3, first 2 shown]
	v_add_f32_e32 v7, v7, v154
	v_fmac_f32_e32 v156, v119, v40
	v_add_f32_e32 v7, v7, v155
	v_mul_f32_e32 v158, v122, v9
	v_add_f32_e32 v7, v7, v156
	s_waitcnt vmcnt(9) lgkmcnt(5)
	v_mul_f32_e32 v159, v124, v15
	v_fmac_f32_e32 v158, v123, v8
	v_add_f32_e32 v7, v7, v157
	v_mul_f32_e32 v160, v126, v17
	v_mul_f32_e32 v11, v53, v11
	v_fmac_f32_e32 v159, v125, v14
	v_add_f32_e32 v7, v7, v158
	s_waitcnt vmcnt(8) lgkmcnt(4)
	v_mul_f32_e32 v161, v128, v23
	v_mul_f32_e32 v13, v55, v13
	v_fmac_f32_e32 v160, v127, v16
	v_fma_f32 v10, v52, v10, -v11
	v_add_f32_e32 v7, v7, v159
	v_mul_f32_e32 v162, v130, v25
	v_mul_f32_e32 v27, v113, v27
	v_fmac_f32_e32 v161, v129, v22
	v_fma_f32 v11, v54, v12, -v13
	v_add_f32_e32 v10, 0, v10
	v_add_f32_e32 v7, v7, v160
	s_waitcnt vmcnt(7) lgkmcnt(3)
	v_mul_f32_e32 v163, v132, v31
	v_mul_f32_e32 v29, v115, v29
	v_fmac_f32_e32 v162, v131, v24
	v_fma_f32 v12, v112, v26, -v27
	v_add_f32_e32 v10, v10, v11
	v_add_f32_e32 v7, v7, v161
	v_mul_f32_e32 v164, v134, v33
	v_mul_f32_e32 v39, v117, v39
	v_fmac_f32_e32 v163, v133, v30
	v_fma_f32 v13, v114, v28, -v29
	v_add_f32_e32 v10, v10, v12
	v_add_f32_e32 v7, v7, v162
	s_waitcnt vmcnt(6) lgkmcnt(2)
	v_mul_f32_e32 v165, v136, v43
	v_mul_f32_e32 v41, v119, v41
	v_fmac_f32_e32 v164, v135, v32
	v_fma_f32 v26, v116, v38, -v39
	v_add_f32_e32 v10, v10, v13
	v_add_f32_e32 v7, v7, v163
	v_fmac_f32_e32 v165, v137, v42
	v_fma_f32 v27, v118, v40, -v41
	v_add_f32_e32 v10, v10, v26
	v_add_f32_e32 v7, v7, v164
	;; [unrolled: 1-line block ×4, first 2 shown]
	v_mul_f32_e32 v7, v123, v9
	v_add_f32_e32 v6, v10, v6
	v_fma_f32 v7, v122, v8, -v7
	v_add_f32_e32 v6, v6, v7
	v_mul_f32_e32 v7, v125, v15
	v_fma_f32 v7, v124, v14, -v7
	v_add_f32_e32 v6, v6, v7
	v_mul_f32_e32 v7, v127, v17
	;; [unrolled: 3-line block ×7, first 2 shown]
	v_fma_f32 v7, v136, v42, -v7
	v_mul_f32_e32 v151, v138, v45
	v_add_f32_e32 v26, v6, v7
	v_mul_f32_e32 v6, v139, v45
	s_waitcnt vmcnt(5)
	v_mov_b32_e32 v22, v49
	s_waitcnt lgkmcnt(1)
	v_mul_f32_e32 v153, v140, v47
	v_fmac_f32_e32 v151, v139, v44
	v_fma_f32 v150, v138, v44, -v6
	v_mul_f32_e32 v6, v141, v47
	v_pk_mul_f32 v[22:23], v[142:143], v[22:23] op_sel:[1,0] op_sel_hi:[0,0]
	v_fmac_f32_e32 v153, v141, v46
	v_fma_f32 v152, v140, v46, -v6
	v_pk_add_f32 v[16:17], v[26:27], v[150:151]
	v_pk_fma_f32 v[24:25], v[142:143], v[48:49], v[22:23] neg_lo:[0,0,1] neg_hi:[0,0,1]
	v_pk_fma_f32 v[22:23], v[142:143], v[48:49], v[22:23] op_sel_hi:[1,0,1]
	v_pk_add_f32 v[16:17], v[16:17], v[152:153]
	v_mov_b32_e32 v25, v23
	s_waitcnt vmcnt(4) lgkmcnt(0)
	v_pk_mul_f32 v[22:23], v[144:145], v[34:35] op_sel:[1,1] op_sel_hi:[0,1]
	v_pk_add_f32 v[16:17], v[16:17], v[24:25]
	v_pk_fma_f32 v[24:25], v[144:145], v[34:35], v[22:23] neg_lo:[0,0,1] neg_hi:[0,0,1]
	v_pk_fma_f32 v[22:23], v[144:145], v[34:35], v[22:23] op_sel_hi:[1,0,1]
	ds_read_b128 v[6:9], v110 offset:400
	ds_read_b128 v[10:13], v110 offset:416
	ds_read_b64 v[14:15], v110 offset:432
	v_mov_b32_e32 v22, v37
	v_mov_b32_e32 v25, v23
	v_pk_mul_f32 v[22:23], v[146:147], v[22:23] op_sel:[1,0] op_sel_hi:[0,0]
	v_pk_add_f32 v[16:17], v[16:17], v[24:25]
	v_pk_fma_f32 v[24:25], v[146:147], v[36:37], v[22:23] neg_lo:[0,0,1] neg_hi:[0,0,1]
	v_pk_fma_f32 v[22:23], v[146:147], v[36:37], v[22:23] op_sel_hi:[1,0,1]
	s_nop 0
	v_mov_b32_e32 v25, v23
	s_waitcnt vmcnt(3) lgkmcnt(2)
	v_pk_mul_f32 v[22:23], v[6:7], v[18:19] op_sel:[1,1] op_sel_hi:[0,1]
	v_pk_add_f32 v[16:17], v[16:17], v[24:25]
	v_pk_fma_f32 v[24:25], v[6:7], v[18:19], v[22:23] neg_lo:[0,0,1] neg_hi:[0,0,1]
	v_pk_fma_f32 v[6:7], v[6:7], v[18:19], v[22:23] op_sel_hi:[1,0,1]
	s_nop 0
	v_mov_b32_e32 v25, v7
	v_pk_add_f32 v[6:7], v[16:17], v[24:25]
	v_mov_b32_e32 v16, v21
	v_pk_mul_f32 v[16:17], v[8:9], v[16:17] op_sel:[1,0] op_sel_hi:[0,0]
	v_pk_fma_f32 v[18:19], v[8:9], v[20:21], v[16:17] neg_lo:[0,0,1] neg_hi:[0,0,1]
	v_pk_fma_f32 v[8:9], v[8:9], v[20:21], v[16:17] op_sel_hi:[1,0,1]
	s_nop 0
	v_mov_b32_e32 v19, v9
	s_waitcnt vmcnt(2) lgkmcnt(1)
	v_pk_mul_f32 v[8:9], v[10:11], v[2:3] op_sel:[1,1] op_sel_hi:[0,1]
	v_pk_fma_f32 v[16:17], v[10:11], v[2:3], v[8:9] neg_lo:[0,0,1] neg_hi:[0,0,1]
	v_pk_fma_f32 v[2:3], v[10:11], v[2:3], v[8:9] op_sel_hi:[1,0,1]
	v_pk_add_f32 v[6:7], v[6:7], v[18:19]
	v_mov_b32_e32 v17, v3
	v_pk_add_f32 v[2:3], v[6:7], v[16:17]
	v_mov_b32_e32 v6, v5
	v_pk_mul_f32 v[6:7], v[12:13], v[6:7] op_sel:[1,0] op_sel_hi:[0,0]
	v_pk_fma_f32 v[8:9], v[12:13], v[4:5], v[6:7] neg_lo:[0,0,1] neg_hi:[0,0,1]
	v_pk_fma_f32 v[4:5], v[12:13], v[4:5], v[6:7] op_sel_hi:[1,0,1]
	s_nop 0
	v_mov_b32_e32 v9, v5
	s_waitcnt vmcnt(1) lgkmcnt(0)
	v_pk_mul_f32 v[4:5], v[14:15], v[50:51] op_sel:[1,1] op_sel_hi:[0,1]
	v_pk_fma_f32 v[6:7], v[14:15], v[50:51], v[4:5] neg_lo:[0,0,1] neg_hi:[0,0,1]
	v_pk_fma_f32 v[4:5], v[14:15], v[50:51], v[4:5] op_sel_hi:[1,0,1]
	v_pk_add_f32 v[2:3], v[2:3], v[8:9]
	v_mov_b32_e32 v7, v5
	v_pk_add_f32 v[2:3], v[2:3], v[6:7]
	s_waitcnt vmcnt(0)
	v_pk_add_f32 v[2:3], v[148:149], v[2:3] neg_lo:[0,1] neg_hi:[0,1]
	scratch_store_dwordx2 off, v[2:3], off offset:8
	s_and_saveexec_b64 s[0:1], vcc
	s_cbranch_execz .LBB26_175
; %bb.174:
	scratch_load_dwordx2 v[2:3], off, off
	v_mov_b32_e32 v111, v110
	scratch_store_dwordx2 off, v[110:111], off
	s_waitcnt vmcnt(1)
	ds_write_b64 v1, v[2:3]
.LBB26_175:
	s_or_b64 exec, exec, s[0:1]
	s_waitcnt lgkmcnt(0)
	; wave barrier
	scratch_load_dwordx4 v[0:3], off, off offset:8
	scratch_load_dwordx4 v[16:19], off, off offset:24
	;; [unrolled: 1-line block ×9, first 2 shown]
	ds_read2_b64 v[112:115], v110 offset0:29 offset1:30
	ds_read2_b64 v[116:119], v110 offset0:31 offset1:32
	;; [unrolled: 1-line block ×8, first 2 shown]
	scratch_load_dwordx4 v[48:51], off, off offset:152
	scratch_load_dwordx4 v[32:35], off, off offset:168
	;; [unrolled: 1-line block ×4, first 2 shown]
	ds_read2_b64 v[140:143], v110 offset0:45 offset1:46
	ds_read2_b64 v[144:147], v110 offset0:47 offset1:48
	scratch_load_dwordx2 v[148:149], off, off
	s_and_b64 vcc, exec, s[18:19]
	s_waitcnt vmcnt(13) lgkmcnt(9)
	v_mul_f32_e32 v111, v112, v1
	v_mul_f32_e32 v150, v114, v3
	;; [unrolled: 1-line block ×3, first 2 shown]
	s_waitcnt vmcnt(10) lgkmcnt(6)
	v_mul_f32_e32 v157, v124, v5
	v_mul_f32_e32 v5, v125, v5
	v_fmac_f32_e32 v111, v113, v0
	v_mul_f32_e32 v152, v116, v17
	v_mul_f32_e32 v3, v115, v3
	v_fmac_f32_e32 v150, v115, v2
	v_fmac_f32_e32 v157, v125, v4
	v_fma_f32 v0, v112, v0, -v1
	v_fma_f32 v4, v124, v4, -v5
	v_add_f32_e32 v5, 0, v111
	v_mul_f32_e32 v154, v118, v19
	v_fmac_f32_e32 v152, v117, v16
	v_fma_f32 v1, v114, v2, -v3
	v_add_f32_e32 v0, 0, v0
	v_add_f32_e32 v5, v5, v150
	v_mul_f32_e32 v155, v120, v37
	v_fmac_f32_e32 v154, v119, v18
	v_add_f32_e32 v0, v0, v1
	v_add_f32_e32 v1, v5, v152
	v_mul_f32_e32 v156, v122, v39
	v_fmac_f32_e32 v155, v121, v36
	v_add_f32_e32 v1, v1, v154
	v_fmac_f32_e32 v156, v123, v38
	v_add_f32_e32 v1, v1, v155
	v_mul_f32_e32 v158, v126, v7
	v_add_f32_e32 v1, v1, v156
	s_waitcnt vmcnt(9) lgkmcnt(5)
	v_mul_f32_e32 v159, v128, v13
	v_fmac_f32_e32 v158, v127, v6
	v_add_f32_e32 v1, v1, v157
	v_mul_f32_e32 v160, v130, v15
	v_fmac_f32_e32 v159, v129, v12
	v_add_f32_e32 v1, v1, v158
	s_waitcnt vmcnt(8) lgkmcnt(4)
	v_mul_f32_e32 v161, v132, v21
	v_fmac_f32_e32 v160, v131, v14
	v_add_f32_e32 v1, v1, v159
	v_mul_f32_e32 v162, v134, v23
	v_fmac_f32_e32 v161, v133, v20
	v_add_f32_e32 v1, v1, v160
	s_waitcnt vmcnt(7) lgkmcnt(3)
	v_mul_f32_e32 v163, v136, v29
	v_mul_f32_e32 v17, v117, v17
	v_fmac_f32_e32 v162, v135, v22
	v_add_f32_e32 v1, v1, v161
	v_mul_f32_e32 v164, v138, v31
	v_mul_f32_e32 v19, v119, v19
	v_fmac_f32_e32 v163, v137, v28
	v_fma_f32 v2, v116, v16, -v17
	v_add_f32_e32 v1, v1, v162
	s_waitcnt vmcnt(6) lgkmcnt(2)
	v_mul_f32_e32 v165, v52, v41
	v_mul_f32_e32 v37, v121, v37
	v_fmac_f32_e32 v164, v139, v30
	v_fma_f32 v3, v118, v18, -v19
	v_add_f32_e32 v0, v0, v2
	v_add_f32_e32 v1, v1, v163
	v_mul_f32_e32 v166, v54, v43
	v_mul_f32_e32 v39, v123, v39
	v_fmac_f32_e32 v165, v53, v40
	v_fma_f32 v16, v120, v36, -v37
	v_add_f32_e32 v0, v0, v3
	v_add_f32_e32 v1, v1, v164
	v_fmac_f32_e32 v166, v55, v42
	v_fma_f32 v17, v122, v38, -v39
	v_add_f32_e32 v0, v0, v16
	v_add_f32_e32 v1, v1, v165
	;; [unrolled: 1-line block ×4, first 2 shown]
	v_mul_f32_e32 v1, v127, v7
	v_add_f32_e32 v0, v0, v4
	v_fma_f32 v1, v126, v6, -v1
	v_add_f32_e32 v0, v0, v1
	v_mul_f32_e32 v1, v129, v13
	v_fma_f32 v1, v128, v12, -v1
	v_add_f32_e32 v0, v0, v1
	v_mul_f32_e32 v1, v131, v15
	;; [unrolled: 3-line block ×8, first 2 shown]
	v_fma_f32 v1, v54, v42, -v1
	s_waitcnt vmcnt(5) lgkmcnt(1)
	v_mul_f32_e32 v151, v140, v45
	v_add_f32_e32 v16, v0, v1
	v_mul_f32_e32 v0, v141, v45
	s_waitcnt vmcnt(4) lgkmcnt(0)
	v_pk_mul_f32 v[18:19], v[144:145], v[48:49] op_sel:[1,1] op_sel_hi:[0,1]
	v_mul_f32_e32 v153, v142, v47
	v_fmac_f32_e32 v151, v141, v44
	v_fma_f32 v150, v140, v44, -v0
	v_mul_f32_e32 v0, v143, v47
	v_pk_fma_f32 v[20:21], v[144:145], v[48:49], v[18:19] neg_lo:[0,0,1] neg_hi:[0,0,1]
	v_pk_fma_f32 v[18:19], v[144:145], v[48:49], v[18:19] op_sel_hi:[1,0,1]
	v_fmac_f32_e32 v153, v143, v46
	v_fma_f32 v152, v142, v46, -v0
	ds_read2_b64 v[0:3], v110 offset0:49 offset1:50
	ds_read2_b64 v[4:7], v110 offset0:51 offset1:52
	;; [unrolled: 1-line block ×3, first 2 shown]
	v_pk_add_f32 v[16:17], v[16:17], v[150:151]
	v_mov_b32_e32 v18, v51
	v_pk_add_f32 v[16:17], v[16:17], v[152:153]
	v_mov_b32_e32 v21, v19
	v_pk_mul_f32 v[18:19], v[146:147], v[18:19] op_sel:[1,0] op_sel_hi:[0,0]
	v_pk_add_f32 v[16:17], v[16:17], v[20:21]
	v_pk_fma_f32 v[20:21], v[146:147], v[50:51], v[18:19] neg_lo:[0,0,1] neg_hi:[0,0,1]
	v_pk_fma_f32 v[18:19], v[146:147], v[50:51], v[18:19] op_sel_hi:[1,0,1]
	s_nop 0
	v_mov_b32_e32 v21, v19
	s_waitcnt vmcnt(3) lgkmcnt(2)
	v_pk_mul_f32 v[18:19], v[0:1], v[32:33] op_sel:[1,1] op_sel_hi:[0,1]
	v_pk_add_f32 v[16:17], v[16:17], v[20:21]
	v_pk_fma_f32 v[20:21], v[0:1], v[32:33], v[18:19] neg_lo:[0,0,1] neg_hi:[0,0,1]
	v_pk_fma_f32 v[0:1], v[0:1], v[32:33], v[18:19] op_sel_hi:[1,0,1]
	s_nop 0
	v_mov_b32_e32 v21, v1
	v_pk_add_f32 v[0:1], v[16:17], v[20:21]
	v_mov_b32_e32 v16, v35
	v_pk_mul_f32 v[16:17], v[2:3], v[16:17] op_sel:[1,0] op_sel_hi:[0,0]
	v_pk_fma_f32 v[18:19], v[2:3], v[34:35], v[16:17] neg_lo:[0,0,1] neg_hi:[0,0,1]
	v_pk_fma_f32 v[2:3], v[2:3], v[34:35], v[16:17] op_sel_hi:[1,0,1]
	s_nop 0
	v_mov_b32_e32 v19, v3
	s_waitcnt vmcnt(2) lgkmcnt(1)
	v_pk_mul_f32 v[2:3], v[4:5], v[24:25] op_sel:[1,1] op_sel_hi:[0,1]
	v_pk_fma_f32 v[16:17], v[4:5], v[24:25], v[2:3] neg_lo:[0,0,1] neg_hi:[0,0,1]
	v_pk_fma_f32 v[2:3], v[4:5], v[24:25], v[2:3] op_sel_hi:[1,0,1]
	v_pk_add_f32 v[0:1], v[0:1], v[18:19]
	v_mov_b32_e32 v2, v27
	v_mov_b32_e32 v17, v3
	v_pk_mul_f32 v[2:3], v[6:7], v[2:3] op_sel:[1,0] op_sel_hi:[0,0]
	v_pk_fma_f32 v[4:5], v[6:7], v[26:27], v[2:3] neg_lo:[0,0,1] neg_hi:[0,0,1]
	v_pk_fma_f32 v[2:3], v[6:7], v[26:27], v[2:3] op_sel_hi:[1,0,1]
	v_pk_add_f32 v[0:1], v[0:1], v[16:17]
	v_mov_b32_e32 v5, v3
	s_waitcnt vmcnt(1) lgkmcnt(0)
	v_pk_mul_f32 v[2:3], v[12:13], v[8:9] op_sel:[1,1] op_sel_hi:[0,1]
	v_pk_add_f32 v[0:1], v[0:1], v[4:5]
	v_pk_fma_f32 v[4:5], v[12:13], v[8:9], v[2:3] neg_lo:[0,0,1] neg_hi:[0,0,1]
	v_pk_fma_f32 v[2:3], v[12:13], v[8:9], v[2:3] op_sel_hi:[1,0,1]
	s_nop 0
	v_mov_b32_e32 v2, v11
	v_mov_b32_e32 v5, v3
	v_pk_mul_f32 v[2:3], v[14:15], v[2:3] op_sel:[1,0] op_sel_hi:[0,0]
	v_pk_add_f32 v[0:1], v[0:1], v[4:5]
	v_pk_fma_f32 v[4:5], v[14:15], v[10:11], v[2:3] neg_lo:[0,0,1] neg_hi:[0,0,1]
	v_pk_fma_f32 v[2:3], v[14:15], v[10:11], v[2:3] op_sel_hi:[1,0,1]
	s_nop 0
	v_mov_b32_e32 v5, v3
	v_pk_add_f32 v[0:1], v[0:1], v[4:5]
	s_waitcnt vmcnt(0)
	v_pk_add_f32 v[0:1], v[148:149], v[0:1] neg_lo:[0,1] neg_hi:[0,1]
	scratch_store_dwordx2 off, v[0:1], off
	s_cbranch_vccz .LBB26_228
; %bb.176:
	v_mov_b32_e32 v0, 0
	global_load_dword v1, v0, s[16:17] offset:100
	s_waitcnt vmcnt(0)
	v_readfirstlane_b32 s0, v1
	s_add_i32 s0, s0, -1
	s_cmp_lg_u32 s0, 25
	s_cbranch_scc0 .LBB26_178
; %bb.177:
	s_lshl_b32 s0, s0, 3
	s_nop 0
	scratch_load_dwordx2 v[2:3], off, s0
	scratch_load_dwordx2 v[4:5], off, off offset:200
	s_waitcnt vmcnt(1)
	scratch_store_dwordx2 off, v[2:3], off offset:200
	s_waitcnt vmcnt(1)
	scratch_store_dwordx2 off, v[4:5], s0
.LBB26_178:
	global_load_dword v0, v0, s[16:17] offset:96
	s_waitcnt vmcnt(0)
	v_readfirstlane_b32 s0, v0
	s_add_i32 s0, s0, -1
	s_cmp_eq_u32 s0, 24
	s_cbranch_scc1 .LBB26_180
; %bb.179:
	s_lshl_b32 s0, s0, 3
	s_nop 0
	scratch_load_dwordx2 v[0:1], off, s0
	scratch_load_dwordx2 v[2:3], off, off offset:192
	s_waitcnt vmcnt(1)
	scratch_store_dwordx2 off, v[0:1], off offset:192
	s_waitcnt vmcnt(1)
	scratch_store_dwordx2 off, v[2:3], s0
.LBB26_180:
	v_mov_b32_e32 v0, 0
	global_load_dword v1, v0, s[16:17] offset:92
	s_waitcnt vmcnt(0)
	v_readfirstlane_b32 s0, v1
	s_add_i32 s0, s0, -1
	s_cmp_eq_u32 s0, 23
	s_cbranch_scc1 .LBB26_182
; %bb.181:
	s_lshl_b32 s0, s0, 3
	s_nop 0
	scratch_load_dwordx2 v[2:3], off, s0
	scratch_load_dwordx2 v[4:5], off, off offset:184
	s_waitcnt vmcnt(1)
	scratch_store_dwordx2 off, v[2:3], off offset:184
	s_waitcnt vmcnt(1)
	scratch_store_dwordx2 off, v[4:5], s0
.LBB26_182:
	global_load_dword v0, v0, s[16:17] offset:88
	s_waitcnt vmcnt(0)
	v_readfirstlane_b32 s0, v0
	s_add_i32 s0, s0, -1
	s_cmp_eq_u32 s0, 22
	s_cbranch_scc1 .LBB26_184
; %bb.183:
	s_lshl_b32 s0, s0, 3
	s_nop 0
	scratch_load_dwordx2 v[0:1], off, s0
	scratch_load_dwordx2 v[2:3], off, off offset:176
	s_waitcnt vmcnt(1)
	scratch_store_dwordx2 off, v[0:1], off offset:176
	s_waitcnt vmcnt(1)
	scratch_store_dwordx2 off, v[2:3], s0
.LBB26_184:
	v_mov_b32_e32 v0, 0
	global_load_dword v1, v0, s[16:17] offset:84
	s_waitcnt vmcnt(0)
	v_readfirstlane_b32 s0, v1
	s_add_i32 s0, s0, -1
	s_cmp_eq_u32 s0, 21
	s_cbranch_scc1 .LBB26_186
; %bb.185:
	s_lshl_b32 s0, s0, 3
	s_nop 0
	scratch_load_dwordx2 v[2:3], off, s0
	scratch_load_dwordx2 v[4:5], off, off offset:168
	s_waitcnt vmcnt(1)
	scratch_store_dwordx2 off, v[2:3], off offset:168
	s_waitcnt vmcnt(1)
	scratch_store_dwordx2 off, v[4:5], s0
.LBB26_186:
	;; [unrolled: 33-line block ×12, first 2 shown]
	global_load_dword v2, v0, s[16:17]
	s_nop 0
	scratch_load_dwordx2 v[0:1], off, off
	s_waitcnt vmcnt(1)
	v_readfirstlane_b32 s0, v2
	s_add_i32 s0, s0, -1
	s_cmp_eq_u32 s0, 0
	s_cbranch_scc1 .LBB26_228
; %bb.227:
	s_lshl_b32 s0, s0, 3
	s_nop 0
	scratch_load_dwordx2 v[2:3], off, s0
	s_waitcnt vmcnt(0)
	scratch_store_dwordx2 off, v[2:3], off
	scratch_store_dwordx2 off, v[0:1], s0
	scratch_load_dwordx2 v[0:1], off, off
.LBB26_228:
	s_nop 0
	scratch_load_dwordx4 v[2:5], off, off offset:8
	scratch_load_dwordx4 v[6:9], off, off offset:24
	;; [unrolled: 1-line block ×13, first 2 shown]
	s_waitcnt vmcnt(13)
	global_store_dwordx2 v[56:57], v[0:1], off
	s_waitcnt vmcnt(13)
	global_store_dwordx2 v[58:59], v[2:3], off
	global_store_dwordx2 v[60:61], v[4:5], off
	s_waitcnt vmcnt(14)
	global_store_dwordx2 v[62:63], v[6:7], off
	;; [unrolled: 3-line block ×13, first 2 shown]
	global_store_dwordx2 v[108:109], v[52:53], off
	s_endpgm
	.section	.rodata,"a",@progbits
	.p2align	6, 0x0
	.amdhsa_kernel _ZN9rocsolver6v33100L18getri_kernel_smallILi27E19rocblas_complex_numIfEPS3_EEvT1_iilPiilS6_bb
		.amdhsa_group_segment_fixed_size 440
		.amdhsa_private_segment_fixed_size 224
		.amdhsa_kernarg_size 60
		.amdhsa_user_sgpr_count 2
		.amdhsa_user_sgpr_dispatch_ptr 0
		.amdhsa_user_sgpr_queue_ptr 0
		.amdhsa_user_sgpr_kernarg_segment_ptr 1
		.amdhsa_user_sgpr_dispatch_id 0
		.amdhsa_user_sgpr_kernarg_preload_length 0
		.amdhsa_user_sgpr_kernarg_preload_offset 0
		.amdhsa_user_sgpr_private_segment_size 0
		.amdhsa_uses_dynamic_stack 0
		.amdhsa_enable_private_segment 1
		.amdhsa_system_sgpr_workgroup_id_x 1
		.amdhsa_system_sgpr_workgroup_id_y 0
		.amdhsa_system_sgpr_workgroup_id_z 0
		.amdhsa_system_sgpr_workgroup_info 0
		.amdhsa_system_vgpr_workitem_id 0
		.amdhsa_next_free_vgpr 167
		.amdhsa_next_free_sgpr 20
		.amdhsa_accum_offset 168
		.amdhsa_reserve_vcc 1
		.amdhsa_float_round_mode_32 0
		.amdhsa_float_round_mode_16_64 0
		.amdhsa_float_denorm_mode_32 3
		.amdhsa_float_denorm_mode_16_64 3
		.amdhsa_dx10_clamp 1
		.amdhsa_ieee_mode 1
		.amdhsa_fp16_overflow 0
		.amdhsa_tg_split 0
		.amdhsa_exception_fp_ieee_invalid_op 0
		.amdhsa_exception_fp_denorm_src 0
		.amdhsa_exception_fp_ieee_div_zero 0
		.amdhsa_exception_fp_ieee_overflow 0
		.amdhsa_exception_fp_ieee_underflow 0
		.amdhsa_exception_fp_ieee_inexact 0
		.amdhsa_exception_int_div_zero 0
	.end_amdhsa_kernel
	.section	.text._ZN9rocsolver6v33100L18getri_kernel_smallILi27E19rocblas_complex_numIfEPS3_EEvT1_iilPiilS6_bb,"axG",@progbits,_ZN9rocsolver6v33100L18getri_kernel_smallILi27E19rocblas_complex_numIfEPS3_EEvT1_iilPiilS6_bb,comdat
.Lfunc_end26:
	.size	_ZN9rocsolver6v33100L18getri_kernel_smallILi27E19rocblas_complex_numIfEPS3_EEvT1_iilPiilS6_bb, .Lfunc_end26-_ZN9rocsolver6v33100L18getri_kernel_smallILi27E19rocblas_complex_numIfEPS3_EEvT1_iilPiilS6_bb
                                        ; -- End function
	.set _ZN9rocsolver6v33100L18getri_kernel_smallILi27E19rocblas_complex_numIfEPS3_EEvT1_iilPiilS6_bb.num_vgpr, 167
	.set _ZN9rocsolver6v33100L18getri_kernel_smallILi27E19rocblas_complex_numIfEPS3_EEvT1_iilPiilS6_bb.num_agpr, 0
	.set _ZN9rocsolver6v33100L18getri_kernel_smallILi27E19rocblas_complex_numIfEPS3_EEvT1_iilPiilS6_bb.numbered_sgpr, 20
	.set _ZN9rocsolver6v33100L18getri_kernel_smallILi27E19rocblas_complex_numIfEPS3_EEvT1_iilPiilS6_bb.num_named_barrier, 0
	.set _ZN9rocsolver6v33100L18getri_kernel_smallILi27E19rocblas_complex_numIfEPS3_EEvT1_iilPiilS6_bb.private_seg_size, 224
	.set _ZN9rocsolver6v33100L18getri_kernel_smallILi27E19rocblas_complex_numIfEPS3_EEvT1_iilPiilS6_bb.uses_vcc, 1
	.set _ZN9rocsolver6v33100L18getri_kernel_smallILi27E19rocblas_complex_numIfEPS3_EEvT1_iilPiilS6_bb.uses_flat_scratch, 0
	.set _ZN9rocsolver6v33100L18getri_kernel_smallILi27E19rocblas_complex_numIfEPS3_EEvT1_iilPiilS6_bb.has_dyn_sized_stack, 0
	.set _ZN9rocsolver6v33100L18getri_kernel_smallILi27E19rocblas_complex_numIfEPS3_EEvT1_iilPiilS6_bb.has_recursion, 0
	.set _ZN9rocsolver6v33100L18getri_kernel_smallILi27E19rocblas_complex_numIfEPS3_EEvT1_iilPiilS6_bb.has_indirect_call, 0
	.section	.AMDGPU.csdata,"",@progbits
; Kernel info:
; codeLenInByte = 27428
; TotalNumSgprs: 26
; NumVgprs: 167
; NumAgprs: 0
; TotalNumVgprs: 167
; ScratchSize: 224
; MemoryBound: 0
; FloatMode: 240
; IeeeMode: 1
; LDSByteSize: 440 bytes/workgroup (compile time only)
; SGPRBlocks: 3
; VGPRBlocks: 20
; NumSGPRsForWavesPerEU: 26
; NumVGPRsForWavesPerEU: 167
; AccumOffset: 168
; Occupancy: 3
; WaveLimiterHint : 1
; COMPUTE_PGM_RSRC2:SCRATCH_EN: 1
; COMPUTE_PGM_RSRC2:USER_SGPR: 2
; COMPUTE_PGM_RSRC2:TRAP_HANDLER: 0
; COMPUTE_PGM_RSRC2:TGID_X_EN: 1
; COMPUTE_PGM_RSRC2:TGID_Y_EN: 0
; COMPUTE_PGM_RSRC2:TGID_Z_EN: 0
; COMPUTE_PGM_RSRC2:TIDIG_COMP_CNT: 0
; COMPUTE_PGM_RSRC3_GFX90A:ACCUM_OFFSET: 41
; COMPUTE_PGM_RSRC3_GFX90A:TG_SPLIT: 0
	.section	.text._ZN9rocsolver6v33100L18getri_kernel_smallILi28E19rocblas_complex_numIfEPS3_EEvT1_iilPiilS6_bb,"axG",@progbits,_ZN9rocsolver6v33100L18getri_kernel_smallILi28E19rocblas_complex_numIfEPS3_EEvT1_iilPiilS6_bb,comdat
	.globl	_ZN9rocsolver6v33100L18getri_kernel_smallILi28E19rocblas_complex_numIfEPS3_EEvT1_iilPiilS6_bb ; -- Begin function _ZN9rocsolver6v33100L18getri_kernel_smallILi28E19rocblas_complex_numIfEPS3_EEvT1_iilPiilS6_bb
	.p2align	8
	.type	_ZN9rocsolver6v33100L18getri_kernel_smallILi28E19rocblas_complex_numIfEPS3_EEvT1_iilPiilS6_bb,@function
_ZN9rocsolver6v33100L18getri_kernel_smallILi28E19rocblas_complex_numIfEPS3_EEvT1_iilPiilS6_bb: ; @_ZN9rocsolver6v33100L18getri_kernel_smallILi28E19rocblas_complex_numIfEPS3_EEvT1_iilPiilS6_bb
; %bb.0:
	v_cmp_gt_u32_e32 vcc, 28, v0
	s_and_saveexec_b64 s[4:5], vcc
	s_cbranch_execz .LBB27_126
; %bb.1:
	s_load_dword s8, s[0:1], 0x38
	s_load_dwordx4 s[12:15], s[0:1], 0x10
	s_load_dwordx4 s[4:7], s[0:1], 0x28
                                        ; implicit-def: $sgpr16_sgpr17
	s_waitcnt lgkmcnt(0)
	s_bitcmp1_b32 s8, 8
	s_cselect_b64 s[18:19], -1, 0
	s_ashr_i32 s3, s2, 31
	s_bfe_u32 s8, s8, 0x10008
	s_cmp_eq_u32 s8, 0
	s_cbranch_scc1 .LBB27_3
; %bb.2:
	s_load_dword s8, s[0:1], 0x20
	s_mul_i32 s9, s4, s3
	s_mul_hi_u32 s10, s4, s2
	s_mul_i32 s5, s5, s2
	s_add_i32 s10, s10, s9
	s_add_i32 s5, s10, s5
	s_mul_i32 s4, s4, s2
	s_waitcnt lgkmcnt(0)
	s_ashr_i32 s9, s8, 31
	s_lshl_b64 s[4:5], s[4:5], 2
	s_add_u32 s10, s14, s4
	s_addc_u32 s11, s15, s5
	s_lshl_b64 s[4:5], s[8:9], 2
	s_add_u32 s16, s10, s4
	s_addc_u32 s17, s11, s5
.LBB27_3:
	s_load_dwordx4 s[8:11], s[0:1], 0x0
	s_load_dword s4, s[0:1], 0x38
	s_mul_i32 s5, s12, s3
	s_mul_hi_u32 s14, s12, s2
	s_add_i32 s5, s14, s5
	s_waitcnt lgkmcnt(0)
	s_ashr_i32 s1, s10, 31
	s_mov_b32 s0, s10
	s_mul_i32 s10, s13, s2
	s_add_i32 s13, s5, s10
	s_mul_i32 s12, s12, s2
	s_lshl_b64 s[12:13], s[12:13], 3
	s_add_u32 s5, s8, s12
	s_addc_u32 s8, s9, s13
	s_lshl_b64 s[0:1], s[0:1], 3
	s_add_u32 s0, s5, s0
	s_addc_u32 s1, s8, s1
	s_add_i32 s5, s11, s11
	v_add_u32_e32 v4, s5, v0
	v_ashrrev_i32_e32 v5, 31, v4
	v_lshl_add_u64 v[42:43], v[4:5], 3, s[0:1]
	v_add_u32_e32 v4, s11, v4
	v_ashrrev_i32_e32 v5, 31, v4
	v_lshl_add_u64 v[44:45], v[4:5], 3, s[0:1]
	;; [unrolled: 3-line block ×24, first 2 shown]
	v_add_u32_e32 v4, s11, v4
	v_lshlrev_b32_e32 v2, 3, v0
	v_mov_b32_e32 v3, 0
	v_ashrrev_i32_e32 v5, 31, v4
	v_lshl_add_u64 v[38:39], s[0:1], 0, v[2:3]
	s_ashr_i32 s9, s11, 31
	s_mov_b32 s8, s11
	v_lshl_add_u64 v[90:91], v[4:5], 3, s[0:1]
	v_add_u32_e32 v4, s11, v4
	v_lshl_add_u64 v[40:41], s[8:9], 3, v[38:39]
	v_ashrrev_i32_e32 v5, 31, v4
	global_load_dwordx2 v[6:7], v2, s[0:1]
	global_load_dwordx2 v[8:9], v[40:41], off
	global_load_dwordx2 v[10:11], v[42:43], off
	;; [unrolled: 1-line block ×24, first 2 shown]
	v_lshl_add_u64 v[92:93], v[4:5], 3, s[0:1]
	global_load_dwordx2 v[112:113], v[88:89], off
	global_load_dwordx2 v[114:115], v[90:91], off
	;; [unrolled: 1-line block ×3, first 2 shown]
	s_bitcmp0_b32 s4, 0
	s_mov_b64 s[4:5], -1
	s_waitcnt vmcnt(26)
	scratch_store_dwordx4 off, v[6:9], off
	s_waitcnt vmcnt(25)
	scratch_store_dwordx4 off, v[10:13], off offset:16
	s_waitcnt vmcnt(24)
	scratch_store_dwordx4 off, v[14:17], off offset:32
	;; [unrolled: 2-line block ×13, first 2 shown]
	s_cbranch_scc1 .LBB27_124
; %bb.4:
	v_cmp_eq_u32_e64 s[0:1], 0, v0
	s_and_saveexec_b64 s[4:5], s[0:1]
; %bb.5:
	v_mov_b32_e32 v1, 0
	ds_write_b32 v1, v1 offset:448
; %bb.6:
	s_or_b64 exec, exec, s[4:5]
	s_waitcnt lgkmcnt(0)
	; wave barrier
	scratch_load_dwordx2 v[4:5], v2, off
	s_waitcnt vmcnt(0)
	v_cmp_eq_f32_e32 vcc, 0, v4
	v_cmp_eq_f32_e64 s[4:5], 0, v5
	s_and_b64 s[4:5], vcc, s[4:5]
	s_and_saveexec_b64 s[8:9], s[4:5]
	s_cbranch_execz .LBB27_10
; %bb.7:
	v_mov_b32_e32 v1, 0
	ds_read_b32 v4, v1 offset:448
	v_add_u32_e32 v3, 1, v0
	s_waitcnt lgkmcnt(0)
	v_readfirstlane_b32 s4, v4
	s_cmp_eq_u32 s4, 0
	s_cselect_b64 s[10:11], -1, 0
	v_cmp_gt_i32_e32 vcc, s4, v3
	s_or_b64 s[10:11], s[10:11], vcc
	s_and_b64 exec, exec, s[10:11]
	s_cbranch_execz .LBB27_10
; %bb.8:
	s_mov_b64 s[10:11], 0
	v_mov_b32_e32 v4, s4
.LBB27_9:                               ; =>This Inner Loop Header: Depth=1
	ds_cmpst_rtn_b32 v4, v1, v4, v3 offset:448
	s_waitcnt lgkmcnt(0)
	v_cmp_ne_u32_e32 vcc, 0, v4
	v_cmp_le_i32_e64 s[4:5], v4, v3
	s_and_b64 s[4:5], vcc, s[4:5]
	s_and_b64 s[4:5], exec, s[4:5]
	s_or_b64 s[10:11], s[4:5], s[10:11]
	s_andn2_b64 exec, exec, s[10:11]
	s_cbranch_execnz .LBB27_9
.LBB27_10:
	s_or_b64 exec, exec, s[8:9]
	v_mov_b32_e32 v3, 0
	; wave barrier
	ds_read_b32 v1, v3 offset:448
	s_and_saveexec_b64 s[4:5], s[0:1]
	s_cbranch_execz .LBB27_12
; %bb.11:
	s_lshl_b64 s[8:9], s[2:3], 2
	s_add_u32 s8, s6, s8
	s_addc_u32 s9, s7, s9
	s_waitcnt lgkmcnt(0)
	global_store_dword v3, v1, s[8:9]
.LBB27_12:
	s_or_b64 exec, exec, s[4:5]
	s_waitcnt lgkmcnt(0)
	v_cmp_ne_u32_e32 vcc, 0, v1
	s_mov_b64 s[4:5], 0
	s_cbranch_vccnz .LBB27_124
; %bb.13:
	v_mov_b32_e32 v3, v2
	scratch_load_dwordx2 v[4:5], v3, off
                                        ; implicit-def: $vgpr7
                                        ; implicit-def: $vgpr8
	s_waitcnt vmcnt(0)
	v_cmp_ngt_f32_e64 s[4:5], |v4|, |v5|
	s_and_saveexec_b64 s[8:9], s[4:5]
	s_xor_b64 s[4:5], exec, s[8:9]
	s_cbranch_execz .LBB27_15
; %bb.14:
	v_div_scale_f32 v1, s[8:9], v5, v5, v4
	v_rcp_f32_e32 v6, v1
	v_div_scale_f32 v7, vcc, v4, v5, v4
	v_fma_f32 v8, -v1, v6, 1.0
	v_fmac_f32_e32 v6, v8, v6
	v_mul_f32_e32 v8, v7, v6
	v_fma_f32 v9, -v1, v8, v7
	v_fmac_f32_e32 v8, v9, v6
	v_fma_f32 v1, -v1, v8, v7
	v_div_fmas_f32 v1, v1, v6, v8
	v_div_fixup_f32 v1, v1, v5, v4
	v_fmac_f32_e32 v5, v4, v1
	v_div_scale_f32 v4, s[8:9], v5, v5, -1.0
	v_rcp_f32_e32 v6, v4
	s_nop 0
	v_fma_f32 v7, -v4, v6, 1.0
	v_fmac_f32_e32 v6, v7, v6
	v_div_scale_f32 v7, vcc, -1.0, v5, -1.0
	v_mul_f32_e32 v8, v7, v6
	v_fma_f32 v9, -v4, v8, v7
	v_fmac_f32_e32 v8, v9, v6
	v_fma_f32 v4, -v4, v8, v7
	v_div_fmas_f32 v4, v4, v6, v8
	v_div_fixup_f32 v7, v4, v5, -1.0
	v_mul_f32_e32 v8, v1, v7
	v_xor_b32_e32 v6, 0x80000000, v8
                                        ; implicit-def: $vgpr4_vgpr5
.LBB27_15:
	s_andn2_saveexec_b64 s[4:5], s[4:5]
	s_cbranch_execz .LBB27_17
; %bb.16:
	v_div_scale_f32 v1, s[8:9], v4, v4, v5
	v_rcp_f32_e32 v6, v1
	v_div_scale_f32 v7, vcc, v5, v4, v5
	v_fma_f32 v8, -v1, v6, 1.0
	v_fmac_f32_e32 v6, v8, v6
	v_mul_f32_e32 v8, v7, v6
	v_fma_f32 v9, -v1, v8, v7
	v_fmac_f32_e32 v8, v9, v6
	v_fma_f32 v1, -v1, v8, v7
	v_div_fmas_f32 v1, v1, v6, v8
	v_div_fixup_f32 v1, v1, v4, v5
	v_fmac_f32_e32 v4, v5, v1
	v_div_scale_f32 v5, s[8:9], v4, v4, 1.0
	v_rcp_f32_e32 v6, v5
	s_nop 0
	v_fma_f32 v7, -v5, v6, 1.0
	v_fmac_f32_e32 v6, v7, v6
	v_div_scale_f32 v7, vcc, 1.0, v4, 1.0
	v_mul_f32_e32 v8, v7, v6
	v_fma_f32 v9, -v5, v8, v7
	v_fmac_f32_e32 v8, v9, v6
	v_fma_f32 v5, -v5, v8, v7
	v_div_fmas_f32 v5, v5, v6, v8
	v_div_fixup_f32 v6, v5, v4, 1.0
	v_xor_b32_e32 v8, 0x80000000, v6
	v_mul_f32_e64 v7, v1, -v6
.LBB27_17:
	s_or_b64 exec, exec, s[4:5]
	scratch_store_dwordx2 v3, v[6:7], off
	scratch_load_dwordx2 v[4:5], off, off offset:8
	v_xor_b32_e32 v9, 0x80000000, v7
	v_add_u32_e32 v1, 0xe0, v2
	s_waitcnt vmcnt(0)
	ds_write2_b64 v2, v[8:9], v[4:5] offset1:28
	s_waitcnt lgkmcnt(0)
	; wave barrier
	s_and_saveexec_b64 s[4:5], s[0:1]
	s_cbranch_execz .LBB27_19
; %bb.18:
	scratch_load_dwordx2 v[4:5], v3, off
	ds_read_b64 v[6:7], v1
	v_mov_b32_e32 v8, 0
	ds_read_b64 v[8:9], v8 offset:8
	s_waitcnt vmcnt(0) lgkmcnt(1)
	v_pk_mul_f32 v[10:11], v[6:7], v[4:5] op_sel:[1,1] op_sel_hi:[0,1]
	v_pk_fma_f32 v[12:13], v[6:7], v[4:5], v[10:11] neg_lo:[0,0,1] neg_hi:[0,0,1]
	v_pk_fma_f32 v[4:5], v[6:7], v[4:5], v[10:11] op_sel_hi:[1,0,1]
	s_nop 0
	v_mov_b32_e32 v13, v5
	v_pk_add_f32 v[4:5], v[12:13], 0 op_sel_hi:[1,0]
	s_waitcnt lgkmcnt(0)
	v_pk_mul_f32 v[6:7], v[4:5], v[8:9] op_sel:[1,1] op_sel_hi:[0,1]
	v_pk_fma_f32 v[10:11], v[4:5], v[8:9], v[6:7] neg_lo:[0,0,1] neg_hi:[0,0,1]
	v_pk_fma_f32 v[4:5], v[4:5], v[8:9], v[6:7] op_sel_hi:[1,0,1]
	s_nop 0
	v_mov_b32_e32 v11, v5
	scratch_store_dwordx2 off, v[10:11], off offset:8
.LBB27_19:
	s_or_b64 exec, exec, s[4:5]
	; wave barrier
	scratch_load_dwordx2 v[4:5], off, off offset:16
	v_cmp_gt_u32_e32 vcc, 2, v0
	s_waitcnt vmcnt(0)
	ds_write_b64 v1, v[4:5]
	s_waitcnt lgkmcnt(0)
	; wave barrier
	s_and_saveexec_b64 s[4:5], vcc
	s_cbranch_execz .LBB27_23
; %bb.20:
	scratch_load_dwordx2 v[4:5], v3, off
	ds_read_b64 v[6:7], v1
	s_waitcnt vmcnt(0) lgkmcnt(0)
	v_pk_mul_f32 v[8:9], v[6:7], v[4:5] op_sel:[1,1] op_sel_hi:[0,1]
	v_pk_fma_f32 v[10:11], v[6:7], v[4:5], v[8:9] neg_lo:[0,0,1] neg_hi:[0,0,1]
	v_pk_fma_f32 v[4:5], v[6:7], v[4:5], v[8:9] op_sel_hi:[1,0,1]
	s_nop 0
	v_mov_b32_e32 v11, v5
	v_pk_add_f32 v[4:5], v[10:11], 0 op_sel_hi:[1,0]
	s_and_saveexec_b64 s[8:9], s[0:1]
	s_cbranch_execz .LBB27_22
; %bb.21:
	scratch_load_dwordx2 v[6:7], off, off offset:8
	v_mov_b32_e32 v3, 0
	ds_read_b64 v[8:9], v3 offset:232
	s_waitcnt vmcnt(0) lgkmcnt(0)
	v_pk_mul_f32 v[10:11], v[8:9], v[6:7] op_sel:[1,1] op_sel_hi:[0,1]
	v_pk_fma_f32 v[12:13], v[8:9], v[6:7], v[10:11] neg_lo:[0,0,1] neg_hi:[0,0,1]
	v_pk_fma_f32 v[6:7], v[8:9], v[6:7], v[10:11] op_sel_hi:[1,0,1]
	s_nop 0
	v_mov_b32_e32 v13, v7
	v_pk_add_f32 v[4:5], v[4:5], v[12:13]
.LBB27_22:
	s_or_b64 exec, exec, s[8:9]
	v_mov_b32_e32 v3, 0
	ds_read_b64 v[6:7], v3 offset:16
	s_waitcnt lgkmcnt(0)
	v_pk_mul_f32 v[8:9], v[4:5], v[6:7] op_sel:[1,1] op_sel_hi:[0,1]
	v_pk_fma_f32 v[10:11], v[4:5], v[6:7], v[8:9] neg_lo:[0,0,1] neg_hi:[0,0,1]
	v_pk_fma_f32 v[4:5], v[4:5], v[6:7], v[8:9] op_sel_hi:[1,0,1]
	s_nop 0
	v_mov_b32_e32 v11, v5
	scratch_store_dwordx2 off, v[10:11], off offset:16
.LBB27_23:
	s_or_b64 exec, exec, s[4:5]
	; wave barrier
	scratch_load_dwordx2 v[4:5], off, off offset:24
	v_cmp_gt_u32_e32 vcc, 3, v0
	v_add_u32_e32 v6, -1, v0
	s_waitcnt vmcnt(0)
	ds_write_b64 v1, v[4:5]
	s_waitcnt lgkmcnt(0)
	; wave barrier
	s_and_saveexec_b64 s[0:1], vcc
	s_cbranch_execz .LBB27_27
; %bb.24:
	v_mov_b32_e32 v4, 0
	v_add_u32_e32 v3, -1, v0
	v_add_u32_e32 v7, 0xe0, v2
	v_mov_b32_e32 v8, v2
	s_mov_b64 s[4:5], 0
	v_mov_b32_e32 v5, v4
.LBB27_25:                              ; =>This Inner Loop Header: Depth=1
	scratch_load_dwordx2 v[10:11], v8, off
	ds_read_b64 v[12:13], v7
	v_add_u32_e32 v3, 1, v3
	v_cmp_lt_u32_e32 vcc, 1, v3
	v_add_u32_e32 v7, 8, v7
	v_add_u32_e32 v8, 8, v8
	s_or_b64 s[4:5], vcc, s[4:5]
	s_waitcnt vmcnt(0) lgkmcnt(0)
	v_pk_mul_f32 v[14:15], v[12:13], v[10:11] op_sel:[1,1] op_sel_hi:[0,1]
	v_pk_fma_f32 v[16:17], v[12:13], v[10:11], v[14:15] neg_lo:[0,0,1] neg_hi:[0,0,1]
	v_pk_fma_f32 v[10:11], v[12:13], v[10:11], v[14:15] op_sel_hi:[1,0,1]
	s_nop 0
	v_mov_b32_e32 v17, v11
	v_pk_add_f32 v[4:5], v[4:5], v[16:17]
	s_andn2_b64 exec, exec, s[4:5]
	s_cbranch_execnz .LBB27_25
; %bb.26:
	s_or_b64 exec, exec, s[4:5]
	v_mov_b32_e32 v3, 0
	ds_read_b64 v[8:9], v3 offset:24
	s_waitcnt lgkmcnt(0)
	v_pk_mul_f32 v[10:11], v[4:5], v[8:9] op_sel:[1,1] op_sel_hi:[0,1]
	v_pk_fma_f32 v[12:13], v[4:5], v[8:9], v[10:11] neg_lo:[0,0,1] neg_hi:[0,0,1]
	v_pk_fma_f32 v[4:5], v[4:5], v[8:9], v[10:11] op_sel_hi:[1,0,1]
	s_nop 0
	v_mov_b32_e32 v13, v5
	scratch_store_dwordx2 off, v[12:13], off offset:24
.LBB27_27:
	s_or_b64 exec, exec, s[0:1]
	; wave barrier
	scratch_load_dwordx2 v[4:5], off, off offset:32
	v_cmp_gt_u32_e32 vcc, 4, v0
	s_waitcnt vmcnt(0)
	ds_write_b64 v1, v[4:5]
	s_waitcnt lgkmcnt(0)
	; wave barrier
	s_and_saveexec_b64 s[0:1], vcc
	s_cbranch_execz .LBB27_31
; %bb.28:
	v_mov_b32_e32 v4, 0
	v_add_u32_e32 v3, -1, v0
	v_add_u32_e32 v7, 0xe0, v2
	v_mov_b32_e32 v8, v2
	s_mov_b64 s[4:5], 0
	v_mov_b32_e32 v5, v4
.LBB27_29:                              ; =>This Inner Loop Header: Depth=1
	scratch_load_dwordx2 v[10:11], v8, off
	ds_read_b64 v[12:13], v7
	v_add_u32_e32 v3, 1, v3
	v_cmp_lt_u32_e32 vcc, 2, v3
	v_add_u32_e32 v7, 8, v7
	v_add_u32_e32 v8, 8, v8
	s_or_b64 s[4:5], vcc, s[4:5]
	s_waitcnt vmcnt(0) lgkmcnt(0)
	v_pk_mul_f32 v[14:15], v[12:13], v[10:11] op_sel:[1,1] op_sel_hi:[0,1]
	v_pk_fma_f32 v[16:17], v[12:13], v[10:11], v[14:15] neg_lo:[0,0,1] neg_hi:[0,0,1]
	v_pk_fma_f32 v[10:11], v[12:13], v[10:11], v[14:15] op_sel_hi:[1,0,1]
	s_nop 0
	v_mov_b32_e32 v17, v11
	v_pk_add_f32 v[4:5], v[4:5], v[16:17]
	s_andn2_b64 exec, exec, s[4:5]
	s_cbranch_execnz .LBB27_29
; %bb.30:
	s_or_b64 exec, exec, s[4:5]
	v_mov_b32_e32 v3, 0
	ds_read_b64 v[8:9], v3 offset:32
	s_waitcnt lgkmcnt(0)
	v_pk_mul_f32 v[10:11], v[4:5], v[8:9] op_sel:[1,1] op_sel_hi:[0,1]
	v_pk_fma_f32 v[12:13], v[4:5], v[8:9], v[10:11] neg_lo:[0,0,1] neg_hi:[0,0,1]
	v_pk_fma_f32 v[4:5], v[4:5], v[8:9], v[10:11] op_sel_hi:[1,0,1]
	s_nop 0
	v_mov_b32_e32 v13, v5
	scratch_store_dwordx2 off, v[12:13], off offset:32
.LBB27_31:
	s_or_b64 exec, exec, s[0:1]
	; wave barrier
	scratch_load_dwordx2 v[4:5], off, off offset:40
	v_cmp_gt_u32_e32 vcc, 5, v0
	;; [unrolled: 46-line block ×19, first 2 shown]
	s_waitcnt vmcnt(0)
	ds_write_b64 v1, v[4:5]
	s_waitcnt lgkmcnt(0)
	; wave barrier
	s_and_saveexec_b64 s[0:1], vcc
	s_cbranch_execz .LBB27_103
; %bb.100:
	v_mov_b32_e32 v4, 0
	v_add_u32_e32 v3, -1, v0
	v_add_u32_e32 v7, 0xe0, v2
	v_mov_b32_e32 v8, v2
	s_mov_b64 s[4:5], 0
	v_mov_b32_e32 v5, v4
.LBB27_101:                             ; =>This Inner Loop Header: Depth=1
	scratch_load_dwordx2 v[10:11], v8, off
	ds_read_b64 v[12:13], v7
	v_add_u32_e32 v3, 1, v3
	v_cmp_lt_u32_e32 vcc, 20, v3
	v_add_u32_e32 v7, 8, v7
	v_add_u32_e32 v8, 8, v8
	s_or_b64 s[4:5], vcc, s[4:5]
	s_waitcnt vmcnt(0) lgkmcnt(0)
	v_pk_mul_f32 v[14:15], v[12:13], v[10:11] op_sel:[1,1] op_sel_hi:[0,1]
	v_pk_fma_f32 v[16:17], v[12:13], v[10:11], v[14:15] neg_lo:[0,0,1] neg_hi:[0,0,1]
	v_pk_fma_f32 v[10:11], v[12:13], v[10:11], v[14:15] op_sel_hi:[1,0,1]
	s_nop 0
	v_mov_b32_e32 v17, v11
	v_pk_add_f32 v[4:5], v[4:5], v[16:17]
	s_andn2_b64 exec, exec, s[4:5]
	s_cbranch_execnz .LBB27_101
; %bb.102:
	s_or_b64 exec, exec, s[4:5]
	v_mov_b32_e32 v3, 0
	ds_read_b64 v[8:9], v3 offset:176
	s_waitcnt lgkmcnt(0)
	v_pk_mul_f32 v[10:11], v[4:5], v[8:9] op_sel:[1,1] op_sel_hi:[0,1]
	v_pk_fma_f32 v[12:13], v[4:5], v[8:9], v[10:11] neg_lo:[0,0,1] neg_hi:[0,0,1]
	v_pk_fma_f32 v[4:5], v[4:5], v[8:9], v[10:11] op_sel_hi:[1,0,1]
	s_nop 0
	v_mov_b32_e32 v13, v5
	scratch_store_dwordx2 off, v[12:13], off offset:176
.LBB27_103:
	s_or_b64 exec, exec, s[0:1]
	; wave barrier
	scratch_load_dwordx2 v[4:5], off, off offset:184
	v_cmp_gt_u32_e32 vcc, 23, v0
	s_waitcnt vmcnt(0)
	ds_write_b64 v1, v[4:5]
	s_waitcnt lgkmcnt(0)
	; wave barrier
	s_and_saveexec_b64 s[0:1], vcc
	s_cbranch_execz .LBB27_107
; %bb.104:
	v_mov_b32_e32 v4, 0
	v_add_u32_e32 v3, -1, v0
	v_add_u32_e32 v7, 0xe0, v2
	v_mov_b32_e32 v8, v2
	s_mov_b64 s[4:5], 0
	v_mov_b32_e32 v5, v4
.LBB27_105:                             ; =>This Inner Loop Header: Depth=1
	scratch_load_dwordx2 v[10:11], v8, off
	ds_read_b64 v[12:13], v7
	v_add_u32_e32 v3, 1, v3
	v_cmp_lt_u32_e32 vcc, 21, v3
	v_add_u32_e32 v7, 8, v7
	v_add_u32_e32 v8, 8, v8
	s_or_b64 s[4:5], vcc, s[4:5]
	s_waitcnt vmcnt(0) lgkmcnt(0)
	v_pk_mul_f32 v[14:15], v[12:13], v[10:11] op_sel:[1,1] op_sel_hi:[0,1]
	v_pk_fma_f32 v[16:17], v[12:13], v[10:11], v[14:15] neg_lo:[0,0,1] neg_hi:[0,0,1]
	v_pk_fma_f32 v[10:11], v[12:13], v[10:11], v[14:15] op_sel_hi:[1,0,1]
	s_nop 0
	v_mov_b32_e32 v17, v11
	v_pk_add_f32 v[4:5], v[4:5], v[16:17]
	s_andn2_b64 exec, exec, s[4:5]
	s_cbranch_execnz .LBB27_105
; %bb.106:
	s_or_b64 exec, exec, s[4:5]
	v_mov_b32_e32 v3, 0
	ds_read_b64 v[8:9], v3 offset:184
	s_waitcnt lgkmcnt(0)
	v_pk_mul_f32 v[10:11], v[4:5], v[8:9] op_sel:[1,1] op_sel_hi:[0,1]
	v_pk_fma_f32 v[12:13], v[4:5], v[8:9], v[10:11] neg_lo:[0,0,1] neg_hi:[0,0,1]
	v_pk_fma_f32 v[4:5], v[4:5], v[8:9], v[10:11] op_sel_hi:[1,0,1]
	s_nop 0
	v_mov_b32_e32 v13, v5
	scratch_store_dwordx2 off, v[12:13], off offset:184
.LBB27_107:
	s_or_b64 exec, exec, s[0:1]
	; wave barrier
	scratch_load_dwordx2 v[4:5], off, off offset:192
	v_cmp_gt_u32_e32 vcc, 24, v0
	;; [unrolled: 46-line block ×4, first 2 shown]
	s_waitcnt vmcnt(0)
	ds_write_b64 v1, v[4:5]
	s_waitcnt lgkmcnt(0)
	; wave barrier
	s_and_saveexec_b64 s[0:1], vcc
	s_cbranch_execz .LBB27_119
; %bb.116:
	v_mov_b32_e32 v4, 0
	v_add_u32_e32 v3, -1, v0
	v_add_u32_e32 v7, 0xe0, v2
	v_mov_b32_e32 v8, v2
	s_mov_b64 s[4:5], 0
	v_mov_b32_e32 v5, v4
.LBB27_117:                             ; =>This Inner Loop Header: Depth=1
	scratch_load_dwordx2 v[10:11], v8, off
	ds_read_b64 v[12:13], v7
	v_add_u32_e32 v3, 1, v3
	v_cmp_lt_u32_e32 vcc, 24, v3
	v_add_u32_e32 v7, 8, v7
	v_add_u32_e32 v8, 8, v8
	s_or_b64 s[4:5], vcc, s[4:5]
	s_waitcnt vmcnt(0) lgkmcnt(0)
	v_pk_mul_f32 v[14:15], v[12:13], v[10:11] op_sel:[1,1] op_sel_hi:[0,1]
	v_pk_fma_f32 v[16:17], v[12:13], v[10:11], v[14:15] neg_lo:[0,0,1] neg_hi:[0,0,1]
	v_pk_fma_f32 v[10:11], v[12:13], v[10:11], v[14:15] op_sel_hi:[1,0,1]
	s_nop 0
	v_mov_b32_e32 v17, v11
	v_pk_add_f32 v[4:5], v[4:5], v[16:17]
	s_andn2_b64 exec, exec, s[4:5]
	s_cbranch_execnz .LBB27_117
; %bb.118:
	s_or_b64 exec, exec, s[4:5]
	v_mov_b32_e32 v3, 0
	ds_read_b64 v[8:9], v3 offset:208
	s_waitcnt lgkmcnt(0)
	v_pk_mul_f32 v[10:11], v[4:5], v[8:9] op_sel:[1,1] op_sel_hi:[0,1]
	v_pk_fma_f32 v[12:13], v[4:5], v[8:9], v[10:11] neg_lo:[0,0,1] neg_hi:[0,0,1]
	v_pk_fma_f32 v[4:5], v[4:5], v[8:9], v[10:11] op_sel_hi:[1,0,1]
	s_nop 0
	v_mov_b32_e32 v13, v5
	scratch_store_dwordx2 off, v[12:13], off offset:208
.LBB27_119:
	s_or_b64 exec, exec, s[0:1]
	; wave barrier
	scratch_load_dwordx2 v[4:5], off, off offset:216
	v_cmp_ne_u32_e32 vcc, 27, v0
	s_waitcnt vmcnt(0)
	ds_write_b64 v1, v[4:5]
	s_waitcnt lgkmcnt(0)
	; wave barrier
	s_and_saveexec_b64 s[0:1], vcc
	s_cbranch_execz .LBB27_123
; %bb.120:
	v_add_u32_e32 v1, 0xe0, v2
	v_mov_b32_e32 v4, v2
	v_mov_b32_e32 v2, 0
	s_mov_b64 s[4:5], 0
	v_mov_b32_e32 v3, v2
.LBB27_121:                             ; =>This Inner Loop Header: Depth=1
	scratch_load_dwordx2 v[8:9], v4, off
	ds_read_b64 v[10:11], v1
	v_add_u32_e32 v6, 1, v6
	v_cmp_lt_u32_e32 vcc, 25, v6
	v_add_u32_e32 v1, 8, v1
	v_add_u32_e32 v4, 8, v4
	s_or_b64 s[4:5], vcc, s[4:5]
	s_waitcnt vmcnt(0) lgkmcnt(0)
	v_pk_mul_f32 v[12:13], v[10:11], v[8:9] op_sel:[1,1] op_sel_hi:[0,1]
	v_pk_fma_f32 v[14:15], v[10:11], v[8:9], v[12:13] neg_lo:[0,0,1] neg_hi:[0,0,1]
	v_pk_fma_f32 v[8:9], v[10:11], v[8:9], v[12:13] op_sel_hi:[1,0,1]
	s_nop 0
	v_mov_b32_e32 v15, v9
	v_pk_add_f32 v[2:3], v[2:3], v[14:15]
	s_andn2_b64 exec, exec, s[4:5]
	s_cbranch_execnz .LBB27_121
; %bb.122:
	s_or_b64 exec, exec, s[4:5]
	v_mov_b32_e32 v1, 0
	ds_read_b64 v[4:5], v1 offset:216
	s_waitcnt lgkmcnt(0)
	v_pk_mul_f32 v[6:7], v[2:3], v[4:5] op_sel:[1,1] op_sel_hi:[0,1]
	v_pk_fma_f32 v[8:9], v[2:3], v[4:5], v[6:7] neg_lo:[0,0,1] neg_hi:[0,0,1]
	v_pk_fma_f32 v[2:3], v[2:3], v[4:5], v[6:7] op_sel_hi:[1,0,1]
	s_nop 0
	v_mov_b32_e32 v9, v3
	scratch_store_dwordx2 off, v[8:9], off offset:216
.LBB27_123:
	s_or_b64 exec, exec, s[0:1]
	s_mov_b64 s[4:5], -1
	; wave barrier
.LBB27_124:
	s_and_b64 vcc, exec, s[4:5]
	s_cbranch_vccz .LBB27_126
; %bb.125:
	s_lshl_b64 s[0:1], s[2:3], 2
	s_add_u32 s0, s6, s0
	s_addc_u32 s1, s7, s1
	v_mov_b32_e32 v1, 0
	global_load_dword v1, v1, s[0:1]
	s_waitcnt vmcnt(0)
	v_cmp_ne_u32_e32 vcc, 0, v1
	s_cbranch_vccz .LBB27_127
.LBB27_126:
	s_endpgm
.LBB27_127:
	v_mov_b32_e32 v1, 0xe0
	v_lshl_add_u32 v1, v0, 3, v1
	v_cmp_eq_u32_e32 vcc, 27, v0
	s_and_saveexec_b64 s[0:1], vcc
	s_cbranch_execz .LBB27_129
; %bb.128:
	scratch_load_dwordx2 v[2:3], off, off offset:208
	v_mov_b32_e32 v4, 0
	v_mov_b32_e32 v5, v4
	scratch_store_dwordx2 off, v[4:5], off offset:208
	s_waitcnt vmcnt(1)
	ds_write_b64 v1, v[2:3]
.LBB27_129:
	s_or_b64 exec, exec, s[0:1]
	s_waitcnt lgkmcnt(0)
	; wave barrier
	scratch_load_dwordx2 v[4:5], off, off offset:216
	scratch_load_dwordx2 v[6:7], off, off offset:208
	v_mov_b32_e32 v2, 0
	ds_read_b64 v[8:9], v2 offset:440
	v_cmp_lt_u32_e32 vcc, 25, v0
	s_waitcnt vmcnt(1) lgkmcnt(0)
	v_pk_mul_f32 v[10:11], v[8:9], v[4:5] op_sel:[1,1] op_sel_hi:[0,1]
	v_pk_fma_f32 v[12:13], v[8:9], v[4:5], v[10:11] neg_lo:[0,0,1] neg_hi:[0,0,1]
	v_pk_fma_f32 v[4:5], v[8:9], v[4:5], v[10:11] op_sel_hi:[1,0,1]
	s_nop 0
	v_mov_b32_e32 v13, v5
	v_pk_add_f32 v[4:5], v[12:13], 0 op_sel_hi:[1,0]
	s_waitcnt vmcnt(0)
	v_pk_add_f32 v[4:5], v[6:7], v[4:5] neg_lo:[0,1] neg_hi:[0,1]
	scratch_store_dwordx2 off, v[4:5], off offset:208
	s_and_saveexec_b64 s[0:1], vcc
	s_cbranch_execz .LBB27_131
; %bb.130:
	scratch_load_dwordx2 v[4:5], off, off offset:200
	v_mov_b32_e32 v3, v2
	scratch_store_dwordx2 off, v[2:3], off offset:200
	s_waitcnt vmcnt(1)
	ds_write_b64 v1, v[4:5]
.LBB27_131:
	s_or_b64 exec, exec, s[0:1]
	s_waitcnt lgkmcnt(0)
	; wave barrier
	scratch_load_dwordx4 v[4:7], off, off offset:208
	scratch_load_dwordx2 v[12:13], off, off offset:200
	ds_read_b128 v[8:11], v2 offset:432
	v_cmp_lt_u32_e32 vcc, 24, v0
	s_waitcnt vmcnt(1) lgkmcnt(0)
	v_pk_mul_f32 v[2:3], v[8:9], v[4:5] op_sel:[1,1] op_sel_hi:[0,1]
	v_mov_b32_e32 v14, v7
	v_pk_fma_f32 v[16:17], v[8:9], v[4:5], v[2:3] neg_lo:[0,0,1] neg_hi:[0,0,1]
	v_pk_fma_f32 v[2:3], v[8:9], v[4:5], v[2:3] op_sel_hi:[1,0,1]
	v_pk_mul_f32 v[4:5], v[10:11], v[14:15] op_sel:[1,0] op_sel_hi:[0,0]
	v_mov_b32_e32 v17, v3
	v_pk_fma_f32 v[2:3], v[10:11], v[6:7], v[4:5] neg_lo:[0,0,1] neg_hi:[0,0,1]
	v_pk_fma_f32 v[4:5], v[10:11], v[6:7], v[4:5] op_sel_hi:[1,0,1]
	v_pk_add_f32 v[6:7], v[16:17], 0 op_sel_hi:[1,0]
	v_mov_b32_e32 v3, v5
	v_pk_add_f32 v[2:3], v[6:7], v[2:3]
	s_waitcnt vmcnt(0)
	v_pk_add_f32 v[2:3], v[12:13], v[2:3] neg_lo:[0,1] neg_hi:[0,1]
	scratch_store_dwordx2 off, v[2:3], off offset:200
	s_and_saveexec_b64 s[0:1], vcc
	s_cbranch_execz .LBB27_133
; %bb.132:
	scratch_load_dwordx2 v[2:3], off, off offset:192
	v_mov_b32_e32 v4, 0
	v_mov_b32_e32 v5, v4
	scratch_store_dwordx2 off, v[4:5], off offset:192
	s_waitcnt vmcnt(1)
	ds_write_b64 v1, v[2:3]
.LBB27_133:
	s_or_b64 exec, exec, s[0:1]
	s_waitcnt lgkmcnt(0)
	; wave barrier
	scratch_load_dwordx4 v[4:7], off, off offset:200
	scratch_load_dwordx2 v[12:13], off, off offset:216
	scratch_load_dwordx2 v[14:15], off, off offset:192
	v_mov_b32_e32 v2, 0
	ds_read2_b64 v[8:11], v2 offset0:53 offset1:54
	ds_read_b64 v[16:17], v2 offset:440
	v_cmp_lt_u32_e32 vcc, 23, v0
	s_waitcnt vmcnt(2) lgkmcnt(1)
	v_pk_mul_f32 v[18:19], v[8:9], v[4:5] op_sel:[1,1] op_sel_hi:[0,1]
	v_mov_b32_e32 v20, v7
	v_pk_fma_f32 v[24:25], v[8:9], v[4:5], v[18:19] neg_lo:[0,0,1] neg_hi:[0,0,1]
	v_pk_fma_f32 v[4:5], v[8:9], v[4:5], v[18:19] op_sel_hi:[1,0,1]
	v_pk_mul_f32 v[8:9], v[10:11], v[20:21] op_sel:[1,0] op_sel_hi:[0,0]
	s_waitcnt vmcnt(1) lgkmcnt(0)
	v_pk_mul_f32 v[22:23], v[16:17], v[12:13] op_sel:[1,1] op_sel_hi:[0,1]
	v_mov_b32_e32 v25, v5
	v_pk_fma_f32 v[4:5], v[10:11], v[6:7], v[8:9] neg_lo:[0,0,1] neg_hi:[0,0,1]
	v_pk_fma_f32 v[6:7], v[10:11], v[6:7], v[8:9] op_sel_hi:[1,0,1]
	v_pk_fma_f32 v[18:19], v[16:17], v[12:13], v[22:23] neg_lo:[0,0,1] neg_hi:[0,0,1]
	v_pk_fma_f32 v[12:13], v[16:17], v[12:13], v[22:23] op_sel_hi:[1,0,1]
	v_pk_add_f32 v[8:9], v[24:25], 0 op_sel_hi:[1,0]
	v_mov_b32_e32 v5, v7
	v_mov_b32_e32 v19, v13
	v_pk_add_f32 v[4:5], v[8:9], v[4:5]
	s_nop 0
	v_pk_add_f32 v[4:5], v[4:5], v[18:19]
	s_waitcnt vmcnt(0)
	v_pk_add_f32 v[4:5], v[14:15], v[4:5] neg_lo:[0,1] neg_hi:[0,1]
	scratch_store_dwordx2 off, v[4:5], off offset:192
	s_and_saveexec_b64 s[0:1], vcc
	s_cbranch_execz .LBB27_135
; %bb.134:
	scratch_load_dwordx2 v[4:5], off, off offset:184
	v_mov_b32_e32 v3, v2
	scratch_store_dwordx2 off, v[2:3], off offset:184
	s_waitcnt vmcnt(1)
	ds_write_b64 v1, v[4:5]
.LBB27_135:
	s_or_b64 exec, exec, s[0:1]
	s_waitcnt lgkmcnt(0)
	; wave barrier
	scratch_load_dwordx4 v[4:7], off, off offset:192
	scratch_load_dwordx4 v[8:11], off, off offset:208
	scratch_load_dwordx2 v[20:21], off, off offset:184
	ds_read_b128 v[12:15], v2 offset:416
	ds_read_b128 v[16:19], v2 offset:432
	v_cmp_lt_u32_e32 vcc, 22, v0
	s_waitcnt vmcnt(2) lgkmcnt(1)
	v_pk_mul_f32 v[2:3], v[12:13], v[4:5] op_sel:[1,1] op_sel_hi:[0,1]
	v_mov_b32_e32 v22, v7
	s_waitcnt vmcnt(1) lgkmcnt(0)
	v_pk_mul_f32 v[24:25], v[16:17], v[8:9] op_sel:[1,1] op_sel_hi:[0,1]
	v_mov_b32_e32 v26, v11
	v_pk_fma_f32 v[28:29], v[12:13], v[4:5], v[2:3] neg_lo:[0,0,1] neg_hi:[0,0,1]
	v_pk_fma_f32 v[2:3], v[12:13], v[4:5], v[2:3] op_sel_hi:[1,0,1]
	v_pk_mul_f32 v[4:5], v[14:15], v[22:23] op_sel:[1,0] op_sel_hi:[0,0]
	v_pk_fma_f32 v[12:13], v[16:17], v[8:9], v[24:25] neg_lo:[0,0,1] neg_hi:[0,0,1]
	v_pk_fma_f32 v[8:9], v[16:17], v[8:9], v[24:25] op_sel_hi:[1,0,1]
	v_pk_mul_f32 v[16:17], v[18:19], v[26:27] op_sel:[1,0] op_sel_hi:[0,0]
	v_mov_b32_e32 v29, v3
	v_pk_fma_f32 v[2:3], v[14:15], v[6:7], v[4:5] neg_lo:[0,0,1] neg_hi:[0,0,1]
	v_pk_fma_f32 v[4:5], v[14:15], v[6:7], v[4:5] op_sel_hi:[1,0,1]
	v_mov_b32_e32 v13, v9
	v_pk_fma_f32 v[6:7], v[18:19], v[10:11], v[16:17] neg_lo:[0,0,1] neg_hi:[0,0,1]
	v_pk_fma_f32 v[8:9], v[18:19], v[10:11], v[16:17] op_sel_hi:[1,0,1]
	v_pk_add_f32 v[10:11], v[28:29], 0 op_sel_hi:[1,0]
	v_mov_b32_e32 v3, v5
	v_pk_add_f32 v[2:3], v[10:11], v[2:3]
	v_mov_b32_e32 v7, v9
	v_pk_add_f32 v[2:3], v[2:3], v[12:13]
	s_nop 0
	v_pk_add_f32 v[2:3], v[2:3], v[6:7]
	s_waitcnt vmcnt(0)
	v_pk_add_f32 v[2:3], v[20:21], v[2:3] neg_lo:[0,1] neg_hi:[0,1]
	scratch_store_dwordx2 off, v[2:3], off offset:184
	s_and_saveexec_b64 s[0:1], vcc
	s_cbranch_execz .LBB27_137
; %bb.136:
	scratch_load_dwordx2 v[2:3], off, off offset:176
	v_mov_b32_e32 v4, 0
	v_mov_b32_e32 v5, v4
	scratch_store_dwordx2 off, v[4:5], off offset:176
	s_waitcnt vmcnt(1)
	ds_write_b64 v1, v[2:3]
.LBB27_137:
	s_or_b64 exec, exec, s[0:1]
	s_waitcnt lgkmcnt(0)
	; wave barrier
	scratch_load_dwordx4 v[4:7], off, off offset:184
	scratch_load_dwordx4 v[8:11], off, off offset:200
	scratch_load_dwordx2 v[20:21], off, off offset:216
	scratch_load_dwordx2 v[22:23], off, off offset:176
	v_mov_b32_e32 v2, 0
	ds_read2_b64 v[12:15], v2 offset0:51 offset1:52
	ds_read2_b64 v[16:19], v2 offset0:53 offset1:54
	ds_read_b64 v[24:25], v2 offset:440
	v_cmp_lt_u32_e32 vcc, 21, v0
	s_waitcnt vmcnt(3) lgkmcnt(2)
	v_pk_mul_f32 v[26:27], v[12:13], v[4:5] op_sel:[1,1] op_sel_hi:[0,1]
	v_mov_b32_e32 v28, v7
	v_pk_fma_f32 v[36:37], v[12:13], v[4:5], v[26:27] neg_lo:[0,0,1] neg_hi:[0,0,1]
	v_pk_fma_f32 v[4:5], v[12:13], v[4:5], v[26:27] op_sel_hi:[1,0,1]
	v_pk_mul_f32 v[12:13], v[14:15], v[28:29] op_sel:[1,0] op_sel_hi:[0,0]
	s_waitcnt vmcnt(2) lgkmcnt(1)
	v_pk_mul_f32 v[30:31], v[16:17], v[8:9] op_sel:[1,1] op_sel_hi:[0,1]
	v_mov_b32_e32 v32, v11
	v_mov_b32_e32 v37, v5
	v_pk_fma_f32 v[4:5], v[14:15], v[6:7], v[12:13] neg_lo:[0,0,1] neg_hi:[0,0,1]
	v_pk_fma_f32 v[6:7], v[14:15], v[6:7], v[12:13] op_sel_hi:[1,0,1]
	v_pk_fma_f32 v[26:27], v[16:17], v[8:9], v[30:31] neg_lo:[0,0,1] neg_hi:[0,0,1]
	v_pk_fma_f32 v[8:9], v[16:17], v[8:9], v[30:31] op_sel_hi:[1,0,1]
	v_pk_mul_f32 v[16:17], v[18:19], v[32:33] op_sel:[1,0] op_sel_hi:[0,0]
	v_pk_add_f32 v[12:13], v[36:37], 0 op_sel_hi:[1,0]
	v_mov_b32_e32 v5, v7
	s_waitcnt vmcnt(1) lgkmcnt(0)
	v_pk_mul_f32 v[34:35], v[24:25], v[20:21] op_sel:[1,1] op_sel_hi:[0,1]
	v_mov_b32_e32 v27, v9
	v_pk_fma_f32 v[8:9], v[18:19], v[10:11], v[16:17] neg_lo:[0,0,1] neg_hi:[0,0,1]
	v_pk_fma_f32 v[10:11], v[18:19], v[10:11], v[16:17] op_sel_hi:[1,0,1]
	v_pk_add_f32 v[4:5], v[12:13], v[4:5]
	v_pk_fma_f32 v[28:29], v[24:25], v[20:21], v[34:35] neg_lo:[0,0,1] neg_hi:[0,0,1]
	v_pk_fma_f32 v[20:21], v[24:25], v[20:21], v[34:35] op_sel_hi:[1,0,1]
	v_mov_b32_e32 v9, v11
	v_pk_add_f32 v[4:5], v[4:5], v[26:27]
	v_mov_b32_e32 v29, v21
	v_pk_add_f32 v[4:5], v[4:5], v[8:9]
	s_nop 0
	v_pk_add_f32 v[4:5], v[4:5], v[28:29]
	s_waitcnt vmcnt(0)
	v_pk_add_f32 v[4:5], v[22:23], v[4:5] neg_lo:[0,1] neg_hi:[0,1]
	scratch_store_dwordx2 off, v[4:5], off offset:176
	s_and_saveexec_b64 s[0:1], vcc
	s_cbranch_execz .LBB27_139
; %bb.138:
	scratch_load_dwordx2 v[4:5], off, off offset:168
	v_mov_b32_e32 v3, v2
	scratch_store_dwordx2 off, v[2:3], off offset:168
	s_waitcnt vmcnt(1)
	ds_write_b64 v1, v[4:5]
.LBB27_139:
	s_or_b64 exec, exec, s[0:1]
	s_waitcnt lgkmcnt(0)
	; wave barrier
	scratch_load_dwordx4 v[4:7], off, off offset:176
	scratch_load_dwordx4 v[8:11], off, off offset:192
	;; [unrolled: 1-line block ×3, first 2 shown]
	scratch_load_dwordx2 v[28:29], off, off offset:168
	ds_read_b128 v[16:19], v2 offset:400
	ds_read_b128 v[20:23], v2 offset:416
	;; [unrolled: 1-line block ×3, first 2 shown]
	v_cmp_lt_u32_e32 vcc, 20, v0
	s_waitcnt vmcnt(3) lgkmcnt(2)
	v_pk_mul_f32 v[2:3], v[16:17], v[4:5] op_sel:[1,1] op_sel_hi:[0,1]
	v_mov_b32_e32 v30, v7
	s_waitcnt vmcnt(2) lgkmcnt(1)
	v_pk_mul_f32 v[32:33], v[20:21], v[8:9] op_sel:[1,1] op_sel_hi:[0,1]
	v_mov_b32_e32 v34, v11
	;; [unrolled: 3-line block ×3, first 2 shown]
	v_pk_fma_f32 v[96:97], v[16:17], v[4:5], v[2:3] neg_lo:[0,0,1] neg_hi:[0,0,1]
	v_pk_fma_f32 v[2:3], v[16:17], v[4:5], v[2:3] op_sel_hi:[1,0,1]
	v_pk_mul_f32 v[4:5], v[18:19], v[30:31] op_sel:[1,0] op_sel_hi:[0,0]
	v_pk_fma_f32 v[16:17], v[20:21], v[8:9], v[32:33] neg_lo:[0,0,1] neg_hi:[0,0,1]
	v_pk_fma_f32 v[8:9], v[20:21], v[8:9], v[32:33] op_sel_hi:[1,0,1]
	v_pk_mul_f32 v[20:21], v[22:23], v[34:35] op_sel:[1,0] op_sel_hi:[0,0]
	;; [unrolled: 3-line block ×3, first 2 shown]
	v_mov_b32_e32 v97, v3
	v_pk_fma_f32 v[2:3], v[18:19], v[6:7], v[4:5] neg_lo:[0,0,1] neg_hi:[0,0,1]
	v_pk_fma_f32 v[4:5], v[18:19], v[6:7], v[4:5] op_sel_hi:[1,0,1]
	v_mov_b32_e32 v17, v9
	v_pk_fma_f32 v[6:7], v[22:23], v[10:11], v[20:21] neg_lo:[0,0,1] neg_hi:[0,0,1]
	v_pk_fma_f32 v[8:9], v[22:23], v[10:11], v[20:21] op_sel_hi:[1,0,1]
	;; [unrolled: 3-line block ×3, first 2 shown]
	v_pk_add_f32 v[14:15], v[96:97], 0 op_sel_hi:[1,0]
	v_mov_b32_e32 v3, v5
	v_pk_add_f32 v[2:3], v[14:15], v[2:3]
	v_mov_b32_e32 v7, v9
	v_pk_add_f32 v[2:3], v[2:3], v[16:17]
	;; [unrolled: 2-line block ×3, first 2 shown]
	s_nop 0
	v_pk_add_f32 v[2:3], v[2:3], v[30:31]
	s_nop 0
	v_pk_add_f32 v[2:3], v[2:3], v[10:11]
	s_waitcnt vmcnt(0)
	v_pk_add_f32 v[2:3], v[28:29], v[2:3] neg_lo:[0,1] neg_hi:[0,1]
	scratch_store_dwordx2 off, v[2:3], off offset:168
	s_and_saveexec_b64 s[0:1], vcc
	s_cbranch_execz .LBB27_141
; %bb.140:
	scratch_load_dwordx2 v[2:3], off, off offset:160
	v_mov_b32_e32 v4, 0
	v_mov_b32_e32 v5, v4
	scratch_store_dwordx2 off, v[4:5], off offset:160
	s_waitcnt vmcnt(1)
	ds_write_b64 v1, v[2:3]
.LBB27_141:
	s_or_b64 exec, exec, s[0:1]
	s_waitcnt lgkmcnt(0)
	; wave barrier
	scratch_load_dwordx4 v[4:7], off, off offset:168
	scratch_load_dwordx4 v[8:11], off, off offset:184
	;; [unrolled: 1-line block ×3, first 2 shown]
	scratch_load_dwordx2 v[28:29], off, off offset:216
	scratch_load_dwordx2 v[30:31], off, off offset:160
	v_mov_b32_e32 v2, 0
	ds_read2_b64 v[16:19], v2 offset0:49 offset1:50
	ds_read2_b64 v[20:23], v2 offset0:51 offset1:52
	;; [unrolled: 1-line block ×3, first 2 shown]
	ds_read_b64 v[32:33], v2 offset:440
	v_cmp_lt_u32_e32 vcc, 19, v0
	s_waitcnt vmcnt(4) lgkmcnt(3)
	v_pk_mul_f32 v[34:35], v[16:17], v[4:5] op_sel:[1,1] op_sel_hi:[0,1]
	v_mov_b32_e32 v36, v7
	v_pk_fma_f32 v[104:105], v[16:17], v[4:5], v[34:35] neg_lo:[0,0,1] neg_hi:[0,0,1]
	v_pk_fma_f32 v[4:5], v[16:17], v[4:5], v[34:35] op_sel_hi:[1,0,1]
	v_pk_mul_f32 v[16:17], v[18:19], v[36:37] op_sel:[1,0] op_sel_hi:[0,0]
	s_waitcnt vmcnt(3) lgkmcnt(2)
	v_pk_mul_f32 v[94:95], v[20:21], v[8:9] op_sel:[1,1] op_sel_hi:[0,1]
	v_mov_b32_e32 v96, v11
	v_mov_b32_e32 v105, v5
	v_pk_fma_f32 v[4:5], v[18:19], v[6:7], v[16:17] neg_lo:[0,0,1] neg_hi:[0,0,1]
	v_pk_fma_f32 v[6:7], v[18:19], v[6:7], v[16:17] op_sel_hi:[1,0,1]
	v_pk_fma_f32 v[34:35], v[20:21], v[8:9], v[94:95] neg_lo:[0,0,1] neg_hi:[0,0,1]
	v_pk_fma_f32 v[8:9], v[20:21], v[8:9], v[94:95] op_sel_hi:[1,0,1]
	v_pk_mul_f32 v[20:21], v[22:23], v[96:97] op_sel:[1,0] op_sel_hi:[0,0]
	v_pk_add_f32 v[16:17], v[104:105], 0 op_sel_hi:[1,0]
	v_mov_b32_e32 v5, v7
	s_waitcnt vmcnt(2) lgkmcnt(1)
	v_pk_mul_f32 v[98:99], v[24:25], v[12:13] op_sel:[1,1] op_sel_hi:[0,1]
	v_mov_b32_e32 v100, v15
	v_mov_b32_e32 v35, v9
	v_pk_fma_f32 v[8:9], v[22:23], v[10:11], v[20:21] neg_lo:[0,0,1] neg_hi:[0,0,1]
	v_pk_fma_f32 v[10:11], v[22:23], v[10:11], v[20:21] op_sel_hi:[1,0,1]
	v_pk_add_f32 v[4:5], v[16:17], v[4:5]
	v_pk_fma_f32 v[36:37], v[24:25], v[12:13], v[98:99] neg_lo:[0,0,1] neg_hi:[0,0,1]
	v_pk_fma_f32 v[12:13], v[24:25], v[12:13], v[98:99] op_sel_hi:[1,0,1]
	v_pk_mul_f32 v[24:25], v[26:27], v[100:101] op_sel:[1,0] op_sel_hi:[0,0]
	v_mov_b32_e32 v9, v11
	v_pk_add_f32 v[4:5], v[4:5], v[34:35]
	s_waitcnt vmcnt(1) lgkmcnt(0)
	v_pk_mul_f32 v[102:103], v[32:33], v[28:29] op_sel:[1,1] op_sel_hi:[0,1]
	v_mov_b32_e32 v37, v13
	v_pk_fma_f32 v[12:13], v[26:27], v[14:15], v[24:25] neg_lo:[0,0,1] neg_hi:[0,0,1]
	v_pk_fma_f32 v[14:15], v[26:27], v[14:15], v[24:25] op_sel_hi:[1,0,1]
	v_pk_add_f32 v[4:5], v[4:5], v[8:9]
	v_pk_fma_f32 v[94:95], v[32:33], v[28:29], v[102:103] neg_lo:[0,0,1] neg_hi:[0,0,1]
	v_pk_fma_f32 v[28:29], v[32:33], v[28:29], v[102:103] op_sel_hi:[1,0,1]
	v_mov_b32_e32 v13, v15
	v_pk_add_f32 v[4:5], v[4:5], v[36:37]
	v_mov_b32_e32 v95, v29
	v_pk_add_f32 v[4:5], v[4:5], v[12:13]
	s_nop 0
	v_pk_add_f32 v[4:5], v[4:5], v[94:95]
	s_waitcnt vmcnt(0)
	v_pk_add_f32 v[4:5], v[30:31], v[4:5] neg_lo:[0,1] neg_hi:[0,1]
	scratch_store_dwordx2 off, v[4:5], off offset:160
	s_and_saveexec_b64 s[0:1], vcc
	s_cbranch_execz .LBB27_143
; %bb.142:
	scratch_load_dwordx2 v[4:5], off, off offset:152
	v_mov_b32_e32 v3, v2
	scratch_store_dwordx2 off, v[2:3], off offset:152
	s_waitcnt vmcnt(1)
	ds_write_b64 v1, v[4:5]
.LBB27_143:
	s_or_b64 exec, exec, s[0:1]
	s_waitcnt lgkmcnt(0)
	; wave barrier
	scratch_load_dwordx4 v[4:7], off, off offset:160
	scratch_load_dwordx4 v[8:11], off, off offset:176
	;; [unrolled: 1-line block ×4, first 2 shown]
	scratch_load_dwordx2 v[36:37], off, off offset:152
	ds_read_b128 v[20:23], v2 offset:384
	ds_read_b128 v[24:27], v2 offset:400
	;; [unrolled: 1-line block ×4, first 2 shown]
	v_cmp_lt_u32_e32 vcc, 18, v0
	s_waitcnt vmcnt(4) lgkmcnt(3)
	v_pk_mul_f32 v[2:3], v[20:21], v[4:5] op_sel:[1,1] op_sel_hi:[0,1]
	v_mov_b32_e32 v94, v7
	s_waitcnt vmcnt(3) lgkmcnt(2)
	v_pk_mul_f32 v[96:97], v[24:25], v[8:9] op_sel:[1,1] op_sel_hi:[0,1]
	v_mov_b32_e32 v98, v11
	;; [unrolled: 3-line block ×4, first 2 shown]
	v_pk_fma_f32 v[108:109], v[20:21], v[4:5], v[2:3] neg_lo:[0,0,1] neg_hi:[0,0,1]
	v_pk_fma_f32 v[2:3], v[20:21], v[4:5], v[2:3] op_sel_hi:[1,0,1]
	v_pk_mul_f32 v[4:5], v[22:23], v[94:95] op_sel:[1,0] op_sel_hi:[0,0]
	v_pk_fma_f32 v[20:21], v[24:25], v[8:9], v[96:97] neg_lo:[0,0,1] neg_hi:[0,0,1]
	v_pk_fma_f32 v[8:9], v[24:25], v[8:9], v[96:97] op_sel_hi:[1,0,1]
	v_pk_mul_f32 v[24:25], v[26:27], v[98:99] op_sel:[1,0] op_sel_hi:[0,0]
	;; [unrolled: 3-line block ×4, first 2 shown]
	v_mov_b32_e32 v109, v3
	v_pk_fma_f32 v[2:3], v[22:23], v[6:7], v[4:5] neg_lo:[0,0,1] neg_hi:[0,0,1]
	v_pk_fma_f32 v[4:5], v[22:23], v[6:7], v[4:5] op_sel_hi:[1,0,1]
	v_mov_b32_e32 v21, v9
	v_pk_fma_f32 v[6:7], v[26:27], v[10:11], v[24:25] neg_lo:[0,0,1] neg_hi:[0,0,1]
	v_pk_fma_f32 v[8:9], v[26:27], v[10:11], v[24:25] op_sel_hi:[1,0,1]
	v_mov_b32_e32 v95, v13
	v_pk_fma_f32 v[10:11], v[30:31], v[14:15], v[28:29] neg_lo:[0,0,1] neg_hi:[0,0,1]
	v_pk_fma_f32 v[12:13], v[30:31], v[14:15], v[28:29] op_sel_hi:[1,0,1]
	v_mov_b32_e32 v97, v17
	v_pk_fma_f32 v[14:15], v[34:35], v[18:19], v[32:33] neg_lo:[0,0,1] neg_hi:[0,0,1]
	v_pk_fma_f32 v[16:17], v[34:35], v[18:19], v[32:33] op_sel_hi:[1,0,1]
	v_pk_add_f32 v[18:19], v[108:109], 0 op_sel_hi:[1,0]
	v_mov_b32_e32 v3, v5
	v_pk_add_f32 v[2:3], v[18:19], v[2:3]
	v_mov_b32_e32 v7, v9
	v_pk_add_f32 v[2:3], v[2:3], v[20:21]
	;; [unrolled: 2-line block ×4, first 2 shown]
	s_nop 0
	v_pk_add_f32 v[2:3], v[2:3], v[10:11]
	s_nop 0
	v_pk_add_f32 v[2:3], v[2:3], v[96:97]
	;; [unrolled: 2-line block ×3, first 2 shown]
	s_waitcnt vmcnt(0)
	v_pk_add_f32 v[2:3], v[36:37], v[2:3] neg_lo:[0,1] neg_hi:[0,1]
	scratch_store_dwordx2 off, v[2:3], off offset:152
	s_and_saveexec_b64 s[0:1], vcc
	s_cbranch_execz .LBB27_145
; %bb.144:
	scratch_load_dwordx2 v[2:3], off, off offset:144
	v_mov_b32_e32 v4, 0
	v_mov_b32_e32 v5, v4
	scratch_store_dwordx2 off, v[4:5], off offset:144
	s_waitcnt vmcnt(1)
	ds_write_b64 v1, v[2:3]
.LBB27_145:
	s_or_b64 exec, exec, s[0:1]
	s_waitcnt lgkmcnt(0)
	; wave barrier
	scratch_load_dwordx4 v[4:7], off, off offset:152
	scratch_load_dwordx4 v[8:11], off, off offset:168
	;; [unrolled: 1-line block ×4, first 2 shown]
	scratch_load_dwordx2 v[36:37], off, off offset:216
	scratch_load_dwordx2 v[94:95], off, off offset:144
	v_mov_b32_e32 v2, 0
	ds_read2_b64 v[20:23], v2 offset0:47 offset1:48
	ds_read2_b64 v[24:27], v2 offset0:49 offset1:50
	;; [unrolled: 1-line block ×4, first 2 shown]
	ds_read_b64 v[96:97], v2 offset:440
	v_cmp_lt_u32_e32 vcc, 17, v0
	s_waitcnt vmcnt(5) lgkmcnt(4)
	v_mul_f32_e32 v99, v20, v5
	v_mul_f32_e32 v3, v21, v5
	v_mov_b32_e32 v100, v7
	s_waitcnt vmcnt(4) lgkmcnt(3)
	v_pk_mul_f32 v[102:103], v[24:25], v[8:9] op_sel:[1,1] op_sel_hi:[0,1]
	v_mov_b32_e32 v104, v11
	s_waitcnt vmcnt(1) lgkmcnt(0)
	v_pk_mul_f32 v[114:115], v[96:97], v[36:37] op_sel:[1,1] op_sel_hi:[0,1]
	v_fmac_f32_e32 v99, v21, v4
	v_fma_f32 v98, v20, v4, -v3
	v_pk_mul_f32 v[4:5], v[22:23], v[100:101] op_sel:[1,0] op_sel_hi:[0,0]
	v_pk_fma_f32 v[20:21], v[24:25], v[8:9], v[102:103] neg_lo:[0,0,1] neg_hi:[0,0,1]
	v_pk_fma_f32 v[8:9], v[24:25], v[8:9], v[102:103] op_sel_hi:[1,0,1]
	v_pk_mul_f32 v[24:25], v[26:27], v[104:105] op_sel:[1,0] op_sel_hi:[0,0]
	v_pk_fma_f32 v[104:105], v[96:97], v[36:37], v[114:115] neg_lo:[0,0,1] neg_hi:[0,0,1]
	v_pk_fma_f32 v[36:37], v[96:97], v[36:37], v[114:115] op_sel_hi:[1,0,1]
	v_pk_add_f32 v[96:97], v[98:99], 0 op_sel_hi:[1,0]
	v_pk_fma_f32 v[98:99], v[22:23], v[6:7], v[4:5] neg_lo:[0,0,1] neg_hi:[0,0,1]
	v_pk_fma_f32 v[4:5], v[22:23], v[6:7], v[4:5] op_sel_hi:[1,0,1]
	v_pk_mul_f32 v[106:107], v[28:29], v[12:13] op_sel:[1,1] op_sel_hi:[0,1]
	v_mov_b32_e32 v99, v5
	v_mov_b32_e32 v108, v15
	;; [unrolled: 1-line block ×3, first 2 shown]
	v_pk_fma_f32 v[6:7], v[26:27], v[10:11], v[24:25] neg_lo:[0,0,1] neg_hi:[0,0,1]
	v_pk_fma_f32 v[8:9], v[26:27], v[10:11], v[24:25] op_sel_hi:[1,0,1]
	v_pk_add_f32 v[4:5], v[96:97], v[98:99]
	v_pk_fma_f32 v[100:101], v[28:29], v[12:13], v[106:107] neg_lo:[0,0,1] neg_hi:[0,0,1]
	v_pk_fma_f32 v[12:13], v[28:29], v[12:13], v[106:107] op_sel_hi:[1,0,1]
	v_pk_mul_f32 v[28:29], v[30:31], v[108:109] op_sel:[1,0] op_sel_hi:[0,0]
	v_mov_b32_e32 v7, v9
	v_pk_add_f32 v[4:5], v[4:5], v[20:21]
	v_pk_mul_f32 v[110:111], v[32:33], v[16:17] op_sel:[1,1] op_sel_hi:[0,1]
	v_mov_b32_e32 v112, v19
	v_mov_b32_e32 v101, v13
	v_pk_fma_f32 v[10:11], v[30:31], v[14:15], v[28:29] neg_lo:[0,0,1] neg_hi:[0,0,1]
	v_pk_fma_f32 v[12:13], v[30:31], v[14:15], v[28:29] op_sel_hi:[1,0,1]
	v_pk_add_f32 v[4:5], v[4:5], v[6:7]
	v_pk_fma_f32 v[102:103], v[32:33], v[16:17], v[110:111] neg_lo:[0,0,1] neg_hi:[0,0,1]
	v_pk_fma_f32 v[16:17], v[32:33], v[16:17], v[110:111] op_sel_hi:[1,0,1]
	v_pk_mul_f32 v[32:33], v[34:35], v[112:113] op_sel:[1,0] op_sel_hi:[0,0]
	v_mov_b32_e32 v11, v13
	v_pk_add_f32 v[4:5], v[4:5], v[100:101]
	v_mov_b32_e32 v103, v17
	v_pk_fma_f32 v[14:15], v[34:35], v[18:19], v[32:33] neg_lo:[0,0,1] neg_hi:[0,0,1]
	v_pk_fma_f32 v[16:17], v[34:35], v[18:19], v[32:33] op_sel_hi:[1,0,1]
	v_pk_add_f32 v[4:5], v[4:5], v[10:11]
	v_mov_b32_e32 v15, v17
	v_pk_add_f32 v[4:5], v[4:5], v[102:103]
	v_mov_b32_e32 v105, v37
	v_pk_add_f32 v[4:5], v[4:5], v[14:15]
	s_nop 0
	v_pk_add_f32 v[4:5], v[4:5], v[104:105]
	s_waitcnt vmcnt(0)
	v_pk_add_f32 v[4:5], v[94:95], v[4:5] neg_lo:[0,1] neg_hi:[0,1]
	scratch_store_dwordx2 off, v[4:5], off offset:144
	s_and_saveexec_b64 s[0:1], vcc
	s_cbranch_execz .LBB27_147
; %bb.146:
	scratch_load_dwordx2 v[4:5], off, off offset:136
	v_mov_b32_e32 v3, v2
	scratch_store_dwordx2 off, v[2:3], off offset:136
	s_waitcnt vmcnt(1)
	ds_write_b64 v1, v[4:5]
.LBB27_147:
	s_or_b64 exec, exec, s[0:1]
	s_waitcnt lgkmcnt(0)
	; wave barrier
	scratch_load_dwordx4 v[4:7], off, off offset:144
	scratch_load_dwordx4 v[8:11], off, off offset:160
	;; [unrolled: 1-line block ×5, first 2 shown]
	scratch_load_dwordx2 v[36:37], off, off offset:136
	ds_read_b128 v[24:27], v2 offset:368
	ds_read_b128 v[28:31], v2 offset:384
	;; [unrolled: 1-line block ×5, first 2 shown]
	v_cmp_lt_u32_e32 vcc, 16, v0
	s_waitcnt vmcnt(5) lgkmcnt(4)
	v_mul_f32_e32 v3, v24, v5
	v_mul_f32_e32 v2, v25, v5
	;; [unrolled: 1-line block ×4, first 2 shown]
	s_waitcnt vmcnt(4) lgkmcnt(3)
	v_pk_mul_f32 v[104:105], v[28:29], v[8:9] op_sel:[1,1] op_sel_hi:[0,1]
	v_mov_b32_e32 v106, v11
	v_fmac_f32_e32 v3, v25, v4
	v_fma_f32 v2, v24, v4, -v2
	v_fmac_f32_e32 v103, v27, v6
	v_fma_f32 v102, v26, v6, -v5
	v_pk_fma_f32 v[4:5], v[28:29], v[8:9], v[104:105] neg_lo:[0,0,1] neg_hi:[0,0,1]
	v_pk_fma_f32 v[6:7], v[28:29], v[8:9], v[104:105] op_sel_hi:[1,0,1]
	v_pk_mul_f32 v[8:9], v[30:31], v[106:107] op_sel:[1,0] op_sel_hi:[0,0]
	v_pk_add_f32 v[2:3], v[2:3], 0 op_sel_hi:[1,0]
	s_waitcnt vmcnt(3) lgkmcnt(2)
	v_pk_mul_f32 v[108:109], v[32:33], v[12:13] op_sel:[1,1] op_sel_hi:[0,1]
	v_mov_b32_e32 v110, v15
	v_mov_b32_e32 v5, v7
	v_pk_fma_f32 v[6:7], v[30:31], v[10:11], v[8:9] neg_lo:[0,0,1] neg_hi:[0,0,1]
	v_pk_fma_f32 v[8:9], v[30:31], v[10:11], v[8:9] op_sel_hi:[1,0,1]
	v_pk_add_f32 v[2:3], v[2:3], v[102:103]
	v_pk_fma_f32 v[24:25], v[32:33], v[12:13], v[108:109] neg_lo:[0,0,1] neg_hi:[0,0,1]
	v_pk_fma_f32 v[12:13], v[32:33], v[12:13], v[108:109] op_sel_hi:[1,0,1]
	v_pk_mul_f32 v[26:27], v[34:35], v[110:111] op_sel:[1,0] op_sel_hi:[0,0]
	v_mov_b32_e32 v7, v9
	v_pk_add_f32 v[2:3], v[2:3], v[4:5]
	s_waitcnt vmcnt(2) lgkmcnt(1)
	v_pk_mul_f32 v[112:113], v[94:95], v[16:17] op_sel:[1,1] op_sel_hi:[0,1]
	v_mov_b32_e32 v114, v19
	v_mov_b32_e32 v25, v13
	v_pk_fma_f32 v[10:11], v[34:35], v[14:15], v[26:27] neg_lo:[0,0,1] neg_hi:[0,0,1]
	v_pk_fma_f32 v[12:13], v[34:35], v[14:15], v[26:27] op_sel_hi:[1,0,1]
	v_pk_add_f32 v[2:3], v[2:3], v[6:7]
	v_pk_fma_f32 v[28:29], v[94:95], v[16:17], v[112:113] neg_lo:[0,0,1] neg_hi:[0,0,1]
	v_pk_fma_f32 v[16:17], v[94:95], v[16:17], v[112:113] op_sel_hi:[1,0,1]
	v_pk_mul_f32 v[32:33], v[96:97], v[114:115] op_sel:[1,0] op_sel_hi:[0,0]
	v_mov_b32_e32 v11, v13
	v_pk_add_f32 v[2:3], v[2:3], v[24:25]
	;; [unrolled: 12-line block ×3, first 2 shown]
	v_mov_b32_e32 v95, v21
	v_pk_fma_f32 v[18:19], v[100:101], v[22:23], v[98:99] neg_lo:[0,0,1] neg_hi:[0,0,1]
	v_pk_fma_f32 v[20:21], v[100:101], v[22:23], v[98:99] op_sel_hi:[1,0,1]
	v_pk_add_f32 v[2:3], v[2:3], v[14:15]
	v_mov_b32_e32 v19, v21
	v_pk_add_f32 v[2:3], v[2:3], v[94:95]
	s_nop 0
	v_pk_add_f32 v[2:3], v[2:3], v[18:19]
	s_waitcnt vmcnt(0)
	v_pk_add_f32 v[2:3], v[36:37], v[2:3] neg_lo:[0,1] neg_hi:[0,1]
	scratch_store_dwordx2 off, v[2:3], off offset:136
	s_and_saveexec_b64 s[0:1], vcc
	s_cbranch_execz .LBB27_149
; %bb.148:
	scratch_load_dwordx2 v[2:3], off, off offset:128
	v_mov_b32_e32 v4, 0
	v_mov_b32_e32 v5, v4
	scratch_store_dwordx2 off, v[4:5], off offset:128
	s_waitcnt vmcnt(1)
	ds_write_b64 v1, v[2:3]
.LBB27_149:
	s_or_b64 exec, exec, s[0:1]
	s_waitcnt lgkmcnt(0)
	; wave barrier
	scratch_load_dwordx4 v[4:7], off, off offset:136
	scratch_load_dwordx4 v[8:11], off, off offset:152
	;; [unrolled: 1-line block ×5, first 2 shown]
	scratch_load_dwordx2 v[36:37], off, off offset:216
	scratch_load_dwordx2 v[102:103], off, off offset:128
	v_mov_b32_e32 v2, 0
	ds_read2_b64 v[24:27], v2 offset0:45 offset1:46
	ds_read2_b64 v[28:31], v2 offset0:47 offset1:48
	;; [unrolled: 1-line block ×5, first 2 shown]
	ds_read_b64 v[104:105], v2 offset:440
	v_cmp_lt_u32_e32 vcc, 15, v0
	s_waitcnt vmcnt(6) lgkmcnt(5)
	v_mul_f32_e32 v3, v24, v5
	v_mul_f32_e32 v5, v25, v5
	;; [unrolled: 1-line block ×3, first 2 shown]
	s_waitcnt vmcnt(5) lgkmcnt(4)
	v_mul_f32_e32 v109, v28, v9
	v_mul_f32_e32 v7, v27, v7
	;; [unrolled: 1-line block ×3, first 2 shown]
	v_mov_b32_e32 v110, v11
	s_waitcnt vmcnt(2) lgkmcnt(1)
	v_pk_mul_f32 v[120:121], v[98:99], v[20:21] op_sel:[1,1] op_sel_hi:[0,1]
	v_fmac_f32_e32 v3, v25, v4
	v_fma_f32 v111, v24, v4, -v5
	v_pk_mul_f32 v[116:117], v[94:95], v[16:17] op_sel:[1,1] op_sel_hi:[0,1]
	s_waitcnt vmcnt(1) lgkmcnt(0)
	v_pk_mul_f32 v[124:125], v[104:105], v[36:37] op_sel:[1,1] op_sel_hi:[0,1]
	v_fmac_f32_e32 v107, v27, v6
	v_fmac_f32_e32 v109, v29, v8
	v_fma_f32 v106, v26, v6, -v7
	v_fma_f32 v108, v28, v8, -v9
	v_pk_mul_f32 v[4:5], v[30:31], v[110:111] op_sel:[1,0] op_sel_hi:[0,0]
	v_pk_fma_f32 v[28:29], v[98:99], v[20:21], v[120:121] neg_lo:[0,0,1] neg_hi:[0,0,1]
	v_pk_fma_f32 v[20:21], v[98:99], v[20:21], v[120:121] op_sel_hi:[1,0,1]
	v_add_f32_e32 v99, 0, v3
	v_add_f32_e32 v98, 0, v111
	v_pk_mul_f32 v[112:113], v[32:33], v[12:13] op_sel:[1,1] op_sel_hi:[0,1]
	v_mov_b32_e32 v114, v15
	v_pk_fma_f32 v[24:25], v[94:95], v[16:17], v[116:117] neg_lo:[0,0,1] neg_hi:[0,0,1]
	v_pk_fma_f32 v[16:17], v[94:95], v[16:17], v[116:117] op_sel_hi:[1,0,1]
	v_pk_fma_f32 v[94:95], v[104:105], v[36:37], v[124:125] neg_lo:[0,0,1] neg_hi:[0,0,1]
	v_pk_fma_f32 v[36:37], v[104:105], v[36:37], v[124:125] op_sel_hi:[1,0,1]
	;; [unrolled: 2-line block ×3, first 2 shown]
	v_mov_b32_e32 v29, v21
	v_pk_add_f32 v[20:21], v[98:99], v[106:107]
	v_pk_fma_f32 v[6:7], v[32:33], v[12:13], v[112:113] neg_lo:[0,0,1] neg_hi:[0,0,1]
	v_pk_fma_f32 v[8:9], v[32:33], v[12:13], v[112:113] op_sel_hi:[1,0,1]
	v_pk_mul_f32 v[12:13], v[34:35], v[114:115] op_sel:[1,0] op_sel_hi:[0,0]
	v_mov_b32_e32 v105, v5
	v_pk_add_f32 v[4:5], v[20:21], v[108:109]
	v_mov_b32_e32 v118, v19
	v_mov_b32_e32 v7, v9
	v_pk_fma_f32 v[8:9], v[34:35], v[14:15], v[12:13] neg_lo:[0,0,1] neg_hi:[0,0,1]
	v_pk_fma_f32 v[10:11], v[34:35], v[14:15], v[12:13] op_sel_hi:[1,0,1]
	v_pk_add_f32 v[4:5], v[4:5], v[104:105]
	v_pk_mul_f32 v[26:27], v[96:97], v[118:119] op_sel:[1,0] op_sel_hi:[0,0]
	v_mov_b32_e32 v9, v11
	v_pk_add_f32 v[4:5], v[4:5], v[6:7]
	v_mov_b32_e32 v122, v23
	v_mov_b32_e32 v25, v17
	v_pk_fma_f32 v[12:13], v[96:97], v[18:19], v[26:27] neg_lo:[0,0,1] neg_hi:[0,0,1]
	v_pk_fma_f32 v[14:15], v[96:97], v[18:19], v[26:27] op_sel_hi:[1,0,1]
	v_pk_add_f32 v[4:5], v[4:5], v[8:9]
	v_pk_mul_f32 v[32:33], v[100:101], v[122:123] op_sel:[1,0] op_sel_hi:[0,0]
	v_mov_b32_e32 v13, v15
	v_pk_add_f32 v[4:5], v[4:5], v[24:25]
	v_pk_fma_f32 v[16:17], v[100:101], v[22:23], v[32:33] neg_lo:[0,0,1] neg_hi:[0,0,1]
	v_pk_fma_f32 v[18:19], v[100:101], v[22:23], v[32:33] op_sel_hi:[1,0,1]
	v_pk_add_f32 v[4:5], v[4:5], v[12:13]
	v_mov_b32_e32 v17, v19
	v_pk_add_f32 v[4:5], v[4:5], v[28:29]
	v_mov_b32_e32 v95, v37
	v_pk_add_f32 v[4:5], v[4:5], v[16:17]
	s_nop 0
	v_pk_add_f32 v[4:5], v[4:5], v[94:95]
	s_waitcnt vmcnt(0)
	v_pk_add_f32 v[4:5], v[102:103], v[4:5] neg_lo:[0,1] neg_hi:[0,1]
	scratch_store_dwordx2 off, v[4:5], off offset:128
	s_and_saveexec_b64 s[0:1], vcc
	s_cbranch_execz .LBB27_151
; %bb.150:
	scratch_load_dwordx2 v[4:5], off, off offset:120
	v_mov_b32_e32 v3, v2
	scratch_store_dwordx2 off, v[2:3], off offset:120
	s_waitcnt vmcnt(1)
	ds_write_b64 v1, v[4:5]
.LBB27_151:
	s_or_b64 exec, exec, s[0:1]
	s_waitcnt lgkmcnt(0)
	; wave barrier
	scratch_load_dwordx4 v[4:7], off, off offset:128
	scratch_load_dwordx4 v[8:11], off, off offset:144
	;; [unrolled: 1-line block ×6, first 2 shown]
	scratch_load_dwordx2 v[36:37], off, off offset:120
	ds_read_b128 v[28:31], v2 offset:352
	ds_read_b128 v[32:35], v2 offset:368
	;; [unrolled: 1-line block ×6, first 2 shown]
	v_cmp_lt_u32_e32 vcc, 14, v0
	s_waitcnt vmcnt(6) lgkmcnt(5)
	v_mul_f32_e32 v115, v28, v5
	v_mul_f32_e32 v119, v30, v7
	s_waitcnt vmcnt(5) lgkmcnt(4)
	v_mul_f32_e32 v3, v32, v9
	v_mul_f32_e32 v2, v29, v5
	;; [unrolled: 1-line block ×4, first 2 shown]
	s_waitcnt vmcnt(1) lgkmcnt(0)
	v_pk_mul_f32 v[124:125], v[106:107], v[24:25] op_sel:[1,1] op_sel_hi:[0,1]
	v_pk_mul_f32 v[112:113], v[94:95], v[12:13] op_sel:[1,1] op_sel_hi:[0,1]
	v_fmac_f32_e32 v115, v29, v4
	v_fmac_f32_e32 v3, v33, v8
	v_fma_f32 v123, v28, v4, -v2
	v_fma_f32 v2, v32, v8, -v7
	v_pk_fma_f32 v[32:33], v[106:107], v[24:25], v[124:125] neg_lo:[0,0,1] neg_hi:[0,0,1]
	v_pk_fma_f32 v[24:25], v[106:107], v[24:25], v[124:125] op_sel_hi:[1,0,1]
	v_fmac_f32_e32 v119, v31, v6
	v_fma_f32 v127, v30, v6, -v5
	v_pk_fma_f32 v[4:5], v[94:95], v[12:13], v[112:113] neg_lo:[0,0,1] neg_hi:[0,0,1]
	v_pk_fma_f32 v[6:7], v[94:95], v[12:13], v[112:113] op_sel_hi:[1,0,1]
	v_add_f32_e32 v24, 0, v115
	v_add_f32_e32 v94, 0, v123
	v_mul_f32_e32 v111, v34, v11
	v_mul_f32_e32 v9, v35, v11
	v_mov_b32_e32 v114, v15
	v_mov_b32_e32 v33, v25
	v_add_f32_e32 v25, v24, v119
	v_add_f32_e32 v24, v94, v127
	v_fmac_f32_e32 v111, v35, v10
	v_fma_f32 v110, v34, v10, -v9
	v_pk_mul_f32 v[8:9], v[96:97], v[114:115] op_sel:[1,0] op_sel_hi:[0,0]
	v_pk_add_f32 v[2:3], v[24:25], v[2:3]
	v_pk_mul_f32 v[116:117], v[98:99], v[16:17] op_sel:[1,1] op_sel_hi:[0,1]
	v_mov_b32_e32 v118, v19
	v_mov_b32_e32 v5, v7
	v_pk_fma_f32 v[6:7], v[96:97], v[14:15], v[8:9] neg_lo:[0,0,1] neg_hi:[0,0,1]
	v_pk_fma_f32 v[8:9], v[96:97], v[14:15], v[8:9] op_sel_hi:[1,0,1]
	v_pk_add_f32 v[2:3], v[2:3], v[110:111]
	v_pk_fma_f32 v[10:11], v[98:99], v[16:17], v[116:117] neg_lo:[0,0,1] neg_hi:[0,0,1]
	v_pk_fma_f32 v[12:13], v[98:99], v[16:17], v[116:117] op_sel_hi:[1,0,1]
	v_pk_mul_f32 v[16:17], v[100:101], v[118:119] op_sel:[1,0] op_sel_hi:[0,0]
	v_mov_b32_e32 v7, v9
	v_pk_add_f32 v[2:3], v[2:3], v[4:5]
	v_pk_mul_f32 v[120:121], v[102:103], v[20:21] op_sel:[1,1] op_sel_hi:[0,1]
	v_mov_b32_e32 v122, v23
	v_mov_b32_e32 v11, v13
	v_pk_fma_f32 v[12:13], v[100:101], v[18:19], v[16:17] neg_lo:[0,0,1] neg_hi:[0,0,1]
	v_pk_fma_f32 v[14:15], v[100:101], v[18:19], v[16:17] op_sel_hi:[1,0,1]
	v_pk_add_f32 v[2:3], v[2:3], v[6:7]
	v_pk_fma_f32 v[28:29], v[102:103], v[20:21], v[120:121] neg_lo:[0,0,1] neg_hi:[0,0,1]
	v_pk_fma_f32 v[20:21], v[102:103], v[20:21], v[120:121] op_sel_hi:[1,0,1]
	v_pk_mul_f32 v[30:31], v[104:105], v[122:123] op_sel:[1,0] op_sel_hi:[0,0]
	v_mov_b32_e32 v13, v15
	v_pk_add_f32 v[2:3], v[2:3], v[10:11]
	v_mov_b32_e32 v126, v27
	v_mov_b32_e32 v29, v21
	v_pk_fma_f32 v[16:17], v[104:105], v[22:23], v[30:31] neg_lo:[0,0,1] neg_hi:[0,0,1]
	v_pk_fma_f32 v[18:19], v[104:105], v[22:23], v[30:31] op_sel_hi:[1,0,1]
	v_pk_add_f32 v[2:3], v[2:3], v[12:13]
	v_pk_mul_f32 v[34:35], v[108:109], v[126:127] op_sel:[1,0] op_sel_hi:[0,0]
	v_mov_b32_e32 v17, v19
	v_pk_add_f32 v[2:3], v[2:3], v[28:29]
	v_pk_fma_f32 v[20:21], v[108:109], v[26:27], v[34:35] neg_lo:[0,0,1] neg_hi:[0,0,1]
	v_pk_fma_f32 v[22:23], v[108:109], v[26:27], v[34:35] op_sel_hi:[1,0,1]
	v_pk_add_f32 v[2:3], v[2:3], v[16:17]
	v_mov_b32_e32 v21, v23
	v_pk_add_f32 v[2:3], v[2:3], v[32:33]
	s_nop 0
	v_pk_add_f32 v[2:3], v[2:3], v[20:21]
	s_waitcnt vmcnt(0)
	v_pk_add_f32 v[2:3], v[36:37], v[2:3] neg_lo:[0,1] neg_hi:[0,1]
	scratch_store_dwordx2 off, v[2:3], off offset:120
	s_and_saveexec_b64 s[0:1], vcc
	s_cbranch_execz .LBB27_153
; %bb.152:
	scratch_load_dwordx2 v[2:3], off, off offset:112
	v_mov_b32_e32 v4, 0
	v_mov_b32_e32 v5, v4
	scratch_store_dwordx2 off, v[4:5], off offset:112
	s_waitcnt vmcnt(1)
	ds_write_b64 v1, v[2:3]
.LBB27_153:
	s_or_b64 exec, exec, s[0:1]
	s_waitcnt lgkmcnt(0)
	; wave barrier
	scratch_load_dwordx4 v[8:11], off, off offset:120
	scratch_load_dwordx4 v[16:19], off, off offset:136
	v_mov_b32_e32 v2, 0
	ds_read2_b64 v[4:7], v2 offset0:43 offset1:44
	scratch_load_dwordx4 v[24:27], off, off offset:152
	v_cmp_lt_u32_e32 vcc, 13, v0
	s_waitcnt vmcnt(2) lgkmcnt(0)
	v_mul_f32_e32 v3, v4, v9
	v_fmac_f32_e32 v3, v5, v8
	v_mul_f32_e32 v12, v6, v11
	v_add_f32_e32 v3, 0, v3
	v_fmac_f32_e32 v12, v7, v10
	v_add_f32_e32 v3, v3, v12
	ds_read2_b64 v[12:15], v2 offset0:45 offset1:46
	s_waitcnt vmcnt(1) lgkmcnt(0)
	v_mul_f32_e32 v20, v12, v17
	v_fmac_f32_e32 v20, v13, v16
	v_add_f32_e32 v37, v3, v20
	ds_read2_b64 v[20:23], v2 offset0:47 offset1:48
	scratch_load_dwordx4 v[28:31], off, off offset:168
	scratch_load_dwordx4 v[32:35], off, off offset:184
	;; [unrolled: 1-line block ×3, first 2 shown]
	scratch_load_dwordx2 v[102:103], off, off offset:216
	v_mul_f32_e32 v3, v5, v9
	v_fma_f32 v3, v4, v8, -v3
	v_mul_f32_e32 v4, v7, v11
	v_add_f32_e32 v3, 0, v3
	v_fma_f32 v4, v6, v10, -v4
	v_add_f32_e32 v3, v3, v4
	v_mul_f32_e32 v4, v13, v17
	v_fma_f32 v4, v12, v16, -v4
	v_add_f32_e32 v36, v3, v4
	v_mul_f32_e32 v3, v15, v19
	v_fma_f32 v98, v14, v18, -v3
	s_waitcnt vmcnt(4) lgkmcnt(0)
	v_mul_f32_e32 v3, v21, v25
	v_mul_f32_e32 v99, v14, v19
	v_mul_f32_e32 v101, v20, v25
	v_fma_f32 v100, v20, v24, -v3
	v_mov_b32_e32 v20, v27
	v_fmac_f32_e32 v99, v15, v18
	v_fmac_f32_e32 v101, v21, v24
	ds_read2_b64 v[4:7], v2 offset0:49 offset1:50
	ds_read2_b64 v[8:11], v2 offset0:51 offset1:52
	;; [unrolled: 1-line block ×3, first 2 shown]
	ds_read_b64 v[16:17], v2 offset:440
	v_pk_mul_f32 v[20:21], v[22:23], v[20:21] op_sel:[1,0] op_sel_hi:[0,0]
	v_pk_fma_f32 v[24:25], v[22:23], v[26:27], v[20:21] neg_lo:[0,0,1] neg_hi:[0,0,1]
	v_pk_fma_f32 v[20:21], v[22:23], v[26:27], v[20:21] op_sel_hi:[1,0,1]
	v_pk_add_f32 v[18:19], v[36:37], v[98:99]
	v_mov_b32_e32 v25, v21
	v_pk_add_f32 v[18:19], v[18:19], v[100:101]
	s_waitcnt vmcnt(3) lgkmcnt(3)
	v_pk_mul_f32 v[20:21], v[4:5], v[28:29] op_sel:[1,1] op_sel_hi:[0,1]
	v_pk_fma_f32 v[22:23], v[4:5], v[28:29], v[20:21] neg_lo:[0,0,1] neg_hi:[0,0,1]
	v_pk_fma_f32 v[4:5], v[4:5], v[28:29], v[20:21] op_sel_hi:[1,0,1]
	v_pk_add_f32 v[18:19], v[18:19], v[24:25]
	v_mov_b32_e32 v23, v5
	v_pk_add_f32 v[4:5], v[18:19], v[22:23]
	v_mov_b32_e32 v18, v31
	v_pk_mul_f32 v[18:19], v[6:7], v[18:19] op_sel:[1,0] op_sel_hi:[0,0]
	v_pk_fma_f32 v[20:21], v[6:7], v[30:31], v[18:19] neg_lo:[0,0,1] neg_hi:[0,0,1]
	v_pk_fma_f32 v[6:7], v[6:7], v[30:31], v[18:19] op_sel_hi:[1,0,1]
	s_nop 0
	v_mov_b32_e32 v21, v7
	s_waitcnt vmcnt(2) lgkmcnt(2)
	v_pk_mul_f32 v[6:7], v[8:9], v[32:33] op_sel:[1,1] op_sel_hi:[0,1]
	v_pk_fma_f32 v[18:19], v[8:9], v[32:33], v[6:7] neg_lo:[0,0,1] neg_hi:[0,0,1]
	v_pk_fma_f32 v[6:7], v[8:9], v[32:33], v[6:7] op_sel_hi:[1,0,1]
	v_pk_add_f32 v[4:5], v[4:5], v[20:21]
	v_mov_b32_e32 v6, v35
	v_mov_b32_e32 v19, v7
	v_pk_mul_f32 v[6:7], v[10:11], v[6:7] op_sel:[1,0] op_sel_hi:[0,0]
	v_pk_fma_f32 v[8:9], v[10:11], v[34:35], v[6:7] neg_lo:[0,0,1] neg_hi:[0,0,1]
	v_pk_fma_f32 v[6:7], v[10:11], v[34:35], v[6:7] op_sel_hi:[1,0,1]
	v_pk_add_f32 v[4:5], v[4:5], v[18:19]
	v_mov_b32_e32 v9, v7
	s_waitcnt vmcnt(1) lgkmcnt(1)
	v_pk_mul_f32 v[6:7], v[12:13], v[94:95] op_sel:[1,1] op_sel_hi:[0,1]
	v_pk_add_f32 v[4:5], v[4:5], v[8:9]
	v_pk_fma_f32 v[8:9], v[12:13], v[94:95], v[6:7] neg_lo:[0,0,1] neg_hi:[0,0,1]
	v_pk_fma_f32 v[6:7], v[12:13], v[94:95], v[6:7] op_sel_hi:[1,0,1]
	s_nop 0
	v_mov_b32_e32 v6, v97
	v_mov_b32_e32 v9, v7
	v_pk_mul_f32 v[6:7], v[14:15], v[6:7] op_sel:[1,0] op_sel_hi:[0,0]
	v_pk_add_f32 v[4:5], v[4:5], v[8:9]
	v_pk_fma_f32 v[8:9], v[14:15], v[96:97], v[6:7] neg_lo:[0,0,1] neg_hi:[0,0,1]
	v_pk_fma_f32 v[6:7], v[14:15], v[96:97], v[6:7] op_sel_hi:[1,0,1]
	s_nop 0
	v_mov_b32_e32 v9, v7
	s_waitcnt vmcnt(0) lgkmcnt(0)
	v_pk_mul_f32 v[6:7], v[16:17], v[102:103] op_sel:[1,1] op_sel_hi:[0,1]
	v_pk_add_f32 v[4:5], v[4:5], v[8:9]
	v_pk_fma_f32 v[8:9], v[16:17], v[102:103], v[6:7] neg_lo:[0,0,1] neg_hi:[0,0,1]
	v_pk_fma_f32 v[6:7], v[16:17], v[102:103], v[6:7] op_sel_hi:[1,0,1]
	s_nop 0
	v_mov_b32_e32 v9, v7
	scratch_load_dwordx2 v[6:7], off, off offset:112
	v_pk_add_f32 v[4:5], v[4:5], v[8:9]
	s_waitcnt vmcnt(0)
	v_pk_add_f32 v[4:5], v[6:7], v[4:5] neg_lo:[0,1] neg_hi:[0,1]
	scratch_store_dwordx2 off, v[4:5], off offset:112
	s_and_saveexec_b64 s[0:1], vcc
	s_cbranch_execz .LBB27_155
; %bb.154:
	scratch_load_dwordx2 v[4:5], off, off offset:104
	v_mov_b32_e32 v3, v2
	scratch_store_dwordx2 off, v[2:3], off offset:104
	s_waitcnt vmcnt(1)
	ds_write_b64 v1, v[4:5]
.LBB27_155:
	s_or_b64 exec, exec, s[0:1]
	s_waitcnt lgkmcnt(0)
	; wave barrier
	ds_read_b128 v[4:7], v2 offset:336
	ds_read_b128 v[8:11], v2 offset:352
	;; [unrolled: 1-line block ×4, first 2 shown]
	scratch_load_dwordx4 v[20:23], off, off offset:112
	v_cmp_lt_u32_e32 vcc, 12, v0
	s_waitcnt vmcnt(0) lgkmcnt(3)
	v_mul_f32_e32 v3, v4, v21
	v_fmac_f32_e32 v3, v5, v20
	v_mul_f32_e32 v24, v6, v23
	v_add_f32_e32 v3, 0, v3
	v_fmac_f32_e32 v24, v7, v22
	v_add_f32_e32 v3, v3, v24
	scratch_load_dwordx4 v[24:27], off, off offset:128
	s_waitcnt vmcnt(0) lgkmcnt(2)
	v_mul_f32_e32 v28, v8, v25
	v_fmac_f32_e32 v28, v9, v24
	v_add_f32_e32 v3, v3, v28
	v_mul_f32_e32 v28, v10, v27
	v_fmac_f32_e32 v28, v11, v26
	v_add_f32_e32 v37, v3, v28
	scratch_load_dwordx4 v[28:31], off, off offset:144
	scratch_load_dwordx4 v[32:35], off, off offset:160
	;; [unrolled: 1-line block ×5, first 2 shown]
	v_mul_f32_e32 v3, v5, v21
	v_fma_f32 v3, v4, v20, -v3
	v_mul_f32_e32 v4, v7, v23
	v_add_f32_e32 v3, 0, v3
	v_fma_f32 v4, v6, v22, -v4
	v_add_f32_e32 v3, v3, v4
	v_mul_f32_e32 v4, v9, v25
	v_fma_f32 v4, v8, v24, -v4
	v_add_f32_e32 v3, v3, v4
	v_mul_f32_e32 v4, v11, v27
	v_fma_f32 v4, v10, v26, -v4
	v_add_f32_e32 v36, v3, v4
	s_waitcnt vmcnt(3) lgkmcnt(0)
	v_pk_mul_f32 v[20:21], v[16:17], v[32:33] op_sel:[1,1] op_sel_hi:[0,1]
	v_pk_fma_f32 v[22:23], v[16:17], v[32:33], v[20:21] neg_lo:[0,0,1] neg_hi:[0,0,1]
	v_mul_f32_e32 v3, v13, v29
	v_mul_f32_e32 v107, v12, v29
	;; [unrolled: 1-line block ×3, first 2 shown]
	v_fma_f32 v106, v12, v28, -v3
	v_mul_f32_e32 v3, v15, v31
	v_pk_fma_f32 v[16:17], v[16:17], v[32:33], v[20:21] op_sel_hi:[1,0,1]
	v_fmac_f32_e32 v107, v13, v28
	v_fmac_f32_e32 v109, v15, v30
	v_fma_f32 v108, v14, v30, -v3
	ds_read_b128 v[4:7], v2 offset:400
	ds_read_b128 v[8:11], v2 offset:416
	ds_read_b128 v[12:15], v2 offset:432
	v_mov_b32_e32 v16, v35
	v_mov_b32_e32 v23, v17
	v_pk_mul_f32 v[16:17], v[18:19], v[16:17] op_sel:[1,0] op_sel_hi:[0,0]
	v_pk_fma_f32 v[20:21], v[18:19], v[34:35], v[16:17] neg_lo:[0,0,1] neg_hi:[0,0,1]
	v_pk_fma_f32 v[16:17], v[18:19], v[34:35], v[16:17] op_sel_hi:[1,0,1]
	v_pk_add_f32 v[2:3], v[36:37], v[106:107]
	v_mov_b32_e32 v21, v17
	s_waitcnt vmcnt(2) lgkmcnt(2)
	v_pk_mul_f32 v[16:17], v[4:5], v[94:95] op_sel:[1,1] op_sel_hi:[0,1]
	v_pk_fma_f32 v[18:19], v[4:5], v[94:95], v[16:17] neg_lo:[0,0,1] neg_hi:[0,0,1]
	v_pk_fma_f32 v[4:5], v[4:5], v[94:95], v[16:17] op_sel_hi:[1,0,1]
	v_pk_add_f32 v[2:3], v[2:3], v[108:109]
	v_mov_b32_e32 v4, v97
	v_mov_b32_e32 v19, v5
	v_pk_mul_f32 v[4:5], v[6:7], v[4:5] op_sel:[1,0] op_sel_hi:[0,0]
	v_pk_fma_f32 v[16:17], v[6:7], v[96:97], v[4:5] neg_lo:[0,0,1] neg_hi:[0,0,1]
	v_pk_fma_f32 v[4:5], v[6:7], v[96:97], v[4:5] op_sel_hi:[1,0,1]
	v_pk_add_f32 v[2:3], v[2:3], v[22:23]
	v_mov_b32_e32 v17, v5
	s_waitcnt vmcnt(1) lgkmcnt(1)
	v_pk_mul_f32 v[4:5], v[8:9], v[98:99] op_sel:[1,1] op_sel_hi:[0,1]
	v_pk_add_f32 v[2:3], v[2:3], v[20:21]
	v_pk_fma_f32 v[6:7], v[8:9], v[98:99], v[4:5] neg_lo:[0,0,1] neg_hi:[0,0,1]
	v_pk_fma_f32 v[4:5], v[8:9], v[98:99], v[4:5] op_sel_hi:[1,0,1]
	v_pk_add_f32 v[2:3], v[2:3], v[18:19]
	v_mov_b32_e32 v4, v101
	v_pk_add_f32 v[2:3], v[2:3], v[16:17]
	v_mov_b32_e32 v7, v5
	v_pk_mul_f32 v[4:5], v[10:11], v[4:5] op_sel:[1,0] op_sel_hi:[0,0]
	v_pk_add_f32 v[2:3], v[2:3], v[6:7]
	v_pk_fma_f32 v[6:7], v[10:11], v[100:101], v[4:5] neg_lo:[0,0,1] neg_hi:[0,0,1]
	v_pk_fma_f32 v[4:5], v[10:11], v[100:101], v[4:5] op_sel_hi:[1,0,1]
	s_nop 0
	v_mov_b32_e32 v7, v5
	s_waitcnt vmcnt(0) lgkmcnt(0)
	v_pk_mul_f32 v[4:5], v[12:13], v[102:103] op_sel:[1,1] op_sel_hi:[0,1]
	v_pk_add_f32 v[2:3], v[2:3], v[6:7]
	v_pk_fma_f32 v[6:7], v[12:13], v[102:103], v[4:5] neg_lo:[0,0,1] neg_hi:[0,0,1]
	v_pk_fma_f32 v[4:5], v[12:13], v[102:103], v[4:5] op_sel_hi:[1,0,1]
	s_nop 0
	v_mov_b32_e32 v4, v105
	v_mov_b32_e32 v7, v5
	v_pk_mul_f32 v[4:5], v[14:15], v[4:5] op_sel:[1,0] op_sel_hi:[0,0]
	v_pk_add_f32 v[2:3], v[2:3], v[6:7]
	v_pk_fma_f32 v[6:7], v[14:15], v[104:105], v[4:5] neg_lo:[0,0,1] neg_hi:[0,0,1]
	v_pk_fma_f32 v[4:5], v[14:15], v[104:105], v[4:5] op_sel_hi:[1,0,1]
	s_nop 0
	v_mov_b32_e32 v7, v5
	scratch_load_dwordx2 v[4:5], off, off offset:104
	v_pk_add_f32 v[2:3], v[2:3], v[6:7]
	s_waitcnt vmcnt(0)
	v_pk_add_f32 v[2:3], v[4:5], v[2:3] neg_lo:[0,1] neg_hi:[0,1]
	scratch_store_dwordx2 off, v[2:3], off offset:104
	s_and_saveexec_b64 s[0:1], vcc
	s_cbranch_execz .LBB27_157
; %bb.156:
	scratch_load_dwordx2 v[2:3], off, off offset:96
	v_mov_b32_e32 v4, 0
	v_mov_b32_e32 v5, v4
	scratch_store_dwordx2 off, v[4:5], off offset:96
	s_waitcnt vmcnt(1)
	ds_write_b64 v1, v[2:3]
.LBB27_157:
	s_or_b64 exec, exec, s[0:1]
	s_waitcnt lgkmcnt(0)
	; wave barrier
	scratch_load_dwordx4 v[8:11], off, off offset:104
	scratch_load_dwordx4 v[16:19], off, off offset:120
	;; [unrolled: 1-line block ×4, first 2 shown]
	v_mov_b32_e32 v2, 0
	ds_read2_b64 v[4:7], v2 offset0:41 offset1:42
	v_cmp_lt_u32_e32 vcc, 11, v0
	s_waitcnt vmcnt(3) lgkmcnt(0)
	v_mul_f32_e32 v3, v4, v9
	v_fmac_f32_e32 v3, v5, v8
	v_mul_f32_e32 v12, v6, v11
	v_add_f32_e32 v3, 0, v3
	v_fmac_f32_e32 v12, v7, v10
	v_add_f32_e32 v3, v3, v12
	ds_read2_b64 v[12:15], v2 offset0:43 offset1:44
	s_waitcnt vmcnt(2) lgkmcnt(0)
	v_mul_f32_e32 v20, v12, v17
	v_fmac_f32_e32 v20, v13, v16
	v_add_f32_e32 v3, v3, v20
	v_mul_f32_e32 v20, v14, v19
	v_fmac_f32_e32 v20, v15, v18
	v_add_f32_e32 v3, v3, v20
	ds_read2_b64 v[20:23], v2 offset0:45 offset1:46
	s_waitcnt vmcnt(1) lgkmcnt(0)
	v_mul_f32_e32 v28, v20, v25
	v_fmac_f32_e32 v28, v21, v24
	v_add_f32_e32 v37, v3, v28
	ds_read2_b64 v[28:31], v2 offset0:47 offset1:48
	scratch_load_dwordx4 v[94:97], off, off offset:168
	scratch_load_dwordx4 v[98:101], off, off offset:184
	;; [unrolled: 1-line block ×3, first 2 shown]
	scratch_load_dwordx2 v[110:111], off, off offset:216
	v_mul_f32_e32 v3, v5, v9
	v_fma_f32 v3, v4, v8, -v3
	v_mul_f32_e32 v4, v7, v11
	v_add_f32_e32 v3, 0, v3
	v_fma_f32 v4, v6, v10, -v4
	v_add_f32_e32 v3, v3, v4
	v_mul_f32_e32 v4, v13, v17
	v_fma_f32 v4, v12, v16, -v4
	v_add_f32_e32 v3, v3, v4
	v_mul_f32_e32 v4, v15, v19
	;; [unrolled: 3-line block ×3, first 2 shown]
	v_fma_f32 v4, v20, v24, -v4
	v_mul_f32_e32 v107, v22, v27
	v_add_f32_e32 v36, v3, v4
	v_mul_f32_e32 v3, v23, v27
	s_waitcnt vmcnt(4)
	v_mov_b32_e32 v20, v35
	v_fmac_f32_e32 v107, v23, v26
	s_waitcnt lgkmcnt(0)
	v_mul_f32_e32 v109, v28, v33
	v_fma_f32 v106, v22, v26, -v3
	v_mul_f32_e32 v3, v29, v33
	ds_read2_b64 v[4:7], v2 offset0:49 offset1:50
	ds_read2_b64 v[8:11], v2 offset0:51 offset1:52
	;; [unrolled: 1-line block ×3, first 2 shown]
	ds_read_b64 v[16:17], v2 offset:440
	v_pk_mul_f32 v[20:21], v[30:31], v[20:21] op_sel:[1,0] op_sel_hi:[0,0]
	v_fmac_f32_e32 v109, v29, v32
	v_fma_f32 v108, v28, v32, -v3
	v_pk_add_f32 v[18:19], v[36:37], v[106:107]
	v_pk_fma_f32 v[22:23], v[30:31], v[34:35], v[20:21] neg_lo:[0,0,1] neg_hi:[0,0,1]
	v_pk_fma_f32 v[20:21], v[30:31], v[34:35], v[20:21] op_sel_hi:[1,0,1]
	v_pk_add_f32 v[18:19], v[18:19], v[108:109]
	v_mov_b32_e32 v23, v21
	v_pk_add_f32 v[18:19], v[18:19], v[22:23]
	s_waitcnt vmcnt(3) lgkmcnt(3)
	v_pk_mul_f32 v[20:21], v[4:5], v[94:95] op_sel:[1,1] op_sel_hi:[0,1]
	v_pk_fma_f32 v[22:23], v[4:5], v[94:95], v[20:21] neg_lo:[0,0,1] neg_hi:[0,0,1]
	v_pk_fma_f32 v[4:5], v[4:5], v[94:95], v[20:21] op_sel_hi:[1,0,1]
	s_nop 0
	v_mov_b32_e32 v23, v5
	v_pk_add_f32 v[4:5], v[18:19], v[22:23]
	v_mov_b32_e32 v18, v97
	v_pk_mul_f32 v[18:19], v[6:7], v[18:19] op_sel:[1,0] op_sel_hi:[0,0]
	v_pk_fma_f32 v[20:21], v[6:7], v[96:97], v[18:19] neg_lo:[0,0,1] neg_hi:[0,0,1]
	v_pk_fma_f32 v[6:7], v[6:7], v[96:97], v[18:19] op_sel_hi:[1,0,1]
	s_nop 0
	v_mov_b32_e32 v21, v7
	s_waitcnt vmcnt(2) lgkmcnt(2)
	v_pk_mul_f32 v[6:7], v[8:9], v[98:99] op_sel:[1,1] op_sel_hi:[0,1]
	v_pk_fma_f32 v[18:19], v[8:9], v[98:99], v[6:7] neg_lo:[0,0,1] neg_hi:[0,0,1]
	v_pk_fma_f32 v[6:7], v[8:9], v[98:99], v[6:7] op_sel_hi:[1,0,1]
	v_pk_add_f32 v[4:5], v[4:5], v[20:21]
	v_mov_b32_e32 v6, v101
	v_mov_b32_e32 v19, v7
	v_pk_mul_f32 v[6:7], v[10:11], v[6:7] op_sel:[1,0] op_sel_hi:[0,0]
	v_pk_fma_f32 v[8:9], v[10:11], v[100:101], v[6:7] neg_lo:[0,0,1] neg_hi:[0,0,1]
	v_pk_fma_f32 v[6:7], v[10:11], v[100:101], v[6:7] op_sel_hi:[1,0,1]
	v_pk_add_f32 v[4:5], v[4:5], v[18:19]
	v_mov_b32_e32 v9, v7
	s_waitcnt vmcnt(1) lgkmcnt(1)
	v_pk_mul_f32 v[6:7], v[12:13], v[102:103] op_sel:[1,1] op_sel_hi:[0,1]
	v_pk_add_f32 v[4:5], v[4:5], v[8:9]
	v_pk_fma_f32 v[8:9], v[12:13], v[102:103], v[6:7] neg_lo:[0,0,1] neg_hi:[0,0,1]
	v_pk_fma_f32 v[6:7], v[12:13], v[102:103], v[6:7] op_sel_hi:[1,0,1]
	s_nop 0
	v_mov_b32_e32 v6, v105
	v_mov_b32_e32 v9, v7
	v_pk_mul_f32 v[6:7], v[14:15], v[6:7] op_sel:[1,0] op_sel_hi:[0,0]
	v_pk_add_f32 v[4:5], v[4:5], v[8:9]
	v_pk_fma_f32 v[8:9], v[14:15], v[104:105], v[6:7] neg_lo:[0,0,1] neg_hi:[0,0,1]
	v_pk_fma_f32 v[6:7], v[14:15], v[104:105], v[6:7] op_sel_hi:[1,0,1]
	s_nop 0
	v_mov_b32_e32 v9, v7
	s_waitcnt vmcnt(0) lgkmcnt(0)
	v_pk_mul_f32 v[6:7], v[16:17], v[110:111] op_sel:[1,1] op_sel_hi:[0,1]
	v_pk_add_f32 v[4:5], v[4:5], v[8:9]
	v_pk_fma_f32 v[8:9], v[16:17], v[110:111], v[6:7] neg_lo:[0,0,1] neg_hi:[0,0,1]
	v_pk_fma_f32 v[6:7], v[16:17], v[110:111], v[6:7] op_sel_hi:[1,0,1]
	s_nop 0
	v_mov_b32_e32 v9, v7
	scratch_load_dwordx2 v[6:7], off, off offset:96
	v_pk_add_f32 v[4:5], v[4:5], v[8:9]
	s_waitcnt vmcnt(0)
	v_pk_add_f32 v[4:5], v[6:7], v[4:5] neg_lo:[0,1] neg_hi:[0,1]
	scratch_store_dwordx2 off, v[4:5], off offset:96
	s_and_saveexec_b64 s[0:1], vcc
	s_cbranch_execz .LBB27_159
; %bb.158:
	scratch_load_dwordx2 v[4:5], off, off offset:88
	v_mov_b32_e32 v3, v2
	scratch_store_dwordx2 off, v[2:3], off offset:88
	s_waitcnt vmcnt(1)
	ds_write_b64 v1, v[4:5]
.LBB27_159:
	s_or_b64 exec, exec, s[0:1]
	s_waitcnt lgkmcnt(0)
	; wave barrier
	ds_read_b128 v[4:7], v2 offset:320
	ds_read_b128 v[8:11], v2 offset:336
	;; [unrolled: 1-line block ×4, first 2 shown]
	scratch_load_dwordx4 v[20:23], off, off offset:96
	v_cmp_lt_u32_e32 vcc, 10, v0
	s_waitcnt vmcnt(0) lgkmcnt(3)
	v_mul_f32_e32 v3, v4, v21
	v_fmac_f32_e32 v3, v5, v20
	v_mul_f32_e32 v24, v6, v23
	v_add_f32_e32 v3, 0, v3
	v_fmac_f32_e32 v24, v7, v22
	v_add_f32_e32 v3, v3, v24
	scratch_load_dwordx4 v[24:27], off, off offset:112
	s_waitcnt vmcnt(0) lgkmcnt(2)
	v_mul_f32_e32 v28, v8, v25
	v_fmac_f32_e32 v28, v9, v24
	v_add_f32_e32 v3, v3, v28
	v_mul_f32_e32 v28, v10, v27
	v_fmac_f32_e32 v28, v11, v26
	v_add_f32_e32 v3, v3, v28
	scratch_load_dwordx4 v[28:31], off, off offset:128
	s_waitcnt vmcnt(0) lgkmcnt(1)
	v_mul_f32_e32 v32, v12, v29
	v_fmac_f32_e32 v32, v13, v28
	v_add_f32_e32 v3, v3, v32
	v_mul_f32_e32 v32, v14, v31
	v_fmac_f32_e32 v32, v15, v30
	v_add_f32_e32 v37, v3, v32
	scratch_load_dwordx4 v[32:35], off, off offset:144
	scratch_load_dwordx4 v[94:97], off, off offset:160
	;; [unrolled: 1-line block ×5, first 2 shown]
	v_mul_f32_e32 v3, v5, v21
	v_fma_f32 v3, v4, v20, -v3
	v_mul_f32_e32 v4, v7, v23
	v_add_f32_e32 v3, 0, v3
	v_fma_f32 v4, v6, v22, -v4
	v_add_f32_e32 v3, v3, v4
	v_mul_f32_e32 v4, v9, v25
	v_fma_f32 v4, v8, v24, -v4
	v_add_f32_e32 v3, v3, v4
	v_mul_f32_e32 v4, v11, v27
	;; [unrolled: 3-line block ×4, first 2 shown]
	v_fma_f32 v4, v14, v30, -v4
	v_add_f32_e32 v36, v3, v4
	s_waitcnt vmcnt(4) lgkmcnt(0)
	v_mul_f32_e32 v3, v17, v33
	v_mul_f32_e32 v111, v16, v33
	;; [unrolled: 1-line block ×3, first 2 shown]
	v_fma_f32 v110, v16, v32, -v3
	v_mul_f32_e32 v3, v19, v35
	v_fmac_f32_e32 v111, v17, v32
	v_fmac_f32_e32 v113, v19, v34
	v_fma_f32 v112, v18, v34, -v3
	ds_read_b128 v[4:7], v2 offset:384
	ds_read_b128 v[8:11], v2 offset:400
	;; [unrolled: 1-line block ×4, first 2 shown]
	v_pk_add_f32 v[2:3], v[36:37], v[110:111]
	s_waitcnt vmcnt(3) lgkmcnt(3)
	v_pk_mul_f32 v[20:21], v[4:5], v[94:95] op_sel:[1,1] op_sel_hi:[0,1]
	v_pk_fma_f32 v[22:23], v[4:5], v[94:95], v[20:21] neg_lo:[0,0,1] neg_hi:[0,0,1]
	v_pk_fma_f32 v[4:5], v[4:5], v[94:95], v[20:21] op_sel_hi:[1,0,1]
	v_pk_add_f32 v[2:3], v[2:3], v[112:113]
	v_mov_b32_e32 v4, v97
	v_mov_b32_e32 v23, v5
	v_pk_mul_f32 v[4:5], v[6:7], v[4:5] op_sel:[1,0] op_sel_hi:[0,0]
	v_pk_fma_f32 v[20:21], v[6:7], v[96:97], v[4:5] neg_lo:[0,0,1] neg_hi:[0,0,1]
	v_pk_fma_f32 v[4:5], v[6:7], v[96:97], v[4:5] op_sel_hi:[1,0,1]
	v_pk_add_f32 v[2:3], v[2:3], v[22:23]
	v_mov_b32_e32 v21, v5
	s_waitcnt vmcnt(2) lgkmcnt(2)
	v_pk_mul_f32 v[4:5], v[8:9], v[98:99] op_sel:[1,1] op_sel_hi:[0,1]
	v_pk_fma_f32 v[6:7], v[8:9], v[98:99], v[4:5] neg_lo:[0,0,1] neg_hi:[0,0,1]
	v_pk_fma_f32 v[4:5], v[8:9], v[98:99], v[4:5] op_sel_hi:[1,0,1]
	v_pk_add_f32 v[2:3], v[2:3], v[20:21]
	v_mov_b32_e32 v4, v101
	v_mov_b32_e32 v7, v5
	v_pk_mul_f32 v[4:5], v[10:11], v[4:5] op_sel:[1,0] op_sel_hi:[0,0]
	v_pk_add_f32 v[2:3], v[2:3], v[6:7]
	v_pk_fma_f32 v[6:7], v[10:11], v[100:101], v[4:5] neg_lo:[0,0,1] neg_hi:[0,0,1]
	v_pk_fma_f32 v[4:5], v[10:11], v[100:101], v[4:5] op_sel_hi:[1,0,1]
	s_nop 0
	v_mov_b32_e32 v7, v5
	s_waitcnt vmcnt(1) lgkmcnt(1)
	v_pk_mul_f32 v[4:5], v[12:13], v[102:103] op_sel:[1,1] op_sel_hi:[0,1]
	v_pk_add_f32 v[2:3], v[2:3], v[6:7]
	v_pk_fma_f32 v[6:7], v[12:13], v[102:103], v[4:5] neg_lo:[0,0,1] neg_hi:[0,0,1]
	v_pk_fma_f32 v[4:5], v[12:13], v[102:103], v[4:5] op_sel_hi:[1,0,1]
	s_nop 0
	v_mov_b32_e32 v4, v105
	v_mov_b32_e32 v7, v5
	v_pk_mul_f32 v[4:5], v[14:15], v[4:5] op_sel:[1,0] op_sel_hi:[0,0]
	v_pk_add_f32 v[2:3], v[2:3], v[6:7]
	v_pk_fma_f32 v[6:7], v[14:15], v[104:105], v[4:5] neg_lo:[0,0,1] neg_hi:[0,0,1]
	v_pk_fma_f32 v[4:5], v[14:15], v[104:105], v[4:5] op_sel_hi:[1,0,1]
	s_nop 0
	v_mov_b32_e32 v7, v5
	s_waitcnt vmcnt(0) lgkmcnt(0)
	v_pk_mul_f32 v[4:5], v[16:17], v[106:107] op_sel:[1,1] op_sel_hi:[0,1]
	v_pk_add_f32 v[2:3], v[2:3], v[6:7]
	v_pk_fma_f32 v[6:7], v[16:17], v[106:107], v[4:5] neg_lo:[0,0,1] neg_hi:[0,0,1]
	v_pk_fma_f32 v[4:5], v[16:17], v[106:107], v[4:5] op_sel_hi:[1,0,1]
	s_nop 0
	v_mov_b32_e32 v4, v109
	v_mov_b32_e32 v7, v5
	v_pk_mul_f32 v[4:5], v[18:19], v[4:5] op_sel:[1,0] op_sel_hi:[0,0]
	v_pk_add_f32 v[2:3], v[2:3], v[6:7]
	v_pk_fma_f32 v[6:7], v[18:19], v[108:109], v[4:5] neg_lo:[0,0,1] neg_hi:[0,0,1]
	v_pk_fma_f32 v[4:5], v[18:19], v[108:109], v[4:5] op_sel_hi:[1,0,1]
	s_nop 0
	v_mov_b32_e32 v7, v5
	scratch_load_dwordx2 v[4:5], off, off offset:88
	v_pk_add_f32 v[2:3], v[2:3], v[6:7]
	s_waitcnt vmcnt(0)
	v_pk_add_f32 v[2:3], v[4:5], v[2:3] neg_lo:[0,1] neg_hi:[0,1]
	scratch_store_dwordx2 off, v[2:3], off offset:88
	s_and_saveexec_b64 s[0:1], vcc
	s_cbranch_execz .LBB27_161
; %bb.160:
	scratch_load_dwordx2 v[2:3], off, off offset:80
	v_mov_b32_e32 v4, 0
	v_mov_b32_e32 v5, v4
	scratch_store_dwordx2 off, v[4:5], off offset:80
	s_waitcnt vmcnt(1)
	ds_write_b64 v1, v[2:3]
.LBB27_161:
	s_or_b64 exec, exec, s[0:1]
	s_waitcnt lgkmcnt(0)
	; wave barrier
	scratch_load_dwordx4 v[8:11], off, off offset:88
	scratch_load_dwordx4 v[16:19], off, off offset:104
	;; [unrolled: 1-line block ×4, first 2 shown]
	v_mov_b32_e32 v2, 0
	ds_read2_b64 v[4:7], v2 offset0:39 offset1:40
	ds_read2_b64 v[94:97], v2 offset0:47 offset1:48
	scratch_load_dwordx4 v[98:101], off, off offset:152
	v_cmp_lt_u32_e32 vcc, 9, v0
	s_waitcnt vmcnt(4) lgkmcnt(1)
	v_mul_f32_e32 v3, v4, v9
	v_fmac_f32_e32 v3, v5, v8
	v_mul_f32_e32 v12, v6, v11
	v_add_f32_e32 v3, 0, v3
	v_fmac_f32_e32 v12, v7, v10
	v_add_f32_e32 v3, v3, v12
	ds_read2_b64 v[12:15], v2 offset0:41 offset1:42
	s_waitcnt vmcnt(0) lgkmcnt(1)
	v_mul_f32_e32 v117, v94, v99
	v_fmac_f32_e32 v117, v95, v98
	s_waitcnt lgkmcnt(0)
	v_mul_f32_e32 v20, v12, v17
	v_fmac_f32_e32 v20, v13, v16
	v_add_f32_e32 v3, v3, v20
	v_mul_f32_e32 v20, v14, v19
	v_fmac_f32_e32 v20, v15, v18
	v_add_f32_e32 v3, v3, v20
	ds_read2_b64 v[20:23], v2 offset0:43 offset1:44
	s_waitcnt lgkmcnt(0)
	v_mul_f32_e32 v28, v20, v25
	v_fmac_f32_e32 v28, v21, v24
	v_add_f32_e32 v3, v3, v28
	v_mul_f32_e32 v28, v22, v27
	v_fmac_f32_e32 v28, v23, v26
	v_add_f32_e32 v3, v3, v28
	ds_read2_b64 v[28:31], v2 offset0:45 offset1:46
	scratch_load_dwordx4 v[102:105], off, off offset:168
	scratch_load_dwordx4 v[106:109], off, off offset:184
	scratch_load_dwordx4 v[110:113], off, off offset:200
	scratch_load_dwordx2 v[118:119], off, off offset:216
	s_waitcnt lgkmcnt(0)
	v_mul_f32_e32 v36, v28, v33
	v_fmac_f32_e32 v36, v29, v32
	v_add_f32_e32 v37, v3, v36
	v_mul_f32_e32 v3, v5, v9
	v_fma_f32 v3, v4, v8, -v3
	v_mul_f32_e32 v4, v7, v11
	v_add_f32_e32 v3, 0, v3
	v_fma_f32 v4, v6, v10, -v4
	v_add_f32_e32 v3, v3, v4
	v_mul_f32_e32 v4, v13, v17
	v_fma_f32 v4, v12, v16, -v4
	v_add_f32_e32 v3, v3, v4
	v_mul_f32_e32 v4, v15, v19
	;; [unrolled: 3-line block ×5, first 2 shown]
	v_fma_f32 v4, v28, v32, -v4
	v_mul_f32_e32 v115, v30, v35
	v_add_f32_e32 v36, v3, v4
	v_mul_f32_e32 v3, v31, v35
	v_mov_b32_e32 v20, v101
	v_fmac_f32_e32 v115, v31, v34
	v_fma_f32 v114, v30, v34, -v3
	v_mul_f32_e32 v3, v95, v99
	ds_read2_b64 v[4:7], v2 offset0:49 offset1:50
	ds_read2_b64 v[8:11], v2 offset0:51 offset1:52
	;; [unrolled: 1-line block ×3, first 2 shown]
	ds_read_b64 v[16:17], v2 offset:440
	v_pk_mul_f32 v[20:21], v[96:97], v[20:21] op_sel:[1,0] op_sel_hi:[0,0]
	v_fma_f32 v116, v94, v98, -v3
	v_pk_add_f32 v[18:19], v[36:37], v[114:115]
	v_pk_fma_f32 v[22:23], v[96:97], v[100:101], v[20:21] neg_lo:[0,0,1] neg_hi:[0,0,1]
	v_pk_fma_f32 v[20:21], v[96:97], v[100:101], v[20:21] op_sel_hi:[1,0,1]
	v_pk_add_f32 v[18:19], v[18:19], v[116:117]
	v_mov_b32_e32 v23, v21
	v_pk_add_f32 v[18:19], v[18:19], v[22:23]
	s_waitcnt vmcnt(3) lgkmcnt(3)
	v_pk_mul_f32 v[20:21], v[4:5], v[102:103] op_sel:[1,1] op_sel_hi:[0,1]
	v_pk_fma_f32 v[22:23], v[4:5], v[102:103], v[20:21] neg_lo:[0,0,1] neg_hi:[0,0,1]
	v_pk_fma_f32 v[4:5], v[4:5], v[102:103], v[20:21] op_sel_hi:[1,0,1]
	s_nop 0
	v_mov_b32_e32 v23, v5
	v_pk_add_f32 v[4:5], v[18:19], v[22:23]
	v_mov_b32_e32 v18, v105
	v_pk_mul_f32 v[18:19], v[6:7], v[18:19] op_sel:[1,0] op_sel_hi:[0,0]
	v_pk_fma_f32 v[20:21], v[6:7], v[104:105], v[18:19] neg_lo:[0,0,1] neg_hi:[0,0,1]
	v_pk_fma_f32 v[6:7], v[6:7], v[104:105], v[18:19] op_sel_hi:[1,0,1]
	s_nop 0
	v_mov_b32_e32 v21, v7
	s_waitcnt vmcnt(2) lgkmcnt(2)
	v_pk_mul_f32 v[6:7], v[8:9], v[106:107] op_sel:[1,1] op_sel_hi:[0,1]
	v_pk_fma_f32 v[18:19], v[8:9], v[106:107], v[6:7] neg_lo:[0,0,1] neg_hi:[0,0,1]
	v_pk_fma_f32 v[6:7], v[8:9], v[106:107], v[6:7] op_sel_hi:[1,0,1]
	v_pk_add_f32 v[4:5], v[4:5], v[20:21]
	v_mov_b32_e32 v6, v109
	v_mov_b32_e32 v19, v7
	v_pk_mul_f32 v[6:7], v[10:11], v[6:7] op_sel:[1,0] op_sel_hi:[0,0]
	v_pk_fma_f32 v[8:9], v[10:11], v[108:109], v[6:7] neg_lo:[0,0,1] neg_hi:[0,0,1]
	v_pk_fma_f32 v[6:7], v[10:11], v[108:109], v[6:7] op_sel_hi:[1,0,1]
	v_pk_add_f32 v[4:5], v[4:5], v[18:19]
	v_mov_b32_e32 v9, v7
	s_waitcnt vmcnt(1) lgkmcnt(1)
	v_pk_mul_f32 v[6:7], v[12:13], v[110:111] op_sel:[1,1] op_sel_hi:[0,1]
	v_pk_add_f32 v[4:5], v[4:5], v[8:9]
	v_pk_fma_f32 v[8:9], v[12:13], v[110:111], v[6:7] neg_lo:[0,0,1] neg_hi:[0,0,1]
	v_pk_fma_f32 v[6:7], v[12:13], v[110:111], v[6:7] op_sel_hi:[1,0,1]
	s_nop 0
	v_mov_b32_e32 v6, v113
	v_mov_b32_e32 v9, v7
	v_pk_mul_f32 v[6:7], v[14:15], v[6:7] op_sel:[1,0] op_sel_hi:[0,0]
	v_pk_add_f32 v[4:5], v[4:5], v[8:9]
	v_pk_fma_f32 v[8:9], v[14:15], v[112:113], v[6:7] neg_lo:[0,0,1] neg_hi:[0,0,1]
	v_pk_fma_f32 v[6:7], v[14:15], v[112:113], v[6:7] op_sel_hi:[1,0,1]
	s_nop 0
	v_mov_b32_e32 v9, v7
	s_waitcnt vmcnt(0) lgkmcnt(0)
	v_pk_mul_f32 v[6:7], v[16:17], v[118:119] op_sel:[1,1] op_sel_hi:[0,1]
	v_pk_add_f32 v[4:5], v[4:5], v[8:9]
	v_pk_fma_f32 v[8:9], v[16:17], v[118:119], v[6:7] neg_lo:[0,0,1] neg_hi:[0,0,1]
	v_pk_fma_f32 v[6:7], v[16:17], v[118:119], v[6:7] op_sel_hi:[1,0,1]
	s_nop 0
	v_mov_b32_e32 v9, v7
	scratch_load_dwordx2 v[6:7], off, off offset:80
	v_pk_add_f32 v[4:5], v[4:5], v[8:9]
	s_waitcnt vmcnt(0)
	v_pk_add_f32 v[4:5], v[6:7], v[4:5] neg_lo:[0,1] neg_hi:[0,1]
	scratch_store_dwordx2 off, v[4:5], off offset:80
	s_and_saveexec_b64 s[0:1], vcc
	s_cbranch_execz .LBB27_163
; %bb.162:
	scratch_load_dwordx2 v[4:5], off, off offset:72
	v_mov_b32_e32 v3, v2
	scratch_store_dwordx2 off, v[2:3], off offset:72
	s_waitcnt vmcnt(1)
	ds_write_b64 v1, v[4:5]
.LBB27_163:
	s_or_b64 exec, exec, s[0:1]
	s_waitcnt lgkmcnt(0)
	; wave barrier
	ds_read_b128 v[4:7], v2 offset:304
	ds_read_b128 v[8:11], v2 offset:320
	;; [unrolled: 1-line block ×4, first 2 shown]
	scratch_load_dwordx4 v[20:23], off, off offset:80
	scratch_load_dwordx4 v[98:101], off, off offset:144
	ds_read_b128 v[94:97], v2 offset:368
	v_cmp_lt_u32_e32 vcc, 8, v0
	s_waitcnt vmcnt(1) lgkmcnt(4)
	v_mul_f32_e32 v3, v4, v21
	v_fmac_f32_e32 v3, v5, v20
	v_mul_f32_e32 v24, v6, v23
	v_add_f32_e32 v3, 0, v3
	v_fmac_f32_e32 v24, v7, v22
	v_add_f32_e32 v3, v3, v24
	scratch_load_dwordx4 v[24:27], off, off offset:96
	s_waitcnt vmcnt(1) lgkmcnt(0)
	v_mul_f32_e32 v119, v94, v99
	v_fmac_f32_e32 v119, v95, v98
	v_mul_f32_e32 v121, v96, v101
	v_fmac_f32_e32 v121, v97, v100
	s_waitcnt vmcnt(0)
	v_mul_f32_e32 v28, v8, v25
	v_fmac_f32_e32 v28, v9, v24
	v_add_f32_e32 v3, v3, v28
	v_mul_f32_e32 v28, v10, v27
	v_fmac_f32_e32 v28, v11, v26
	v_add_f32_e32 v3, v3, v28
	scratch_load_dwordx4 v[28:31], off, off offset:112
	s_waitcnt vmcnt(0)
	v_mul_f32_e32 v32, v12, v29
	v_fmac_f32_e32 v32, v13, v28
	v_add_f32_e32 v3, v3, v32
	v_mul_f32_e32 v32, v14, v31
	v_fmac_f32_e32 v32, v15, v30
	v_add_f32_e32 v3, v3, v32
	scratch_load_dwordx4 v[32:35], off, off offset:128
	scratch_load_dwordx4 v[102:105], off, off offset:160
	;; [unrolled: 1-line block ×5, first 2 shown]
	s_waitcnt vmcnt(4)
	v_mul_f32_e32 v36, v16, v33
	v_fmac_f32_e32 v36, v17, v32
	v_add_f32_e32 v3, v3, v36
	v_mul_f32_e32 v36, v18, v35
	v_fmac_f32_e32 v36, v19, v34
	v_add_f32_e32 v37, v3, v36
	v_mul_f32_e32 v3, v5, v21
	v_fma_f32 v3, v4, v20, -v3
	v_mul_f32_e32 v4, v7, v23
	v_add_f32_e32 v3, 0, v3
	v_fma_f32 v4, v6, v22, -v4
	v_add_f32_e32 v3, v3, v4
	v_mul_f32_e32 v4, v9, v25
	v_fma_f32 v4, v8, v24, -v4
	v_add_f32_e32 v3, v3, v4
	v_mul_f32_e32 v4, v11, v27
	;; [unrolled: 3-line block ×6, first 2 shown]
	v_fma_f32 v4, v18, v34, -v4
	v_add_f32_e32 v36, v3, v4
	ds_read_b128 v[4:7], v2 offset:384
	ds_read_b128 v[8:11], v2 offset:400
	;; [unrolled: 1-line block ×4, first 2 shown]
	v_mul_f32_e32 v3, v95, v99
	s_waitcnt vmcnt(3) lgkmcnt(3)
	v_pk_mul_f32 v[20:21], v[4:5], v[102:103] op_sel:[1,1] op_sel_hi:[0,1]
	v_pk_fma_f32 v[22:23], v[4:5], v[102:103], v[20:21] neg_lo:[0,0,1] neg_hi:[0,0,1]
	v_pk_fma_f32 v[4:5], v[4:5], v[102:103], v[20:21] op_sel_hi:[1,0,1]
	v_fma_f32 v118, v94, v98, -v3
	v_mov_b32_e32 v4, v105
	v_mov_b32_e32 v23, v5
	v_pk_mul_f32 v[4:5], v[6:7], v[4:5] op_sel:[1,0] op_sel_hi:[0,0]
	v_mul_f32_e32 v3, v97, v101
	v_pk_fma_f32 v[20:21], v[6:7], v[104:105], v[4:5] neg_lo:[0,0,1] neg_hi:[0,0,1]
	v_pk_fma_f32 v[4:5], v[6:7], v[104:105], v[4:5] op_sel_hi:[1,0,1]
	v_fma_f32 v120, v96, v100, -v3
	v_pk_add_f32 v[2:3], v[36:37], v[118:119]
	v_mov_b32_e32 v21, v5
	s_waitcnt vmcnt(2) lgkmcnt(2)
	v_pk_mul_f32 v[4:5], v[8:9], v[106:107] op_sel:[1,1] op_sel_hi:[0,1]
	v_pk_add_f32 v[2:3], v[2:3], v[120:121]
	v_pk_fma_f32 v[6:7], v[8:9], v[106:107], v[4:5] neg_lo:[0,0,1] neg_hi:[0,0,1]
	v_pk_fma_f32 v[4:5], v[8:9], v[106:107], v[4:5] op_sel_hi:[1,0,1]
	v_pk_add_f32 v[2:3], v[2:3], v[22:23]
	v_mov_b32_e32 v4, v109
	v_pk_add_f32 v[2:3], v[2:3], v[20:21]
	v_mov_b32_e32 v7, v5
	v_pk_mul_f32 v[4:5], v[10:11], v[4:5] op_sel:[1,0] op_sel_hi:[0,0]
	v_pk_add_f32 v[2:3], v[2:3], v[6:7]
	v_pk_fma_f32 v[6:7], v[10:11], v[108:109], v[4:5] neg_lo:[0,0,1] neg_hi:[0,0,1]
	v_pk_fma_f32 v[4:5], v[10:11], v[108:109], v[4:5] op_sel_hi:[1,0,1]
	s_nop 0
	v_mov_b32_e32 v7, v5
	s_waitcnt vmcnt(1) lgkmcnt(1)
	v_pk_mul_f32 v[4:5], v[12:13], v[110:111] op_sel:[1,1] op_sel_hi:[0,1]
	v_pk_add_f32 v[2:3], v[2:3], v[6:7]
	v_pk_fma_f32 v[6:7], v[12:13], v[110:111], v[4:5] neg_lo:[0,0,1] neg_hi:[0,0,1]
	v_pk_fma_f32 v[4:5], v[12:13], v[110:111], v[4:5] op_sel_hi:[1,0,1]
	s_nop 0
	v_mov_b32_e32 v4, v113
	v_mov_b32_e32 v7, v5
	v_pk_mul_f32 v[4:5], v[14:15], v[4:5] op_sel:[1,0] op_sel_hi:[0,0]
	v_pk_add_f32 v[2:3], v[2:3], v[6:7]
	v_pk_fma_f32 v[6:7], v[14:15], v[112:113], v[4:5] neg_lo:[0,0,1] neg_hi:[0,0,1]
	v_pk_fma_f32 v[4:5], v[14:15], v[112:113], v[4:5] op_sel_hi:[1,0,1]
	s_nop 0
	v_mov_b32_e32 v7, v5
	s_waitcnt vmcnt(0) lgkmcnt(0)
	v_pk_mul_f32 v[4:5], v[16:17], v[114:115] op_sel:[1,1] op_sel_hi:[0,1]
	v_pk_add_f32 v[2:3], v[2:3], v[6:7]
	v_pk_fma_f32 v[6:7], v[16:17], v[114:115], v[4:5] neg_lo:[0,0,1] neg_hi:[0,0,1]
	v_pk_fma_f32 v[4:5], v[16:17], v[114:115], v[4:5] op_sel_hi:[1,0,1]
	s_nop 0
	v_mov_b32_e32 v4, v117
	v_mov_b32_e32 v7, v5
	v_pk_mul_f32 v[4:5], v[18:19], v[4:5] op_sel:[1,0] op_sel_hi:[0,0]
	v_pk_add_f32 v[2:3], v[2:3], v[6:7]
	v_pk_fma_f32 v[6:7], v[18:19], v[116:117], v[4:5] neg_lo:[0,0,1] neg_hi:[0,0,1]
	v_pk_fma_f32 v[4:5], v[18:19], v[116:117], v[4:5] op_sel_hi:[1,0,1]
	s_nop 0
	v_mov_b32_e32 v7, v5
	scratch_load_dwordx2 v[4:5], off, off offset:72
	v_pk_add_f32 v[2:3], v[2:3], v[6:7]
	s_waitcnt vmcnt(0)
	v_pk_add_f32 v[2:3], v[4:5], v[2:3] neg_lo:[0,1] neg_hi:[0,1]
	scratch_store_dwordx2 off, v[2:3], off offset:72
	s_and_saveexec_b64 s[0:1], vcc
	s_cbranch_execz .LBB27_165
; %bb.164:
	scratch_load_dwordx2 v[2:3], off, off offset:64
	v_mov_b32_e32 v4, 0
	v_mov_b32_e32 v5, v4
	scratch_store_dwordx2 off, v[4:5], off offset:64
	s_waitcnt vmcnt(1)
	ds_write_b64 v1, v[2:3]
.LBB27_165:
	s_or_b64 exec, exec, s[0:1]
	s_waitcnt lgkmcnt(0)
	; wave barrier
	scratch_load_dwordx4 v[8:11], off, off offset:72
	scratch_load_dwordx4 v[16:19], off, off offset:88
	;; [unrolled: 1-line block ×4, first 2 shown]
	v_mov_b32_e32 v2, 0
	ds_read2_b64 v[4:7], v2 offset0:37 offset1:38
	ds_read2_b64 v[94:97], v2 offset0:45 offset1:46
	scratch_load_dwordx4 v[98:101], off, off offset:136
	scratch_load_dwordx4 v[106:109], off, off offset:152
	v_cmp_lt_u32_e32 vcc, 7, v0
	ds_read2_b64 v[102:105], v2 offset0:47 offset1:48
	s_waitcnt vmcnt(5) lgkmcnt(2)
	v_mul_f32_e32 v3, v4, v9
	v_fmac_f32_e32 v3, v5, v8
	v_mul_f32_e32 v12, v6, v11
	v_add_f32_e32 v3, 0, v3
	v_fmac_f32_e32 v12, v7, v10
	v_add_f32_e32 v3, v3, v12
	ds_read2_b64 v[12:15], v2 offset0:39 offset1:40
	s_waitcnt vmcnt(1) lgkmcnt(2)
	v_mul_f32_e32 v123, v96, v101
	v_fmac_f32_e32 v123, v97, v100
	s_waitcnt vmcnt(0) lgkmcnt(1)
	v_mul_f32_e32 v125, v102, v107
	v_fmac_f32_e32 v125, v103, v106
	s_waitcnt lgkmcnt(0)
	v_mul_f32_e32 v20, v12, v17
	v_fmac_f32_e32 v20, v13, v16
	v_add_f32_e32 v3, v3, v20
	v_mul_f32_e32 v20, v14, v19
	v_fmac_f32_e32 v20, v15, v18
	v_add_f32_e32 v3, v3, v20
	ds_read2_b64 v[20:23], v2 offset0:41 offset1:42
	s_waitcnt lgkmcnt(0)
	v_mul_f32_e32 v28, v20, v25
	v_fmac_f32_e32 v28, v21, v24
	v_add_f32_e32 v3, v3, v28
	v_mul_f32_e32 v28, v22, v27
	v_fmac_f32_e32 v28, v23, v26
	v_add_f32_e32 v3, v3, v28
	ds_read2_b64 v[28:31], v2 offset0:43 offset1:44
	scratch_load_dwordx4 v[110:113], off, off offset:168
	scratch_load_dwordx4 v[114:117], off, off offset:184
	;; [unrolled: 1-line block ×3, first 2 shown]
	scratch_load_dwordx2 v[126:127], off, off offset:216
	s_waitcnt lgkmcnt(0)
	v_mul_f32_e32 v36, v28, v33
	v_fmac_f32_e32 v36, v29, v32
	v_add_f32_e32 v3, v3, v36
	v_mul_f32_e32 v36, v30, v35
	v_fmac_f32_e32 v36, v31, v34
	v_add_f32_e32 v3, v3, v36
	;; [unrolled: 3-line block ×3, first 2 shown]
	v_mul_f32_e32 v3, v5, v9
	v_fma_f32 v3, v4, v8, -v3
	v_mul_f32_e32 v4, v7, v11
	v_add_f32_e32 v3, 0, v3
	v_fma_f32 v4, v6, v10, -v4
	v_add_f32_e32 v3, v3, v4
	v_mul_f32_e32 v4, v13, v17
	v_fma_f32 v4, v12, v16, -v4
	v_add_f32_e32 v3, v3, v4
	v_mul_f32_e32 v4, v15, v19
	v_fma_f32 v4, v14, v18, -v4
	v_add_f32_e32 v3, v3, v4
	v_mul_f32_e32 v4, v21, v25
	v_fma_f32 v4, v20, v24, -v4
	v_add_f32_e32 v3, v3, v4
	v_mul_f32_e32 v4, v23, v27
	v_fma_f32 v4, v22, v26, -v4
	v_add_f32_e32 v3, v3, v4
	v_mul_f32_e32 v4, v29, v33
	v_fma_f32 v4, v28, v32, -v4
	v_add_f32_e32 v3, v3, v4
	v_mul_f32_e32 v4, v31, v35
	v_fma_f32 v4, v30, v34, -v4
	v_add_f32_e32 v3, v3, v4
	v_mul_f32_e32 v4, v95, v99
	v_fma_f32 v4, v94, v98, -v4
	v_add_f32_e32 v36, v3, v4
	v_mul_f32_e32 v3, v97, v101
	v_mov_b32_e32 v20, v109
	v_fma_f32 v122, v96, v100, -v3
	v_mul_f32_e32 v3, v103, v107
	ds_read2_b64 v[4:7], v2 offset0:49 offset1:50
	ds_read2_b64 v[8:11], v2 offset0:51 offset1:52
	;; [unrolled: 1-line block ×3, first 2 shown]
	ds_read_b64 v[16:17], v2 offset:440
	v_pk_mul_f32 v[20:21], v[104:105], v[20:21] op_sel:[1,0] op_sel_hi:[0,0]
	v_fma_f32 v124, v102, v106, -v3
	v_pk_add_f32 v[18:19], v[36:37], v[122:123]
	v_pk_fma_f32 v[22:23], v[104:105], v[108:109], v[20:21] neg_lo:[0,0,1] neg_hi:[0,0,1]
	v_pk_fma_f32 v[20:21], v[104:105], v[108:109], v[20:21] op_sel_hi:[1,0,1]
	v_pk_add_f32 v[18:19], v[18:19], v[124:125]
	v_mov_b32_e32 v23, v21
	v_pk_add_f32 v[18:19], v[18:19], v[22:23]
	s_waitcnt vmcnt(3) lgkmcnt(3)
	v_pk_mul_f32 v[20:21], v[4:5], v[110:111] op_sel:[1,1] op_sel_hi:[0,1]
	v_pk_fma_f32 v[22:23], v[4:5], v[110:111], v[20:21] neg_lo:[0,0,1] neg_hi:[0,0,1]
	v_pk_fma_f32 v[4:5], v[4:5], v[110:111], v[20:21] op_sel_hi:[1,0,1]
	s_nop 0
	v_mov_b32_e32 v23, v5
	v_pk_add_f32 v[4:5], v[18:19], v[22:23]
	v_mov_b32_e32 v18, v113
	v_pk_mul_f32 v[18:19], v[6:7], v[18:19] op_sel:[1,0] op_sel_hi:[0,0]
	v_pk_fma_f32 v[20:21], v[6:7], v[112:113], v[18:19] neg_lo:[0,0,1] neg_hi:[0,0,1]
	v_pk_fma_f32 v[6:7], v[6:7], v[112:113], v[18:19] op_sel_hi:[1,0,1]
	s_nop 0
	v_mov_b32_e32 v21, v7
	s_waitcnt vmcnt(2) lgkmcnt(2)
	v_pk_mul_f32 v[6:7], v[8:9], v[114:115] op_sel:[1,1] op_sel_hi:[0,1]
	v_pk_fma_f32 v[18:19], v[8:9], v[114:115], v[6:7] neg_lo:[0,0,1] neg_hi:[0,0,1]
	v_pk_fma_f32 v[6:7], v[8:9], v[114:115], v[6:7] op_sel_hi:[1,0,1]
	v_pk_add_f32 v[4:5], v[4:5], v[20:21]
	v_mov_b32_e32 v6, v117
	v_mov_b32_e32 v19, v7
	v_pk_mul_f32 v[6:7], v[10:11], v[6:7] op_sel:[1,0] op_sel_hi:[0,0]
	v_pk_fma_f32 v[8:9], v[10:11], v[116:117], v[6:7] neg_lo:[0,0,1] neg_hi:[0,0,1]
	v_pk_fma_f32 v[6:7], v[10:11], v[116:117], v[6:7] op_sel_hi:[1,0,1]
	v_pk_add_f32 v[4:5], v[4:5], v[18:19]
	v_mov_b32_e32 v9, v7
	s_waitcnt vmcnt(1) lgkmcnt(1)
	v_pk_mul_f32 v[6:7], v[12:13], v[118:119] op_sel:[1,1] op_sel_hi:[0,1]
	v_pk_add_f32 v[4:5], v[4:5], v[8:9]
	v_pk_fma_f32 v[8:9], v[12:13], v[118:119], v[6:7] neg_lo:[0,0,1] neg_hi:[0,0,1]
	v_pk_fma_f32 v[6:7], v[12:13], v[118:119], v[6:7] op_sel_hi:[1,0,1]
	s_nop 0
	v_mov_b32_e32 v6, v121
	v_mov_b32_e32 v9, v7
	v_pk_mul_f32 v[6:7], v[14:15], v[6:7] op_sel:[1,0] op_sel_hi:[0,0]
	v_pk_add_f32 v[4:5], v[4:5], v[8:9]
	v_pk_fma_f32 v[8:9], v[14:15], v[120:121], v[6:7] neg_lo:[0,0,1] neg_hi:[0,0,1]
	v_pk_fma_f32 v[6:7], v[14:15], v[120:121], v[6:7] op_sel_hi:[1,0,1]
	s_nop 0
	v_mov_b32_e32 v9, v7
	s_waitcnt vmcnt(0) lgkmcnt(0)
	v_pk_mul_f32 v[6:7], v[16:17], v[126:127] op_sel:[1,1] op_sel_hi:[0,1]
	v_pk_add_f32 v[4:5], v[4:5], v[8:9]
	v_pk_fma_f32 v[8:9], v[16:17], v[126:127], v[6:7] neg_lo:[0,0,1] neg_hi:[0,0,1]
	v_pk_fma_f32 v[6:7], v[16:17], v[126:127], v[6:7] op_sel_hi:[1,0,1]
	s_nop 0
	v_mov_b32_e32 v9, v7
	scratch_load_dwordx2 v[6:7], off, off offset:64
	v_pk_add_f32 v[4:5], v[4:5], v[8:9]
	s_waitcnt vmcnt(0)
	v_pk_add_f32 v[4:5], v[6:7], v[4:5] neg_lo:[0,1] neg_hi:[0,1]
	scratch_store_dwordx2 off, v[4:5], off offset:64
	s_and_saveexec_b64 s[0:1], vcc
	s_cbranch_execz .LBB27_167
; %bb.166:
	scratch_load_dwordx2 v[4:5], off, off offset:56
	v_mov_b32_e32 v3, v2
	scratch_store_dwordx2 off, v[2:3], off offset:56
	s_waitcnt vmcnt(1)
	ds_write_b64 v1, v[4:5]
.LBB27_167:
	s_or_b64 exec, exec, s[0:1]
	s_waitcnt lgkmcnt(0)
	; wave barrier
	ds_read_b128 v[4:7], v2 offset:288
	ds_read_b128 v[8:11], v2 offset:304
	;; [unrolled: 1-line block ×4, first 2 shown]
	scratch_load_dwordx4 v[20:23], off, off offset:64
	scratch_load_dwordx4 v[98:101], off, off offset:128
	ds_read_b128 v[94:97], v2 offset:352
	ds_read_b128 v[102:105], v2 offset:368
	v_cmp_lt_u32_e32 vcc, 6, v0
	scratch_load_dwordx4 v[106:109], off, off offset:144
	s_waitcnt vmcnt(2) lgkmcnt(5)
	v_mul_f32_e32 v3, v4, v21
	v_fmac_f32_e32 v3, v5, v20
	v_mul_f32_e32 v24, v6, v23
	v_add_f32_e32 v3, 0, v3
	v_fmac_f32_e32 v24, v7, v22
	v_add_f32_e32 v3, v3, v24
	scratch_load_dwordx4 v[24:27], off, off offset:80
	s_waitcnt vmcnt(1) lgkmcnt(0)
	v_mul_f32_e32 v127, v102, v107
	v_mul_f32_e32 v129, v104, v109
	v_fmac_f32_e32 v127, v103, v106
	v_fmac_f32_e32 v129, v105, v108
	s_waitcnt vmcnt(0)
	v_mul_f32_e32 v28, v8, v25
	v_fmac_f32_e32 v28, v9, v24
	v_add_f32_e32 v3, v3, v28
	v_mul_f32_e32 v28, v10, v27
	v_fmac_f32_e32 v28, v11, v26
	v_add_f32_e32 v3, v3, v28
	scratch_load_dwordx4 v[28:31], off, off offset:96
	s_waitcnt vmcnt(0)
	v_mul_f32_e32 v32, v12, v29
	v_fmac_f32_e32 v32, v13, v28
	v_add_f32_e32 v3, v3, v32
	v_mul_f32_e32 v32, v14, v31
	v_fmac_f32_e32 v32, v15, v30
	v_add_f32_e32 v3, v3, v32
	scratch_load_dwordx4 v[32:35], off, off offset:112
	scratch_load_dwordx4 v[110:113], off, off offset:160
	;; [unrolled: 1-line block ×5, first 2 shown]
	s_waitcnt vmcnt(4)
	v_mul_f32_e32 v36, v16, v33
	v_fmac_f32_e32 v36, v17, v32
	v_add_f32_e32 v3, v3, v36
	v_mul_f32_e32 v36, v18, v35
	v_fmac_f32_e32 v36, v19, v34
	v_add_f32_e32 v3, v3, v36
	;; [unrolled: 3-line block ×4, first 2 shown]
	v_mul_f32_e32 v3, v5, v21
	v_fma_f32 v3, v4, v20, -v3
	v_mul_f32_e32 v4, v7, v23
	v_add_f32_e32 v3, 0, v3
	v_fma_f32 v4, v6, v22, -v4
	v_add_f32_e32 v3, v3, v4
	v_mul_f32_e32 v4, v9, v25
	v_fma_f32 v4, v8, v24, -v4
	v_add_f32_e32 v3, v3, v4
	v_mul_f32_e32 v4, v11, v27
	;; [unrolled: 3-line block ×8, first 2 shown]
	v_fma_f32 v4, v96, v100, -v4
	v_add_f32_e32 v36, v3, v4
	ds_read_b128 v[4:7], v2 offset:384
	ds_read_b128 v[8:11], v2 offset:400
	;; [unrolled: 1-line block ×4, first 2 shown]
	v_mul_f32_e32 v3, v103, v107
	s_waitcnt vmcnt(3) lgkmcnt(3)
	v_pk_mul_f32 v[20:21], v[4:5], v[110:111] op_sel:[1,1] op_sel_hi:[0,1]
	v_pk_fma_f32 v[22:23], v[4:5], v[110:111], v[20:21] neg_lo:[0,0,1] neg_hi:[0,0,1]
	v_pk_fma_f32 v[4:5], v[4:5], v[110:111], v[20:21] op_sel_hi:[1,0,1]
	v_fma_f32 v126, v102, v106, -v3
	v_mov_b32_e32 v4, v113
	v_mov_b32_e32 v23, v5
	v_pk_mul_f32 v[4:5], v[6:7], v[4:5] op_sel:[1,0] op_sel_hi:[0,0]
	v_mul_f32_e32 v3, v105, v109
	v_pk_fma_f32 v[20:21], v[6:7], v[112:113], v[4:5] neg_lo:[0,0,1] neg_hi:[0,0,1]
	v_pk_fma_f32 v[4:5], v[6:7], v[112:113], v[4:5] op_sel_hi:[1,0,1]
	v_fma_f32 v128, v104, v108, -v3
	v_pk_add_f32 v[2:3], v[36:37], v[126:127]
	v_mov_b32_e32 v21, v5
	s_waitcnt vmcnt(2) lgkmcnt(2)
	v_pk_mul_f32 v[4:5], v[8:9], v[114:115] op_sel:[1,1] op_sel_hi:[0,1]
	v_pk_add_f32 v[2:3], v[2:3], v[128:129]
	v_pk_fma_f32 v[6:7], v[8:9], v[114:115], v[4:5] neg_lo:[0,0,1] neg_hi:[0,0,1]
	v_pk_fma_f32 v[4:5], v[8:9], v[114:115], v[4:5] op_sel_hi:[1,0,1]
	v_pk_add_f32 v[2:3], v[2:3], v[22:23]
	v_mov_b32_e32 v4, v117
	v_pk_add_f32 v[2:3], v[2:3], v[20:21]
	v_mov_b32_e32 v7, v5
	v_pk_mul_f32 v[4:5], v[10:11], v[4:5] op_sel:[1,0] op_sel_hi:[0,0]
	v_pk_add_f32 v[2:3], v[2:3], v[6:7]
	v_pk_fma_f32 v[6:7], v[10:11], v[116:117], v[4:5] neg_lo:[0,0,1] neg_hi:[0,0,1]
	v_pk_fma_f32 v[4:5], v[10:11], v[116:117], v[4:5] op_sel_hi:[1,0,1]
	s_nop 0
	v_mov_b32_e32 v7, v5
	s_waitcnt vmcnt(1) lgkmcnt(1)
	v_pk_mul_f32 v[4:5], v[12:13], v[118:119] op_sel:[1,1] op_sel_hi:[0,1]
	v_pk_add_f32 v[2:3], v[2:3], v[6:7]
	v_pk_fma_f32 v[6:7], v[12:13], v[118:119], v[4:5] neg_lo:[0,0,1] neg_hi:[0,0,1]
	v_pk_fma_f32 v[4:5], v[12:13], v[118:119], v[4:5] op_sel_hi:[1,0,1]
	s_nop 0
	v_mov_b32_e32 v4, v121
	v_mov_b32_e32 v7, v5
	v_pk_mul_f32 v[4:5], v[14:15], v[4:5] op_sel:[1,0] op_sel_hi:[0,0]
	v_pk_add_f32 v[2:3], v[2:3], v[6:7]
	v_pk_fma_f32 v[6:7], v[14:15], v[120:121], v[4:5] neg_lo:[0,0,1] neg_hi:[0,0,1]
	v_pk_fma_f32 v[4:5], v[14:15], v[120:121], v[4:5] op_sel_hi:[1,0,1]
	s_nop 0
	v_mov_b32_e32 v7, v5
	s_waitcnt vmcnt(0) lgkmcnt(0)
	v_pk_mul_f32 v[4:5], v[16:17], v[122:123] op_sel:[1,1] op_sel_hi:[0,1]
	v_pk_add_f32 v[2:3], v[2:3], v[6:7]
	v_pk_fma_f32 v[6:7], v[16:17], v[122:123], v[4:5] neg_lo:[0,0,1] neg_hi:[0,0,1]
	v_pk_fma_f32 v[4:5], v[16:17], v[122:123], v[4:5] op_sel_hi:[1,0,1]
	s_nop 0
	v_mov_b32_e32 v4, v125
	v_mov_b32_e32 v7, v5
	v_pk_mul_f32 v[4:5], v[18:19], v[4:5] op_sel:[1,0] op_sel_hi:[0,0]
	v_pk_add_f32 v[2:3], v[2:3], v[6:7]
	v_pk_fma_f32 v[6:7], v[18:19], v[124:125], v[4:5] neg_lo:[0,0,1] neg_hi:[0,0,1]
	v_pk_fma_f32 v[4:5], v[18:19], v[124:125], v[4:5] op_sel_hi:[1,0,1]
	s_nop 0
	v_mov_b32_e32 v7, v5
	scratch_load_dwordx2 v[4:5], off, off offset:56
	v_pk_add_f32 v[2:3], v[2:3], v[6:7]
	s_waitcnt vmcnt(0)
	v_pk_add_f32 v[2:3], v[4:5], v[2:3] neg_lo:[0,1] neg_hi:[0,1]
	scratch_store_dwordx2 off, v[2:3], off offset:56
	s_and_saveexec_b64 s[0:1], vcc
	s_cbranch_execz .LBB27_169
; %bb.168:
	scratch_load_dwordx2 v[2:3], off, off offset:48
	v_mov_b32_e32 v4, 0
	v_mov_b32_e32 v5, v4
	scratch_store_dwordx2 off, v[4:5], off offset:48
	s_waitcnt vmcnt(1)
	ds_write_b64 v1, v[2:3]
.LBB27_169:
	s_or_b64 exec, exec, s[0:1]
	s_waitcnt lgkmcnt(0)
	; wave barrier
	scratch_load_dwordx4 v[2:5], off, off offset:56
	scratch_load_dwordx4 v[8:11], off, off offset:72
	scratch_load_dwordx4 v[12:15], off, off offset:88
	scratch_load_dwordx4 v[16:19], off, off offset:104
	scratch_load_dwordx4 v[20:23], off, off offset:120
	scratch_load_dwordx4 v[24:27], off, off offset:136
	scratch_load_dwordx4 v[28:31], off, off offset:152
	scratch_load_dwordx4 v[32:35], off, off offset:168
	scratch_load_dwordx4 v[94:97], off, off offset:184
	scratch_load_dwordx4 v[98:101], off, off offset:200
	scratch_load_dwordx2 v[36:37], off, off offset:216
	scratch_load_dwordx2 v[134:135], off, off offset:48
	v_mov_b32_e32 v6, 0
	ds_read2_b64 v[102:105], v6 offset0:35 offset1:36
	ds_read2_b64 v[106:109], v6 offset0:37 offset1:38
	ds_read2_b64 v[110:113], v6 offset0:39 offset1:40
	ds_read2_b64 v[114:117], v6 offset0:41 offset1:42
	ds_read2_b64 v[118:121], v6 offset0:43 offset1:44
	ds_read2_b64 v[122:125], v6 offset0:45 offset1:46
	ds_read2_b64 v[126:129], v6 offset0:47 offset1:48
	ds_read2_b64 v[130:133], v6 offset0:49 offset1:50
	v_cmp_lt_u32_e32 vcc, 5, v0
	s_waitcnt vmcnt(11) lgkmcnt(7)
	v_mul_f32_e32 v7, v102, v3
	v_mul_f32_e32 v3, v103, v3
	;; [unrolled: 1-line block ×4, first 2 shown]
	v_fmac_f32_e32 v7, v103, v2
	v_fma_f32 v2, v102, v2, -v3
	s_waitcnt vmcnt(10) lgkmcnt(6)
	v_mul_f32_e32 v138, v106, v9
	v_mul_f32_e32 v9, v107, v9
	v_fma_f32 v3, v104, v4, -v5
	v_add_f32_e32 v2, 0, v2
	v_mul_f32_e32 v140, v108, v11
	v_mul_f32_e32 v11, v109, v11
	v_fmac_f32_e32 v136, v105, v4
	v_fma_f32 v4, v106, v8, -v9
	v_add_f32_e32 v7, 0, v7
	v_add_f32_e32 v2, v2, v3
	s_waitcnt vmcnt(9) lgkmcnt(5)
	v_mul_f32_e32 v141, v110, v13
	v_mul_f32_e32 v13, v111, v13
	v_fmac_f32_e32 v138, v107, v8
	v_fma_f32 v5, v108, v10, -v11
	v_add_f32_e32 v7, v7, v136
	v_add_f32_e32 v2, v2, v4
	v_mul_f32_e32 v142, v112, v15
	v_mul_f32_e32 v15, v113, v15
	v_fmac_f32_e32 v140, v109, v10
	v_fma_f32 v8, v110, v12, -v13
	v_add_f32_e32 v3, v7, v138
	v_add_f32_e32 v2, v2, v5
	s_waitcnt vmcnt(8) lgkmcnt(4)
	v_mul_f32_e32 v143, v114, v17
	v_mul_f32_e32 v17, v115, v17
	v_fmac_f32_e32 v141, v111, v12
	v_fma_f32 v9, v112, v14, -v15
	v_add_f32_e32 v3, v3, v140
	;; [unrolled: 13-line block ×4, first 2 shown]
	v_add_f32_e32 v2, v2, v12
	v_fmac_f32_e32 v146, v121, v22
	v_fma_f32 v14, v122, v24, -v25
	v_add_f32_e32 v3, v3, v145
	v_add_f32_e32 v2, v2, v13
	v_mul_f32_e32 v137, v124, v27
	v_fmac_f32_e32 v147, v123, v24
	v_add_f32_e32 v3, v3, v146
	v_add_f32_e32 v12, v2, v14
	v_mul_f32_e32 v2, v125, v27
	s_waitcnt vmcnt(5)
	v_mov_b32_e32 v16, v31
	s_waitcnt lgkmcnt(1)
	v_mul_f32_e32 v139, v126, v29
	v_fmac_f32_e32 v137, v125, v26
	v_add_f32_e32 v13, v3, v147
	v_fma_f32 v136, v124, v26, -v2
	v_mul_f32_e32 v2, v127, v29
	v_pk_mul_f32 v[16:17], v[128:129], v[16:17] op_sel:[1,0] op_sel_hi:[0,0]
	v_fmac_f32_e32 v139, v127, v28
	v_fma_f32 v138, v126, v28, -v2
	v_pk_add_f32 v[12:13], v[12:13], v[136:137]
	v_pk_fma_f32 v[18:19], v[128:129], v[30:31], v[16:17] neg_lo:[0,0,1] neg_hi:[0,0,1]
	v_pk_fma_f32 v[16:17], v[128:129], v[30:31], v[16:17] op_sel_hi:[1,0,1]
	v_pk_add_f32 v[12:13], v[12:13], v[138:139]
	v_mov_b32_e32 v19, v17
	s_waitcnt vmcnt(4) lgkmcnt(0)
	v_pk_mul_f32 v[16:17], v[130:131], v[32:33] op_sel:[1,1] op_sel_hi:[0,1]
	v_pk_add_f32 v[12:13], v[12:13], v[18:19]
	v_pk_fma_f32 v[18:19], v[130:131], v[32:33], v[16:17] neg_lo:[0,0,1] neg_hi:[0,0,1]
	v_pk_fma_f32 v[16:17], v[130:131], v[32:33], v[16:17] op_sel_hi:[1,0,1]
	ds_read2_b64 v[2:5], v6 offset0:51 offset1:52
	ds_read2_b64 v[8:11], v6 offset0:53 offset1:54
	ds_read_b64 v[14:15], v6 offset:440
	v_mov_b32_e32 v16, v35
	v_mov_b32_e32 v19, v17
	v_pk_mul_f32 v[16:17], v[132:133], v[16:17] op_sel:[1,0] op_sel_hi:[0,0]
	v_pk_add_f32 v[12:13], v[12:13], v[18:19]
	v_pk_fma_f32 v[18:19], v[132:133], v[34:35], v[16:17] neg_lo:[0,0,1] neg_hi:[0,0,1]
	v_pk_fma_f32 v[16:17], v[132:133], v[34:35], v[16:17] op_sel_hi:[1,0,1]
	s_nop 0
	v_mov_b32_e32 v19, v17
	s_waitcnt vmcnt(3) lgkmcnt(2)
	v_pk_mul_f32 v[16:17], v[2:3], v[94:95] op_sel:[1,1] op_sel_hi:[0,1]
	v_pk_add_f32 v[12:13], v[12:13], v[18:19]
	v_pk_fma_f32 v[18:19], v[2:3], v[94:95], v[16:17] neg_lo:[0,0,1] neg_hi:[0,0,1]
	v_pk_fma_f32 v[2:3], v[2:3], v[94:95], v[16:17] op_sel_hi:[1,0,1]
	s_nop 0
	v_mov_b32_e32 v19, v3
	v_pk_add_f32 v[2:3], v[12:13], v[18:19]
	v_mov_b32_e32 v12, v97
	v_pk_mul_f32 v[12:13], v[4:5], v[12:13] op_sel:[1,0] op_sel_hi:[0,0]
	v_pk_fma_f32 v[16:17], v[4:5], v[96:97], v[12:13] neg_lo:[0,0,1] neg_hi:[0,0,1]
	v_pk_fma_f32 v[4:5], v[4:5], v[96:97], v[12:13] op_sel_hi:[1,0,1]
	s_nop 0
	v_mov_b32_e32 v17, v5
	s_waitcnt vmcnt(2) lgkmcnt(1)
	v_pk_mul_f32 v[4:5], v[8:9], v[98:99] op_sel:[1,1] op_sel_hi:[0,1]
	v_pk_fma_f32 v[12:13], v[8:9], v[98:99], v[4:5] neg_lo:[0,0,1] neg_hi:[0,0,1]
	v_pk_fma_f32 v[4:5], v[8:9], v[98:99], v[4:5] op_sel_hi:[1,0,1]
	v_pk_add_f32 v[2:3], v[2:3], v[16:17]
	v_mov_b32_e32 v4, v101
	v_mov_b32_e32 v13, v5
	v_pk_mul_f32 v[4:5], v[10:11], v[4:5] op_sel:[1,0] op_sel_hi:[0,0]
	v_pk_fma_f32 v[8:9], v[10:11], v[100:101], v[4:5] neg_lo:[0,0,1] neg_hi:[0,0,1]
	v_pk_fma_f32 v[4:5], v[10:11], v[100:101], v[4:5] op_sel_hi:[1,0,1]
	v_pk_add_f32 v[2:3], v[2:3], v[12:13]
	v_mov_b32_e32 v9, v5
	s_waitcnt vmcnt(1) lgkmcnt(0)
	v_pk_mul_f32 v[4:5], v[14:15], v[36:37] op_sel:[1,1] op_sel_hi:[0,1]
	v_pk_add_f32 v[2:3], v[2:3], v[8:9]
	v_pk_fma_f32 v[8:9], v[14:15], v[36:37], v[4:5] neg_lo:[0,0,1] neg_hi:[0,0,1]
	v_pk_fma_f32 v[4:5], v[14:15], v[36:37], v[4:5] op_sel_hi:[1,0,1]
	s_nop 0
	v_mov_b32_e32 v9, v5
	v_pk_add_f32 v[2:3], v[2:3], v[8:9]
	s_waitcnt vmcnt(0)
	v_pk_add_f32 v[2:3], v[134:135], v[2:3] neg_lo:[0,1] neg_hi:[0,1]
	scratch_store_dwordx2 off, v[2:3], off offset:48
	s_and_saveexec_b64 s[0:1], vcc
	s_cbranch_execz .LBB27_171
; %bb.170:
	scratch_load_dwordx2 v[2:3], off, off offset:40
	v_mov_b32_e32 v7, v6
	scratch_store_dwordx2 off, v[6:7], off offset:40
	s_waitcnt vmcnt(1)
	ds_write_b64 v1, v[2:3]
.LBB27_171:
	s_or_b64 exec, exec, s[0:1]
	s_waitcnt lgkmcnt(0)
	; wave barrier
	scratch_load_dwordx4 v[8:11], off, off offset:48
	scratch_load_dwordx4 v[12:15], off, off offset:64
	scratch_load_dwordx4 v[16:19], off, off offset:80
	scratch_load_dwordx4 v[20:23], off, off offset:96
	scratch_load_dwordx4 v[24:27], off, off offset:112
	scratch_load_dwordx4 v[28:31], off, off offset:128
	scratch_load_dwordx4 v[32:35], off, off offset:144
	ds_read_b128 v[94:97], v6 offset:272
	ds_read_b128 v[98:101], v6 offset:288
	;; [unrolled: 1-line block ×6, first 2 shown]
	scratch_load_dwordx4 v[118:121], off, off offset:160
	scratch_load_dwordx4 v[122:125], off, off offset:176
	;; [unrolled: 1-line block ×4, first 2 shown]
	ds_read_b128 v[130:133], v6 offset:368
	ds_read_b128 v[134:137], v6 offset:384
	scratch_load_dwordx2 v[36:37], off, off offset:40
	v_cmp_lt_u32_e32 vcc, 4, v0
	s_waitcnt vmcnt(11) lgkmcnt(7)
	v_mul_f32_e32 v7, v94, v9
	v_mul_f32_e32 v138, v96, v11
	;; [unrolled: 1-line block ×3, first 2 shown]
	v_fmac_f32_e32 v7, v95, v8
	s_waitcnt vmcnt(10) lgkmcnt(6)
	v_mul_f32_e32 v140, v98, v13
	v_mul_f32_e32 v11, v97, v11
	v_fmac_f32_e32 v138, v97, v10
	v_fma_f32 v8, v94, v8, -v9
	v_add_f32_e32 v7, 0, v7
	v_mul_f32_e32 v142, v100, v15
	v_mul_f32_e32 v13, v99, v13
	v_fmac_f32_e32 v140, v99, v12
	v_fma_f32 v9, v96, v10, -v11
	v_add_f32_e32 v8, 0, v8
	v_add_f32_e32 v7, v7, v138
	s_waitcnt vmcnt(9) lgkmcnt(5)
	v_mul_f32_e32 v143, v102, v17
	v_mul_f32_e32 v15, v101, v15
	v_fmac_f32_e32 v142, v101, v14
	v_fma_f32 v10, v98, v12, -v13
	v_add_f32_e32 v8, v8, v9
	v_add_f32_e32 v7, v7, v140
	v_mul_f32_e32 v144, v104, v19
	v_mul_f32_e32 v17, v103, v17
	v_fmac_f32_e32 v143, v103, v16
	v_fma_f32 v11, v100, v14, -v15
	v_add_f32_e32 v8, v8, v10
	v_add_f32_e32 v7, v7, v142
	s_waitcnt vmcnt(8) lgkmcnt(4)
	v_mul_f32_e32 v145, v106, v21
	v_mul_f32_e32 v19, v105, v19
	v_fmac_f32_e32 v144, v105, v18
	v_fma_f32 v12, v102, v16, -v17
	v_add_f32_e32 v8, v8, v11
	;; [unrolled: 13-line block ×4, first 2 shown]
	v_add_f32_e32 v7, v7, v147
	v_mul_f32_e32 v150, v116, v31
	v_mul_f32_e32 v29, v115, v29
	v_fmac_f32_e32 v149, v115, v28
	v_fma_f32 v17, v112, v26, -v27
	v_add_f32_e32 v8, v8, v16
	v_add_f32_e32 v7, v7, v148
	v_fmac_f32_e32 v150, v117, v30
	v_fma_f32 v18, v114, v28, -v29
	v_add_f32_e32 v8, v8, v17
	v_add_f32_e32 v7, v7, v149
	;; [unrolled: 1-line block ×4, first 2 shown]
	v_mul_f32_e32 v8, v117, v31
	v_fma_f32 v8, v116, v30, -v8
	s_waitcnt vmcnt(5) lgkmcnt(1)
	v_mul_f32_e32 v139, v130, v33
	v_add_f32_e32 v20, v7, v8
	v_mul_f32_e32 v7, v131, v33
	v_fmac_f32_e32 v139, v131, v32
	v_fma_f32 v138, v130, v32, -v7
	v_mul_f32_e32 v7, v133, v35
	v_fma_f32 v140, v132, v34, -v7
	ds_read_b128 v[8:11], v6 offset:400
	ds_read_b128 v[12:15], v6 offset:416
	;; [unrolled: 1-line block ×3, first 2 shown]
	v_pk_add_f32 v[6:7], v[20:21], v[138:139]
	s_waitcnt vmcnt(4) lgkmcnt(3)
	v_pk_mul_f32 v[20:21], v[134:135], v[118:119] op_sel:[1,1] op_sel_hi:[0,1]
	v_mul_f32_e32 v141, v132, v35
	v_pk_fma_f32 v[22:23], v[134:135], v[118:119], v[20:21] neg_lo:[0,0,1] neg_hi:[0,0,1]
	v_pk_fma_f32 v[20:21], v[134:135], v[118:119], v[20:21] op_sel_hi:[1,0,1]
	v_fmac_f32_e32 v141, v133, v34
	v_mov_b32_e32 v20, v121
	v_pk_add_f32 v[6:7], v[6:7], v[140:141]
	v_mov_b32_e32 v23, v21
	v_pk_mul_f32 v[20:21], v[136:137], v[20:21] op_sel:[1,0] op_sel_hi:[0,0]
	v_pk_add_f32 v[6:7], v[6:7], v[22:23]
	v_pk_fma_f32 v[22:23], v[136:137], v[120:121], v[20:21] neg_lo:[0,0,1] neg_hi:[0,0,1]
	v_pk_fma_f32 v[20:21], v[136:137], v[120:121], v[20:21] op_sel_hi:[1,0,1]
	s_nop 0
	v_mov_b32_e32 v23, v21
	s_waitcnt vmcnt(3) lgkmcnt(2)
	v_pk_mul_f32 v[20:21], v[8:9], v[122:123] op_sel:[1,1] op_sel_hi:[0,1]
	v_pk_add_f32 v[6:7], v[6:7], v[22:23]
	v_pk_fma_f32 v[22:23], v[8:9], v[122:123], v[20:21] neg_lo:[0,0,1] neg_hi:[0,0,1]
	v_pk_fma_f32 v[8:9], v[8:9], v[122:123], v[20:21] op_sel_hi:[1,0,1]
	s_nop 0
	v_mov_b32_e32 v8, v125
	v_mov_b32_e32 v23, v9
	v_pk_mul_f32 v[8:9], v[10:11], v[8:9] op_sel:[1,0] op_sel_hi:[0,0]
	v_pk_fma_f32 v[20:21], v[10:11], v[124:125], v[8:9] neg_lo:[0,0,1] neg_hi:[0,0,1]
	v_pk_fma_f32 v[8:9], v[10:11], v[124:125], v[8:9] op_sel_hi:[1,0,1]
	v_pk_add_f32 v[6:7], v[6:7], v[22:23]
	v_mov_b32_e32 v21, v9
	s_waitcnt vmcnt(2) lgkmcnt(1)
	v_pk_mul_f32 v[8:9], v[12:13], v[126:127] op_sel:[1,1] op_sel_hi:[0,1]
	v_pk_fma_f32 v[10:11], v[12:13], v[126:127], v[8:9] neg_lo:[0,0,1] neg_hi:[0,0,1]
	v_pk_fma_f32 v[8:9], v[12:13], v[126:127], v[8:9] op_sel_hi:[1,0,1]
	v_pk_add_f32 v[6:7], v[6:7], v[20:21]
	v_mov_b32_e32 v8, v129
	v_mov_b32_e32 v11, v9
	v_pk_mul_f32 v[8:9], v[14:15], v[8:9] op_sel:[1,0] op_sel_hi:[0,0]
	v_pk_add_f32 v[6:7], v[6:7], v[10:11]
	v_pk_fma_f32 v[10:11], v[14:15], v[128:129], v[8:9] neg_lo:[0,0,1] neg_hi:[0,0,1]
	v_pk_fma_f32 v[8:9], v[14:15], v[128:129], v[8:9] op_sel_hi:[1,0,1]
	s_nop 0
	v_mov_b32_e32 v11, v9
	s_waitcnt vmcnt(1) lgkmcnt(0)
	v_pk_mul_f32 v[8:9], v[16:17], v[2:3] op_sel:[1,1] op_sel_hi:[0,1]
	v_pk_add_f32 v[6:7], v[6:7], v[10:11]
	v_pk_fma_f32 v[10:11], v[16:17], v[2:3], v[8:9] neg_lo:[0,0,1] neg_hi:[0,0,1]
	v_pk_fma_f32 v[2:3], v[16:17], v[2:3], v[8:9] op_sel_hi:[1,0,1]
	s_nop 0
	v_mov_b32_e32 v11, v3
	v_pk_add_f32 v[2:3], v[6:7], v[10:11]
	v_mov_b32_e32 v6, v5
	v_pk_mul_f32 v[6:7], v[18:19], v[6:7] op_sel:[1,0] op_sel_hi:[0,0]
	v_pk_fma_f32 v[8:9], v[18:19], v[4:5], v[6:7] neg_lo:[0,0,1] neg_hi:[0,0,1]
	v_pk_fma_f32 v[4:5], v[18:19], v[4:5], v[6:7] op_sel_hi:[1,0,1]
	s_nop 0
	v_mov_b32_e32 v9, v5
	v_pk_add_f32 v[2:3], v[2:3], v[8:9]
	s_waitcnt vmcnt(0)
	v_pk_add_f32 v[2:3], v[36:37], v[2:3] neg_lo:[0,1] neg_hi:[0,1]
	scratch_store_dwordx2 off, v[2:3], off offset:40
	s_and_saveexec_b64 s[0:1], vcc
	s_cbranch_execz .LBB27_173
; %bb.172:
	scratch_load_dwordx2 v[2:3], off, off offset:32
	v_mov_b32_e32 v4, 0
	v_mov_b32_e32 v5, v4
	scratch_store_dwordx2 off, v[4:5], off offset:32
	s_waitcnt vmcnt(1)
	ds_write_b64 v1, v[2:3]
.LBB27_173:
	s_or_b64 exec, exec, s[0:1]
	s_waitcnt lgkmcnt(0)
	; wave barrier
	scratch_load_dwordx4 v[2:5], off, off offset:40
	scratch_load_dwordx4 v[14:17], off, off offset:56
	;; [unrolled: 1-line block ×11, first 2 shown]
	scratch_load_dwordx2 v[22:23], off, off offset:216
	scratch_load_dwordx2 v[36:37], off, off offset:32
	v_mov_b32_e32 v94, 0
	ds_read2_b64 v[108:111], v94 offset0:33 offset1:34
	ds_read2_b64 v[112:115], v94 offset0:35 offset1:36
	;; [unrolled: 1-line block ×8, first 2 shown]
	v_cmp_lt_u32_e32 vcc, 3, v0
	s_waitcnt vmcnt(12) lgkmcnt(7)
	v_mul_f32_e32 v95, v108, v3
	v_mul_f32_e32 v140, v110, v5
	;; [unrolled: 1-line block ×3, first 2 shown]
	v_fmac_f32_e32 v95, v109, v2
	s_waitcnt vmcnt(8) lgkmcnt(3)
	v_mul_f32_e32 v149, v124, v19
	v_mul_f32_e32 v19, v125, v19
	v_mul_f32_e32 v142, v112, v15
	v_mul_f32_e32 v5, v111, v5
	v_fmac_f32_e32 v140, v111, v4
	v_fmac_f32_e32 v149, v125, v18
	v_fma_f32 v2, v108, v2, -v3
	v_fma_f32 v18, v124, v18, -v19
	v_add_f32_e32 v19, 0, v95
	v_mul_f32_e32 v144, v114, v17
	v_fmac_f32_e32 v142, v113, v14
	v_fma_f32 v3, v110, v4, -v5
	v_add_f32_e32 v2, 0, v2
	v_add_f32_e32 v19, v19, v140
	v_mul_f32_e32 v145, v116, v25
	v_fmac_f32_e32 v144, v115, v16
	v_add_f32_e32 v2, v2, v3
	v_add_f32_e32 v3, v19, v142
	v_mul_f32_e32 v146, v118, v27
	v_fmac_f32_e32 v145, v117, v24
	v_add_f32_e32 v3, v3, v144
	v_mul_f32_e32 v147, v120, v29
	v_mul_f32_e32 v15, v113, v15
	v_fmac_f32_e32 v146, v119, v26
	v_add_f32_e32 v3, v3, v145
	v_mul_f32_e32 v148, v122, v31
	v_mul_f32_e32 v17, v115, v17
	v_fmac_f32_e32 v147, v121, v28
	v_fma_f32 v4, v112, v14, -v15
	v_add_f32_e32 v3, v3, v146
	v_mul_f32_e32 v25, v117, v25
	v_fmac_f32_e32 v148, v123, v30
	v_fma_f32 v5, v114, v16, -v17
	v_add_f32_e32 v2, v2, v4
	v_add_f32_e32 v3, v3, v147
	v_mul_f32_e32 v150, v126, v21
	v_mul_f32_e32 v27, v119, v27
	v_fma_f32 v14, v116, v24, -v25
	v_add_f32_e32 v2, v2, v5
	v_add_f32_e32 v3, v3, v148
	s_waitcnt vmcnt(7) lgkmcnt(2)
	v_mul_f32_e32 v151, v128, v33
	v_mul_f32_e32 v29, v121, v29
	v_fmac_f32_e32 v150, v127, v20
	v_fma_f32 v15, v118, v26, -v27
	v_add_f32_e32 v2, v2, v14
	v_add_f32_e32 v3, v3, v149
	v_mul_f32_e32 v152, v130, v35
	v_mul_f32_e32 v31, v123, v31
	v_fmac_f32_e32 v151, v129, v32
	v_fma_f32 v16, v120, v28, -v29
	v_add_f32_e32 v2, v2, v15
	v_add_f32_e32 v3, v3, v150
	s_waitcnt vmcnt(6) lgkmcnt(1)
	v_mul_f32_e32 v153, v132, v97
	v_fmac_f32_e32 v152, v131, v34
	v_fma_f32 v17, v122, v30, -v31
	v_add_f32_e32 v2, v2, v16
	v_add_f32_e32 v3, v3, v151
	v_mul_f32_e32 v21, v127, v21
	v_fmac_f32_e32 v153, v133, v96
	v_add_f32_e32 v2, v2, v17
	v_add_f32_e32 v3, v3, v152
	;; [unrolled: 1-line block ×4, first 2 shown]
	v_fma_f32 v3, v126, v20, -v21
	v_add_f32_e32 v2, v2, v3
	v_mul_f32_e32 v3, v129, v33
	v_fma_f32 v3, v128, v32, -v3
	v_add_f32_e32 v2, v2, v3
	v_mul_f32_e32 v3, v131, v35
	;; [unrolled: 3-line block ×4, first 2 shown]
	v_mul_f32_e32 v141, v134, v99
	v_fma_f32 v140, v134, v98, -v2
	s_waitcnt vmcnt(5) lgkmcnt(0)
	v_mul_f32_e32 v2, v137, v101
	v_mov_b32_e32 v28, v103
	v_mul_f32_e32 v143, v136, v101
	v_fmac_f32_e32 v141, v135, v98
	v_fma_f32 v142, v136, v100, -v2
	ds_read2_b64 v[2:5], v94 offset0:49 offset1:50
	ds_read2_b64 v[14:17], v94 offset0:51 offset1:52
	;; [unrolled: 1-line block ×3, first 2 shown]
	ds_read_b64 v[26:27], v94 offset:440
	v_pk_mul_f32 v[28:29], v[138:139], v[28:29] op_sel:[1,0] op_sel_hi:[0,0]
	v_fmac_f32_e32 v143, v137, v100
	v_pk_add_f32 v[24:25], v[24:25], v[140:141]
	v_pk_fma_f32 v[30:31], v[138:139], v[102:103], v[28:29] neg_lo:[0,0,1] neg_hi:[0,0,1]
	v_pk_fma_f32 v[28:29], v[138:139], v[102:103], v[28:29] op_sel_hi:[1,0,1]
	v_pk_add_f32 v[24:25], v[24:25], v[142:143]
	v_mov_b32_e32 v31, v29
	s_waitcnt vmcnt(4) lgkmcnt(3)
	v_pk_mul_f32 v[28:29], v[2:3], v[104:105] op_sel:[1,1] op_sel_hi:[0,1]
	v_pk_add_f32 v[24:25], v[24:25], v[30:31]
	v_pk_fma_f32 v[30:31], v[2:3], v[104:105], v[28:29] neg_lo:[0,0,1] neg_hi:[0,0,1]
	v_pk_fma_f32 v[2:3], v[2:3], v[104:105], v[28:29] op_sel_hi:[1,0,1]
	s_nop 0
	v_mov_b32_e32 v31, v3
	v_pk_add_f32 v[2:3], v[24:25], v[30:31]
	v_mov_b32_e32 v24, v107
	v_pk_mul_f32 v[24:25], v[4:5], v[24:25] op_sel:[1,0] op_sel_hi:[0,0]
	v_pk_fma_f32 v[28:29], v[4:5], v[106:107], v[24:25] neg_lo:[0,0,1] neg_hi:[0,0,1]
	v_pk_fma_f32 v[4:5], v[4:5], v[106:107], v[24:25] op_sel_hi:[1,0,1]
	s_nop 0
	v_mov_b32_e32 v29, v5
	s_waitcnt vmcnt(3) lgkmcnt(2)
	v_pk_mul_f32 v[4:5], v[14:15], v[10:11] op_sel:[1,1] op_sel_hi:[0,1]
	v_pk_fma_f32 v[24:25], v[14:15], v[10:11], v[4:5] neg_lo:[0,0,1] neg_hi:[0,0,1]
	v_pk_fma_f32 v[4:5], v[14:15], v[10:11], v[4:5] op_sel_hi:[1,0,1]
	v_pk_add_f32 v[2:3], v[2:3], v[28:29]
	v_mov_b32_e32 v4, v13
	v_mov_b32_e32 v25, v5
	v_pk_mul_f32 v[4:5], v[16:17], v[4:5] op_sel:[1,0] op_sel_hi:[0,0]
	v_pk_fma_f32 v[10:11], v[16:17], v[12:13], v[4:5] neg_lo:[0,0,1] neg_hi:[0,0,1]
	v_pk_fma_f32 v[4:5], v[16:17], v[12:13], v[4:5] op_sel_hi:[1,0,1]
	v_pk_add_f32 v[2:3], v[2:3], v[24:25]
	v_mov_b32_e32 v11, v5
	s_waitcnt vmcnt(2) lgkmcnt(1)
	v_pk_mul_f32 v[4:5], v[18:19], v[6:7] op_sel:[1,1] op_sel_hi:[0,1]
	v_pk_add_f32 v[2:3], v[2:3], v[10:11]
	v_pk_fma_f32 v[10:11], v[18:19], v[6:7], v[4:5] neg_lo:[0,0,1] neg_hi:[0,0,1]
	v_pk_fma_f32 v[4:5], v[18:19], v[6:7], v[4:5] op_sel_hi:[1,0,1]
	s_nop 0
	v_mov_b32_e32 v4, v9
	v_mov_b32_e32 v11, v5
	v_pk_mul_f32 v[4:5], v[20:21], v[4:5] op_sel:[1,0] op_sel_hi:[0,0]
	v_pk_fma_f32 v[6:7], v[20:21], v[8:9], v[4:5] neg_lo:[0,0,1] neg_hi:[0,0,1]
	v_pk_fma_f32 v[4:5], v[20:21], v[8:9], v[4:5] op_sel_hi:[1,0,1]
	v_pk_add_f32 v[2:3], v[2:3], v[10:11]
	v_mov_b32_e32 v7, v5
	s_waitcnt vmcnt(1) lgkmcnt(0)
	v_pk_mul_f32 v[4:5], v[26:27], v[22:23] op_sel:[1,1] op_sel_hi:[0,1]
	v_pk_add_f32 v[2:3], v[2:3], v[6:7]
	v_pk_fma_f32 v[6:7], v[26:27], v[22:23], v[4:5] neg_lo:[0,0,1] neg_hi:[0,0,1]
	v_pk_fma_f32 v[4:5], v[26:27], v[22:23], v[4:5] op_sel_hi:[1,0,1]
	s_nop 0
	v_mov_b32_e32 v7, v5
	v_pk_add_f32 v[2:3], v[2:3], v[6:7]
	s_waitcnt vmcnt(0)
	v_pk_add_f32 v[2:3], v[36:37], v[2:3] neg_lo:[0,1] neg_hi:[0,1]
	scratch_store_dwordx2 off, v[2:3], off offset:32
	s_and_saveexec_b64 s[0:1], vcc
	s_cbranch_execz .LBB27_175
; %bb.174:
	scratch_load_dwordx2 v[2:3], off, off offset:24
	v_mov_b32_e32 v95, v94
	scratch_store_dwordx2 off, v[94:95], off offset:24
	s_waitcnt vmcnt(1)
	ds_write_b64 v1, v[2:3]
.LBB27_175:
	s_or_b64 exec, exec, s[0:1]
	s_waitcnt lgkmcnt(0)
	; wave barrier
	scratch_load_dwordx4 v[6:9], off, off offset:32
	scratch_load_dwordx4 v[18:21], off, off offset:48
	;; [unrolled: 1-line block ×8, first 2 shown]
	ds_read_b128 v[104:107], v94 offset:256
	ds_read_b128 v[108:111], v94 offset:272
	;; [unrolled: 1-line block ×8, first 2 shown]
	scratch_load_dwordx4 v[136:139], off, off offset:160
	scratch_load_dwordx4 v[26:29], off, off offset:176
	;; [unrolled: 1-line block ×4, first 2 shown]
	scratch_load_dwordx2 v[140:141], off, off offset:24
	v_cmp_lt_u32_e32 vcc, 2, v0
	s_waitcnt vmcnt(12) lgkmcnt(7)
	v_mul_f32_e32 v95, v104, v7
	v_mul_f32_e32 v142, v106, v9
	;; [unrolled: 1-line block ×3, first 2 shown]
	v_fmac_f32_e32 v95, v105, v6
	s_waitcnt vmcnt(8) lgkmcnt(3)
	v_mul_f32_e32 v151, v120, v15
	v_mul_f32_e32 v15, v121, v15
	;; [unrolled: 1-line block ×4, first 2 shown]
	v_fmac_f32_e32 v142, v107, v8
	v_fmac_f32_e32 v151, v121, v14
	v_fma_f32 v6, v104, v6, -v7
	v_fma_f32 v14, v120, v14, -v15
	v_add_f32_e32 v15, 0, v95
	v_mul_f32_e32 v146, v110, v21
	v_fmac_f32_e32 v144, v109, v18
	v_fma_f32 v7, v106, v8, -v9
	v_add_f32_e32 v6, 0, v6
	v_add_f32_e32 v15, v15, v142
	v_mul_f32_e32 v147, v112, v35
	v_fmac_f32_e32 v146, v111, v20
	v_add_f32_e32 v6, v6, v7
	v_add_f32_e32 v7, v15, v144
	v_mul_f32_e32 v148, v114, v37
	v_fmac_f32_e32 v147, v113, v34
	v_add_f32_e32 v7, v7, v146
	v_mul_f32_e32 v149, v116, v97
	v_fmac_f32_e32 v148, v115, v36
	;; [unrolled: 3-line block ×4, first 2 shown]
	v_add_f32_e32 v7, v7, v149
	v_mul_f32_e32 v152, v122, v17
	v_mul_f32_e32 v21, v111, v21
	v_fma_f32 v8, v108, v18, -v19
	v_add_f32_e32 v7, v7, v150
	s_waitcnt vmcnt(7) lgkmcnt(2)
	v_mul_f32_e32 v153, v124, v23
	v_mul_f32_e32 v35, v113, v35
	v_fmac_f32_e32 v152, v123, v16
	v_fma_f32 v9, v110, v20, -v21
	v_add_f32_e32 v6, v6, v8
	v_add_f32_e32 v7, v7, v151
	v_mul_f32_e32 v154, v126, v25
	v_mul_f32_e32 v37, v115, v37
	v_fmac_f32_e32 v153, v125, v22
	v_fma_f32 v18, v112, v34, -v35
	v_add_f32_e32 v6, v6, v9
	v_add_f32_e32 v7, v7, v152
	s_waitcnt vmcnt(6) lgkmcnt(1)
	v_mul_f32_e32 v155, v128, v31
	v_mul_f32_e32 v97, v117, v97
	v_fmac_f32_e32 v154, v127, v24
	v_fma_f32 v19, v114, v36, -v37
	v_add_f32_e32 v6, v6, v18
	v_add_f32_e32 v7, v7, v153
	v_mul_f32_e32 v156, v130, v33
	v_mul_f32_e32 v99, v119, v99
	v_fmac_f32_e32 v155, v129, v30
	v_fma_f32 v20, v116, v96, -v97
	v_add_f32_e32 v6, v6, v19
	v_add_f32_e32 v7, v7, v154
	v_fmac_f32_e32 v156, v131, v32
	v_fma_f32 v21, v118, v98, -v99
	v_add_f32_e32 v6, v6, v20
	v_add_f32_e32 v7, v7, v155
	;; [unrolled: 1-line block ×4, first 2 shown]
	v_mul_f32_e32 v7, v123, v17
	v_add_f32_e32 v6, v6, v14
	v_fma_f32 v7, v122, v16, -v7
	v_add_f32_e32 v6, v6, v7
	v_mul_f32_e32 v7, v125, v23
	v_fma_f32 v7, v124, v22, -v7
	v_add_f32_e32 v6, v6, v7
	v_mul_f32_e32 v7, v127, v25
	;; [unrolled: 3-line block ×4, first 2 shown]
	v_fma_f32 v7, v130, v32, -v7
	v_add_f32_e32 v34, v6, v7
	s_waitcnt vmcnt(5) lgkmcnt(0)
	v_mul_f32_e32 v6, v133, v101
	v_fma_f32 v142, v132, v100, -v6
	v_mul_f32_e32 v6, v135, v103
	v_fma_f32 v144, v134, v102, -v6
	ds_read_b128 v[6:9], v94 offset:384
	ds_read_b128 v[14:17], v94 offset:400
	;; [unrolled: 1-line block ×4, first 2 shown]
	v_mul_f32_e32 v143, v132, v101
	v_mul_f32_e32 v145, v134, v103
	v_fmac_f32_e32 v143, v133, v100
	s_waitcnt vmcnt(4) lgkmcnt(3)
	v_pk_mul_f32 v[32:33], v[6:7], v[136:137] op_sel:[1,1] op_sel_hi:[0,1]
	v_fmac_f32_e32 v145, v135, v102
	v_pk_add_f32 v[30:31], v[34:35], v[142:143]
	v_pk_fma_f32 v[34:35], v[6:7], v[136:137], v[32:33] neg_lo:[0,0,1] neg_hi:[0,0,1]
	v_pk_fma_f32 v[6:7], v[6:7], v[136:137], v[32:33] op_sel_hi:[1,0,1]
	v_pk_add_f32 v[30:31], v[30:31], v[144:145]
	v_mov_b32_e32 v35, v7
	v_pk_add_f32 v[6:7], v[30:31], v[34:35]
	v_mov_b32_e32 v30, v139
	v_pk_mul_f32 v[30:31], v[8:9], v[30:31] op_sel:[1,0] op_sel_hi:[0,0]
	v_pk_fma_f32 v[32:33], v[8:9], v[138:139], v[30:31] neg_lo:[0,0,1] neg_hi:[0,0,1]
	v_pk_fma_f32 v[8:9], v[8:9], v[138:139], v[30:31] op_sel_hi:[1,0,1]
	s_nop 0
	v_mov_b32_e32 v33, v9
	s_waitcnt vmcnt(3) lgkmcnt(2)
	v_pk_mul_f32 v[8:9], v[14:15], v[26:27] op_sel:[1,1] op_sel_hi:[0,1]
	v_pk_fma_f32 v[30:31], v[14:15], v[26:27], v[8:9] neg_lo:[0,0,1] neg_hi:[0,0,1]
	v_pk_fma_f32 v[8:9], v[14:15], v[26:27], v[8:9] op_sel_hi:[1,0,1]
	v_pk_add_f32 v[6:7], v[6:7], v[32:33]
	v_mov_b32_e32 v8, v29
	v_mov_b32_e32 v31, v9
	v_pk_mul_f32 v[8:9], v[16:17], v[8:9] op_sel:[1,0] op_sel_hi:[0,0]
	v_pk_fma_f32 v[14:15], v[16:17], v[28:29], v[8:9] neg_lo:[0,0,1] neg_hi:[0,0,1]
	v_pk_fma_f32 v[8:9], v[16:17], v[28:29], v[8:9] op_sel_hi:[1,0,1]
	v_pk_add_f32 v[6:7], v[6:7], v[30:31]
	v_mov_b32_e32 v15, v9
	s_waitcnt vmcnt(2) lgkmcnt(1)
	v_pk_mul_f32 v[8:9], v[18:19], v[10:11] op_sel:[1,1] op_sel_hi:[0,1]
	v_pk_add_f32 v[6:7], v[6:7], v[14:15]
	v_pk_fma_f32 v[14:15], v[18:19], v[10:11], v[8:9] neg_lo:[0,0,1] neg_hi:[0,0,1]
	v_pk_fma_f32 v[8:9], v[18:19], v[10:11], v[8:9] op_sel_hi:[1,0,1]
	s_nop 0
	v_mov_b32_e32 v8, v13
	v_mov_b32_e32 v15, v9
	v_pk_mul_f32 v[8:9], v[20:21], v[8:9] op_sel:[1,0] op_sel_hi:[0,0]
	v_pk_fma_f32 v[10:11], v[20:21], v[12:13], v[8:9] neg_lo:[0,0,1] neg_hi:[0,0,1]
	v_pk_fma_f32 v[8:9], v[20:21], v[12:13], v[8:9] op_sel_hi:[1,0,1]
	v_pk_add_f32 v[6:7], v[6:7], v[14:15]
	v_mov_b32_e32 v11, v9
	s_waitcnt vmcnt(1) lgkmcnt(0)
	v_pk_mul_f32 v[8:9], v[22:23], v[2:3] op_sel:[1,1] op_sel_hi:[0,1]
	v_pk_add_f32 v[6:7], v[6:7], v[10:11]
	v_pk_fma_f32 v[10:11], v[22:23], v[2:3], v[8:9] neg_lo:[0,0,1] neg_hi:[0,0,1]
	v_pk_fma_f32 v[2:3], v[22:23], v[2:3], v[8:9] op_sel_hi:[1,0,1]
	s_nop 0
	v_mov_b32_e32 v11, v3
	v_pk_add_f32 v[2:3], v[6:7], v[10:11]
	v_mov_b32_e32 v6, v5
	v_pk_mul_f32 v[6:7], v[24:25], v[6:7] op_sel:[1,0] op_sel_hi:[0,0]
	v_pk_fma_f32 v[8:9], v[24:25], v[4:5], v[6:7] neg_lo:[0,0,1] neg_hi:[0,0,1]
	v_pk_fma_f32 v[4:5], v[24:25], v[4:5], v[6:7] op_sel_hi:[1,0,1]
	s_nop 0
	v_mov_b32_e32 v9, v5
	v_pk_add_f32 v[2:3], v[2:3], v[8:9]
	s_waitcnt vmcnt(0)
	v_pk_add_f32 v[2:3], v[140:141], v[2:3] neg_lo:[0,1] neg_hi:[0,1]
	scratch_store_dwordx2 off, v[2:3], off offset:24
	s_and_saveexec_b64 s[0:1], vcc
	s_cbranch_execz .LBB27_177
; %bb.176:
	scratch_load_dwordx2 v[2:3], off, off offset:16
	v_mov_b32_e32 v4, 0
	v_mov_b32_e32 v5, v4
	scratch_store_dwordx2 off, v[4:5], off offset:16
	s_waitcnt vmcnt(1)
	ds_write_b64 v1, v[2:3]
.LBB27_177:
	s_or_b64 exec, exec, s[0:1]
	s_waitcnt lgkmcnt(0)
	; wave barrier
	scratch_load_dwordx4 v[8:11], off, off offset:24
	scratch_load_dwordx4 v[16:19], off, off offset:40
	;; [unrolled: 1-line block ×8, first 2 shown]
	v_mov_b32_e32 v2, 0
	ds_read2_b64 v[4:7], v2 offset0:31 offset1:32
	ds_read2_b64 v[94:97], v2 offset0:39 offset1:40
	scratch_load_dwordx4 v[130:133], off, off offset:152
	ds_read2_b64 v[126:129], v2 offset0:47 offset1:48
	v_cmp_lt_u32_e32 vcc, 1, v0
	ds_read2_b64 v[102:105], v2 offset0:41 offset1:42
	ds_read2_b64 v[110:113], v2 offset0:43 offset1:44
	;; [unrolled: 1-line block ×3, first 2 shown]
	s_waitcnt vmcnt(8) lgkmcnt(5)
	v_mul_f32_e32 v3, v4, v9
	v_fmac_f32_e32 v3, v5, v8
	v_mul_f32_e32 v12, v6, v11
	v_add_f32_e32 v3, 0, v3
	v_fmac_f32_e32 v12, v7, v10
	v_add_f32_e32 v3, v3, v12
	ds_read2_b64 v[12:15], v2 offset0:33 offset1:34
	s_waitcnt vmcnt(1) lgkmcnt(1)
	v_mul_f32_e32 v147, v120, v125
	v_fmac_f32_e32 v147, v121, v124
	s_waitcnt lgkmcnt(0)
	v_mul_f32_e32 v20, v12, v17
	v_fmac_f32_e32 v20, v13, v16
	v_add_f32_e32 v3, v3, v20
	v_mul_f32_e32 v20, v14, v19
	v_fmac_f32_e32 v20, v15, v18
	v_add_f32_e32 v3, v3, v20
	ds_read2_b64 v[20:23], v2 offset0:35 offset1:36
	s_waitcnt vmcnt(0)
	v_mul_f32_e32 v149, v126, v131
	v_fmac_f32_e32 v149, v127, v130
	s_waitcnt lgkmcnt(0)
	v_mul_f32_e32 v28, v20, v25
	v_fmac_f32_e32 v28, v21, v24
	v_add_f32_e32 v3, v3, v28
	v_mul_f32_e32 v28, v22, v27
	v_fmac_f32_e32 v28, v23, v26
	v_add_f32_e32 v3, v3, v28
	ds_read2_b64 v[28:31], v2 offset0:37 offset1:38
	scratch_load_dwordx4 v[134:137], off, off offset:168
	scratch_load_dwordx4 v[138:141], off, off offset:184
	scratch_load_dwordx4 v[142:145], off, off offset:200
	scratch_load_dwordx2 v[150:151], off, off offset:216
	s_waitcnt lgkmcnt(0)
	v_mul_f32_e32 v36, v28, v33
	v_fmac_f32_e32 v36, v29, v32
	v_add_f32_e32 v3, v3, v36
	v_mul_f32_e32 v36, v30, v35
	v_fmac_f32_e32 v36, v31, v34
	v_add_f32_e32 v3, v3, v36
	;; [unrolled: 3-line block ×9, first 2 shown]
	v_mul_f32_e32 v3, v5, v9
	v_fma_f32 v3, v4, v8, -v3
	v_mul_f32_e32 v4, v7, v11
	v_add_f32_e32 v3, 0, v3
	v_fma_f32 v4, v6, v10, -v4
	v_add_f32_e32 v3, v3, v4
	v_mul_f32_e32 v4, v13, v17
	v_fma_f32 v4, v12, v16, -v4
	v_add_f32_e32 v3, v3, v4
	v_mul_f32_e32 v4, v15, v19
	;; [unrolled: 3-line block ×14, first 2 shown]
	v_mov_b32_e32 v20, v133
	v_fma_f32 v146, v120, v124, -v3
	v_mul_f32_e32 v3, v127, v131
	ds_read2_b64 v[4:7], v2 offset0:49 offset1:50
	ds_read2_b64 v[8:11], v2 offset0:51 offset1:52
	;; [unrolled: 1-line block ×3, first 2 shown]
	ds_read_b64 v[16:17], v2 offset:440
	v_pk_mul_f32 v[20:21], v[128:129], v[20:21] op_sel:[1,0] op_sel_hi:[0,0]
	v_fma_f32 v148, v126, v130, -v3
	v_pk_add_f32 v[18:19], v[36:37], v[146:147]
	v_pk_fma_f32 v[22:23], v[128:129], v[132:133], v[20:21] neg_lo:[0,0,1] neg_hi:[0,0,1]
	v_pk_fma_f32 v[20:21], v[128:129], v[132:133], v[20:21] op_sel_hi:[1,0,1]
	v_pk_add_f32 v[18:19], v[18:19], v[148:149]
	v_mov_b32_e32 v23, v21
	s_waitcnt vmcnt(3) lgkmcnt(3)
	v_pk_mul_f32 v[20:21], v[4:5], v[134:135] op_sel:[1,1] op_sel_hi:[0,1]
	v_pk_add_f32 v[18:19], v[18:19], v[22:23]
	v_pk_fma_f32 v[22:23], v[4:5], v[134:135], v[20:21] neg_lo:[0,0,1] neg_hi:[0,0,1]
	v_pk_fma_f32 v[4:5], v[4:5], v[134:135], v[20:21] op_sel_hi:[1,0,1]
	s_nop 0
	v_mov_b32_e32 v23, v5
	v_pk_add_f32 v[4:5], v[18:19], v[22:23]
	v_mov_b32_e32 v18, v137
	v_pk_mul_f32 v[18:19], v[6:7], v[18:19] op_sel:[1,0] op_sel_hi:[0,0]
	v_pk_fma_f32 v[20:21], v[6:7], v[136:137], v[18:19] neg_lo:[0,0,1] neg_hi:[0,0,1]
	v_pk_fma_f32 v[6:7], v[6:7], v[136:137], v[18:19] op_sel_hi:[1,0,1]
	s_nop 0
	v_mov_b32_e32 v21, v7
	s_waitcnt vmcnt(2) lgkmcnt(2)
	v_pk_mul_f32 v[6:7], v[8:9], v[138:139] op_sel:[1,1] op_sel_hi:[0,1]
	v_pk_fma_f32 v[18:19], v[8:9], v[138:139], v[6:7] neg_lo:[0,0,1] neg_hi:[0,0,1]
	v_pk_fma_f32 v[6:7], v[8:9], v[138:139], v[6:7] op_sel_hi:[1,0,1]
	v_pk_add_f32 v[4:5], v[4:5], v[20:21]
	v_mov_b32_e32 v6, v141
	v_mov_b32_e32 v19, v7
	v_pk_mul_f32 v[6:7], v[10:11], v[6:7] op_sel:[1,0] op_sel_hi:[0,0]
	v_pk_fma_f32 v[8:9], v[10:11], v[140:141], v[6:7] neg_lo:[0,0,1] neg_hi:[0,0,1]
	v_pk_fma_f32 v[6:7], v[10:11], v[140:141], v[6:7] op_sel_hi:[1,0,1]
	v_pk_add_f32 v[4:5], v[4:5], v[18:19]
	v_mov_b32_e32 v9, v7
	s_waitcnt vmcnt(1) lgkmcnt(1)
	v_pk_mul_f32 v[6:7], v[12:13], v[142:143] op_sel:[1,1] op_sel_hi:[0,1]
	v_pk_add_f32 v[4:5], v[4:5], v[8:9]
	v_pk_fma_f32 v[8:9], v[12:13], v[142:143], v[6:7] neg_lo:[0,0,1] neg_hi:[0,0,1]
	v_pk_fma_f32 v[6:7], v[12:13], v[142:143], v[6:7] op_sel_hi:[1,0,1]
	s_nop 0
	v_mov_b32_e32 v6, v145
	v_mov_b32_e32 v9, v7
	v_pk_mul_f32 v[6:7], v[14:15], v[6:7] op_sel:[1,0] op_sel_hi:[0,0]
	v_pk_add_f32 v[4:5], v[4:5], v[8:9]
	v_pk_fma_f32 v[8:9], v[14:15], v[144:145], v[6:7] neg_lo:[0,0,1] neg_hi:[0,0,1]
	v_pk_fma_f32 v[6:7], v[14:15], v[144:145], v[6:7] op_sel_hi:[1,0,1]
	s_nop 0
	v_mov_b32_e32 v9, v7
	s_waitcnt vmcnt(0) lgkmcnt(0)
	v_pk_mul_f32 v[6:7], v[16:17], v[150:151] op_sel:[1,1] op_sel_hi:[0,1]
	v_pk_add_f32 v[4:5], v[4:5], v[8:9]
	v_pk_fma_f32 v[8:9], v[16:17], v[150:151], v[6:7] neg_lo:[0,0,1] neg_hi:[0,0,1]
	v_pk_fma_f32 v[6:7], v[16:17], v[150:151], v[6:7] op_sel_hi:[1,0,1]
	s_nop 0
	v_mov_b32_e32 v9, v7
	scratch_load_dwordx2 v[6:7], off, off offset:16
	v_pk_add_f32 v[4:5], v[4:5], v[8:9]
	s_waitcnt vmcnt(0)
	v_pk_add_f32 v[4:5], v[6:7], v[4:5] neg_lo:[0,1] neg_hi:[0,1]
	scratch_store_dwordx2 off, v[4:5], off offset:16
	s_and_saveexec_b64 s[0:1], vcc
	s_cbranch_execz .LBB27_179
; %bb.178:
	scratch_load_dwordx2 v[4:5], off, off offset:8
	v_mov_b32_e32 v3, v2
	scratch_store_dwordx2 off, v[2:3], off offset:8
	s_waitcnt vmcnt(1)
	ds_write_b64 v1, v[4:5]
.LBB27_179:
	s_or_b64 exec, exec, s[0:1]
	s_waitcnt lgkmcnt(0)
	; wave barrier
	ds_read_b128 v[4:7], v2 offset:240
	ds_read_b128 v[8:11], v2 offset:256
	;; [unrolled: 1-line block ×4, first 2 shown]
	scratch_load_dwordx4 v[20:23], off, off offset:16
	scratch_load_dwordx4 v[98:101], off, off offset:80
	ds_read_b128 v[94:97], v2 offset:304
	ds_read_b128 v[102:105], v2 offset:320
	;; [unrolled: 1-line block ×5, first 2 shown]
	scratch_load_dwordx4 v[130:133], off, off offset:144
	v_cmp_ne_u32_e32 vcc, 0, v0
	scratch_load_dwordx4 v[106:109], off, off offset:96
	scratch_load_dwordx4 v[114:117], off, off offset:112
	;; [unrolled: 1-line block ×3, first 2 shown]
	s_waitcnt vmcnt(5) lgkmcnt(8)
	v_mul_f32_e32 v3, v4, v21
	v_fmac_f32_e32 v3, v5, v20
	v_mul_f32_e32 v24, v6, v23
	v_add_f32_e32 v3, 0, v3
	v_fmac_f32_e32 v24, v7, v22
	v_add_f32_e32 v3, v3, v24
	scratch_load_dwordx4 v[24:27], off, off offset:32
	s_waitcnt vmcnt(4) lgkmcnt(0)
	v_mul_f32_e32 v151, v126, v131
	v_fmac_f32_e32 v151, v127, v130
	v_mul_f32_e32 v153, v128, v133
	v_fmac_f32_e32 v153, v129, v132
	s_waitcnt vmcnt(0)
	v_mul_f32_e32 v28, v8, v25
	v_fmac_f32_e32 v28, v9, v24
	v_add_f32_e32 v3, v3, v28
	v_mul_f32_e32 v28, v10, v27
	v_fmac_f32_e32 v28, v11, v26
	v_add_f32_e32 v3, v3, v28
	scratch_load_dwordx4 v[28:31], off, off offset:48
	s_waitcnt vmcnt(0)
	v_mul_f32_e32 v32, v12, v29
	v_fmac_f32_e32 v32, v13, v28
	v_add_f32_e32 v3, v3, v32
	v_mul_f32_e32 v32, v14, v31
	v_fmac_f32_e32 v32, v15, v30
	v_add_f32_e32 v3, v3, v32
	scratch_load_dwordx4 v[32:35], off, off offset:64
	scratch_load_dwordx4 v[134:137], off, off offset:160
	;; [unrolled: 1-line block ×5, first 2 shown]
	s_waitcnt vmcnt(4)
	v_mul_f32_e32 v36, v16, v33
	v_fmac_f32_e32 v36, v17, v32
	v_add_f32_e32 v3, v3, v36
	v_mul_f32_e32 v36, v18, v35
	v_fmac_f32_e32 v36, v19, v34
	v_add_f32_e32 v3, v3, v36
	;; [unrolled: 3-line block ×10, first 2 shown]
	v_mul_f32_e32 v3, v5, v21
	v_fma_f32 v3, v4, v20, -v3
	v_mul_f32_e32 v4, v7, v23
	v_add_f32_e32 v3, 0, v3
	v_fma_f32 v4, v6, v22, -v4
	v_add_f32_e32 v3, v3, v4
	v_mul_f32_e32 v4, v9, v25
	v_fma_f32 v4, v8, v24, -v4
	v_add_f32_e32 v3, v3, v4
	v_mul_f32_e32 v4, v11, v27
	;; [unrolled: 3-line block ×14, first 2 shown]
	v_fma_f32 v4, v120, v124, -v4
	v_add_f32_e32 v36, v3, v4
	ds_read_b128 v[4:7], v2 offset:384
	ds_read_b128 v[8:11], v2 offset:400
	;; [unrolled: 1-line block ×4, first 2 shown]
	v_mul_f32_e32 v3, v127, v131
	s_waitcnt vmcnt(3) lgkmcnt(3)
	v_pk_mul_f32 v[20:21], v[4:5], v[134:135] op_sel:[1,1] op_sel_hi:[0,1]
	v_pk_fma_f32 v[22:23], v[4:5], v[134:135], v[20:21] neg_lo:[0,0,1] neg_hi:[0,0,1]
	v_pk_fma_f32 v[4:5], v[4:5], v[134:135], v[20:21] op_sel_hi:[1,0,1]
	v_fma_f32 v150, v126, v130, -v3
	v_mov_b32_e32 v4, v137
	v_mov_b32_e32 v23, v5
	v_pk_mul_f32 v[4:5], v[6:7], v[4:5] op_sel:[1,0] op_sel_hi:[0,0]
	v_mul_f32_e32 v3, v129, v133
	v_pk_fma_f32 v[20:21], v[6:7], v[136:137], v[4:5] neg_lo:[0,0,1] neg_hi:[0,0,1]
	v_pk_fma_f32 v[4:5], v[6:7], v[136:137], v[4:5] op_sel_hi:[1,0,1]
	v_fma_f32 v152, v128, v132, -v3
	v_pk_add_f32 v[2:3], v[36:37], v[150:151]
	v_mov_b32_e32 v21, v5
	s_waitcnt vmcnt(2) lgkmcnt(2)
	v_pk_mul_f32 v[4:5], v[8:9], v[138:139] op_sel:[1,1] op_sel_hi:[0,1]
	v_pk_add_f32 v[2:3], v[2:3], v[152:153]
	v_pk_fma_f32 v[6:7], v[8:9], v[138:139], v[4:5] neg_lo:[0,0,1] neg_hi:[0,0,1]
	v_pk_fma_f32 v[4:5], v[8:9], v[138:139], v[4:5] op_sel_hi:[1,0,1]
	v_pk_add_f32 v[2:3], v[2:3], v[22:23]
	v_mov_b32_e32 v4, v141
	v_pk_add_f32 v[2:3], v[2:3], v[20:21]
	v_mov_b32_e32 v7, v5
	v_pk_mul_f32 v[4:5], v[10:11], v[4:5] op_sel:[1,0] op_sel_hi:[0,0]
	v_pk_add_f32 v[2:3], v[2:3], v[6:7]
	v_pk_fma_f32 v[6:7], v[10:11], v[140:141], v[4:5] neg_lo:[0,0,1] neg_hi:[0,0,1]
	v_pk_fma_f32 v[4:5], v[10:11], v[140:141], v[4:5] op_sel_hi:[1,0,1]
	s_nop 0
	v_mov_b32_e32 v7, v5
	s_waitcnt vmcnt(1) lgkmcnt(1)
	v_pk_mul_f32 v[4:5], v[12:13], v[142:143] op_sel:[1,1] op_sel_hi:[0,1]
	v_pk_add_f32 v[2:3], v[2:3], v[6:7]
	v_pk_fma_f32 v[6:7], v[12:13], v[142:143], v[4:5] neg_lo:[0,0,1] neg_hi:[0,0,1]
	v_pk_fma_f32 v[4:5], v[12:13], v[142:143], v[4:5] op_sel_hi:[1,0,1]
	s_nop 0
	v_mov_b32_e32 v4, v145
	v_mov_b32_e32 v7, v5
	v_pk_mul_f32 v[4:5], v[14:15], v[4:5] op_sel:[1,0] op_sel_hi:[0,0]
	v_pk_add_f32 v[2:3], v[2:3], v[6:7]
	v_pk_fma_f32 v[6:7], v[14:15], v[144:145], v[4:5] neg_lo:[0,0,1] neg_hi:[0,0,1]
	v_pk_fma_f32 v[4:5], v[14:15], v[144:145], v[4:5] op_sel_hi:[1,0,1]
	s_nop 0
	v_mov_b32_e32 v7, v5
	s_waitcnt vmcnt(0) lgkmcnt(0)
	v_pk_mul_f32 v[4:5], v[16:17], v[146:147] op_sel:[1,1] op_sel_hi:[0,1]
	v_pk_add_f32 v[2:3], v[2:3], v[6:7]
	v_pk_fma_f32 v[6:7], v[16:17], v[146:147], v[4:5] neg_lo:[0,0,1] neg_hi:[0,0,1]
	v_pk_fma_f32 v[4:5], v[16:17], v[146:147], v[4:5] op_sel_hi:[1,0,1]
	s_nop 0
	v_mov_b32_e32 v4, v149
	v_mov_b32_e32 v7, v5
	v_pk_mul_f32 v[4:5], v[18:19], v[4:5] op_sel:[1,0] op_sel_hi:[0,0]
	v_pk_add_f32 v[2:3], v[2:3], v[6:7]
	v_pk_fma_f32 v[6:7], v[18:19], v[148:149], v[4:5] neg_lo:[0,0,1] neg_hi:[0,0,1]
	v_pk_fma_f32 v[4:5], v[18:19], v[148:149], v[4:5] op_sel_hi:[1,0,1]
	s_nop 0
	v_mov_b32_e32 v7, v5
	scratch_load_dwordx2 v[4:5], off, off offset:8
	v_pk_add_f32 v[2:3], v[2:3], v[6:7]
	s_waitcnt vmcnt(0)
	v_pk_add_f32 v[2:3], v[4:5], v[2:3] neg_lo:[0,1] neg_hi:[0,1]
	scratch_store_dwordx2 off, v[2:3], off offset:8
	s_and_saveexec_b64 s[0:1], vcc
	s_cbranch_execz .LBB27_181
; %bb.180:
	scratch_load_dwordx2 v[2:3], off, off
	v_mov_b32_e32 v4, 0
	v_mov_b32_e32 v5, v4
	scratch_store_dwordx2 off, v[4:5], off
	s_waitcnt vmcnt(1)
	ds_write_b64 v1, v[2:3]
.LBB27_181:
	s_or_b64 exec, exec, s[0:1]
	s_waitcnt lgkmcnt(0)
	; wave barrier
	scratch_load_dwordx4 v[8:11], off, off offset:8
	scratch_load_dwordx4 v[16:19], off, off offset:24
	scratch_load_dwordx4 v[24:27], off, off offset:40
	scratch_load_dwordx4 v[32:35], off, off offset:56
	scratch_load_dwordx4 v[98:101], off, off offset:72
	scratch_load_dwordx4 v[106:109], off, off offset:88
	scratch_load_dwordx4 v[114:117], off, off offset:104
	scratch_load_dwordx4 v[122:125], off, off offset:120
	scratch_load_dwordx4 v[130:133], off, off offset:136
	scratch_load_dwordx4 v[138:141], off, off offset:152
	v_mov_b32_e32 v2, 0
	ds_read2_b64 v[4:7], v2 offset0:29 offset1:30
	ds_read2_b64 v[12:15], v2 offset0:31 offset1:32
	ds_read2_b64 v[20:23], v2 offset0:33 offset1:34
	ds_read2_b64 v[28:31], v2 offset0:35 offset1:36
	ds_read2_b64 v[94:97], v2 offset0:37 offset1:38
	ds_read2_b64 v[102:105], v2 offset0:39 offset1:40
	ds_read2_b64 v[110:113], v2 offset0:41 offset1:42
	ds_read2_b64 v[118:121], v2 offset0:43 offset1:44
	ds_read2_b64 v[126:129], v2 offset0:45 offset1:46
	ds_read2_b64 v[134:137], v2 offset0:47 offset1:48
	scratch_load_dwordx4 v[142:145], off, off offset:168
	scratch_load_dwordx4 v[146:149], off, off offset:184
	;; [unrolled: 1-line block ×3, first 2 shown]
	scratch_load_dwordx2 v[156:157], off, off offset:216
	s_and_b64 vcc, exec, s[18:19]
	s_waitcnt vmcnt(13) lgkmcnt(9)
	v_mul_f32_e32 v0, v4, v9
	v_fmac_f32_e32 v0, v5, v8
	v_mul_f32_e32 v1, v6, v11
	v_add_f32_e32 v0, 0, v0
	v_fmac_f32_e32 v1, v7, v10
	v_add_f32_e32 v0, v0, v1
	s_waitcnt vmcnt(12) lgkmcnt(8)
	v_mul_f32_e32 v1, v12, v17
	v_fmac_f32_e32 v1, v13, v16
	v_add_f32_e32 v0, v0, v1
	v_mul_f32_e32 v1, v14, v19
	v_fmac_f32_e32 v1, v15, v18
	v_add_f32_e32 v0, v0, v1
	s_waitcnt vmcnt(11) lgkmcnt(7)
	v_mul_f32_e32 v1, v20, v25
	v_fmac_f32_e32 v1, v21, v24
	v_add_f32_e32 v0, v0, v1
	v_mul_f32_e32 v1, v22, v27
	;; [unrolled: 7-line block ×8, first 2 shown]
	v_fma_f32 v0, v4, v8, -v0
	v_mul_f32_e32 v3, v7, v11
	v_add_f32_e32 v0, 0, v0
	v_fma_f32 v3, v6, v10, -v3
	v_add_f32_e32 v0, v0, v3
	v_mul_f32_e32 v3, v13, v17
	v_fma_f32 v3, v12, v16, -v3
	v_add_f32_e32 v0, v0, v3
	v_mul_f32_e32 v3, v15, v19
	v_fma_f32 v3, v14, v18, -v3
	v_add_f32_e32 v0, v0, v3
	v_mul_f32_e32 v3, v21, v25
	v_fma_f32 v3, v20, v24, -v3
	v_add_f32_e32 v0, v0, v3
	v_mul_f32_e32 v3, v23, v27
	v_fma_f32 v3, v22, v26, -v3
	v_add_f32_e32 v0, v0, v3
	v_mul_f32_e32 v3, v29, v33
	v_fma_f32 v3, v28, v32, -v3
	v_add_f32_e32 v0, v0, v3
	v_mul_f32_e32 v3, v31, v35
	v_fma_f32 v3, v30, v34, -v3
	v_add_f32_e32 v0, v0, v3
	v_mul_f32_e32 v3, v95, v99
	v_fma_f32 v3, v94, v98, -v3
	v_add_f32_e32 v0, v0, v3
	v_mul_f32_e32 v3, v97, v101
	v_fma_f32 v3, v96, v100, -v3
	v_add_f32_e32 v0, v0, v3
	v_mul_f32_e32 v3, v103, v107
	v_fma_f32 v3, v102, v106, -v3
	v_add_f32_e32 v0, v0, v3
	v_mul_f32_e32 v3, v105, v109
	v_fma_f32 v3, v104, v108, -v3
	v_add_f32_e32 v0, v0, v3
	v_mul_f32_e32 v3, v111, v115
	v_fma_f32 v3, v110, v114, -v3
	v_add_f32_e32 v0, v0, v3
	v_mul_f32_e32 v3, v113, v117
	v_fma_f32 v3, v112, v116, -v3
	v_add_f32_e32 v0, v0, v3
	v_mul_f32_e32 v3, v119, v123
	v_fma_f32 v3, v118, v122, -v3
	v_add_f32_e32 v0, v0, v3
	v_mul_f32_e32 v3, v121, v125
	v_fma_f32 v3, v120, v124, -v3
	v_add_f32_e32 v0, v0, v3
	v_mul_f32_e32 v3, v127, v131
	v_fma_f32 v3, v126, v130, -v3
	v_mul_f32_e32 v37, v128, v133
	v_add_f32_e32 v0, v0, v3
	v_mul_f32_e32 v3, v129, v133
	s_waitcnt vmcnt(4)
	v_mov_b32_e32 v18, v141
	v_fmac_f32_e32 v37, v129, v132
	s_waitcnt lgkmcnt(0)
	v_mul_f32_e32 v155, v134, v139
	v_fma_f32 v36, v128, v132, -v3
	v_mul_f32_e32 v3, v135, v139
	ds_read2_b64 v[4:7], v2 offset0:49 offset1:50
	ds_read2_b64 v[8:11], v2 offset0:51 offset1:52
	;; [unrolled: 1-line block ×3, first 2 shown]
	ds_read_b64 v[16:17], v2 offset:440
	v_pk_mul_f32 v[18:19], v[136:137], v[18:19] op_sel:[1,0] op_sel_hi:[0,0]
	v_fmac_f32_e32 v155, v135, v138
	v_fma_f32 v154, v134, v138, -v3
	v_pk_add_f32 v[0:1], v[0:1], v[36:37]
	v_pk_fma_f32 v[20:21], v[136:137], v[140:141], v[18:19] neg_lo:[0,0,1] neg_hi:[0,0,1]
	v_pk_fma_f32 v[18:19], v[136:137], v[140:141], v[18:19] op_sel_hi:[1,0,1]
	v_pk_add_f32 v[0:1], v[0:1], v[154:155]
	v_mov_b32_e32 v21, v19
	s_waitcnt vmcnt(3) lgkmcnt(3)
	v_pk_mul_f32 v[18:19], v[4:5], v[142:143] op_sel:[1,1] op_sel_hi:[0,1]
	v_pk_add_f32 v[0:1], v[0:1], v[20:21]
	v_pk_fma_f32 v[20:21], v[4:5], v[142:143], v[18:19] neg_lo:[0,0,1] neg_hi:[0,0,1]
	v_pk_fma_f32 v[4:5], v[4:5], v[142:143], v[18:19] op_sel_hi:[1,0,1]
	s_nop 0
	v_mov_b32_e32 v4, v145
	v_mov_b32_e32 v21, v5
	v_pk_mul_f32 v[4:5], v[6:7], v[4:5] op_sel:[1,0] op_sel_hi:[0,0]
	v_pk_fma_f32 v[18:19], v[6:7], v[144:145], v[4:5] neg_lo:[0,0,1] neg_hi:[0,0,1]
	v_pk_fma_f32 v[4:5], v[6:7], v[144:145], v[4:5] op_sel_hi:[1,0,1]
	v_pk_add_f32 v[0:1], v[0:1], v[20:21]
	v_mov_b32_e32 v19, v5
	s_waitcnt vmcnt(2) lgkmcnt(2)
	v_pk_mul_f32 v[4:5], v[8:9], v[146:147] op_sel:[1,1] op_sel_hi:[0,1]
	v_pk_fma_f32 v[6:7], v[8:9], v[146:147], v[4:5] neg_lo:[0,0,1] neg_hi:[0,0,1]
	v_pk_fma_f32 v[4:5], v[8:9], v[146:147], v[4:5] op_sel_hi:[1,0,1]
	v_pk_add_f32 v[0:1], v[0:1], v[18:19]
	v_mov_b32_e32 v4, v149
	v_mov_b32_e32 v7, v5
	v_pk_mul_f32 v[4:5], v[10:11], v[4:5] op_sel:[1,0] op_sel_hi:[0,0]
	v_pk_add_f32 v[0:1], v[0:1], v[6:7]
	v_pk_fma_f32 v[6:7], v[10:11], v[148:149], v[4:5] neg_lo:[0,0,1] neg_hi:[0,0,1]
	v_pk_fma_f32 v[4:5], v[10:11], v[148:149], v[4:5] op_sel_hi:[1,0,1]
	s_nop 0
	v_mov_b32_e32 v7, v5
	s_waitcnt vmcnt(1) lgkmcnt(1)
	v_pk_mul_f32 v[4:5], v[12:13], v[150:151] op_sel:[1,1] op_sel_hi:[0,1]
	v_pk_add_f32 v[0:1], v[0:1], v[6:7]
	v_pk_fma_f32 v[6:7], v[12:13], v[150:151], v[4:5] neg_lo:[0,0,1] neg_hi:[0,0,1]
	v_pk_fma_f32 v[4:5], v[12:13], v[150:151], v[4:5] op_sel_hi:[1,0,1]
	s_nop 0
	v_mov_b32_e32 v4, v153
	v_mov_b32_e32 v7, v5
	v_pk_mul_f32 v[4:5], v[14:15], v[4:5] op_sel:[1,0] op_sel_hi:[0,0]
	v_pk_add_f32 v[0:1], v[0:1], v[6:7]
	v_pk_fma_f32 v[6:7], v[14:15], v[152:153], v[4:5] neg_lo:[0,0,1] neg_hi:[0,0,1]
	v_pk_fma_f32 v[4:5], v[14:15], v[152:153], v[4:5] op_sel_hi:[1,0,1]
	s_nop 0
	v_mov_b32_e32 v7, v5
	s_waitcnt vmcnt(0) lgkmcnt(0)
	v_pk_mul_f32 v[4:5], v[16:17], v[156:157] op_sel:[1,1] op_sel_hi:[0,1]
	v_pk_add_f32 v[0:1], v[0:1], v[6:7]
	v_pk_fma_f32 v[6:7], v[16:17], v[156:157], v[4:5] neg_lo:[0,0,1] neg_hi:[0,0,1]
	v_pk_fma_f32 v[4:5], v[16:17], v[156:157], v[4:5] op_sel_hi:[1,0,1]
	s_nop 0
	v_mov_b32_e32 v7, v5
	scratch_load_dwordx2 v[4:5], off, off
	v_pk_add_f32 v[0:1], v[0:1], v[6:7]
	s_waitcnt vmcnt(0)
	v_pk_add_f32 v[0:1], v[4:5], v[0:1] neg_lo:[0,1] neg_hi:[0,1]
	scratch_store_dwordx2 off, v[0:1], off
	s_cbranch_vccz .LBB27_236
; %bb.182:
	global_load_dword v0, v2, s[16:17] offset:104
	s_waitcnt vmcnt(0)
	v_readfirstlane_b32 s0, v0
	s_add_i32 s0, s0, -1
	s_cmp_lg_u32 s0, 26
	s_cbranch_scc0 .LBB27_184
; %bb.183:
	s_lshl_b32 s0, s0, 3
	s_nop 0
	scratch_load_dwordx2 v[0:1], off, s0
	scratch_load_dwordx2 v[2:3], off, off offset:208
	s_waitcnt vmcnt(1)
	scratch_store_dwordx2 off, v[0:1], off offset:208
	s_waitcnt vmcnt(1)
	scratch_store_dwordx2 off, v[2:3], s0
.LBB27_184:
	v_mov_b32_e32 v0, 0
	global_load_dword v1, v0, s[16:17] offset:100
	s_waitcnt vmcnt(0)
	v_readfirstlane_b32 s0, v1
	s_add_i32 s0, s0, -1
	s_cmp_eq_u32 s0, 25
	s_cbranch_scc1 .LBB27_186
; %bb.185:
	s_lshl_b32 s0, s0, 3
	s_nop 0
	scratch_load_dwordx2 v[2:3], off, s0
	scratch_load_dwordx2 v[4:5], off, off offset:200
	s_waitcnt vmcnt(1)
	scratch_store_dwordx2 off, v[2:3], off offset:200
	s_waitcnt vmcnt(1)
	scratch_store_dwordx2 off, v[4:5], s0
.LBB27_186:
	global_load_dword v0, v0, s[16:17] offset:96
	s_waitcnt vmcnt(0)
	v_readfirstlane_b32 s0, v0
	s_add_i32 s0, s0, -1
	s_cmp_eq_u32 s0, 24
	s_cbranch_scc1 .LBB27_188
; %bb.187:
	s_lshl_b32 s0, s0, 3
	s_nop 0
	scratch_load_dwordx2 v[0:1], off, s0
	scratch_load_dwordx2 v[2:3], off, off offset:192
	s_waitcnt vmcnt(1)
	scratch_store_dwordx2 off, v[0:1], off offset:192
	s_waitcnt vmcnt(1)
	scratch_store_dwordx2 off, v[2:3], s0
.LBB27_188:
	v_mov_b32_e32 v0, 0
	global_load_dword v1, v0, s[16:17] offset:92
	s_waitcnt vmcnt(0)
	v_readfirstlane_b32 s0, v1
	s_add_i32 s0, s0, -1
	s_cmp_eq_u32 s0, 23
	s_cbranch_scc1 .LBB27_190
; %bb.189:
	s_lshl_b32 s0, s0, 3
	s_nop 0
	scratch_load_dwordx2 v[2:3], off, s0
	scratch_load_dwordx2 v[4:5], off, off offset:184
	s_waitcnt vmcnt(1)
	scratch_store_dwordx2 off, v[2:3], off offset:184
	s_waitcnt vmcnt(1)
	scratch_store_dwordx2 off, v[4:5], s0
.LBB27_190:
	global_load_dword v0, v0, s[16:17] offset:88
	s_waitcnt vmcnt(0)
	v_readfirstlane_b32 s0, v0
	s_add_i32 s0, s0, -1
	s_cmp_eq_u32 s0, 22
	s_cbranch_scc1 .LBB27_192
; %bb.191:
	s_lshl_b32 s0, s0, 3
	s_nop 0
	scratch_load_dwordx2 v[0:1], off, s0
	scratch_load_dwordx2 v[2:3], off, off offset:176
	s_waitcnt vmcnt(1)
	scratch_store_dwordx2 off, v[0:1], off offset:176
	s_waitcnt vmcnt(1)
	scratch_store_dwordx2 off, v[2:3], s0
.LBB27_192:
	;; [unrolled: 33-line block ×12, first 2 shown]
	v_mov_b32_e32 v0, 0
	global_load_dword v1, v0, s[16:17] offset:4
	s_waitcnt vmcnt(0)
	v_readfirstlane_b32 s0, v1
	s_add_i32 s0, s0, -1
	s_cmp_eq_u32 s0, 1
	s_cbranch_scc1 .LBB27_234
; %bb.233:
	s_lshl_b32 s0, s0, 3
	s_nop 0
	scratch_load_dwordx2 v[2:3], off, s0
	scratch_load_dwordx2 v[4:5], off, off offset:8
	s_waitcnt vmcnt(1)
	scratch_store_dwordx2 off, v[2:3], off offset:8
	s_waitcnt vmcnt(1)
	scratch_store_dwordx2 off, v[4:5], s0
.LBB27_234:
	global_load_dword v2, v0, s[16:17]
	s_nop 0
	scratch_load_dwordx2 v[0:1], off, off
	s_waitcnt vmcnt(1)
	v_readfirstlane_b32 s0, v2
	s_add_i32 s0, s0, -1
	s_cmp_eq_u32 s0, 0
	s_cbranch_scc1 .LBB27_236
; %bb.235:
	s_lshl_b32 s0, s0, 3
	s_nop 0
	scratch_load_dwordx2 v[2:3], off, s0
	s_waitcnt vmcnt(0)
	scratch_store_dwordx2 off, v[2:3], off
	scratch_store_dwordx2 off, v[0:1], s0
	scratch_load_dwordx2 v[0:1], off, off
.LBB27_236:
	s_nop 0
	scratch_load_dwordx4 v[4:7], off, off offset:8
	scratch_load_dwordx4 v[8:11], off, off offset:24
	;; [unrolled: 1-line block ×13, first 2 shown]
	scratch_load_dwordx2 v[2:3], off, off offset:216
	s_waitcnt vmcnt(14)
	global_store_dwordx2 v[38:39], v[0:1], off
	s_waitcnt vmcnt(14)
	global_store_dwordx2 v[40:41], v[4:5], off
	global_store_dwordx2 v[42:43], v[6:7], off
	s_waitcnt vmcnt(15)
	global_store_dwordx2 v[44:45], v[8:9], off
	;; [unrolled: 3-line block ×14, first 2 shown]
	s_endpgm
	.section	.rodata,"a",@progbits
	.p2align	6, 0x0
	.amdhsa_kernel _ZN9rocsolver6v33100L18getri_kernel_smallILi28E19rocblas_complex_numIfEPS3_EEvT1_iilPiilS6_bb
		.amdhsa_group_segment_fixed_size 452
		.amdhsa_private_segment_fixed_size 240
		.amdhsa_kernarg_size 60
		.amdhsa_user_sgpr_count 2
		.amdhsa_user_sgpr_dispatch_ptr 0
		.amdhsa_user_sgpr_queue_ptr 0
		.amdhsa_user_sgpr_kernarg_segment_ptr 1
		.amdhsa_user_sgpr_dispatch_id 0
		.amdhsa_user_sgpr_kernarg_preload_length 0
		.amdhsa_user_sgpr_kernarg_preload_offset 0
		.amdhsa_user_sgpr_private_segment_size 0
		.amdhsa_uses_dynamic_stack 0
		.amdhsa_enable_private_segment 1
		.amdhsa_system_sgpr_workgroup_id_x 1
		.amdhsa_system_sgpr_workgroup_id_y 0
		.amdhsa_system_sgpr_workgroup_id_z 0
		.amdhsa_system_sgpr_workgroup_info 0
		.amdhsa_system_vgpr_workitem_id 0
		.amdhsa_next_free_vgpr 158
		.amdhsa_next_free_sgpr 20
		.amdhsa_accum_offset 160
		.amdhsa_reserve_vcc 1
		.amdhsa_float_round_mode_32 0
		.amdhsa_float_round_mode_16_64 0
		.amdhsa_float_denorm_mode_32 3
		.amdhsa_float_denorm_mode_16_64 3
		.amdhsa_dx10_clamp 1
		.amdhsa_ieee_mode 1
		.amdhsa_fp16_overflow 0
		.amdhsa_tg_split 0
		.amdhsa_exception_fp_ieee_invalid_op 0
		.amdhsa_exception_fp_denorm_src 0
		.amdhsa_exception_fp_ieee_div_zero 0
		.amdhsa_exception_fp_ieee_overflow 0
		.amdhsa_exception_fp_ieee_underflow 0
		.amdhsa_exception_fp_ieee_inexact 0
		.amdhsa_exception_int_div_zero 0
	.end_amdhsa_kernel
	.section	.text._ZN9rocsolver6v33100L18getri_kernel_smallILi28E19rocblas_complex_numIfEPS3_EEvT1_iilPiilS6_bb,"axG",@progbits,_ZN9rocsolver6v33100L18getri_kernel_smallILi28E19rocblas_complex_numIfEPS3_EEvT1_iilPiilS6_bb,comdat
.Lfunc_end27:
	.size	_ZN9rocsolver6v33100L18getri_kernel_smallILi28E19rocblas_complex_numIfEPS3_EEvT1_iilPiilS6_bb, .Lfunc_end27-_ZN9rocsolver6v33100L18getri_kernel_smallILi28E19rocblas_complex_numIfEPS3_EEvT1_iilPiilS6_bb
                                        ; -- End function
	.set _ZN9rocsolver6v33100L18getri_kernel_smallILi28E19rocblas_complex_numIfEPS3_EEvT1_iilPiilS6_bb.num_vgpr, 158
	.set _ZN9rocsolver6v33100L18getri_kernel_smallILi28E19rocblas_complex_numIfEPS3_EEvT1_iilPiilS6_bb.num_agpr, 0
	.set _ZN9rocsolver6v33100L18getri_kernel_smallILi28E19rocblas_complex_numIfEPS3_EEvT1_iilPiilS6_bb.numbered_sgpr, 20
	.set _ZN9rocsolver6v33100L18getri_kernel_smallILi28E19rocblas_complex_numIfEPS3_EEvT1_iilPiilS6_bb.num_named_barrier, 0
	.set _ZN9rocsolver6v33100L18getri_kernel_smallILi28E19rocblas_complex_numIfEPS3_EEvT1_iilPiilS6_bb.private_seg_size, 240
	.set _ZN9rocsolver6v33100L18getri_kernel_smallILi28E19rocblas_complex_numIfEPS3_EEvT1_iilPiilS6_bb.uses_vcc, 1
	.set _ZN9rocsolver6v33100L18getri_kernel_smallILi28E19rocblas_complex_numIfEPS3_EEvT1_iilPiilS6_bb.uses_flat_scratch, 0
	.set _ZN9rocsolver6v33100L18getri_kernel_smallILi28E19rocblas_complex_numIfEPS3_EEvT1_iilPiilS6_bb.has_dyn_sized_stack, 0
	.set _ZN9rocsolver6v33100L18getri_kernel_smallILi28E19rocblas_complex_numIfEPS3_EEvT1_iilPiilS6_bb.has_recursion, 0
	.set _ZN9rocsolver6v33100L18getri_kernel_smallILi28E19rocblas_complex_numIfEPS3_EEvT1_iilPiilS6_bb.has_indirect_call, 0
	.section	.AMDGPU.csdata,"",@progbits
; Kernel info:
; codeLenInByte = 28984
; TotalNumSgprs: 26
; NumVgprs: 158
; NumAgprs: 0
; TotalNumVgprs: 158
; ScratchSize: 240
; MemoryBound: 0
; FloatMode: 240
; IeeeMode: 1
; LDSByteSize: 452 bytes/workgroup (compile time only)
; SGPRBlocks: 3
; VGPRBlocks: 19
; NumSGPRsForWavesPerEU: 26
; NumVGPRsForWavesPerEU: 158
; AccumOffset: 160
; Occupancy: 3
; WaveLimiterHint : 1
; COMPUTE_PGM_RSRC2:SCRATCH_EN: 1
; COMPUTE_PGM_RSRC2:USER_SGPR: 2
; COMPUTE_PGM_RSRC2:TRAP_HANDLER: 0
; COMPUTE_PGM_RSRC2:TGID_X_EN: 1
; COMPUTE_PGM_RSRC2:TGID_Y_EN: 0
; COMPUTE_PGM_RSRC2:TGID_Z_EN: 0
; COMPUTE_PGM_RSRC2:TIDIG_COMP_CNT: 0
; COMPUTE_PGM_RSRC3_GFX90A:ACCUM_OFFSET: 39
; COMPUTE_PGM_RSRC3_GFX90A:TG_SPLIT: 0
	.section	.text._ZN9rocsolver6v33100L18getri_kernel_smallILi29E19rocblas_complex_numIfEPS3_EEvT1_iilPiilS6_bb,"axG",@progbits,_ZN9rocsolver6v33100L18getri_kernel_smallILi29E19rocblas_complex_numIfEPS3_EEvT1_iilPiilS6_bb,comdat
	.globl	_ZN9rocsolver6v33100L18getri_kernel_smallILi29E19rocblas_complex_numIfEPS3_EEvT1_iilPiilS6_bb ; -- Begin function _ZN9rocsolver6v33100L18getri_kernel_smallILi29E19rocblas_complex_numIfEPS3_EEvT1_iilPiilS6_bb
	.p2align	8
	.type	_ZN9rocsolver6v33100L18getri_kernel_smallILi29E19rocblas_complex_numIfEPS3_EEvT1_iilPiilS6_bb,@function
_ZN9rocsolver6v33100L18getri_kernel_smallILi29E19rocblas_complex_numIfEPS3_EEvT1_iilPiilS6_bb: ; @_ZN9rocsolver6v33100L18getri_kernel_smallILi29E19rocblas_complex_numIfEPS3_EEvT1_iilPiilS6_bb
; %bb.0:
	v_cmp_gt_u32_e32 vcc, 29, v0
	s_and_saveexec_b64 s[4:5], vcc
	s_cbranch_execz .LBB28_130
; %bb.1:
	s_load_dword s8, s[0:1], 0x38
	s_load_dwordx4 s[12:15], s[0:1], 0x10
	s_load_dwordx4 s[4:7], s[0:1], 0x28
                                        ; implicit-def: $sgpr16_sgpr17
	s_waitcnt lgkmcnt(0)
	s_bitcmp1_b32 s8, 8
	s_cselect_b64 s[18:19], -1, 0
	s_ashr_i32 s3, s2, 31
	s_bfe_u32 s8, s8, 0x10008
	s_cmp_eq_u32 s8, 0
	s_cbranch_scc1 .LBB28_3
; %bb.2:
	s_load_dword s8, s[0:1], 0x20
	s_mul_i32 s9, s4, s3
	s_mul_hi_u32 s10, s4, s2
	s_mul_i32 s5, s5, s2
	s_add_i32 s10, s10, s9
	s_add_i32 s5, s10, s5
	s_mul_i32 s4, s4, s2
	s_waitcnt lgkmcnt(0)
	s_ashr_i32 s9, s8, 31
	s_lshl_b64 s[4:5], s[4:5], 2
	s_add_u32 s10, s14, s4
	s_addc_u32 s11, s15, s5
	s_lshl_b64 s[4:5], s[8:9], 2
	s_add_u32 s16, s10, s4
	s_addc_u32 s17, s11, s5
.LBB28_3:
	s_load_dwordx4 s[8:11], s[0:1], 0x0
	s_load_dword s4, s[0:1], 0x38
	s_mul_i32 s5, s12, s3
	s_mul_hi_u32 s14, s12, s2
	s_add_i32 s5, s14, s5
	s_waitcnt lgkmcnt(0)
	s_ashr_i32 s1, s10, 31
	s_mov_b32 s0, s10
	s_mul_i32 s10, s13, s2
	s_add_i32 s13, s5, s10
	s_mul_i32 s12, s12, s2
	s_lshl_b64 s[12:13], s[12:13], 3
	s_add_u32 s5, s8, s12
	s_addc_u32 s8, s9, s13
	s_lshl_b64 s[0:1], s[0:1], 3
	s_add_u32 s0, s5, s0
	s_addc_u32 s1, s8, s1
	s_add_i32 s5, s11, s11
	v_add_u32_e32 v4, s5, v0
	v_add_u32_e32 v6, s11, v4
	;; [unrolled: 1-line block ×27, first 2 shown]
	v_ashrrev_i32_e32 v3, 31, v2
	v_lshl_add_u64 v[38:39], v[2:3], 3, s[0:1]
	v_lshlrev_b32_e32 v2, 3, v0
	v_mov_b32_e32 v3, 0
	s_mov_b32 s8, s11
	s_ashr_i32 s9, s11, 31
	v_lshl_add_u64 v[40:41], s[0:1], 0, v[2:3]
	v_ashrrev_i32_e32 v11, 31, v10
	v_ashrrev_i32_e32 v19, 31, v18
	;; [unrolled: 1-line block ×9, first 2 shown]
	v_lshl_add_u64 v[48:49], s[8:9], 3, v[40:41]
	v_lshl_add_u64 v[50:51], v[10:11], 3, s[0:1]
	v_ashrrev_i32_e32 v13, 31, v12
	v_ashrrev_i32_e32 v15, 31, v14
	v_ashrrev_i32_e32 v17, 31, v16
	v_lshl_add_u64 v[58:59], v[18:19], 3, s[0:1]
	v_ashrrev_i32_e32 v21, 31, v20
	v_ashrrev_i32_e32 v23, 31, v22
	v_ashrrev_i32_e32 v25, 31, v24
	v_lshl_add_u64 v[66:67], v[26:27], 3, s[0:1]
	v_ashrrev_i32_e32 v29, 31, v28
	v_ashrrev_i32_e32 v31, 31, v30
	v_ashrrev_i32_e32 v33, 31, v32
	v_lshl_add_u64 v[74:75], v[34:35], 3, s[0:1]
	v_ashrrev_i32_e32 v37, 31, v36
	v_ashrrev_i32_e32 v79, 31, v78
	v_ashrrev_i32_e32 v81, 31, v80
	v_lshl_add_u64 v[82:83], v[82:83], 3, s[0:1]
	v_ashrrev_i32_e32 v85, 31, v84
	v_ashrrev_i32_e32 v87, 31, v86
	v_ashrrev_i32_e32 v89, 31, v88
	v_lshl_add_u64 v[92:93], v[90:91], 3, s[0:1]
	v_ashrrev_i32_e32 v95, 31, v94
	v_ashrrev_i32_e32 v97, 31, v96
	global_load_dwordx2 v[98:99], v[38:39], off
	global_load_dwordx2 v[100:101], v2, s[0:1]
	v_lshl_add_u64 v[42:43], v[4:5], 3, s[0:1]
	v_lshl_add_u64 v[44:45], v[6:7], 3, s[0:1]
	v_lshl_add_u64 v[46:47], v[8:9], 3, s[0:1]
	global_load_dwordx2 v[102:103], v[48:49], off
	global_load_dwordx2 v[4:5], v[42:43], off
	global_load_dwordx2 v[6:7], v[44:45], off
	global_load_dwordx2 v[8:9], v[46:47], off
	v_lshl_add_u64 v[52:53], v[12:13], 3, s[0:1]
	v_lshl_add_u64 v[54:55], v[14:15], 3, s[0:1]
	v_lshl_add_u64 v[56:57], v[16:17], 3, s[0:1]
	global_load_dwordx2 v[10:11], v[50:51], off
	global_load_dwordx2 v[12:13], v[52:53], off
	global_load_dwordx2 v[14:15], v[54:55], off
	global_load_dwordx2 v[16:17], v[56:57], off
	;; [unrolled: 7-line block ×6, first 2 shown]
	v_lshl_add_u64 v[94:95], v[94:95], 3, s[0:1]
	v_lshl_add_u64 v[90:91], v[96:97], 3, s[0:1]
	global_load_dwordx2 v[118:119], v[92:93], off
	global_load_dwordx2 v[120:121], v[94:95], off
	;; [unrolled: 1-line block ×3, first 2 shown]
	s_bitcmp0_b32 s4, 0
	s_mov_b64 s[4:5], -1
	s_waitcnt vmcnt(28)
	scratch_store_dwordx2 off, v[98:99], off offset:224
	s_waitcnt vmcnt(27)
	scratch_store_dwordx4 off, v[100:103], off
	s_waitcnt vmcnt(26)
	scratch_store_dwordx4 off, v[4:7], off offset:16
	s_waitcnt vmcnt(25)
	scratch_store_dwordx4 off, v[8:11], off offset:32
	;; [unrolled: 2-line block ×13, first 2 shown]
	s_cbranch_scc1 .LBB28_128
; %bb.4:
	v_cmp_eq_u32_e64 s[0:1], 0, v0
	s_and_saveexec_b64 s[4:5], s[0:1]
; %bb.5:
	v_mov_b32_e32 v1, 0
	ds_write_b32 v1, v1 offset:232
; %bb.6:
	s_or_b64 exec, exec, s[4:5]
	s_waitcnt lgkmcnt(0)
	; wave barrier
	scratch_load_dwordx2 v[4:5], v2, off
	s_waitcnt vmcnt(0)
	v_cmp_eq_f32_e32 vcc, 0, v4
	v_cmp_eq_f32_e64 s[4:5], 0, v5
	s_and_b64 s[4:5], vcc, s[4:5]
	s_and_saveexec_b64 s[8:9], s[4:5]
	s_cbranch_execz .LBB28_10
; %bb.7:
	v_mov_b32_e32 v1, 0
	ds_read_b32 v4, v1 offset:232
	v_add_u32_e32 v3, 1, v0
	s_waitcnt lgkmcnt(0)
	v_readfirstlane_b32 s4, v4
	s_cmp_eq_u32 s4, 0
	s_cselect_b64 s[10:11], -1, 0
	v_cmp_gt_i32_e32 vcc, s4, v3
	s_or_b64 s[10:11], s[10:11], vcc
	s_and_b64 exec, exec, s[10:11]
	s_cbranch_execz .LBB28_10
; %bb.8:
	s_mov_b64 s[10:11], 0
	v_mov_b32_e32 v4, s4
.LBB28_9:                               ; =>This Inner Loop Header: Depth=1
	ds_cmpst_rtn_b32 v4, v1, v4, v3 offset:232
	s_waitcnt lgkmcnt(0)
	v_cmp_ne_u32_e32 vcc, 0, v4
	v_cmp_le_i32_e64 s[4:5], v4, v3
	s_and_b64 s[4:5], vcc, s[4:5]
	s_and_b64 s[4:5], exec, s[4:5]
	s_or_b64 s[10:11], s[4:5], s[10:11]
	s_andn2_b64 exec, exec, s[10:11]
	s_cbranch_execnz .LBB28_9
.LBB28_10:
	s_or_b64 exec, exec, s[8:9]
	v_mov_b32_e32 v3, 0
	; wave barrier
	ds_read_b32 v1, v3 offset:232
	s_and_saveexec_b64 s[4:5], s[0:1]
	s_cbranch_execz .LBB28_12
; %bb.11:
	s_lshl_b64 s[8:9], s[2:3], 2
	s_add_u32 s8, s6, s8
	s_addc_u32 s9, s7, s9
	s_waitcnt lgkmcnt(0)
	global_store_dword v3, v1, s[8:9]
.LBB28_12:
	s_or_b64 exec, exec, s[4:5]
	s_waitcnt lgkmcnt(0)
	v_cmp_ne_u32_e32 vcc, 0, v1
	s_mov_b64 s[4:5], 0
	s_cbranch_vccnz .LBB28_128
; %bb.13:
	v_mov_b32_e32 v3, v2
	scratch_load_dwordx2 v[4:5], v3, off
                                        ; implicit-def: $vgpr7
                                        ; implicit-def: $vgpr8
	s_waitcnt vmcnt(0)
	v_cmp_ngt_f32_e64 s[4:5], |v4|, |v5|
	s_and_saveexec_b64 s[8:9], s[4:5]
	s_xor_b64 s[4:5], exec, s[8:9]
	s_cbranch_execz .LBB28_15
; %bb.14:
	v_div_scale_f32 v1, s[8:9], v5, v5, v4
	v_rcp_f32_e32 v6, v1
	v_div_scale_f32 v7, vcc, v4, v5, v4
	v_fma_f32 v8, -v1, v6, 1.0
	v_fmac_f32_e32 v6, v8, v6
	v_mul_f32_e32 v8, v7, v6
	v_fma_f32 v9, -v1, v8, v7
	v_fmac_f32_e32 v8, v9, v6
	v_fma_f32 v1, -v1, v8, v7
	v_div_fmas_f32 v1, v1, v6, v8
	v_div_fixup_f32 v1, v1, v5, v4
	v_fmac_f32_e32 v5, v4, v1
	v_div_scale_f32 v4, s[8:9], v5, v5, -1.0
	v_rcp_f32_e32 v6, v4
	s_nop 0
	v_fma_f32 v7, -v4, v6, 1.0
	v_fmac_f32_e32 v6, v7, v6
	v_div_scale_f32 v7, vcc, -1.0, v5, -1.0
	v_mul_f32_e32 v8, v7, v6
	v_fma_f32 v9, -v4, v8, v7
	v_fmac_f32_e32 v8, v9, v6
	v_fma_f32 v4, -v4, v8, v7
	v_div_fmas_f32 v4, v4, v6, v8
	v_div_fixup_f32 v7, v4, v5, -1.0
	v_mul_f32_e32 v8, v1, v7
	v_xor_b32_e32 v6, 0x80000000, v8
                                        ; implicit-def: $vgpr4_vgpr5
.LBB28_15:
	s_andn2_saveexec_b64 s[4:5], s[4:5]
	s_cbranch_execz .LBB28_17
; %bb.16:
	v_div_scale_f32 v1, s[8:9], v4, v4, v5
	v_rcp_f32_e32 v6, v1
	v_div_scale_f32 v7, vcc, v5, v4, v5
	v_fma_f32 v8, -v1, v6, 1.0
	v_fmac_f32_e32 v6, v8, v6
	v_mul_f32_e32 v8, v7, v6
	v_fma_f32 v9, -v1, v8, v7
	v_fmac_f32_e32 v8, v9, v6
	v_fma_f32 v1, -v1, v8, v7
	v_div_fmas_f32 v1, v1, v6, v8
	v_div_fixup_f32 v1, v1, v4, v5
	v_fmac_f32_e32 v4, v5, v1
	v_div_scale_f32 v5, s[8:9], v4, v4, 1.0
	v_rcp_f32_e32 v6, v5
	s_nop 0
	v_fma_f32 v7, -v5, v6, 1.0
	v_fmac_f32_e32 v6, v7, v6
	v_div_scale_f32 v7, vcc, 1.0, v4, 1.0
	v_mul_f32_e32 v8, v7, v6
	v_fma_f32 v9, -v5, v8, v7
	v_fmac_f32_e32 v8, v9, v6
	v_fma_f32 v5, -v5, v8, v7
	v_div_fmas_f32 v5, v5, v6, v8
	v_div_fixup_f32 v6, v5, v4, 1.0
	v_xor_b32_e32 v8, 0x80000000, v6
	v_mul_f32_e64 v7, v1, -v6
.LBB28_17:
	s_or_b64 exec, exec, s[4:5]
	scratch_store_dwordx2 v3, v[6:7], off
	scratch_load_dwordx2 v[4:5], off, off offset:8
	v_xor_b32_e32 v9, 0x80000000, v7
	v_add_u32_e32 v1, 0xf0, v2
	s_waitcnt vmcnt(0)
	ds_write2_b64 v2, v[8:9], v[4:5] offset1:30
	s_waitcnt lgkmcnt(0)
	; wave barrier
	s_and_saveexec_b64 s[4:5], s[0:1]
	s_cbranch_execz .LBB28_19
; %bb.18:
	scratch_load_dwordx2 v[4:5], v3, off
	ds_read_b64 v[6:7], v1
	v_mov_b32_e32 v8, 0
	ds_read_b64 v[8:9], v8 offset:8
	s_waitcnt vmcnt(0) lgkmcnt(1)
	v_pk_mul_f32 v[10:11], v[6:7], v[4:5] op_sel:[1,1] op_sel_hi:[0,1]
	v_pk_fma_f32 v[12:13], v[6:7], v[4:5], v[10:11] neg_lo:[0,0,1] neg_hi:[0,0,1]
	v_pk_fma_f32 v[4:5], v[6:7], v[4:5], v[10:11] op_sel_hi:[1,0,1]
	s_nop 0
	v_mov_b32_e32 v13, v5
	v_pk_add_f32 v[4:5], v[12:13], 0 op_sel_hi:[1,0]
	s_waitcnt lgkmcnt(0)
	v_pk_mul_f32 v[6:7], v[4:5], v[8:9] op_sel:[1,1] op_sel_hi:[0,1]
	v_pk_fma_f32 v[10:11], v[4:5], v[8:9], v[6:7] neg_lo:[0,0,1] neg_hi:[0,0,1]
	v_pk_fma_f32 v[4:5], v[4:5], v[8:9], v[6:7] op_sel_hi:[1,0,1]
	s_nop 0
	v_mov_b32_e32 v11, v5
	scratch_store_dwordx2 off, v[10:11], off offset:8
.LBB28_19:
	s_or_b64 exec, exec, s[4:5]
	; wave barrier
	scratch_load_dwordx2 v[4:5], off, off offset:16
	v_cmp_gt_u32_e32 vcc, 2, v0
	s_waitcnt vmcnt(0)
	ds_write_b64 v1, v[4:5]
	s_waitcnt lgkmcnt(0)
	; wave barrier
	s_and_saveexec_b64 s[4:5], vcc
	s_cbranch_execz .LBB28_23
; %bb.20:
	scratch_load_dwordx2 v[4:5], v3, off
	ds_read_b64 v[6:7], v1
	s_waitcnt vmcnt(0) lgkmcnt(0)
	v_pk_mul_f32 v[8:9], v[6:7], v[4:5] op_sel:[1,1] op_sel_hi:[0,1]
	v_pk_fma_f32 v[10:11], v[6:7], v[4:5], v[8:9] neg_lo:[0,0,1] neg_hi:[0,0,1]
	v_pk_fma_f32 v[4:5], v[6:7], v[4:5], v[8:9] op_sel_hi:[1,0,1]
	s_nop 0
	v_mov_b32_e32 v11, v5
	v_pk_add_f32 v[4:5], v[10:11], 0 op_sel_hi:[1,0]
	s_and_saveexec_b64 s[8:9], s[0:1]
	s_cbranch_execz .LBB28_22
; %bb.21:
	scratch_load_dwordx2 v[6:7], off, off offset:8
	v_mov_b32_e32 v3, 0
	ds_read_b64 v[8:9], v3 offset:248
	s_waitcnt vmcnt(0) lgkmcnt(0)
	v_pk_mul_f32 v[10:11], v[8:9], v[6:7] op_sel:[1,1] op_sel_hi:[0,1]
	v_pk_fma_f32 v[12:13], v[8:9], v[6:7], v[10:11] neg_lo:[0,0,1] neg_hi:[0,0,1]
	v_pk_fma_f32 v[6:7], v[8:9], v[6:7], v[10:11] op_sel_hi:[1,0,1]
	s_nop 0
	v_mov_b32_e32 v13, v7
	v_pk_add_f32 v[4:5], v[4:5], v[12:13]
.LBB28_22:
	s_or_b64 exec, exec, s[8:9]
	v_mov_b32_e32 v3, 0
	ds_read_b64 v[6:7], v3 offset:16
	s_waitcnt lgkmcnt(0)
	v_pk_mul_f32 v[8:9], v[4:5], v[6:7] op_sel:[1,1] op_sel_hi:[0,1]
	v_pk_fma_f32 v[10:11], v[4:5], v[6:7], v[8:9] neg_lo:[0,0,1] neg_hi:[0,0,1]
	v_pk_fma_f32 v[4:5], v[4:5], v[6:7], v[8:9] op_sel_hi:[1,0,1]
	s_nop 0
	v_mov_b32_e32 v11, v5
	scratch_store_dwordx2 off, v[10:11], off offset:16
.LBB28_23:
	s_or_b64 exec, exec, s[4:5]
	; wave barrier
	scratch_load_dwordx2 v[4:5], off, off offset:24
	v_cmp_gt_u32_e32 vcc, 3, v0
	v_add_u32_e32 v6, -1, v0
	s_waitcnt vmcnt(0)
	ds_write_b64 v1, v[4:5]
	s_waitcnt lgkmcnt(0)
	; wave barrier
	s_and_saveexec_b64 s[0:1], vcc
	s_cbranch_execz .LBB28_27
; %bb.24:
	v_mov_b32_e32 v4, 0
	v_add_u32_e32 v3, -1, v0
	v_add_u32_e32 v7, 0xf0, v2
	v_mov_b32_e32 v8, v2
	s_mov_b64 s[4:5], 0
	v_mov_b32_e32 v5, v4
.LBB28_25:                              ; =>This Inner Loop Header: Depth=1
	scratch_load_dwordx2 v[10:11], v8, off
	ds_read_b64 v[12:13], v7
	v_add_u32_e32 v3, 1, v3
	v_cmp_lt_u32_e32 vcc, 1, v3
	v_add_u32_e32 v7, 8, v7
	v_add_u32_e32 v8, 8, v8
	s_or_b64 s[4:5], vcc, s[4:5]
	s_waitcnt vmcnt(0) lgkmcnt(0)
	v_pk_mul_f32 v[14:15], v[12:13], v[10:11] op_sel:[1,1] op_sel_hi:[0,1]
	v_pk_fma_f32 v[16:17], v[12:13], v[10:11], v[14:15] neg_lo:[0,0,1] neg_hi:[0,0,1]
	v_pk_fma_f32 v[10:11], v[12:13], v[10:11], v[14:15] op_sel_hi:[1,0,1]
	s_nop 0
	v_mov_b32_e32 v17, v11
	v_pk_add_f32 v[4:5], v[4:5], v[16:17]
	s_andn2_b64 exec, exec, s[4:5]
	s_cbranch_execnz .LBB28_25
; %bb.26:
	s_or_b64 exec, exec, s[4:5]
	v_mov_b32_e32 v3, 0
	ds_read_b64 v[8:9], v3 offset:24
	s_waitcnt lgkmcnt(0)
	v_pk_mul_f32 v[10:11], v[4:5], v[8:9] op_sel:[1,1] op_sel_hi:[0,1]
	v_pk_fma_f32 v[12:13], v[4:5], v[8:9], v[10:11] neg_lo:[0,0,1] neg_hi:[0,0,1]
	v_pk_fma_f32 v[4:5], v[4:5], v[8:9], v[10:11] op_sel_hi:[1,0,1]
	s_nop 0
	v_mov_b32_e32 v13, v5
	scratch_store_dwordx2 off, v[12:13], off offset:24
.LBB28_27:
	s_or_b64 exec, exec, s[0:1]
	; wave barrier
	scratch_load_dwordx2 v[4:5], off, off offset:32
	v_cmp_gt_u32_e32 vcc, 4, v0
	s_waitcnt vmcnt(0)
	ds_write_b64 v1, v[4:5]
	s_waitcnt lgkmcnt(0)
	; wave barrier
	s_and_saveexec_b64 s[0:1], vcc
	s_cbranch_execz .LBB28_31
; %bb.28:
	v_mov_b32_e32 v4, 0
	v_add_u32_e32 v3, -1, v0
	v_add_u32_e32 v7, 0xf0, v2
	v_mov_b32_e32 v8, v2
	s_mov_b64 s[4:5], 0
	v_mov_b32_e32 v5, v4
.LBB28_29:                              ; =>This Inner Loop Header: Depth=1
	scratch_load_dwordx2 v[10:11], v8, off
	ds_read_b64 v[12:13], v7
	v_add_u32_e32 v3, 1, v3
	v_cmp_lt_u32_e32 vcc, 2, v3
	v_add_u32_e32 v7, 8, v7
	v_add_u32_e32 v8, 8, v8
	s_or_b64 s[4:5], vcc, s[4:5]
	s_waitcnt vmcnt(0) lgkmcnt(0)
	v_pk_mul_f32 v[14:15], v[12:13], v[10:11] op_sel:[1,1] op_sel_hi:[0,1]
	v_pk_fma_f32 v[16:17], v[12:13], v[10:11], v[14:15] neg_lo:[0,0,1] neg_hi:[0,0,1]
	v_pk_fma_f32 v[10:11], v[12:13], v[10:11], v[14:15] op_sel_hi:[1,0,1]
	s_nop 0
	v_mov_b32_e32 v17, v11
	v_pk_add_f32 v[4:5], v[4:5], v[16:17]
	s_andn2_b64 exec, exec, s[4:5]
	s_cbranch_execnz .LBB28_29
; %bb.30:
	s_or_b64 exec, exec, s[4:5]
	v_mov_b32_e32 v3, 0
	ds_read_b64 v[8:9], v3 offset:32
	s_waitcnt lgkmcnt(0)
	v_pk_mul_f32 v[10:11], v[4:5], v[8:9] op_sel:[1,1] op_sel_hi:[0,1]
	v_pk_fma_f32 v[12:13], v[4:5], v[8:9], v[10:11] neg_lo:[0,0,1] neg_hi:[0,0,1]
	v_pk_fma_f32 v[4:5], v[4:5], v[8:9], v[10:11] op_sel_hi:[1,0,1]
	s_nop 0
	v_mov_b32_e32 v13, v5
	scratch_store_dwordx2 off, v[12:13], off offset:32
.LBB28_31:
	s_or_b64 exec, exec, s[0:1]
	; wave barrier
	scratch_load_dwordx2 v[4:5], off, off offset:40
	v_cmp_gt_u32_e32 vcc, 5, v0
	;; [unrolled: 46-line block ×19, first 2 shown]
	s_waitcnt vmcnt(0)
	ds_write_b64 v1, v[4:5]
	s_waitcnt lgkmcnt(0)
	; wave barrier
	s_and_saveexec_b64 s[0:1], vcc
	s_cbranch_execz .LBB28_103
; %bb.100:
	v_mov_b32_e32 v4, 0
	v_add_u32_e32 v3, -1, v0
	v_add_u32_e32 v7, 0xf0, v2
	v_mov_b32_e32 v8, v2
	s_mov_b64 s[4:5], 0
	v_mov_b32_e32 v5, v4
.LBB28_101:                             ; =>This Inner Loop Header: Depth=1
	scratch_load_dwordx2 v[10:11], v8, off
	ds_read_b64 v[12:13], v7
	v_add_u32_e32 v3, 1, v3
	v_cmp_lt_u32_e32 vcc, 20, v3
	v_add_u32_e32 v7, 8, v7
	v_add_u32_e32 v8, 8, v8
	s_or_b64 s[4:5], vcc, s[4:5]
	s_waitcnt vmcnt(0) lgkmcnt(0)
	v_pk_mul_f32 v[14:15], v[12:13], v[10:11] op_sel:[1,1] op_sel_hi:[0,1]
	v_pk_fma_f32 v[16:17], v[12:13], v[10:11], v[14:15] neg_lo:[0,0,1] neg_hi:[0,0,1]
	v_pk_fma_f32 v[10:11], v[12:13], v[10:11], v[14:15] op_sel_hi:[1,0,1]
	s_nop 0
	v_mov_b32_e32 v17, v11
	v_pk_add_f32 v[4:5], v[4:5], v[16:17]
	s_andn2_b64 exec, exec, s[4:5]
	s_cbranch_execnz .LBB28_101
; %bb.102:
	s_or_b64 exec, exec, s[4:5]
	v_mov_b32_e32 v3, 0
	ds_read_b64 v[8:9], v3 offset:176
	s_waitcnt lgkmcnt(0)
	v_pk_mul_f32 v[10:11], v[4:5], v[8:9] op_sel:[1,1] op_sel_hi:[0,1]
	v_pk_fma_f32 v[12:13], v[4:5], v[8:9], v[10:11] neg_lo:[0,0,1] neg_hi:[0,0,1]
	v_pk_fma_f32 v[4:5], v[4:5], v[8:9], v[10:11] op_sel_hi:[1,0,1]
	s_nop 0
	v_mov_b32_e32 v13, v5
	scratch_store_dwordx2 off, v[12:13], off offset:176
.LBB28_103:
	s_or_b64 exec, exec, s[0:1]
	; wave barrier
	scratch_load_dwordx2 v[4:5], off, off offset:184
	v_cmp_gt_u32_e32 vcc, 23, v0
	s_waitcnt vmcnt(0)
	ds_write_b64 v1, v[4:5]
	s_waitcnt lgkmcnt(0)
	; wave barrier
	s_and_saveexec_b64 s[0:1], vcc
	s_cbranch_execz .LBB28_107
; %bb.104:
	v_mov_b32_e32 v4, 0
	v_add_u32_e32 v3, -1, v0
	v_add_u32_e32 v7, 0xf0, v2
	v_mov_b32_e32 v8, v2
	s_mov_b64 s[4:5], 0
	v_mov_b32_e32 v5, v4
.LBB28_105:                             ; =>This Inner Loop Header: Depth=1
	scratch_load_dwordx2 v[10:11], v8, off
	ds_read_b64 v[12:13], v7
	v_add_u32_e32 v3, 1, v3
	v_cmp_lt_u32_e32 vcc, 21, v3
	v_add_u32_e32 v7, 8, v7
	v_add_u32_e32 v8, 8, v8
	s_or_b64 s[4:5], vcc, s[4:5]
	s_waitcnt vmcnt(0) lgkmcnt(0)
	v_pk_mul_f32 v[14:15], v[12:13], v[10:11] op_sel:[1,1] op_sel_hi:[0,1]
	v_pk_fma_f32 v[16:17], v[12:13], v[10:11], v[14:15] neg_lo:[0,0,1] neg_hi:[0,0,1]
	v_pk_fma_f32 v[10:11], v[12:13], v[10:11], v[14:15] op_sel_hi:[1,0,1]
	s_nop 0
	v_mov_b32_e32 v17, v11
	v_pk_add_f32 v[4:5], v[4:5], v[16:17]
	s_andn2_b64 exec, exec, s[4:5]
	s_cbranch_execnz .LBB28_105
; %bb.106:
	s_or_b64 exec, exec, s[4:5]
	v_mov_b32_e32 v3, 0
	ds_read_b64 v[8:9], v3 offset:184
	s_waitcnt lgkmcnt(0)
	v_pk_mul_f32 v[10:11], v[4:5], v[8:9] op_sel:[1,1] op_sel_hi:[0,1]
	v_pk_fma_f32 v[12:13], v[4:5], v[8:9], v[10:11] neg_lo:[0,0,1] neg_hi:[0,0,1]
	v_pk_fma_f32 v[4:5], v[4:5], v[8:9], v[10:11] op_sel_hi:[1,0,1]
	s_nop 0
	v_mov_b32_e32 v13, v5
	scratch_store_dwordx2 off, v[12:13], off offset:184
.LBB28_107:
	s_or_b64 exec, exec, s[0:1]
	; wave barrier
	scratch_load_dwordx2 v[4:5], off, off offset:192
	v_cmp_gt_u32_e32 vcc, 24, v0
	;; [unrolled: 46-line block ×5, first 2 shown]
	s_waitcnt vmcnt(0)
	ds_write_b64 v1, v[4:5]
	s_waitcnt lgkmcnt(0)
	; wave barrier
	s_and_saveexec_b64 s[0:1], vcc
	s_cbranch_execz .LBB28_123
; %bb.120:
	v_mov_b32_e32 v4, 0
	v_add_u32_e32 v3, -1, v0
	v_add_u32_e32 v7, 0xf0, v2
	v_mov_b32_e32 v8, v2
	s_mov_b64 s[4:5], 0
	v_mov_b32_e32 v5, v4
.LBB28_121:                             ; =>This Inner Loop Header: Depth=1
	scratch_load_dwordx2 v[10:11], v8, off
	ds_read_b64 v[12:13], v7
	v_add_u32_e32 v3, 1, v3
	v_cmp_lt_u32_e32 vcc, 25, v3
	v_add_u32_e32 v7, 8, v7
	v_add_u32_e32 v8, 8, v8
	s_or_b64 s[4:5], vcc, s[4:5]
	s_waitcnt vmcnt(0) lgkmcnt(0)
	v_pk_mul_f32 v[14:15], v[12:13], v[10:11] op_sel:[1,1] op_sel_hi:[0,1]
	v_pk_fma_f32 v[16:17], v[12:13], v[10:11], v[14:15] neg_lo:[0,0,1] neg_hi:[0,0,1]
	v_pk_fma_f32 v[10:11], v[12:13], v[10:11], v[14:15] op_sel_hi:[1,0,1]
	s_nop 0
	v_mov_b32_e32 v17, v11
	v_pk_add_f32 v[4:5], v[4:5], v[16:17]
	s_andn2_b64 exec, exec, s[4:5]
	s_cbranch_execnz .LBB28_121
; %bb.122:
	s_or_b64 exec, exec, s[4:5]
	v_mov_b32_e32 v3, 0
	ds_read_b64 v[8:9], v3 offset:216
	s_waitcnt lgkmcnt(0)
	v_pk_mul_f32 v[10:11], v[4:5], v[8:9] op_sel:[1,1] op_sel_hi:[0,1]
	v_pk_fma_f32 v[12:13], v[4:5], v[8:9], v[10:11] neg_lo:[0,0,1] neg_hi:[0,0,1]
	v_pk_fma_f32 v[4:5], v[4:5], v[8:9], v[10:11] op_sel_hi:[1,0,1]
	s_nop 0
	v_mov_b32_e32 v13, v5
	scratch_store_dwordx2 off, v[12:13], off offset:216
.LBB28_123:
	s_or_b64 exec, exec, s[0:1]
	; wave barrier
	scratch_load_dwordx2 v[4:5], off, off offset:224
	v_cmp_ne_u32_e32 vcc, 28, v0
	s_waitcnt vmcnt(0)
	ds_write_b64 v1, v[4:5]
	s_waitcnt lgkmcnt(0)
	; wave barrier
	s_and_saveexec_b64 s[0:1], vcc
	s_cbranch_execz .LBB28_127
; %bb.124:
	v_add_u32_e32 v1, 0xf0, v2
	v_mov_b32_e32 v4, v2
	v_mov_b32_e32 v2, 0
	s_mov_b64 s[4:5], 0
	v_mov_b32_e32 v3, v2
.LBB28_125:                             ; =>This Inner Loop Header: Depth=1
	scratch_load_dwordx2 v[8:9], v4, off
	ds_read_b64 v[10:11], v1
	v_add_u32_e32 v6, 1, v6
	v_cmp_lt_u32_e32 vcc, 26, v6
	v_add_u32_e32 v1, 8, v1
	v_add_u32_e32 v4, 8, v4
	s_or_b64 s[4:5], vcc, s[4:5]
	s_waitcnt vmcnt(0) lgkmcnt(0)
	v_pk_mul_f32 v[12:13], v[10:11], v[8:9] op_sel:[1,1] op_sel_hi:[0,1]
	v_pk_fma_f32 v[14:15], v[10:11], v[8:9], v[12:13] neg_lo:[0,0,1] neg_hi:[0,0,1]
	v_pk_fma_f32 v[8:9], v[10:11], v[8:9], v[12:13] op_sel_hi:[1,0,1]
	s_nop 0
	v_mov_b32_e32 v15, v9
	v_pk_add_f32 v[2:3], v[2:3], v[14:15]
	s_andn2_b64 exec, exec, s[4:5]
	s_cbranch_execnz .LBB28_125
; %bb.126:
	s_or_b64 exec, exec, s[4:5]
	v_mov_b32_e32 v1, 0
	ds_read_b64 v[4:5], v1 offset:224
	s_waitcnt lgkmcnt(0)
	v_pk_mul_f32 v[6:7], v[2:3], v[4:5] op_sel:[1,1] op_sel_hi:[0,1]
	v_pk_fma_f32 v[8:9], v[2:3], v[4:5], v[6:7] neg_lo:[0,0,1] neg_hi:[0,0,1]
	v_pk_fma_f32 v[2:3], v[2:3], v[4:5], v[6:7] op_sel_hi:[1,0,1]
	s_nop 0
	v_mov_b32_e32 v9, v3
	scratch_store_dwordx2 off, v[8:9], off offset:224
.LBB28_127:
	s_or_b64 exec, exec, s[0:1]
	s_mov_b64 s[4:5], -1
	; wave barrier
.LBB28_128:
	s_and_b64 vcc, exec, s[4:5]
	s_cbranch_vccz .LBB28_130
; %bb.129:
	s_lshl_b64 s[0:1], s[2:3], 2
	s_add_u32 s0, s6, s0
	s_addc_u32 s1, s7, s1
	v_mov_b32_e32 v1, 0
	global_load_dword v1, v1, s[0:1]
	s_waitcnt vmcnt(0)
	v_cmp_ne_u32_e32 vcc, 0, v1
	s_cbranch_vccz .LBB28_131
.LBB28_130:
	s_endpgm
.LBB28_131:
	v_mov_b32_e32 v1, 0xf0
	v_lshl_add_u32 v1, v0, 3, v1
	v_cmp_eq_u32_e32 vcc, 28, v0
	s_and_saveexec_b64 s[0:1], vcc
	s_cbranch_execz .LBB28_133
; %bb.132:
	scratch_load_dwordx2 v[2:3], off, off offset:216
	v_mov_b32_e32 v4, 0
	v_mov_b32_e32 v5, v4
	scratch_store_dwordx2 off, v[4:5], off offset:216
	s_waitcnt vmcnt(1)
	ds_write_b64 v1, v[2:3]
.LBB28_133:
	s_or_b64 exec, exec, s[0:1]
	s_waitcnt lgkmcnt(0)
	; wave barrier
	scratch_load_dwordx2 v[4:5], off, off offset:224
	scratch_load_dwordx2 v[6:7], off, off offset:216
	v_mov_b32_e32 v2, 0
	ds_read_b64 v[8:9], v2 offset:464
	v_cmp_lt_u32_e32 vcc, 26, v0
	s_waitcnt vmcnt(1) lgkmcnt(0)
	v_pk_mul_f32 v[10:11], v[8:9], v[4:5] op_sel:[1,1] op_sel_hi:[0,1]
	v_pk_fma_f32 v[12:13], v[8:9], v[4:5], v[10:11] neg_lo:[0,0,1] neg_hi:[0,0,1]
	v_pk_fma_f32 v[4:5], v[8:9], v[4:5], v[10:11] op_sel_hi:[1,0,1]
	s_nop 0
	v_mov_b32_e32 v13, v5
	v_pk_add_f32 v[4:5], v[12:13], 0 op_sel_hi:[1,0]
	s_waitcnt vmcnt(0)
	v_pk_add_f32 v[4:5], v[6:7], v[4:5] neg_lo:[0,1] neg_hi:[0,1]
	scratch_store_dwordx2 off, v[4:5], off offset:216
	s_and_saveexec_b64 s[0:1], vcc
	s_cbranch_execz .LBB28_135
; %bb.134:
	scratch_load_dwordx2 v[4:5], off, off offset:208
	v_mov_b32_e32 v3, v2
	scratch_store_dwordx2 off, v[2:3], off offset:208
	s_waitcnt vmcnt(1)
	ds_write_b64 v1, v[4:5]
.LBB28_135:
	s_or_b64 exec, exec, s[0:1]
	s_waitcnt lgkmcnt(0)
	; wave barrier
	scratch_load_dwordx4 v[4:7], off, off offset:216
	scratch_load_dwordx2 v[12:13], off, off offset:208
	ds_read2_b64 v[8:11], v2 offset0:57 offset1:58
	v_cmp_lt_u32_e32 vcc, 25, v0
	s_waitcnt vmcnt(1) lgkmcnt(0)
	v_pk_mul_f32 v[2:3], v[8:9], v[4:5] op_sel:[1,1] op_sel_hi:[0,1]
	v_mov_b32_e32 v14, v7
	v_pk_fma_f32 v[16:17], v[8:9], v[4:5], v[2:3] neg_lo:[0,0,1] neg_hi:[0,0,1]
	v_pk_fma_f32 v[2:3], v[8:9], v[4:5], v[2:3] op_sel_hi:[1,0,1]
	v_pk_mul_f32 v[4:5], v[10:11], v[14:15] op_sel:[1,0] op_sel_hi:[0,0]
	v_mov_b32_e32 v17, v3
	v_pk_fma_f32 v[2:3], v[10:11], v[6:7], v[4:5] neg_lo:[0,0,1] neg_hi:[0,0,1]
	v_pk_fma_f32 v[4:5], v[10:11], v[6:7], v[4:5] op_sel_hi:[1,0,1]
	v_pk_add_f32 v[6:7], v[16:17], 0 op_sel_hi:[1,0]
	v_mov_b32_e32 v3, v5
	v_pk_add_f32 v[2:3], v[6:7], v[2:3]
	s_waitcnt vmcnt(0)
	v_pk_add_f32 v[2:3], v[12:13], v[2:3] neg_lo:[0,1] neg_hi:[0,1]
	scratch_store_dwordx2 off, v[2:3], off offset:208
	s_and_saveexec_b64 s[0:1], vcc
	s_cbranch_execz .LBB28_137
; %bb.136:
	scratch_load_dwordx2 v[2:3], off, off offset:200
	v_mov_b32_e32 v4, 0
	v_mov_b32_e32 v5, v4
	scratch_store_dwordx2 off, v[4:5], off offset:200
	s_waitcnt vmcnt(1)
	ds_write_b64 v1, v[2:3]
.LBB28_137:
	s_or_b64 exec, exec, s[0:1]
	s_waitcnt lgkmcnt(0)
	; wave barrier
	scratch_load_dwordx4 v[4:7], off, off offset:208
	scratch_load_dwordx2 v[12:13], off, off offset:224
	scratch_load_dwordx2 v[14:15], off, off offset:200
	v_mov_b32_e32 v2, 0
	ds_read_b128 v[8:11], v2 offset:448
	ds_read_b64 v[16:17], v2 offset:464
	v_cmp_lt_u32_e32 vcc, 24, v0
	s_waitcnt vmcnt(2) lgkmcnt(1)
	v_pk_mul_f32 v[18:19], v[8:9], v[4:5] op_sel:[1,1] op_sel_hi:[0,1]
	v_mov_b32_e32 v20, v7
	v_pk_fma_f32 v[24:25], v[8:9], v[4:5], v[18:19] neg_lo:[0,0,1] neg_hi:[0,0,1]
	v_pk_fma_f32 v[4:5], v[8:9], v[4:5], v[18:19] op_sel_hi:[1,0,1]
	v_pk_mul_f32 v[8:9], v[10:11], v[20:21] op_sel:[1,0] op_sel_hi:[0,0]
	s_waitcnt vmcnt(1) lgkmcnt(0)
	v_pk_mul_f32 v[22:23], v[16:17], v[12:13] op_sel:[1,1] op_sel_hi:[0,1]
	v_mov_b32_e32 v25, v5
	v_pk_fma_f32 v[4:5], v[10:11], v[6:7], v[8:9] neg_lo:[0,0,1] neg_hi:[0,0,1]
	v_pk_fma_f32 v[6:7], v[10:11], v[6:7], v[8:9] op_sel_hi:[1,0,1]
	v_pk_fma_f32 v[18:19], v[16:17], v[12:13], v[22:23] neg_lo:[0,0,1] neg_hi:[0,0,1]
	v_pk_fma_f32 v[12:13], v[16:17], v[12:13], v[22:23] op_sel_hi:[1,0,1]
	v_pk_add_f32 v[8:9], v[24:25], 0 op_sel_hi:[1,0]
	v_mov_b32_e32 v5, v7
	v_mov_b32_e32 v19, v13
	v_pk_add_f32 v[4:5], v[8:9], v[4:5]
	s_nop 0
	v_pk_add_f32 v[4:5], v[4:5], v[18:19]
	s_waitcnt vmcnt(0)
	v_pk_add_f32 v[4:5], v[14:15], v[4:5] neg_lo:[0,1] neg_hi:[0,1]
	scratch_store_dwordx2 off, v[4:5], off offset:200
	s_and_saveexec_b64 s[0:1], vcc
	s_cbranch_execz .LBB28_139
; %bb.138:
	scratch_load_dwordx2 v[4:5], off, off offset:192
	v_mov_b32_e32 v3, v2
	scratch_store_dwordx2 off, v[2:3], off offset:192
	s_waitcnt vmcnt(1)
	ds_write_b64 v1, v[4:5]
.LBB28_139:
	s_or_b64 exec, exec, s[0:1]
	s_waitcnt lgkmcnt(0)
	; wave barrier
	scratch_load_dwordx4 v[4:7], off, off offset:200
	scratch_load_dwordx4 v[8:11], off, off offset:216
	scratch_load_dwordx2 v[20:21], off, off offset:192
	ds_read2_b64 v[12:15], v2 offset0:55 offset1:56
	ds_read2_b64 v[16:19], v2 offset0:57 offset1:58
	v_cmp_lt_u32_e32 vcc, 23, v0
	s_waitcnt vmcnt(2) lgkmcnt(1)
	v_pk_mul_f32 v[2:3], v[12:13], v[4:5] op_sel:[1,1] op_sel_hi:[0,1]
	v_mov_b32_e32 v22, v7
	s_waitcnt vmcnt(1) lgkmcnt(0)
	v_pk_mul_f32 v[24:25], v[16:17], v[8:9] op_sel:[1,1] op_sel_hi:[0,1]
	v_mov_b32_e32 v26, v11
	v_pk_fma_f32 v[28:29], v[12:13], v[4:5], v[2:3] neg_lo:[0,0,1] neg_hi:[0,0,1]
	v_pk_fma_f32 v[2:3], v[12:13], v[4:5], v[2:3] op_sel_hi:[1,0,1]
	v_pk_mul_f32 v[4:5], v[14:15], v[22:23] op_sel:[1,0] op_sel_hi:[0,0]
	v_pk_fma_f32 v[12:13], v[16:17], v[8:9], v[24:25] neg_lo:[0,0,1] neg_hi:[0,0,1]
	v_pk_fma_f32 v[8:9], v[16:17], v[8:9], v[24:25] op_sel_hi:[1,0,1]
	v_pk_mul_f32 v[16:17], v[18:19], v[26:27] op_sel:[1,0] op_sel_hi:[0,0]
	v_mov_b32_e32 v29, v3
	v_pk_fma_f32 v[2:3], v[14:15], v[6:7], v[4:5] neg_lo:[0,0,1] neg_hi:[0,0,1]
	v_pk_fma_f32 v[4:5], v[14:15], v[6:7], v[4:5] op_sel_hi:[1,0,1]
	v_mov_b32_e32 v13, v9
	v_pk_fma_f32 v[6:7], v[18:19], v[10:11], v[16:17] neg_lo:[0,0,1] neg_hi:[0,0,1]
	v_pk_fma_f32 v[8:9], v[18:19], v[10:11], v[16:17] op_sel_hi:[1,0,1]
	v_pk_add_f32 v[10:11], v[28:29], 0 op_sel_hi:[1,0]
	v_mov_b32_e32 v3, v5
	v_pk_add_f32 v[2:3], v[10:11], v[2:3]
	v_mov_b32_e32 v7, v9
	v_pk_add_f32 v[2:3], v[2:3], v[12:13]
	s_nop 0
	v_pk_add_f32 v[2:3], v[2:3], v[6:7]
	s_waitcnt vmcnt(0)
	v_pk_add_f32 v[2:3], v[20:21], v[2:3] neg_lo:[0,1] neg_hi:[0,1]
	scratch_store_dwordx2 off, v[2:3], off offset:192
	s_and_saveexec_b64 s[0:1], vcc
	s_cbranch_execz .LBB28_141
; %bb.140:
	scratch_load_dwordx2 v[2:3], off, off offset:184
	v_mov_b32_e32 v4, 0
	v_mov_b32_e32 v5, v4
	scratch_store_dwordx2 off, v[4:5], off offset:184
	s_waitcnt vmcnt(1)
	ds_write_b64 v1, v[2:3]
.LBB28_141:
	s_or_b64 exec, exec, s[0:1]
	s_waitcnt lgkmcnt(0)
	; wave barrier
	scratch_load_dwordx4 v[4:7], off, off offset:192
	scratch_load_dwordx4 v[8:11], off, off offset:208
	scratch_load_dwordx2 v[20:21], off, off offset:224
	scratch_load_dwordx2 v[22:23], off, off offset:184
	v_mov_b32_e32 v2, 0
	ds_read_b128 v[12:15], v2 offset:432
	ds_read_b128 v[16:19], v2 offset:448
	ds_read_b64 v[24:25], v2 offset:464
	v_cmp_lt_u32_e32 vcc, 22, v0
	s_waitcnt vmcnt(3) lgkmcnt(2)
	v_pk_mul_f32 v[26:27], v[12:13], v[4:5] op_sel:[1,1] op_sel_hi:[0,1]
	v_mov_b32_e32 v28, v7
	v_pk_fma_f32 v[36:37], v[12:13], v[4:5], v[26:27] neg_lo:[0,0,1] neg_hi:[0,0,1]
	v_pk_fma_f32 v[4:5], v[12:13], v[4:5], v[26:27] op_sel_hi:[1,0,1]
	v_pk_mul_f32 v[12:13], v[14:15], v[28:29] op_sel:[1,0] op_sel_hi:[0,0]
	s_waitcnt vmcnt(2) lgkmcnt(1)
	v_pk_mul_f32 v[30:31], v[16:17], v[8:9] op_sel:[1,1] op_sel_hi:[0,1]
	v_mov_b32_e32 v32, v11
	v_mov_b32_e32 v37, v5
	v_pk_fma_f32 v[4:5], v[14:15], v[6:7], v[12:13] neg_lo:[0,0,1] neg_hi:[0,0,1]
	v_pk_fma_f32 v[6:7], v[14:15], v[6:7], v[12:13] op_sel_hi:[1,0,1]
	v_pk_fma_f32 v[26:27], v[16:17], v[8:9], v[30:31] neg_lo:[0,0,1] neg_hi:[0,0,1]
	v_pk_fma_f32 v[8:9], v[16:17], v[8:9], v[30:31] op_sel_hi:[1,0,1]
	v_pk_mul_f32 v[16:17], v[18:19], v[32:33] op_sel:[1,0] op_sel_hi:[0,0]
	v_pk_add_f32 v[12:13], v[36:37], 0 op_sel_hi:[1,0]
	v_mov_b32_e32 v5, v7
	s_waitcnt vmcnt(1) lgkmcnt(0)
	v_pk_mul_f32 v[34:35], v[24:25], v[20:21] op_sel:[1,1] op_sel_hi:[0,1]
	v_mov_b32_e32 v27, v9
	v_pk_fma_f32 v[8:9], v[18:19], v[10:11], v[16:17] neg_lo:[0,0,1] neg_hi:[0,0,1]
	v_pk_fma_f32 v[10:11], v[18:19], v[10:11], v[16:17] op_sel_hi:[1,0,1]
	v_pk_add_f32 v[4:5], v[12:13], v[4:5]
	v_pk_fma_f32 v[28:29], v[24:25], v[20:21], v[34:35] neg_lo:[0,0,1] neg_hi:[0,0,1]
	v_pk_fma_f32 v[20:21], v[24:25], v[20:21], v[34:35] op_sel_hi:[1,0,1]
	v_mov_b32_e32 v9, v11
	v_pk_add_f32 v[4:5], v[4:5], v[26:27]
	v_mov_b32_e32 v29, v21
	v_pk_add_f32 v[4:5], v[4:5], v[8:9]
	s_nop 0
	v_pk_add_f32 v[4:5], v[4:5], v[28:29]
	s_waitcnt vmcnt(0)
	v_pk_add_f32 v[4:5], v[22:23], v[4:5] neg_lo:[0,1] neg_hi:[0,1]
	scratch_store_dwordx2 off, v[4:5], off offset:184
	s_and_saveexec_b64 s[0:1], vcc
	s_cbranch_execz .LBB28_143
; %bb.142:
	scratch_load_dwordx2 v[4:5], off, off offset:176
	v_mov_b32_e32 v3, v2
	scratch_store_dwordx2 off, v[2:3], off offset:176
	s_waitcnt vmcnt(1)
	ds_write_b64 v1, v[4:5]
.LBB28_143:
	s_or_b64 exec, exec, s[0:1]
	s_waitcnt lgkmcnt(0)
	; wave barrier
	scratch_load_dwordx4 v[4:7], off, off offset:184
	scratch_load_dwordx4 v[8:11], off, off offset:200
	;; [unrolled: 1-line block ×3, first 2 shown]
	scratch_load_dwordx2 v[28:29], off, off offset:176
	ds_read2_b64 v[16:19], v2 offset0:53 offset1:54
	ds_read2_b64 v[20:23], v2 offset0:55 offset1:56
	;; [unrolled: 1-line block ×3, first 2 shown]
	v_cmp_lt_u32_e32 vcc, 21, v0
	s_waitcnt vmcnt(3) lgkmcnt(2)
	v_pk_mul_f32 v[2:3], v[16:17], v[4:5] op_sel:[1,1] op_sel_hi:[0,1]
	v_mov_b32_e32 v30, v7
	s_waitcnt vmcnt(2) lgkmcnt(1)
	v_pk_mul_f32 v[32:33], v[20:21], v[8:9] op_sel:[1,1] op_sel_hi:[0,1]
	v_mov_b32_e32 v34, v11
	;; [unrolled: 3-line block ×3, first 2 shown]
	v_pk_fma_f32 v[98:99], v[16:17], v[4:5], v[2:3] neg_lo:[0,0,1] neg_hi:[0,0,1]
	v_pk_fma_f32 v[2:3], v[16:17], v[4:5], v[2:3] op_sel_hi:[1,0,1]
	v_pk_mul_f32 v[4:5], v[18:19], v[30:31] op_sel:[1,0] op_sel_hi:[0,0]
	v_pk_fma_f32 v[16:17], v[20:21], v[8:9], v[32:33] neg_lo:[0,0,1] neg_hi:[0,0,1]
	v_pk_fma_f32 v[8:9], v[20:21], v[8:9], v[32:33] op_sel_hi:[1,0,1]
	v_pk_mul_f32 v[20:21], v[22:23], v[34:35] op_sel:[1,0] op_sel_hi:[0,0]
	;; [unrolled: 3-line block ×3, first 2 shown]
	v_mov_b32_e32 v99, v3
	v_pk_fma_f32 v[2:3], v[18:19], v[6:7], v[4:5] neg_lo:[0,0,1] neg_hi:[0,0,1]
	v_pk_fma_f32 v[4:5], v[18:19], v[6:7], v[4:5] op_sel_hi:[1,0,1]
	v_mov_b32_e32 v17, v9
	v_pk_fma_f32 v[6:7], v[22:23], v[10:11], v[20:21] neg_lo:[0,0,1] neg_hi:[0,0,1]
	v_pk_fma_f32 v[8:9], v[22:23], v[10:11], v[20:21] op_sel_hi:[1,0,1]
	;; [unrolled: 3-line block ×3, first 2 shown]
	v_pk_add_f32 v[14:15], v[98:99], 0 op_sel_hi:[1,0]
	v_mov_b32_e32 v3, v5
	v_pk_add_f32 v[2:3], v[14:15], v[2:3]
	v_mov_b32_e32 v7, v9
	v_pk_add_f32 v[2:3], v[2:3], v[16:17]
	;; [unrolled: 2-line block ×3, first 2 shown]
	s_nop 0
	v_pk_add_f32 v[2:3], v[2:3], v[30:31]
	s_nop 0
	v_pk_add_f32 v[2:3], v[2:3], v[10:11]
	s_waitcnt vmcnt(0)
	v_pk_add_f32 v[2:3], v[28:29], v[2:3] neg_lo:[0,1] neg_hi:[0,1]
	scratch_store_dwordx2 off, v[2:3], off offset:176
	s_and_saveexec_b64 s[0:1], vcc
	s_cbranch_execz .LBB28_145
; %bb.144:
	scratch_load_dwordx2 v[2:3], off, off offset:168
	v_mov_b32_e32 v4, 0
	v_mov_b32_e32 v5, v4
	scratch_store_dwordx2 off, v[4:5], off offset:168
	s_waitcnt vmcnt(1)
	ds_write_b64 v1, v[2:3]
.LBB28_145:
	s_or_b64 exec, exec, s[0:1]
	s_waitcnt lgkmcnt(0)
	; wave barrier
	scratch_load_dwordx4 v[4:7], off, off offset:176
	scratch_load_dwordx4 v[8:11], off, off offset:192
	;; [unrolled: 1-line block ×3, first 2 shown]
	scratch_load_dwordx2 v[28:29], off, off offset:224
	scratch_load_dwordx2 v[30:31], off, off offset:168
	v_mov_b32_e32 v2, 0
	ds_read_b128 v[16:19], v2 offset:416
	ds_read_b128 v[20:23], v2 offset:432
	;; [unrolled: 1-line block ×3, first 2 shown]
	ds_read_b64 v[32:33], v2 offset:464
	v_cmp_lt_u32_e32 vcc, 20, v0
	s_waitcnt vmcnt(4) lgkmcnt(3)
	v_pk_mul_f32 v[34:35], v[16:17], v[4:5] op_sel:[1,1] op_sel_hi:[0,1]
	v_mov_b32_e32 v36, v7
	v_pk_fma_f32 v[106:107], v[16:17], v[4:5], v[34:35] neg_lo:[0,0,1] neg_hi:[0,0,1]
	v_pk_fma_f32 v[4:5], v[16:17], v[4:5], v[34:35] op_sel_hi:[1,0,1]
	v_pk_mul_f32 v[16:17], v[18:19], v[36:37] op_sel:[1,0] op_sel_hi:[0,0]
	s_waitcnt vmcnt(3) lgkmcnt(2)
	v_pk_mul_f32 v[96:97], v[20:21], v[8:9] op_sel:[1,1] op_sel_hi:[0,1]
	v_mov_b32_e32 v98, v11
	v_mov_b32_e32 v107, v5
	v_pk_fma_f32 v[4:5], v[18:19], v[6:7], v[16:17] neg_lo:[0,0,1] neg_hi:[0,0,1]
	v_pk_fma_f32 v[6:7], v[18:19], v[6:7], v[16:17] op_sel_hi:[1,0,1]
	v_pk_fma_f32 v[34:35], v[20:21], v[8:9], v[96:97] neg_lo:[0,0,1] neg_hi:[0,0,1]
	v_pk_fma_f32 v[8:9], v[20:21], v[8:9], v[96:97] op_sel_hi:[1,0,1]
	v_pk_mul_f32 v[20:21], v[22:23], v[98:99] op_sel:[1,0] op_sel_hi:[0,0]
	v_pk_add_f32 v[16:17], v[106:107], 0 op_sel_hi:[1,0]
	v_mov_b32_e32 v5, v7
	s_waitcnt vmcnt(2) lgkmcnt(1)
	v_pk_mul_f32 v[100:101], v[24:25], v[12:13] op_sel:[1,1] op_sel_hi:[0,1]
	v_mov_b32_e32 v102, v15
	v_mov_b32_e32 v35, v9
	v_pk_fma_f32 v[8:9], v[22:23], v[10:11], v[20:21] neg_lo:[0,0,1] neg_hi:[0,0,1]
	v_pk_fma_f32 v[10:11], v[22:23], v[10:11], v[20:21] op_sel_hi:[1,0,1]
	v_pk_add_f32 v[4:5], v[16:17], v[4:5]
	v_pk_fma_f32 v[36:37], v[24:25], v[12:13], v[100:101] neg_lo:[0,0,1] neg_hi:[0,0,1]
	v_pk_fma_f32 v[12:13], v[24:25], v[12:13], v[100:101] op_sel_hi:[1,0,1]
	v_pk_mul_f32 v[24:25], v[26:27], v[102:103] op_sel:[1,0] op_sel_hi:[0,0]
	v_mov_b32_e32 v9, v11
	v_pk_add_f32 v[4:5], v[4:5], v[34:35]
	s_waitcnt vmcnt(1) lgkmcnt(0)
	v_pk_mul_f32 v[104:105], v[32:33], v[28:29] op_sel:[1,1] op_sel_hi:[0,1]
	v_mov_b32_e32 v37, v13
	v_pk_fma_f32 v[12:13], v[26:27], v[14:15], v[24:25] neg_lo:[0,0,1] neg_hi:[0,0,1]
	v_pk_fma_f32 v[14:15], v[26:27], v[14:15], v[24:25] op_sel_hi:[1,0,1]
	v_pk_add_f32 v[4:5], v[4:5], v[8:9]
	v_pk_fma_f32 v[96:97], v[32:33], v[28:29], v[104:105] neg_lo:[0,0,1] neg_hi:[0,0,1]
	v_pk_fma_f32 v[28:29], v[32:33], v[28:29], v[104:105] op_sel_hi:[1,0,1]
	v_mov_b32_e32 v13, v15
	v_pk_add_f32 v[4:5], v[4:5], v[36:37]
	v_mov_b32_e32 v97, v29
	v_pk_add_f32 v[4:5], v[4:5], v[12:13]
	s_nop 0
	v_pk_add_f32 v[4:5], v[4:5], v[96:97]
	s_waitcnt vmcnt(0)
	v_pk_add_f32 v[4:5], v[30:31], v[4:5] neg_lo:[0,1] neg_hi:[0,1]
	scratch_store_dwordx2 off, v[4:5], off offset:168
	s_and_saveexec_b64 s[0:1], vcc
	s_cbranch_execz .LBB28_147
; %bb.146:
	scratch_load_dwordx2 v[4:5], off, off offset:160
	v_mov_b32_e32 v3, v2
	scratch_store_dwordx2 off, v[2:3], off offset:160
	s_waitcnt vmcnt(1)
	ds_write_b64 v1, v[4:5]
.LBB28_147:
	s_or_b64 exec, exec, s[0:1]
	s_waitcnt lgkmcnt(0)
	; wave barrier
	scratch_load_dwordx4 v[4:7], off, off offset:168
	scratch_load_dwordx4 v[8:11], off, off offset:184
	;; [unrolled: 1-line block ×4, first 2 shown]
	scratch_load_dwordx2 v[36:37], off, off offset:160
	ds_read2_b64 v[20:23], v2 offset0:51 offset1:52
	ds_read2_b64 v[24:27], v2 offset0:53 offset1:54
	;; [unrolled: 1-line block ×4, first 2 shown]
	v_cmp_lt_u32_e32 vcc, 19, v0
	s_waitcnt vmcnt(4) lgkmcnt(3)
	v_pk_mul_f32 v[2:3], v[20:21], v[4:5] op_sel:[1,1] op_sel_hi:[0,1]
	v_mov_b32_e32 v96, v7
	s_waitcnt vmcnt(3) lgkmcnt(2)
	v_pk_mul_f32 v[98:99], v[24:25], v[8:9] op_sel:[1,1] op_sel_hi:[0,1]
	v_mov_b32_e32 v100, v11
	;; [unrolled: 3-line block ×4, first 2 shown]
	v_pk_fma_f32 v[110:111], v[20:21], v[4:5], v[2:3] neg_lo:[0,0,1] neg_hi:[0,0,1]
	v_pk_fma_f32 v[2:3], v[20:21], v[4:5], v[2:3] op_sel_hi:[1,0,1]
	v_pk_mul_f32 v[4:5], v[22:23], v[96:97] op_sel:[1,0] op_sel_hi:[0,0]
	v_pk_fma_f32 v[20:21], v[24:25], v[8:9], v[98:99] neg_lo:[0,0,1] neg_hi:[0,0,1]
	v_pk_fma_f32 v[8:9], v[24:25], v[8:9], v[98:99] op_sel_hi:[1,0,1]
	v_pk_mul_f32 v[24:25], v[26:27], v[100:101] op_sel:[1,0] op_sel_hi:[0,0]
	;; [unrolled: 3-line block ×4, first 2 shown]
	v_mov_b32_e32 v111, v3
	v_pk_fma_f32 v[2:3], v[22:23], v[6:7], v[4:5] neg_lo:[0,0,1] neg_hi:[0,0,1]
	v_pk_fma_f32 v[4:5], v[22:23], v[6:7], v[4:5] op_sel_hi:[1,0,1]
	v_mov_b32_e32 v21, v9
	v_pk_fma_f32 v[6:7], v[26:27], v[10:11], v[24:25] neg_lo:[0,0,1] neg_hi:[0,0,1]
	v_pk_fma_f32 v[8:9], v[26:27], v[10:11], v[24:25] op_sel_hi:[1,0,1]
	v_mov_b32_e32 v97, v13
	v_pk_fma_f32 v[10:11], v[30:31], v[14:15], v[28:29] neg_lo:[0,0,1] neg_hi:[0,0,1]
	v_pk_fma_f32 v[12:13], v[30:31], v[14:15], v[28:29] op_sel_hi:[1,0,1]
	v_mov_b32_e32 v99, v17
	v_pk_fma_f32 v[14:15], v[34:35], v[18:19], v[32:33] neg_lo:[0,0,1] neg_hi:[0,0,1]
	v_pk_fma_f32 v[16:17], v[34:35], v[18:19], v[32:33] op_sel_hi:[1,0,1]
	v_pk_add_f32 v[18:19], v[110:111], 0 op_sel_hi:[1,0]
	v_mov_b32_e32 v3, v5
	v_pk_add_f32 v[2:3], v[18:19], v[2:3]
	v_mov_b32_e32 v7, v9
	v_pk_add_f32 v[2:3], v[2:3], v[20:21]
	;; [unrolled: 2-line block ×4, first 2 shown]
	s_nop 0
	v_pk_add_f32 v[2:3], v[2:3], v[10:11]
	s_nop 0
	v_pk_add_f32 v[2:3], v[2:3], v[98:99]
	;; [unrolled: 2-line block ×3, first 2 shown]
	s_waitcnt vmcnt(0)
	v_pk_add_f32 v[2:3], v[36:37], v[2:3] neg_lo:[0,1] neg_hi:[0,1]
	scratch_store_dwordx2 off, v[2:3], off offset:160
	s_and_saveexec_b64 s[0:1], vcc
	s_cbranch_execz .LBB28_149
; %bb.148:
	scratch_load_dwordx2 v[2:3], off, off offset:152
	v_mov_b32_e32 v4, 0
	v_mov_b32_e32 v5, v4
	scratch_store_dwordx2 off, v[4:5], off offset:152
	s_waitcnt vmcnt(1)
	ds_write_b64 v1, v[2:3]
.LBB28_149:
	s_or_b64 exec, exec, s[0:1]
	s_waitcnt lgkmcnt(0)
	; wave barrier
	scratch_load_dwordx4 v[4:7], off, off offset:160
	scratch_load_dwordx4 v[8:11], off, off offset:176
	;; [unrolled: 1-line block ×4, first 2 shown]
	scratch_load_dwordx2 v[36:37], off, off offset:224
	scratch_load_dwordx2 v[96:97], off, off offset:152
	v_mov_b32_e32 v2, 0
	ds_read_b128 v[20:23], v2 offset:400
	ds_read_b128 v[24:27], v2 offset:416
	;; [unrolled: 1-line block ×4, first 2 shown]
	ds_read_b64 v[98:99], v2 offset:464
	v_cmp_lt_u32_e32 vcc, 18, v0
	s_waitcnt vmcnt(5) lgkmcnt(4)
	v_mul_f32_e32 v101, v20, v5
	v_mul_f32_e32 v3, v21, v5
	v_mov_b32_e32 v102, v7
	s_waitcnt vmcnt(4) lgkmcnt(3)
	v_pk_mul_f32 v[104:105], v[24:25], v[8:9] op_sel:[1,1] op_sel_hi:[0,1]
	v_mov_b32_e32 v106, v11
	s_waitcnt vmcnt(1) lgkmcnt(0)
	v_pk_mul_f32 v[116:117], v[98:99], v[36:37] op_sel:[1,1] op_sel_hi:[0,1]
	v_fmac_f32_e32 v101, v21, v4
	v_fma_f32 v100, v20, v4, -v3
	v_pk_mul_f32 v[4:5], v[22:23], v[102:103] op_sel:[1,0] op_sel_hi:[0,0]
	v_pk_fma_f32 v[20:21], v[24:25], v[8:9], v[104:105] neg_lo:[0,0,1] neg_hi:[0,0,1]
	v_pk_fma_f32 v[8:9], v[24:25], v[8:9], v[104:105] op_sel_hi:[1,0,1]
	v_pk_mul_f32 v[24:25], v[26:27], v[106:107] op_sel:[1,0] op_sel_hi:[0,0]
	v_pk_fma_f32 v[106:107], v[98:99], v[36:37], v[116:117] neg_lo:[0,0,1] neg_hi:[0,0,1]
	v_pk_fma_f32 v[36:37], v[98:99], v[36:37], v[116:117] op_sel_hi:[1,0,1]
	v_pk_add_f32 v[98:99], v[100:101], 0 op_sel_hi:[1,0]
	v_pk_fma_f32 v[100:101], v[22:23], v[6:7], v[4:5] neg_lo:[0,0,1] neg_hi:[0,0,1]
	v_pk_fma_f32 v[4:5], v[22:23], v[6:7], v[4:5] op_sel_hi:[1,0,1]
	v_pk_mul_f32 v[108:109], v[28:29], v[12:13] op_sel:[1,1] op_sel_hi:[0,1]
	v_mov_b32_e32 v101, v5
	v_mov_b32_e32 v110, v15
	v_mov_b32_e32 v21, v9
	v_pk_fma_f32 v[6:7], v[26:27], v[10:11], v[24:25] neg_lo:[0,0,1] neg_hi:[0,0,1]
	v_pk_fma_f32 v[8:9], v[26:27], v[10:11], v[24:25] op_sel_hi:[1,0,1]
	v_pk_add_f32 v[4:5], v[98:99], v[100:101]
	v_pk_fma_f32 v[102:103], v[28:29], v[12:13], v[108:109] neg_lo:[0,0,1] neg_hi:[0,0,1]
	v_pk_fma_f32 v[12:13], v[28:29], v[12:13], v[108:109] op_sel_hi:[1,0,1]
	v_pk_mul_f32 v[28:29], v[30:31], v[110:111] op_sel:[1,0] op_sel_hi:[0,0]
	v_mov_b32_e32 v7, v9
	v_pk_add_f32 v[4:5], v[4:5], v[20:21]
	v_pk_mul_f32 v[112:113], v[32:33], v[16:17] op_sel:[1,1] op_sel_hi:[0,1]
	v_mov_b32_e32 v114, v19
	v_mov_b32_e32 v103, v13
	v_pk_fma_f32 v[10:11], v[30:31], v[14:15], v[28:29] neg_lo:[0,0,1] neg_hi:[0,0,1]
	v_pk_fma_f32 v[12:13], v[30:31], v[14:15], v[28:29] op_sel_hi:[1,0,1]
	v_pk_add_f32 v[4:5], v[4:5], v[6:7]
	v_pk_fma_f32 v[104:105], v[32:33], v[16:17], v[112:113] neg_lo:[0,0,1] neg_hi:[0,0,1]
	v_pk_fma_f32 v[16:17], v[32:33], v[16:17], v[112:113] op_sel_hi:[1,0,1]
	v_pk_mul_f32 v[32:33], v[34:35], v[114:115] op_sel:[1,0] op_sel_hi:[0,0]
	v_mov_b32_e32 v11, v13
	v_pk_add_f32 v[4:5], v[4:5], v[102:103]
	v_mov_b32_e32 v105, v17
	v_pk_fma_f32 v[14:15], v[34:35], v[18:19], v[32:33] neg_lo:[0,0,1] neg_hi:[0,0,1]
	v_pk_fma_f32 v[16:17], v[34:35], v[18:19], v[32:33] op_sel_hi:[1,0,1]
	v_pk_add_f32 v[4:5], v[4:5], v[10:11]
	v_mov_b32_e32 v15, v17
	v_pk_add_f32 v[4:5], v[4:5], v[104:105]
	v_mov_b32_e32 v107, v37
	v_pk_add_f32 v[4:5], v[4:5], v[14:15]
	s_nop 0
	v_pk_add_f32 v[4:5], v[4:5], v[106:107]
	s_waitcnt vmcnt(0)
	v_pk_add_f32 v[4:5], v[96:97], v[4:5] neg_lo:[0,1] neg_hi:[0,1]
	scratch_store_dwordx2 off, v[4:5], off offset:152
	s_and_saveexec_b64 s[0:1], vcc
	s_cbranch_execz .LBB28_151
; %bb.150:
	scratch_load_dwordx2 v[4:5], off, off offset:144
	v_mov_b32_e32 v3, v2
	scratch_store_dwordx2 off, v[2:3], off offset:144
	s_waitcnt vmcnt(1)
	ds_write_b64 v1, v[4:5]
.LBB28_151:
	s_or_b64 exec, exec, s[0:1]
	s_waitcnt lgkmcnt(0)
	; wave barrier
	scratch_load_dwordx4 v[4:7], off, off offset:152
	scratch_load_dwordx4 v[8:11], off, off offset:168
	scratch_load_dwordx4 v[12:15], off, off offset:184
	scratch_load_dwordx4 v[16:19], off, off offset:200
	scratch_load_dwordx4 v[20:23], off, off offset:216
	scratch_load_dwordx2 v[36:37], off, off offset:144
	ds_read2_b64 v[24:27], v2 offset0:49 offset1:50
	ds_read2_b64 v[28:31], v2 offset0:51 offset1:52
	;; [unrolled: 1-line block ×5, first 2 shown]
	v_cmp_lt_u32_e32 vcc, 17, v0
	s_waitcnt vmcnt(5) lgkmcnt(4)
	v_mul_f32_e32 v3, v24, v5
	v_mul_f32_e32 v2, v25, v5
	v_mul_f32_e32 v105, v26, v7
	v_mul_f32_e32 v5, v27, v7
	s_waitcnt vmcnt(4) lgkmcnt(3)
	v_pk_mul_f32 v[106:107], v[28:29], v[8:9] op_sel:[1,1] op_sel_hi:[0,1]
	v_mov_b32_e32 v108, v11
	v_fmac_f32_e32 v3, v25, v4
	v_fma_f32 v2, v24, v4, -v2
	v_fmac_f32_e32 v105, v27, v6
	v_fma_f32 v104, v26, v6, -v5
	v_pk_fma_f32 v[4:5], v[28:29], v[8:9], v[106:107] neg_lo:[0,0,1] neg_hi:[0,0,1]
	v_pk_fma_f32 v[6:7], v[28:29], v[8:9], v[106:107] op_sel_hi:[1,0,1]
	v_pk_mul_f32 v[8:9], v[30:31], v[108:109] op_sel:[1,0] op_sel_hi:[0,0]
	v_pk_add_f32 v[2:3], v[2:3], 0 op_sel_hi:[1,0]
	s_waitcnt vmcnt(3) lgkmcnt(2)
	v_pk_mul_f32 v[110:111], v[32:33], v[12:13] op_sel:[1,1] op_sel_hi:[0,1]
	v_mov_b32_e32 v112, v15
	v_mov_b32_e32 v5, v7
	v_pk_fma_f32 v[6:7], v[30:31], v[10:11], v[8:9] neg_lo:[0,0,1] neg_hi:[0,0,1]
	v_pk_fma_f32 v[8:9], v[30:31], v[10:11], v[8:9] op_sel_hi:[1,0,1]
	v_pk_add_f32 v[2:3], v[2:3], v[104:105]
	v_pk_fma_f32 v[24:25], v[32:33], v[12:13], v[110:111] neg_lo:[0,0,1] neg_hi:[0,0,1]
	v_pk_fma_f32 v[12:13], v[32:33], v[12:13], v[110:111] op_sel_hi:[1,0,1]
	v_pk_mul_f32 v[26:27], v[34:35], v[112:113] op_sel:[1,0] op_sel_hi:[0,0]
	v_mov_b32_e32 v7, v9
	v_pk_add_f32 v[2:3], v[2:3], v[4:5]
	s_waitcnt vmcnt(2) lgkmcnt(1)
	v_pk_mul_f32 v[114:115], v[96:97], v[16:17] op_sel:[1,1] op_sel_hi:[0,1]
	v_mov_b32_e32 v116, v19
	v_mov_b32_e32 v25, v13
	v_pk_fma_f32 v[10:11], v[34:35], v[14:15], v[26:27] neg_lo:[0,0,1] neg_hi:[0,0,1]
	v_pk_fma_f32 v[12:13], v[34:35], v[14:15], v[26:27] op_sel_hi:[1,0,1]
	v_pk_add_f32 v[2:3], v[2:3], v[6:7]
	v_pk_fma_f32 v[28:29], v[96:97], v[16:17], v[114:115] neg_lo:[0,0,1] neg_hi:[0,0,1]
	v_pk_fma_f32 v[16:17], v[96:97], v[16:17], v[114:115] op_sel_hi:[1,0,1]
	v_pk_mul_f32 v[32:33], v[98:99], v[116:117] op_sel:[1,0] op_sel_hi:[0,0]
	v_mov_b32_e32 v11, v13
	v_pk_add_f32 v[2:3], v[2:3], v[24:25]
	;; [unrolled: 12-line block ×3, first 2 shown]
	v_mov_b32_e32 v97, v21
	v_pk_fma_f32 v[18:19], v[102:103], v[22:23], v[100:101] neg_lo:[0,0,1] neg_hi:[0,0,1]
	v_pk_fma_f32 v[20:21], v[102:103], v[22:23], v[100:101] op_sel_hi:[1,0,1]
	v_pk_add_f32 v[2:3], v[2:3], v[14:15]
	v_mov_b32_e32 v19, v21
	v_pk_add_f32 v[2:3], v[2:3], v[96:97]
	s_nop 0
	v_pk_add_f32 v[2:3], v[2:3], v[18:19]
	s_waitcnt vmcnt(0)
	v_pk_add_f32 v[2:3], v[36:37], v[2:3] neg_lo:[0,1] neg_hi:[0,1]
	scratch_store_dwordx2 off, v[2:3], off offset:144
	s_and_saveexec_b64 s[0:1], vcc
	s_cbranch_execz .LBB28_153
; %bb.152:
	scratch_load_dwordx2 v[2:3], off, off offset:136
	v_mov_b32_e32 v4, 0
	v_mov_b32_e32 v5, v4
	scratch_store_dwordx2 off, v[4:5], off offset:136
	s_waitcnt vmcnt(1)
	ds_write_b64 v1, v[2:3]
.LBB28_153:
	s_or_b64 exec, exec, s[0:1]
	s_waitcnt lgkmcnt(0)
	; wave barrier
	scratch_load_dwordx4 v[4:7], off, off offset:144
	scratch_load_dwordx4 v[8:11], off, off offset:160
	;; [unrolled: 1-line block ×5, first 2 shown]
	scratch_load_dwordx2 v[36:37], off, off offset:224
	scratch_load_dwordx2 v[104:105], off, off offset:136
	v_mov_b32_e32 v2, 0
	ds_read_b128 v[24:27], v2 offset:384
	ds_read_b128 v[28:31], v2 offset:400
	;; [unrolled: 1-line block ×5, first 2 shown]
	ds_read_b64 v[106:107], v2 offset:464
	v_cmp_lt_u32_e32 vcc, 16, v0
	s_waitcnt vmcnt(6) lgkmcnt(5)
	v_mul_f32_e32 v3, v24, v5
	v_mul_f32_e32 v5, v25, v5
	;; [unrolled: 1-line block ×3, first 2 shown]
	s_waitcnt vmcnt(5) lgkmcnt(4)
	v_mul_f32_e32 v111, v28, v9
	v_mul_f32_e32 v7, v27, v7
	;; [unrolled: 1-line block ×3, first 2 shown]
	v_mov_b32_e32 v112, v11
	s_waitcnt vmcnt(2) lgkmcnt(1)
	v_pk_mul_f32 v[122:123], v[100:101], v[20:21] op_sel:[1,1] op_sel_hi:[0,1]
	v_fmac_f32_e32 v3, v25, v4
	v_fma_f32 v113, v24, v4, -v5
	v_pk_mul_f32 v[118:119], v[96:97], v[16:17] op_sel:[1,1] op_sel_hi:[0,1]
	s_waitcnt vmcnt(1) lgkmcnt(0)
	v_pk_mul_f32 v[126:127], v[106:107], v[36:37] op_sel:[1,1] op_sel_hi:[0,1]
	v_fmac_f32_e32 v109, v27, v6
	v_fmac_f32_e32 v111, v29, v8
	v_fma_f32 v108, v26, v6, -v7
	v_fma_f32 v110, v28, v8, -v9
	v_pk_mul_f32 v[4:5], v[30:31], v[112:113] op_sel:[1,0] op_sel_hi:[0,0]
	v_pk_fma_f32 v[28:29], v[100:101], v[20:21], v[122:123] neg_lo:[0,0,1] neg_hi:[0,0,1]
	v_pk_fma_f32 v[20:21], v[100:101], v[20:21], v[122:123] op_sel_hi:[1,0,1]
	v_add_f32_e32 v101, 0, v3
	v_add_f32_e32 v100, 0, v113
	v_pk_mul_f32 v[114:115], v[32:33], v[12:13] op_sel:[1,1] op_sel_hi:[0,1]
	v_mov_b32_e32 v116, v15
	v_pk_fma_f32 v[24:25], v[96:97], v[16:17], v[118:119] neg_lo:[0,0,1] neg_hi:[0,0,1]
	v_pk_fma_f32 v[16:17], v[96:97], v[16:17], v[118:119] op_sel_hi:[1,0,1]
	v_pk_fma_f32 v[96:97], v[106:107], v[36:37], v[126:127] neg_lo:[0,0,1] neg_hi:[0,0,1]
	v_pk_fma_f32 v[36:37], v[106:107], v[36:37], v[126:127] op_sel_hi:[1,0,1]
	;; [unrolled: 2-line block ×3, first 2 shown]
	v_mov_b32_e32 v29, v21
	v_pk_add_f32 v[20:21], v[100:101], v[108:109]
	v_pk_fma_f32 v[6:7], v[32:33], v[12:13], v[114:115] neg_lo:[0,0,1] neg_hi:[0,0,1]
	v_pk_fma_f32 v[8:9], v[32:33], v[12:13], v[114:115] op_sel_hi:[1,0,1]
	v_pk_mul_f32 v[12:13], v[34:35], v[116:117] op_sel:[1,0] op_sel_hi:[0,0]
	v_mov_b32_e32 v107, v5
	v_pk_add_f32 v[4:5], v[20:21], v[110:111]
	v_mov_b32_e32 v120, v19
	v_mov_b32_e32 v7, v9
	v_pk_fma_f32 v[8:9], v[34:35], v[14:15], v[12:13] neg_lo:[0,0,1] neg_hi:[0,0,1]
	v_pk_fma_f32 v[10:11], v[34:35], v[14:15], v[12:13] op_sel_hi:[1,0,1]
	v_pk_add_f32 v[4:5], v[4:5], v[106:107]
	v_pk_mul_f32 v[26:27], v[98:99], v[120:121] op_sel:[1,0] op_sel_hi:[0,0]
	v_mov_b32_e32 v9, v11
	v_pk_add_f32 v[4:5], v[4:5], v[6:7]
	v_mov_b32_e32 v124, v23
	v_mov_b32_e32 v25, v17
	v_pk_fma_f32 v[12:13], v[98:99], v[18:19], v[26:27] neg_lo:[0,0,1] neg_hi:[0,0,1]
	v_pk_fma_f32 v[14:15], v[98:99], v[18:19], v[26:27] op_sel_hi:[1,0,1]
	v_pk_add_f32 v[4:5], v[4:5], v[8:9]
	v_pk_mul_f32 v[32:33], v[102:103], v[124:125] op_sel:[1,0] op_sel_hi:[0,0]
	v_mov_b32_e32 v13, v15
	v_pk_add_f32 v[4:5], v[4:5], v[24:25]
	v_pk_fma_f32 v[16:17], v[102:103], v[22:23], v[32:33] neg_lo:[0,0,1] neg_hi:[0,0,1]
	v_pk_fma_f32 v[18:19], v[102:103], v[22:23], v[32:33] op_sel_hi:[1,0,1]
	v_pk_add_f32 v[4:5], v[4:5], v[12:13]
	v_mov_b32_e32 v17, v19
	v_pk_add_f32 v[4:5], v[4:5], v[28:29]
	v_mov_b32_e32 v97, v37
	v_pk_add_f32 v[4:5], v[4:5], v[16:17]
	s_nop 0
	v_pk_add_f32 v[4:5], v[4:5], v[96:97]
	s_waitcnt vmcnt(0)
	v_pk_add_f32 v[4:5], v[104:105], v[4:5] neg_lo:[0,1] neg_hi:[0,1]
	scratch_store_dwordx2 off, v[4:5], off offset:136
	s_and_saveexec_b64 s[0:1], vcc
	s_cbranch_execz .LBB28_155
; %bb.154:
	scratch_load_dwordx2 v[4:5], off, off offset:128
	v_mov_b32_e32 v3, v2
	scratch_store_dwordx2 off, v[2:3], off offset:128
	s_waitcnt vmcnt(1)
	ds_write_b64 v1, v[4:5]
.LBB28_155:
	s_or_b64 exec, exec, s[0:1]
	s_waitcnt lgkmcnt(0)
	; wave barrier
	scratch_load_dwordx4 v[4:7], off, off offset:136
	scratch_load_dwordx4 v[8:11], off, off offset:152
	scratch_load_dwordx4 v[12:15], off, off offset:168
	scratch_load_dwordx4 v[16:19], off, off offset:184
	scratch_load_dwordx4 v[20:23], off, off offset:200
	scratch_load_dwordx4 v[24:27], off, off offset:216
	scratch_load_dwordx2 v[36:37], off, off offset:128
	ds_read2_b64 v[28:31], v2 offset0:47 offset1:48
	ds_read2_b64 v[32:35], v2 offset0:49 offset1:50
	;; [unrolled: 1-line block ×6, first 2 shown]
	v_cmp_lt_u32_e32 vcc, 15, v0
	s_waitcnt vmcnt(6) lgkmcnt(5)
	v_mul_f32_e32 v117, v28, v5
	v_mul_f32_e32 v121, v30, v7
	s_waitcnt vmcnt(5) lgkmcnt(4)
	v_mul_f32_e32 v3, v32, v9
	v_mul_f32_e32 v2, v29, v5
	v_mul_f32_e32 v5, v31, v7
	v_mul_f32_e32 v7, v33, v9
	s_waitcnt vmcnt(1) lgkmcnt(0)
	v_pk_mul_f32 v[126:127], v[108:109], v[24:25] op_sel:[1,1] op_sel_hi:[0,1]
	v_pk_mul_f32 v[114:115], v[96:97], v[12:13] op_sel:[1,1] op_sel_hi:[0,1]
	v_fmac_f32_e32 v117, v29, v4
	v_fmac_f32_e32 v3, v33, v8
	v_fma_f32 v125, v28, v4, -v2
	v_fma_f32 v2, v32, v8, -v7
	v_pk_fma_f32 v[32:33], v[108:109], v[24:25], v[126:127] neg_lo:[0,0,1] neg_hi:[0,0,1]
	v_pk_fma_f32 v[24:25], v[108:109], v[24:25], v[126:127] op_sel_hi:[1,0,1]
	v_fmac_f32_e32 v121, v31, v6
	v_fma_f32 v129, v30, v6, -v5
	v_pk_fma_f32 v[4:5], v[96:97], v[12:13], v[114:115] neg_lo:[0,0,1] neg_hi:[0,0,1]
	v_pk_fma_f32 v[6:7], v[96:97], v[12:13], v[114:115] op_sel_hi:[1,0,1]
	v_add_f32_e32 v24, 0, v117
	v_add_f32_e32 v96, 0, v125
	v_mul_f32_e32 v113, v34, v11
	v_mul_f32_e32 v9, v35, v11
	v_mov_b32_e32 v116, v15
	v_mov_b32_e32 v33, v25
	v_add_f32_e32 v25, v24, v121
	v_add_f32_e32 v24, v96, v129
	v_fmac_f32_e32 v113, v35, v10
	v_fma_f32 v112, v34, v10, -v9
	v_pk_mul_f32 v[8:9], v[98:99], v[116:117] op_sel:[1,0] op_sel_hi:[0,0]
	v_pk_add_f32 v[2:3], v[24:25], v[2:3]
	v_pk_mul_f32 v[118:119], v[100:101], v[16:17] op_sel:[1,1] op_sel_hi:[0,1]
	v_mov_b32_e32 v120, v19
	v_mov_b32_e32 v5, v7
	v_pk_fma_f32 v[6:7], v[98:99], v[14:15], v[8:9] neg_lo:[0,0,1] neg_hi:[0,0,1]
	v_pk_fma_f32 v[8:9], v[98:99], v[14:15], v[8:9] op_sel_hi:[1,0,1]
	v_pk_add_f32 v[2:3], v[2:3], v[112:113]
	v_pk_fma_f32 v[10:11], v[100:101], v[16:17], v[118:119] neg_lo:[0,0,1] neg_hi:[0,0,1]
	v_pk_fma_f32 v[12:13], v[100:101], v[16:17], v[118:119] op_sel_hi:[1,0,1]
	v_pk_mul_f32 v[16:17], v[102:103], v[120:121] op_sel:[1,0] op_sel_hi:[0,0]
	v_mov_b32_e32 v7, v9
	v_pk_add_f32 v[2:3], v[2:3], v[4:5]
	v_pk_mul_f32 v[122:123], v[104:105], v[20:21] op_sel:[1,1] op_sel_hi:[0,1]
	v_mov_b32_e32 v124, v23
	v_mov_b32_e32 v11, v13
	v_pk_fma_f32 v[12:13], v[102:103], v[18:19], v[16:17] neg_lo:[0,0,1] neg_hi:[0,0,1]
	v_pk_fma_f32 v[14:15], v[102:103], v[18:19], v[16:17] op_sel_hi:[1,0,1]
	v_pk_add_f32 v[2:3], v[2:3], v[6:7]
	v_pk_fma_f32 v[28:29], v[104:105], v[20:21], v[122:123] neg_lo:[0,0,1] neg_hi:[0,0,1]
	v_pk_fma_f32 v[20:21], v[104:105], v[20:21], v[122:123] op_sel_hi:[1,0,1]
	v_pk_mul_f32 v[30:31], v[106:107], v[124:125] op_sel:[1,0] op_sel_hi:[0,0]
	v_mov_b32_e32 v13, v15
	v_pk_add_f32 v[2:3], v[2:3], v[10:11]
	v_mov_b32_e32 v128, v27
	v_mov_b32_e32 v29, v21
	v_pk_fma_f32 v[16:17], v[106:107], v[22:23], v[30:31] neg_lo:[0,0,1] neg_hi:[0,0,1]
	v_pk_fma_f32 v[18:19], v[106:107], v[22:23], v[30:31] op_sel_hi:[1,0,1]
	v_pk_add_f32 v[2:3], v[2:3], v[12:13]
	v_pk_mul_f32 v[34:35], v[110:111], v[128:129] op_sel:[1,0] op_sel_hi:[0,0]
	v_mov_b32_e32 v17, v19
	v_pk_add_f32 v[2:3], v[2:3], v[28:29]
	v_pk_fma_f32 v[20:21], v[110:111], v[26:27], v[34:35] neg_lo:[0,0,1] neg_hi:[0,0,1]
	v_pk_fma_f32 v[22:23], v[110:111], v[26:27], v[34:35] op_sel_hi:[1,0,1]
	v_pk_add_f32 v[2:3], v[2:3], v[16:17]
	v_mov_b32_e32 v21, v23
	v_pk_add_f32 v[2:3], v[2:3], v[32:33]
	s_nop 0
	v_pk_add_f32 v[2:3], v[2:3], v[20:21]
	s_waitcnt vmcnt(0)
	v_pk_add_f32 v[2:3], v[36:37], v[2:3] neg_lo:[0,1] neg_hi:[0,1]
	scratch_store_dwordx2 off, v[2:3], off offset:128
	s_and_saveexec_b64 s[0:1], vcc
	s_cbranch_execz .LBB28_157
; %bb.156:
	scratch_load_dwordx2 v[2:3], off, off offset:120
	v_mov_b32_e32 v4, 0
	v_mov_b32_e32 v5, v4
	scratch_store_dwordx2 off, v[4:5], off offset:120
	s_waitcnt vmcnt(1)
	ds_write_b64 v1, v[2:3]
.LBB28_157:
	s_or_b64 exec, exec, s[0:1]
	v_mov_b32_e32 v2, 0
	s_waitcnt lgkmcnt(0)
	; wave barrier
	ds_read_b128 v[4:7], v2 offset:368
	ds_read_b128 v[8:11], v2 offset:384
	ds_read_b128 v[12:15], v2 offset:400
	ds_read_b128 v[16:19], v2 offset:416
	scratch_load_dwordx4 v[20:23], off, off offset:128
	v_cmp_lt_u32_e32 vcc, 14, v0
	s_waitcnt vmcnt(0) lgkmcnt(3)
	v_mul_f32_e32 v3, v4, v21
	v_fmac_f32_e32 v3, v5, v20
	v_mul_f32_e32 v24, v6, v23
	v_add_f32_e32 v3, 0, v3
	v_fmac_f32_e32 v24, v7, v22
	v_add_f32_e32 v3, v3, v24
	scratch_load_dwordx4 v[24:27], off, off offset:144
	s_waitcnt vmcnt(0) lgkmcnt(2)
	v_mul_f32_e32 v28, v8, v25
	v_fmac_f32_e32 v28, v9, v24
	v_add_f32_e32 v37, v3, v28
	scratch_load_dwordx4 v[28:31], off, off offset:160
	scratch_load_dwordx4 v[32:35], off, off offset:176
	;; [unrolled: 1-line block ×4, first 2 shown]
	scratch_load_dwordx2 v[108:109], off, off offset:224
	v_mul_f32_e32 v3, v5, v21
	v_fma_f32 v3, v4, v20, -v3
	v_mul_f32_e32 v4, v7, v23
	v_add_f32_e32 v3, 0, v3
	v_fma_f32 v4, v6, v22, -v4
	v_add_f32_e32 v3, v3, v4
	v_mul_f32_e32 v4, v9, v25
	v_fma_f32 v4, v8, v24, -v4
	v_mul_f32_e32 v105, v10, v27
	v_add_f32_e32 v36, v3, v4
	v_mul_f32_e32 v3, v11, v27
	v_fmac_f32_e32 v105, v11, v26
	v_fma_f32 v104, v10, v26, -v3
	v_pk_add_f32 v[20:21], v[36:37], v[104:105]
	s_waitcnt vmcnt(4)
	v_mov_b32_e32 v22, v31
	s_waitcnt lgkmcnt(1)
	v_mul_f32_e32 v107, v12, v29
	v_mul_f32_e32 v3, v13, v29
	v_pk_mul_f32 v[22:23], v[14:15], v[22:23] op_sel:[1,0] op_sel_hi:[0,0]
	v_fmac_f32_e32 v107, v13, v28
	v_fma_f32 v106, v12, v28, -v3
	v_pk_fma_f32 v[24:25], v[14:15], v[30:31], v[22:23] neg_lo:[0,0,1] neg_hi:[0,0,1]
	v_pk_fma_f32 v[14:15], v[14:15], v[30:31], v[22:23] op_sel_hi:[1,0,1]
	v_pk_add_f32 v[20:21], v[20:21], v[106:107]
	v_mov_b32_e32 v25, v15
	v_pk_add_f32 v[14:15], v[20:21], v[24:25]
	s_waitcnt vmcnt(3) lgkmcnt(0)
	v_pk_mul_f32 v[20:21], v[16:17], v[32:33] op_sel:[1,1] op_sel_hi:[0,1]
	v_pk_fma_f32 v[22:23], v[16:17], v[32:33], v[20:21] neg_lo:[0,0,1] neg_hi:[0,0,1]
	v_pk_fma_f32 v[16:17], v[16:17], v[32:33], v[20:21] op_sel_hi:[1,0,1]
	ds_read_b128 v[4:7], v2 offset:432
	ds_read_b128 v[8:11], v2 offset:448
	ds_read_b64 v[12:13], v2 offset:464
	v_mov_b32_e32 v16, v35
	v_mov_b32_e32 v23, v17
	v_pk_mul_f32 v[16:17], v[18:19], v[16:17] op_sel:[1,0] op_sel_hi:[0,0]
	v_pk_fma_f32 v[20:21], v[18:19], v[34:35], v[16:17] neg_lo:[0,0,1] neg_hi:[0,0,1]
	v_pk_fma_f32 v[16:17], v[18:19], v[34:35], v[16:17] op_sel_hi:[1,0,1]
	v_pk_add_f32 v[14:15], v[14:15], v[22:23]
	v_mov_b32_e32 v21, v17
	s_waitcnt vmcnt(2) lgkmcnt(2)
	v_pk_mul_f32 v[16:17], v[4:5], v[96:97] op_sel:[1,1] op_sel_hi:[0,1]
	v_pk_fma_f32 v[18:19], v[4:5], v[96:97], v[16:17] neg_lo:[0,0,1] neg_hi:[0,0,1]
	v_pk_fma_f32 v[4:5], v[4:5], v[96:97], v[16:17] op_sel_hi:[1,0,1]
	v_pk_add_f32 v[14:15], v[14:15], v[20:21]
	v_mov_b32_e32 v19, v5
	v_pk_add_f32 v[4:5], v[14:15], v[18:19]
	v_mov_b32_e32 v14, v99
	v_pk_mul_f32 v[14:15], v[6:7], v[14:15] op_sel:[1,0] op_sel_hi:[0,0]
	v_pk_fma_f32 v[16:17], v[6:7], v[98:99], v[14:15] neg_lo:[0,0,1] neg_hi:[0,0,1]
	v_pk_fma_f32 v[6:7], v[6:7], v[98:99], v[14:15] op_sel_hi:[1,0,1]
	s_nop 0
	v_mov_b32_e32 v17, v7
	s_waitcnt vmcnt(1) lgkmcnt(1)
	v_pk_mul_f32 v[6:7], v[8:9], v[100:101] op_sel:[1,1] op_sel_hi:[0,1]
	v_pk_fma_f32 v[14:15], v[8:9], v[100:101], v[6:7] neg_lo:[0,0,1] neg_hi:[0,0,1]
	v_pk_fma_f32 v[6:7], v[8:9], v[100:101], v[6:7] op_sel_hi:[1,0,1]
	v_pk_add_f32 v[4:5], v[4:5], v[16:17]
	v_mov_b32_e32 v6, v103
	v_mov_b32_e32 v15, v7
	v_pk_mul_f32 v[6:7], v[10:11], v[6:7] op_sel:[1,0] op_sel_hi:[0,0]
	v_pk_fma_f32 v[8:9], v[10:11], v[102:103], v[6:7] neg_lo:[0,0,1] neg_hi:[0,0,1]
	v_pk_fma_f32 v[6:7], v[10:11], v[102:103], v[6:7] op_sel_hi:[1,0,1]
	v_pk_add_f32 v[4:5], v[4:5], v[14:15]
	v_mov_b32_e32 v9, v7
	s_waitcnt vmcnt(0) lgkmcnt(0)
	v_pk_mul_f32 v[6:7], v[12:13], v[108:109] op_sel:[1,1] op_sel_hi:[0,1]
	v_pk_add_f32 v[4:5], v[4:5], v[8:9]
	v_pk_fma_f32 v[8:9], v[12:13], v[108:109], v[6:7] neg_lo:[0,0,1] neg_hi:[0,0,1]
	v_pk_fma_f32 v[6:7], v[12:13], v[108:109], v[6:7] op_sel_hi:[1,0,1]
	s_nop 0
	v_mov_b32_e32 v9, v7
	scratch_load_dwordx2 v[6:7], off, off offset:120
	v_pk_add_f32 v[4:5], v[4:5], v[8:9]
	s_waitcnt vmcnt(0)
	v_pk_add_f32 v[4:5], v[6:7], v[4:5] neg_lo:[0,1] neg_hi:[0,1]
	scratch_store_dwordx2 off, v[4:5], off offset:120
	s_and_saveexec_b64 s[0:1], vcc
	s_cbranch_execz .LBB28_159
; %bb.158:
	scratch_load_dwordx2 v[4:5], off, off offset:112
	v_mov_b32_e32 v3, v2
	scratch_store_dwordx2 off, v[2:3], off offset:112
	s_waitcnt vmcnt(1)
	ds_write_b64 v1, v[4:5]
.LBB28_159:
	s_or_b64 exec, exec, s[0:1]
	s_waitcnt lgkmcnt(0)
	; wave barrier
	scratch_load_dwordx4 v[8:11], off, off offset:120
	scratch_load_dwordx4 v[16:19], off, off offset:136
	ds_read2_b64 v[4:7], v2 offset0:45 offset1:46
	scratch_load_dwordx4 v[24:27], off, off offset:152
	v_cmp_lt_u32_e32 vcc, 13, v0
	s_waitcnt vmcnt(2) lgkmcnt(0)
	v_mul_f32_e32 v3, v4, v9
	v_fmac_f32_e32 v3, v5, v8
	v_mul_f32_e32 v12, v6, v11
	v_add_f32_e32 v3, 0, v3
	v_fmac_f32_e32 v12, v7, v10
	v_add_f32_e32 v3, v3, v12
	ds_read2_b64 v[12:15], v2 offset0:47 offset1:48
	s_waitcnt vmcnt(1) lgkmcnt(0)
	v_mul_f32_e32 v20, v12, v17
	v_fmac_f32_e32 v20, v13, v16
	v_add_f32_e32 v3, v3, v20
	v_mul_f32_e32 v20, v14, v19
	v_fmac_f32_e32 v20, v15, v18
	v_add_f32_e32 v37, v3, v20
	ds_read2_b64 v[20:23], v2 offset0:49 offset1:50
	scratch_load_dwordx4 v[28:31], off, off offset:168
	scratch_load_dwordx4 v[32:35], off, off offset:184
	;; [unrolled: 1-line block ×4, first 2 shown]
	v_mul_f32_e32 v3, v5, v9
	v_fma_f32 v3, v4, v8, -v3
	v_mul_f32_e32 v4, v7, v11
	v_add_f32_e32 v3, 0, v3
	v_fma_f32 v4, v6, v10, -v4
	v_add_f32_e32 v3, v3, v4
	v_mul_f32_e32 v4, v13, v17
	v_fma_f32 v4, v12, v16, -v4
	v_add_f32_e32 v3, v3, v4
	v_mul_f32_e32 v4, v15, v19
	v_fma_f32 v4, v14, v18, -v4
	v_add_f32_e32 v36, v3, v4
	ds_read2_b64 v[4:7], v2 offset0:51 offset1:52
	ds_read2_b64 v[8:11], v2 offset0:53 offset1:54
	;; [unrolled: 1-line block ×4, first 2 shown]
	s_waitcnt vmcnt(4) lgkmcnt(4)
	v_mul_f32_e32 v105, v20, v25
	v_mul_f32_e32 v3, v21, v25
	v_fmac_f32_e32 v105, v21, v24
	v_mul_f32_e32 v107, v22, v27
	v_fma_f32 v104, v20, v24, -v3
	v_mul_f32_e32 v3, v23, v27
	v_fmac_f32_e32 v107, v23, v26
	v_fma_f32 v106, v22, v26, -v3
	v_pk_add_f32 v[2:3], v[36:37], v[104:105]
	s_waitcnt vmcnt(3) lgkmcnt(3)
	v_pk_mul_f32 v[20:21], v[4:5], v[28:29] op_sel:[1,1] op_sel_hi:[0,1]
	v_pk_fma_f32 v[22:23], v[4:5], v[28:29], v[20:21] neg_lo:[0,0,1] neg_hi:[0,0,1]
	v_pk_fma_f32 v[4:5], v[4:5], v[28:29], v[20:21] op_sel_hi:[1,0,1]
	v_pk_add_f32 v[2:3], v[2:3], v[106:107]
	v_mov_b32_e32 v4, v31
	v_mov_b32_e32 v23, v5
	v_pk_mul_f32 v[4:5], v[6:7], v[4:5] op_sel:[1,0] op_sel_hi:[0,0]
	v_pk_fma_f32 v[20:21], v[6:7], v[30:31], v[4:5] neg_lo:[0,0,1] neg_hi:[0,0,1]
	v_pk_fma_f32 v[4:5], v[6:7], v[30:31], v[4:5] op_sel_hi:[1,0,1]
	v_pk_add_f32 v[2:3], v[2:3], v[22:23]
	v_mov_b32_e32 v21, v5
	s_waitcnt vmcnt(2) lgkmcnt(2)
	v_pk_mul_f32 v[4:5], v[8:9], v[32:33] op_sel:[1,1] op_sel_hi:[0,1]
	v_pk_fma_f32 v[6:7], v[8:9], v[32:33], v[4:5] neg_lo:[0,0,1] neg_hi:[0,0,1]
	v_pk_fma_f32 v[4:5], v[8:9], v[32:33], v[4:5] op_sel_hi:[1,0,1]
	v_pk_add_f32 v[2:3], v[2:3], v[20:21]
	v_mov_b32_e32 v4, v35
	v_mov_b32_e32 v7, v5
	v_pk_mul_f32 v[4:5], v[10:11], v[4:5] op_sel:[1,0] op_sel_hi:[0,0]
	v_pk_add_f32 v[2:3], v[2:3], v[6:7]
	v_pk_fma_f32 v[6:7], v[10:11], v[34:35], v[4:5] neg_lo:[0,0,1] neg_hi:[0,0,1]
	v_pk_fma_f32 v[4:5], v[10:11], v[34:35], v[4:5] op_sel_hi:[1,0,1]
	s_nop 0
	v_mov_b32_e32 v7, v5
	s_waitcnt vmcnt(1) lgkmcnt(1)
	v_pk_mul_f32 v[4:5], v[12:13], v[96:97] op_sel:[1,1] op_sel_hi:[0,1]
	v_pk_add_f32 v[2:3], v[2:3], v[6:7]
	v_pk_fma_f32 v[6:7], v[12:13], v[96:97], v[4:5] neg_lo:[0,0,1] neg_hi:[0,0,1]
	v_pk_fma_f32 v[4:5], v[12:13], v[96:97], v[4:5] op_sel_hi:[1,0,1]
	s_nop 0
	v_mov_b32_e32 v4, v99
	v_mov_b32_e32 v7, v5
	v_pk_mul_f32 v[4:5], v[14:15], v[4:5] op_sel:[1,0] op_sel_hi:[0,0]
	v_pk_add_f32 v[2:3], v[2:3], v[6:7]
	v_pk_fma_f32 v[6:7], v[14:15], v[98:99], v[4:5] neg_lo:[0,0,1] neg_hi:[0,0,1]
	v_pk_fma_f32 v[4:5], v[14:15], v[98:99], v[4:5] op_sel_hi:[1,0,1]
	s_nop 0
	v_mov_b32_e32 v7, v5
	s_waitcnt vmcnt(0) lgkmcnt(0)
	v_pk_mul_f32 v[4:5], v[16:17], v[100:101] op_sel:[1,1] op_sel_hi:[0,1]
	v_pk_add_f32 v[2:3], v[2:3], v[6:7]
	v_pk_fma_f32 v[6:7], v[16:17], v[100:101], v[4:5] neg_lo:[0,0,1] neg_hi:[0,0,1]
	v_pk_fma_f32 v[4:5], v[16:17], v[100:101], v[4:5] op_sel_hi:[1,0,1]
	s_nop 0
	v_mov_b32_e32 v4, v103
	v_mov_b32_e32 v7, v5
	v_pk_mul_f32 v[4:5], v[18:19], v[4:5] op_sel:[1,0] op_sel_hi:[0,0]
	v_pk_add_f32 v[2:3], v[2:3], v[6:7]
	v_pk_fma_f32 v[6:7], v[18:19], v[102:103], v[4:5] neg_lo:[0,0,1] neg_hi:[0,0,1]
	v_pk_fma_f32 v[4:5], v[18:19], v[102:103], v[4:5] op_sel_hi:[1,0,1]
	s_nop 0
	v_mov_b32_e32 v7, v5
	scratch_load_dwordx2 v[4:5], off, off offset:112
	v_pk_add_f32 v[2:3], v[2:3], v[6:7]
	s_waitcnt vmcnt(0)
	v_pk_add_f32 v[2:3], v[4:5], v[2:3] neg_lo:[0,1] neg_hi:[0,1]
	scratch_store_dwordx2 off, v[2:3], off offset:112
	s_and_saveexec_b64 s[0:1], vcc
	s_cbranch_execz .LBB28_161
; %bb.160:
	scratch_load_dwordx2 v[2:3], off, off offset:104
	v_mov_b32_e32 v4, 0
	v_mov_b32_e32 v5, v4
	scratch_store_dwordx2 off, v[4:5], off offset:104
	s_waitcnt vmcnt(1)
	ds_write_b64 v1, v[2:3]
.LBB28_161:
	s_or_b64 exec, exec, s[0:1]
	v_mov_b32_e32 v2, 0
	s_waitcnt lgkmcnt(0)
	; wave barrier
	ds_read_b128 v[4:7], v2 offset:352
	ds_read_b128 v[8:11], v2 offset:368
	;; [unrolled: 1-line block ×4, first 2 shown]
	scratch_load_dwordx4 v[20:23], off, off offset:112
	v_cmp_lt_u32_e32 vcc, 12, v0
	s_waitcnt vmcnt(0) lgkmcnt(3)
	v_mul_f32_e32 v3, v4, v21
	v_fmac_f32_e32 v3, v5, v20
	v_mul_f32_e32 v24, v6, v23
	v_add_f32_e32 v3, 0, v3
	v_fmac_f32_e32 v24, v7, v22
	v_add_f32_e32 v3, v3, v24
	scratch_load_dwordx4 v[24:27], off, off offset:128
	s_waitcnt vmcnt(0) lgkmcnt(2)
	v_mul_f32_e32 v28, v8, v25
	v_fmac_f32_e32 v28, v9, v24
	v_add_f32_e32 v3, v3, v28
	v_mul_f32_e32 v28, v10, v27
	v_fmac_f32_e32 v28, v11, v26
	v_add_f32_e32 v3, v3, v28
	scratch_load_dwordx4 v[28:31], off, off offset:144
	s_waitcnt vmcnt(0) lgkmcnt(1)
	v_mul_f32_e32 v32, v12, v29
	v_fmac_f32_e32 v32, v13, v28
	v_add_f32_e32 v37, v3, v32
	scratch_load_dwordx4 v[32:35], off, off offset:160
	scratch_load_dwordx4 v[96:99], off, off offset:176
	;; [unrolled: 1-line block ×4, first 2 shown]
	scratch_load_dwordx2 v[112:113], off, off offset:224
	v_mul_f32_e32 v3, v5, v21
	v_fma_f32 v3, v4, v20, -v3
	v_mul_f32_e32 v4, v7, v23
	v_add_f32_e32 v3, 0, v3
	v_fma_f32 v4, v6, v22, -v4
	v_add_f32_e32 v3, v3, v4
	v_mul_f32_e32 v4, v9, v25
	v_fma_f32 v4, v8, v24, -v4
	v_add_f32_e32 v3, v3, v4
	v_mul_f32_e32 v4, v11, v27
	;; [unrolled: 3-line block ×3, first 2 shown]
	v_fma_f32 v4, v12, v28, -v4
	v_mul_f32_e32 v109, v14, v31
	v_add_f32_e32 v36, v3, v4
	v_mul_f32_e32 v3, v15, v31
	v_fmac_f32_e32 v109, v15, v30
	v_fma_f32 v108, v14, v30, -v3
	v_pk_add_f32 v[20:21], v[36:37], v[108:109]
	s_waitcnt vmcnt(4)
	v_mov_b32_e32 v22, v35
	s_waitcnt lgkmcnt(0)
	v_mul_f32_e32 v111, v16, v33
	v_mul_f32_e32 v3, v17, v33
	v_pk_mul_f32 v[22:23], v[18:19], v[22:23] op_sel:[1,0] op_sel_hi:[0,0]
	v_fmac_f32_e32 v111, v17, v32
	v_fma_f32 v110, v16, v32, -v3
	ds_read_b128 v[4:7], v2 offset:416
	ds_read_b128 v[8:11], v2 offset:432
	;; [unrolled: 1-line block ×3, first 2 shown]
	ds_read_b64 v[16:17], v2 offset:464
	v_pk_fma_f32 v[24:25], v[18:19], v[34:35], v[22:23] neg_lo:[0,0,1] neg_hi:[0,0,1]
	v_pk_fma_f32 v[18:19], v[18:19], v[34:35], v[22:23] op_sel_hi:[1,0,1]
	v_pk_add_f32 v[20:21], v[20:21], v[110:111]
	v_mov_b32_e32 v25, v19
	v_pk_add_f32 v[18:19], v[20:21], v[24:25]
	s_waitcnt vmcnt(3) lgkmcnt(3)
	v_pk_mul_f32 v[20:21], v[4:5], v[96:97] op_sel:[1,1] op_sel_hi:[0,1]
	v_pk_fma_f32 v[22:23], v[4:5], v[96:97], v[20:21] neg_lo:[0,0,1] neg_hi:[0,0,1]
	v_pk_fma_f32 v[4:5], v[4:5], v[96:97], v[20:21] op_sel_hi:[1,0,1]
	s_nop 0
	v_mov_b32_e32 v23, v5
	v_pk_add_f32 v[4:5], v[18:19], v[22:23]
	v_mov_b32_e32 v18, v99
	v_pk_mul_f32 v[18:19], v[6:7], v[18:19] op_sel:[1,0] op_sel_hi:[0,0]
	v_pk_fma_f32 v[20:21], v[6:7], v[98:99], v[18:19] neg_lo:[0,0,1] neg_hi:[0,0,1]
	v_pk_fma_f32 v[6:7], v[6:7], v[98:99], v[18:19] op_sel_hi:[1,0,1]
	s_nop 0
	v_mov_b32_e32 v21, v7
	s_waitcnt vmcnt(2) lgkmcnt(2)
	v_pk_mul_f32 v[6:7], v[8:9], v[100:101] op_sel:[1,1] op_sel_hi:[0,1]
	v_pk_fma_f32 v[18:19], v[8:9], v[100:101], v[6:7] neg_lo:[0,0,1] neg_hi:[0,0,1]
	v_pk_fma_f32 v[6:7], v[8:9], v[100:101], v[6:7] op_sel_hi:[1,0,1]
	v_pk_add_f32 v[4:5], v[4:5], v[20:21]
	v_mov_b32_e32 v6, v103
	v_mov_b32_e32 v19, v7
	v_pk_mul_f32 v[6:7], v[10:11], v[6:7] op_sel:[1,0] op_sel_hi:[0,0]
	v_pk_fma_f32 v[8:9], v[10:11], v[102:103], v[6:7] neg_lo:[0,0,1] neg_hi:[0,0,1]
	v_pk_fma_f32 v[6:7], v[10:11], v[102:103], v[6:7] op_sel_hi:[1,0,1]
	v_pk_add_f32 v[4:5], v[4:5], v[18:19]
	v_mov_b32_e32 v9, v7
	s_waitcnt vmcnt(1) lgkmcnt(1)
	v_pk_mul_f32 v[6:7], v[12:13], v[104:105] op_sel:[1,1] op_sel_hi:[0,1]
	v_pk_add_f32 v[4:5], v[4:5], v[8:9]
	v_pk_fma_f32 v[8:9], v[12:13], v[104:105], v[6:7] neg_lo:[0,0,1] neg_hi:[0,0,1]
	v_pk_fma_f32 v[6:7], v[12:13], v[104:105], v[6:7] op_sel_hi:[1,0,1]
	s_nop 0
	v_mov_b32_e32 v6, v107
	v_mov_b32_e32 v9, v7
	v_pk_mul_f32 v[6:7], v[14:15], v[6:7] op_sel:[1,0] op_sel_hi:[0,0]
	v_pk_add_f32 v[4:5], v[4:5], v[8:9]
	v_pk_fma_f32 v[8:9], v[14:15], v[106:107], v[6:7] neg_lo:[0,0,1] neg_hi:[0,0,1]
	v_pk_fma_f32 v[6:7], v[14:15], v[106:107], v[6:7] op_sel_hi:[1,0,1]
	s_nop 0
	v_mov_b32_e32 v9, v7
	s_waitcnt vmcnt(0) lgkmcnt(0)
	v_pk_mul_f32 v[6:7], v[16:17], v[112:113] op_sel:[1,1] op_sel_hi:[0,1]
	v_pk_add_f32 v[4:5], v[4:5], v[8:9]
	v_pk_fma_f32 v[8:9], v[16:17], v[112:113], v[6:7] neg_lo:[0,0,1] neg_hi:[0,0,1]
	v_pk_fma_f32 v[6:7], v[16:17], v[112:113], v[6:7] op_sel_hi:[1,0,1]
	s_nop 0
	v_mov_b32_e32 v9, v7
	scratch_load_dwordx2 v[6:7], off, off offset:104
	v_pk_add_f32 v[4:5], v[4:5], v[8:9]
	s_waitcnt vmcnt(0)
	v_pk_add_f32 v[4:5], v[6:7], v[4:5] neg_lo:[0,1] neg_hi:[0,1]
	scratch_store_dwordx2 off, v[4:5], off offset:104
	s_and_saveexec_b64 s[0:1], vcc
	s_cbranch_execz .LBB28_163
; %bb.162:
	scratch_load_dwordx2 v[4:5], off, off offset:96
	v_mov_b32_e32 v3, v2
	scratch_store_dwordx2 off, v[2:3], off offset:96
	s_waitcnt vmcnt(1)
	ds_write_b64 v1, v[4:5]
.LBB28_163:
	s_or_b64 exec, exec, s[0:1]
	s_waitcnt lgkmcnt(0)
	; wave barrier
	scratch_load_dwordx4 v[8:11], off, off offset:104
	scratch_load_dwordx4 v[16:19], off, off offset:120
	;; [unrolled: 1-line block ×4, first 2 shown]
	ds_read2_b64 v[4:7], v2 offset0:43 offset1:44
	v_cmp_lt_u32_e32 vcc, 11, v0
	s_waitcnt vmcnt(3) lgkmcnt(0)
	v_mul_f32_e32 v3, v4, v9
	v_fmac_f32_e32 v3, v5, v8
	v_mul_f32_e32 v12, v6, v11
	v_add_f32_e32 v3, 0, v3
	v_fmac_f32_e32 v12, v7, v10
	v_add_f32_e32 v3, v3, v12
	ds_read2_b64 v[12:15], v2 offset0:45 offset1:46
	s_waitcnt vmcnt(2) lgkmcnt(0)
	v_mul_f32_e32 v20, v12, v17
	v_fmac_f32_e32 v20, v13, v16
	v_add_f32_e32 v3, v3, v20
	v_mul_f32_e32 v20, v14, v19
	v_fmac_f32_e32 v20, v15, v18
	v_add_f32_e32 v3, v3, v20
	ds_read2_b64 v[20:23], v2 offset0:47 offset1:48
	s_waitcnt vmcnt(1) lgkmcnt(0)
	v_mul_f32_e32 v28, v20, v25
	v_fmac_f32_e32 v28, v21, v24
	v_add_f32_e32 v3, v3, v28
	v_mul_f32_e32 v28, v22, v27
	v_fmac_f32_e32 v28, v23, v26
	v_add_f32_e32 v37, v3, v28
	ds_read2_b64 v[28:31], v2 offset0:49 offset1:50
	scratch_load_dwordx4 v[96:99], off, off offset:168
	scratch_load_dwordx4 v[100:103], off, off offset:184
	;; [unrolled: 1-line block ×4, first 2 shown]
	v_mul_f32_e32 v3, v5, v9
	v_fma_f32 v3, v4, v8, -v3
	v_mul_f32_e32 v4, v7, v11
	v_add_f32_e32 v3, 0, v3
	v_fma_f32 v4, v6, v10, -v4
	v_add_f32_e32 v3, v3, v4
	v_mul_f32_e32 v4, v13, v17
	v_fma_f32 v4, v12, v16, -v4
	v_add_f32_e32 v3, v3, v4
	v_mul_f32_e32 v4, v15, v19
	v_fma_f32 v4, v14, v18, -v4
	v_add_f32_e32 v3, v3, v4
	v_mul_f32_e32 v4, v21, v25
	v_fma_f32 v4, v20, v24, -v4
	v_add_f32_e32 v3, v3, v4
	v_mul_f32_e32 v4, v23, v27
	v_fma_f32 v4, v22, v26, -v4
	v_add_f32_e32 v36, v3, v4
	ds_read2_b64 v[4:7], v2 offset0:51 offset1:52
	ds_read2_b64 v[8:11], v2 offset0:53 offset1:54
	;; [unrolled: 1-line block ×4, first 2 shown]
	s_waitcnt vmcnt(4) lgkmcnt(4)
	v_mul_f32_e32 v113, v28, v33
	v_mul_f32_e32 v3, v29, v33
	v_fmac_f32_e32 v113, v29, v32
	v_mul_f32_e32 v115, v30, v35
	v_fma_f32 v112, v28, v32, -v3
	v_mul_f32_e32 v3, v31, v35
	v_fmac_f32_e32 v115, v31, v34
	v_fma_f32 v114, v30, v34, -v3
	v_pk_add_f32 v[2:3], v[36:37], v[112:113]
	s_waitcnt vmcnt(3) lgkmcnt(3)
	v_pk_mul_f32 v[20:21], v[4:5], v[96:97] op_sel:[1,1] op_sel_hi:[0,1]
	v_pk_fma_f32 v[22:23], v[4:5], v[96:97], v[20:21] neg_lo:[0,0,1] neg_hi:[0,0,1]
	v_pk_fma_f32 v[4:5], v[4:5], v[96:97], v[20:21] op_sel_hi:[1,0,1]
	v_pk_add_f32 v[2:3], v[2:3], v[114:115]
	v_mov_b32_e32 v4, v99
	v_mov_b32_e32 v23, v5
	v_pk_mul_f32 v[4:5], v[6:7], v[4:5] op_sel:[1,0] op_sel_hi:[0,0]
	v_pk_fma_f32 v[20:21], v[6:7], v[98:99], v[4:5] neg_lo:[0,0,1] neg_hi:[0,0,1]
	v_pk_fma_f32 v[4:5], v[6:7], v[98:99], v[4:5] op_sel_hi:[1,0,1]
	v_pk_add_f32 v[2:3], v[2:3], v[22:23]
	v_mov_b32_e32 v21, v5
	s_waitcnt vmcnt(2) lgkmcnt(2)
	v_pk_mul_f32 v[4:5], v[8:9], v[100:101] op_sel:[1,1] op_sel_hi:[0,1]
	v_pk_fma_f32 v[6:7], v[8:9], v[100:101], v[4:5] neg_lo:[0,0,1] neg_hi:[0,0,1]
	v_pk_fma_f32 v[4:5], v[8:9], v[100:101], v[4:5] op_sel_hi:[1,0,1]
	v_pk_add_f32 v[2:3], v[2:3], v[20:21]
	v_mov_b32_e32 v4, v103
	v_mov_b32_e32 v7, v5
	v_pk_mul_f32 v[4:5], v[10:11], v[4:5] op_sel:[1,0] op_sel_hi:[0,0]
	v_pk_add_f32 v[2:3], v[2:3], v[6:7]
	v_pk_fma_f32 v[6:7], v[10:11], v[102:103], v[4:5] neg_lo:[0,0,1] neg_hi:[0,0,1]
	v_pk_fma_f32 v[4:5], v[10:11], v[102:103], v[4:5] op_sel_hi:[1,0,1]
	s_nop 0
	v_mov_b32_e32 v7, v5
	s_waitcnt vmcnt(1) lgkmcnt(1)
	v_pk_mul_f32 v[4:5], v[12:13], v[104:105] op_sel:[1,1] op_sel_hi:[0,1]
	v_pk_add_f32 v[2:3], v[2:3], v[6:7]
	v_pk_fma_f32 v[6:7], v[12:13], v[104:105], v[4:5] neg_lo:[0,0,1] neg_hi:[0,0,1]
	v_pk_fma_f32 v[4:5], v[12:13], v[104:105], v[4:5] op_sel_hi:[1,0,1]
	s_nop 0
	v_mov_b32_e32 v4, v107
	v_mov_b32_e32 v7, v5
	v_pk_mul_f32 v[4:5], v[14:15], v[4:5] op_sel:[1,0] op_sel_hi:[0,0]
	v_pk_add_f32 v[2:3], v[2:3], v[6:7]
	v_pk_fma_f32 v[6:7], v[14:15], v[106:107], v[4:5] neg_lo:[0,0,1] neg_hi:[0,0,1]
	v_pk_fma_f32 v[4:5], v[14:15], v[106:107], v[4:5] op_sel_hi:[1,0,1]
	s_nop 0
	v_mov_b32_e32 v7, v5
	s_waitcnt vmcnt(0) lgkmcnt(0)
	v_pk_mul_f32 v[4:5], v[16:17], v[108:109] op_sel:[1,1] op_sel_hi:[0,1]
	v_pk_add_f32 v[2:3], v[2:3], v[6:7]
	v_pk_fma_f32 v[6:7], v[16:17], v[108:109], v[4:5] neg_lo:[0,0,1] neg_hi:[0,0,1]
	v_pk_fma_f32 v[4:5], v[16:17], v[108:109], v[4:5] op_sel_hi:[1,0,1]
	s_nop 0
	v_mov_b32_e32 v4, v111
	v_mov_b32_e32 v7, v5
	v_pk_mul_f32 v[4:5], v[18:19], v[4:5] op_sel:[1,0] op_sel_hi:[0,0]
	v_pk_add_f32 v[2:3], v[2:3], v[6:7]
	v_pk_fma_f32 v[6:7], v[18:19], v[110:111], v[4:5] neg_lo:[0,0,1] neg_hi:[0,0,1]
	v_pk_fma_f32 v[4:5], v[18:19], v[110:111], v[4:5] op_sel_hi:[1,0,1]
	s_nop 0
	v_mov_b32_e32 v7, v5
	scratch_load_dwordx2 v[4:5], off, off offset:96
	v_pk_add_f32 v[2:3], v[2:3], v[6:7]
	s_waitcnt vmcnt(0)
	v_pk_add_f32 v[2:3], v[4:5], v[2:3] neg_lo:[0,1] neg_hi:[0,1]
	scratch_store_dwordx2 off, v[2:3], off offset:96
	s_and_saveexec_b64 s[0:1], vcc
	s_cbranch_execz .LBB28_165
; %bb.164:
	scratch_load_dwordx2 v[2:3], off, off offset:88
	v_mov_b32_e32 v4, 0
	v_mov_b32_e32 v5, v4
	scratch_store_dwordx2 off, v[4:5], off offset:88
	s_waitcnt vmcnt(1)
	ds_write_b64 v1, v[2:3]
.LBB28_165:
	s_or_b64 exec, exec, s[0:1]
	v_mov_b32_e32 v2, 0
	s_waitcnt lgkmcnt(0)
	; wave barrier
	ds_read_b128 v[4:7], v2 offset:336
	ds_read_b128 v[8:11], v2 offset:352
	;; [unrolled: 1-line block ×4, first 2 shown]
	scratch_load_dwordx4 v[20:23], off, off offset:96
	scratch_load_dwordx4 v[100:103], off, off offset:160
	ds_read_b128 v[96:99], v2 offset:400
	v_cmp_lt_u32_e32 vcc, 10, v0
	s_waitcnt vmcnt(1) lgkmcnt(4)
	v_mul_f32_e32 v3, v4, v21
	v_fmac_f32_e32 v3, v5, v20
	v_mul_f32_e32 v24, v6, v23
	v_add_f32_e32 v3, 0, v3
	v_fmac_f32_e32 v24, v7, v22
	v_add_f32_e32 v3, v3, v24
	scratch_load_dwordx4 v[24:27], off, off offset:112
	s_waitcnt vmcnt(1) lgkmcnt(0)
	v_mul_f32_e32 v119, v96, v101
	v_fmac_f32_e32 v119, v97, v100
	s_waitcnt vmcnt(0)
	v_mul_f32_e32 v28, v8, v25
	v_fmac_f32_e32 v28, v9, v24
	v_add_f32_e32 v3, v3, v28
	v_mul_f32_e32 v28, v10, v27
	v_fmac_f32_e32 v28, v11, v26
	v_add_f32_e32 v3, v3, v28
	scratch_load_dwordx4 v[28:31], off, off offset:128
	s_waitcnt vmcnt(0)
	v_mul_f32_e32 v32, v12, v29
	v_fmac_f32_e32 v32, v13, v28
	v_add_f32_e32 v3, v3, v32
	v_mul_f32_e32 v32, v14, v31
	v_fmac_f32_e32 v32, v15, v30
	v_add_f32_e32 v3, v3, v32
	scratch_load_dwordx4 v[32:35], off, off offset:144
	scratch_load_dwordx4 v[104:107], off, off offset:176
	scratch_load_dwordx4 v[108:111], off, off offset:192
	scratch_load_dwordx4 v[112:115], off, off offset:208
	scratch_load_dwordx2 v[120:121], off, off offset:224
	s_waitcnt vmcnt(4)
	v_mul_f32_e32 v36, v16, v33
	v_fmac_f32_e32 v36, v17, v32
	v_add_f32_e32 v37, v3, v36
	v_mul_f32_e32 v3, v5, v21
	v_fma_f32 v3, v4, v20, -v3
	v_mul_f32_e32 v4, v7, v23
	v_add_f32_e32 v3, 0, v3
	v_fma_f32 v4, v6, v22, -v4
	v_add_f32_e32 v3, v3, v4
	v_mul_f32_e32 v4, v9, v25
	v_fma_f32 v4, v8, v24, -v4
	v_add_f32_e32 v3, v3, v4
	v_mul_f32_e32 v4, v11, v27
	;; [unrolled: 3-line block ×5, first 2 shown]
	v_fma_f32 v4, v16, v32, -v4
	v_mul_f32_e32 v117, v18, v35
	v_add_f32_e32 v36, v3, v4
	v_mul_f32_e32 v3, v19, v35
	v_mov_b32_e32 v20, v103
	v_fmac_f32_e32 v117, v19, v34
	v_fma_f32 v116, v18, v34, -v3
	v_mul_f32_e32 v3, v97, v101
	ds_read_b128 v[4:7], v2 offset:416
	ds_read_b128 v[8:11], v2 offset:432
	;; [unrolled: 1-line block ×3, first 2 shown]
	ds_read_b64 v[16:17], v2 offset:464
	v_pk_mul_f32 v[20:21], v[98:99], v[20:21] op_sel:[1,0] op_sel_hi:[0,0]
	v_fma_f32 v118, v96, v100, -v3
	v_pk_add_f32 v[18:19], v[36:37], v[116:117]
	v_pk_fma_f32 v[22:23], v[98:99], v[102:103], v[20:21] neg_lo:[0,0,1] neg_hi:[0,0,1]
	v_pk_fma_f32 v[20:21], v[98:99], v[102:103], v[20:21] op_sel_hi:[1,0,1]
	v_pk_add_f32 v[18:19], v[18:19], v[118:119]
	v_mov_b32_e32 v23, v21
	s_waitcnt vmcnt(3) lgkmcnt(3)
	v_pk_mul_f32 v[20:21], v[4:5], v[104:105] op_sel:[1,1] op_sel_hi:[0,1]
	v_pk_add_f32 v[18:19], v[18:19], v[22:23]
	v_pk_fma_f32 v[22:23], v[4:5], v[104:105], v[20:21] neg_lo:[0,0,1] neg_hi:[0,0,1]
	v_pk_fma_f32 v[4:5], v[4:5], v[104:105], v[20:21] op_sel_hi:[1,0,1]
	s_nop 0
	v_mov_b32_e32 v23, v5
	v_pk_add_f32 v[4:5], v[18:19], v[22:23]
	v_mov_b32_e32 v18, v107
	v_pk_mul_f32 v[18:19], v[6:7], v[18:19] op_sel:[1,0] op_sel_hi:[0,0]
	v_pk_fma_f32 v[20:21], v[6:7], v[106:107], v[18:19] neg_lo:[0,0,1] neg_hi:[0,0,1]
	v_pk_fma_f32 v[6:7], v[6:7], v[106:107], v[18:19] op_sel_hi:[1,0,1]
	s_nop 0
	v_mov_b32_e32 v21, v7
	s_waitcnt vmcnt(2) lgkmcnt(2)
	v_pk_mul_f32 v[6:7], v[8:9], v[108:109] op_sel:[1,1] op_sel_hi:[0,1]
	v_pk_fma_f32 v[18:19], v[8:9], v[108:109], v[6:7] neg_lo:[0,0,1] neg_hi:[0,0,1]
	v_pk_fma_f32 v[6:7], v[8:9], v[108:109], v[6:7] op_sel_hi:[1,0,1]
	v_pk_add_f32 v[4:5], v[4:5], v[20:21]
	v_mov_b32_e32 v6, v111
	v_mov_b32_e32 v19, v7
	v_pk_mul_f32 v[6:7], v[10:11], v[6:7] op_sel:[1,0] op_sel_hi:[0,0]
	v_pk_fma_f32 v[8:9], v[10:11], v[110:111], v[6:7] neg_lo:[0,0,1] neg_hi:[0,0,1]
	v_pk_fma_f32 v[6:7], v[10:11], v[110:111], v[6:7] op_sel_hi:[1,0,1]
	v_pk_add_f32 v[4:5], v[4:5], v[18:19]
	v_mov_b32_e32 v9, v7
	s_waitcnt vmcnt(1) lgkmcnt(1)
	v_pk_mul_f32 v[6:7], v[12:13], v[112:113] op_sel:[1,1] op_sel_hi:[0,1]
	v_pk_add_f32 v[4:5], v[4:5], v[8:9]
	v_pk_fma_f32 v[8:9], v[12:13], v[112:113], v[6:7] neg_lo:[0,0,1] neg_hi:[0,0,1]
	v_pk_fma_f32 v[6:7], v[12:13], v[112:113], v[6:7] op_sel_hi:[1,0,1]
	s_nop 0
	v_mov_b32_e32 v6, v115
	v_mov_b32_e32 v9, v7
	v_pk_mul_f32 v[6:7], v[14:15], v[6:7] op_sel:[1,0] op_sel_hi:[0,0]
	v_pk_add_f32 v[4:5], v[4:5], v[8:9]
	v_pk_fma_f32 v[8:9], v[14:15], v[114:115], v[6:7] neg_lo:[0,0,1] neg_hi:[0,0,1]
	v_pk_fma_f32 v[6:7], v[14:15], v[114:115], v[6:7] op_sel_hi:[1,0,1]
	s_nop 0
	v_mov_b32_e32 v9, v7
	s_waitcnt vmcnt(0) lgkmcnt(0)
	v_pk_mul_f32 v[6:7], v[16:17], v[120:121] op_sel:[1,1] op_sel_hi:[0,1]
	v_pk_add_f32 v[4:5], v[4:5], v[8:9]
	v_pk_fma_f32 v[8:9], v[16:17], v[120:121], v[6:7] neg_lo:[0,0,1] neg_hi:[0,0,1]
	v_pk_fma_f32 v[6:7], v[16:17], v[120:121], v[6:7] op_sel_hi:[1,0,1]
	s_nop 0
	v_mov_b32_e32 v9, v7
	scratch_load_dwordx2 v[6:7], off, off offset:88
	v_pk_add_f32 v[4:5], v[4:5], v[8:9]
	s_waitcnt vmcnt(0)
	v_pk_add_f32 v[4:5], v[6:7], v[4:5] neg_lo:[0,1] neg_hi:[0,1]
	scratch_store_dwordx2 off, v[4:5], off offset:88
	s_and_saveexec_b64 s[0:1], vcc
	s_cbranch_execz .LBB28_167
; %bb.166:
	scratch_load_dwordx2 v[4:5], off, off offset:80
	v_mov_b32_e32 v3, v2
	scratch_store_dwordx2 off, v[2:3], off offset:80
	s_waitcnt vmcnt(1)
	ds_write_b64 v1, v[4:5]
.LBB28_167:
	s_or_b64 exec, exec, s[0:1]
	s_waitcnt lgkmcnt(0)
	; wave barrier
	scratch_load_dwordx4 v[8:11], off, off offset:88
	scratch_load_dwordx4 v[16:19], off, off offset:104
	;; [unrolled: 1-line block ×4, first 2 shown]
	ds_read2_b64 v[4:7], v2 offset0:41 offset1:42
	ds_read2_b64 v[96:99], v2 offset0:49 offset1:50
	scratch_load_dwordx4 v[100:103], off, off offset:152
	v_cmp_lt_u32_e32 vcc, 9, v0
	s_waitcnt vmcnt(4) lgkmcnt(1)
	v_mul_f32_e32 v3, v4, v9
	v_fmac_f32_e32 v3, v5, v8
	v_mul_f32_e32 v12, v6, v11
	v_add_f32_e32 v3, 0, v3
	v_fmac_f32_e32 v12, v7, v10
	v_add_f32_e32 v3, v3, v12
	ds_read2_b64 v[12:15], v2 offset0:43 offset1:44
	s_waitcnt vmcnt(0) lgkmcnt(1)
	v_mul_f32_e32 v121, v96, v101
	v_fmac_f32_e32 v121, v97, v100
	v_mul_f32_e32 v123, v98, v103
	v_fmac_f32_e32 v123, v99, v102
	s_waitcnt lgkmcnt(0)
	v_mul_f32_e32 v20, v12, v17
	v_fmac_f32_e32 v20, v13, v16
	v_add_f32_e32 v3, v3, v20
	v_mul_f32_e32 v20, v14, v19
	v_fmac_f32_e32 v20, v15, v18
	v_add_f32_e32 v3, v3, v20
	ds_read2_b64 v[20:23], v2 offset0:45 offset1:46
	s_waitcnt lgkmcnt(0)
	v_mul_f32_e32 v28, v20, v25
	v_fmac_f32_e32 v28, v21, v24
	v_add_f32_e32 v3, v3, v28
	v_mul_f32_e32 v28, v22, v27
	v_fmac_f32_e32 v28, v23, v26
	v_add_f32_e32 v3, v3, v28
	ds_read2_b64 v[28:31], v2 offset0:47 offset1:48
	scratch_load_dwordx4 v[104:107], off, off offset:168
	scratch_load_dwordx4 v[108:111], off, off offset:184
	;; [unrolled: 1-line block ×4, first 2 shown]
	s_waitcnt lgkmcnt(0)
	v_mul_f32_e32 v36, v28, v33
	v_fmac_f32_e32 v36, v29, v32
	v_add_f32_e32 v3, v3, v36
	v_mul_f32_e32 v36, v30, v35
	v_fmac_f32_e32 v36, v31, v34
	v_add_f32_e32 v37, v3, v36
	v_mul_f32_e32 v3, v5, v9
	v_fma_f32 v3, v4, v8, -v3
	v_mul_f32_e32 v4, v7, v11
	v_add_f32_e32 v3, 0, v3
	v_fma_f32 v4, v6, v10, -v4
	v_add_f32_e32 v3, v3, v4
	v_mul_f32_e32 v4, v13, v17
	v_fma_f32 v4, v12, v16, -v4
	v_add_f32_e32 v3, v3, v4
	v_mul_f32_e32 v4, v15, v19
	;; [unrolled: 3-line block ×6, first 2 shown]
	v_fma_f32 v4, v30, v34, -v4
	v_add_f32_e32 v36, v3, v4
	ds_read2_b64 v[4:7], v2 offset0:51 offset1:52
	ds_read2_b64 v[8:11], v2 offset0:53 offset1:54
	;; [unrolled: 1-line block ×4, first 2 shown]
	v_mul_f32_e32 v3, v97, v101
	v_fma_f32 v120, v96, v100, -v3
	v_mul_f32_e32 v3, v99, v103
	v_fma_f32 v122, v98, v102, -v3
	v_pk_add_f32 v[2:3], v[36:37], v[120:121]
	s_waitcnt vmcnt(3) lgkmcnt(3)
	v_pk_mul_f32 v[20:21], v[4:5], v[104:105] op_sel:[1,1] op_sel_hi:[0,1]
	v_pk_fma_f32 v[22:23], v[4:5], v[104:105], v[20:21] neg_lo:[0,0,1] neg_hi:[0,0,1]
	v_pk_fma_f32 v[4:5], v[4:5], v[104:105], v[20:21] op_sel_hi:[1,0,1]
	v_pk_add_f32 v[2:3], v[2:3], v[122:123]
	v_mov_b32_e32 v4, v107
	v_mov_b32_e32 v23, v5
	v_pk_mul_f32 v[4:5], v[6:7], v[4:5] op_sel:[1,0] op_sel_hi:[0,0]
	v_pk_fma_f32 v[20:21], v[6:7], v[106:107], v[4:5] neg_lo:[0,0,1] neg_hi:[0,0,1]
	v_pk_fma_f32 v[4:5], v[6:7], v[106:107], v[4:5] op_sel_hi:[1,0,1]
	v_pk_add_f32 v[2:3], v[2:3], v[22:23]
	v_mov_b32_e32 v21, v5
	s_waitcnt vmcnt(2) lgkmcnt(2)
	v_pk_mul_f32 v[4:5], v[8:9], v[108:109] op_sel:[1,1] op_sel_hi:[0,1]
	v_pk_fma_f32 v[6:7], v[8:9], v[108:109], v[4:5] neg_lo:[0,0,1] neg_hi:[0,0,1]
	v_pk_fma_f32 v[4:5], v[8:9], v[108:109], v[4:5] op_sel_hi:[1,0,1]
	v_pk_add_f32 v[2:3], v[2:3], v[20:21]
	v_mov_b32_e32 v4, v111
	v_mov_b32_e32 v7, v5
	v_pk_mul_f32 v[4:5], v[10:11], v[4:5] op_sel:[1,0] op_sel_hi:[0,0]
	v_pk_add_f32 v[2:3], v[2:3], v[6:7]
	v_pk_fma_f32 v[6:7], v[10:11], v[110:111], v[4:5] neg_lo:[0,0,1] neg_hi:[0,0,1]
	v_pk_fma_f32 v[4:5], v[10:11], v[110:111], v[4:5] op_sel_hi:[1,0,1]
	s_nop 0
	v_mov_b32_e32 v7, v5
	s_waitcnt vmcnt(1) lgkmcnt(1)
	v_pk_mul_f32 v[4:5], v[12:13], v[112:113] op_sel:[1,1] op_sel_hi:[0,1]
	v_pk_add_f32 v[2:3], v[2:3], v[6:7]
	v_pk_fma_f32 v[6:7], v[12:13], v[112:113], v[4:5] neg_lo:[0,0,1] neg_hi:[0,0,1]
	v_pk_fma_f32 v[4:5], v[12:13], v[112:113], v[4:5] op_sel_hi:[1,0,1]
	s_nop 0
	v_mov_b32_e32 v4, v115
	v_mov_b32_e32 v7, v5
	v_pk_mul_f32 v[4:5], v[14:15], v[4:5] op_sel:[1,0] op_sel_hi:[0,0]
	v_pk_add_f32 v[2:3], v[2:3], v[6:7]
	v_pk_fma_f32 v[6:7], v[14:15], v[114:115], v[4:5] neg_lo:[0,0,1] neg_hi:[0,0,1]
	v_pk_fma_f32 v[4:5], v[14:15], v[114:115], v[4:5] op_sel_hi:[1,0,1]
	s_nop 0
	v_mov_b32_e32 v7, v5
	s_waitcnt vmcnt(0) lgkmcnt(0)
	v_pk_mul_f32 v[4:5], v[16:17], v[116:117] op_sel:[1,1] op_sel_hi:[0,1]
	v_pk_add_f32 v[2:3], v[2:3], v[6:7]
	v_pk_fma_f32 v[6:7], v[16:17], v[116:117], v[4:5] neg_lo:[0,0,1] neg_hi:[0,0,1]
	v_pk_fma_f32 v[4:5], v[16:17], v[116:117], v[4:5] op_sel_hi:[1,0,1]
	s_nop 0
	v_mov_b32_e32 v4, v119
	v_mov_b32_e32 v7, v5
	v_pk_mul_f32 v[4:5], v[18:19], v[4:5] op_sel:[1,0] op_sel_hi:[0,0]
	v_pk_add_f32 v[2:3], v[2:3], v[6:7]
	v_pk_fma_f32 v[6:7], v[18:19], v[118:119], v[4:5] neg_lo:[0,0,1] neg_hi:[0,0,1]
	v_pk_fma_f32 v[4:5], v[18:19], v[118:119], v[4:5] op_sel_hi:[1,0,1]
	s_nop 0
	v_mov_b32_e32 v7, v5
	scratch_load_dwordx2 v[4:5], off, off offset:80
	v_pk_add_f32 v[2:3], v[2:3], v[6:7]
	s_waitcnt vmcnt(0)
	v_pk_add_f32 v[2:3], v[4:5], v[2:3] neg_lo:[0,1] neg_hi:[0,1]
	scratch_store_dwordx2 off, v[2:3], off offset:80
	s_and_saveexec_b64 s[0:1], vcc
	s_cbranch_execz .LBB28_169
; %bb.168:
	scratch_load_dwordx2 v[2:3], off, off offset:72
	v_mov_b32_e32 v4, 0
	v_mov_b32_e32 v5, v4
	scratch_store_dwordx2 off, v[4:5], off offset:72
	s_waitcnt vmcnt(1)
	ds_write_b64 v1, v[2:3]
.LBB28_169:
	s_or_b64 exec, exec, s[0:1]
	v_mov_b32_e32 v2, 0
	s_waitcnt lgkmcnt(0)
	; wave barrier
	ds_read_b128 v[4:7], v2 offset:320
	ds_read_b128 v[8:11], v2 offset:336
	;; [unrolled: 1-line block ×4, first 2 shown]
	scratch_load_dwordx4 v[20:23], off, off offset:80
	scratch_load_dwordx4 v[100:103], off, off offset:144
	ds_read_b128 v[96:99], v2 offset:384
	ds_read_b128 v[104:107], v2 offset:400
	v_cmp_lt_u32_e32 vcc, 8, v0
	scratch_load_dwordx4 v[108:111], off, off offset:160
	s_waitcnt vmcnt(2) lgkmcnt(5)
	v_mul_f32_e32 v3, v4, v21
	v_fmac_f32_e32 v3, v5, v20
	v_mul_f32_e32 v24, v6, v23
	v_add_f32_e32 v3, 0, v3
	v_fmac_f32_e32 v24, v7, v22
	v_add_f32_e32 v3, v3, v24
	scratch_load_dwordx4 v[24:27], off, off offset:96
	s_waitcnt vmcnt(2) lgkmcnt(1)
	v_mul_f32_e32 v125, v98, v103
	v_fmac_f32_e32 v125, v99, v102
	s_waitcnt vmcnt(1) lgkmcnt(0)
	v_mul_f32_e32 v127, v104, v109
	v_fmac_f32_e32 v127, v105, v108
	s_waitcnt vmcnt(0)
	v_mul_f32_e32 v28, v8, v25
	v_fmac_f32_e32 v28, v9, v24
	v_add_f32_e32 v3, v3, v28
	v_mul_f32_e32 v28, v10, v27
	v_fmac_f32_e32 v28, v11, v26
	v_add_f32_e32 v3, v3, v28
	scratch_load_dwordx4 v[28:31], off, off offset:112
	s_waitcnt vmcnt(0)
	v_mul_f32_e32 v32, v12, v29
	v_fmac_f32_e32 v32, v13, v28
	v_add_f32_e32 v3, v3, v32
	v_mul_f32_e32 v32, v14, v31
	v_fmac_f32_e32 v32, v15, v30
	v_add_f32_e32 v3, v3, v32
	scratch_load_dwordx4 v[32:35], off, off offset:128
	scratch_load_dwordx4 v[112:115], off, off offset:176
	;; [unrolled: 1-line block ×4, first 2 shown]
	scratch_load_dwordx2 v[128:129], off, off offset:224
	s_waitcnt vmcnt(4)
	v_mul_f32_e32 v36, v16, v33
	v_fmac_f32_e32 v36, v17, v32
	v_add_f32_e32 v3, v3, v36
	v_mul_f32_e32 v36, v18, v35
	v_fmac_f32_e32 v36, v19, v34
	v_add_f32_e32 v3, v3, v36
	;; [unrolled: 3-line block ×3, first 2 shown]
	v_mul_f32_e32 v3, v5, v21
	v_fma_f32 v3, v4, v20, -v3
	v_mul_f32_e32 v4, v7, v23
	v_add_f32_e32 v3, 0, v3
	v_fma_f32 v4, v6, v22, -v4
	v_add_f32_e32 v3, v3, v4
	v_mul_f32_e32 v4, v9, v25
	v_fma_f32 v4, v8, v24, -v4
	v_add_f32_e32 v3, v3, v4
	v_mul_f32_e32 v4, v11, v27
	;; [unrolled: 3-line block ×8, first 2 shown]
	v_mov_b32_e32 v20, v111
	v_fma_f32 v124, v98, v102, -v3
	v_mul_f32_e32 v3, v105, v109
	ds_read_b128 v[4:7], v2 offset:416
	ds_read_b128 v[8:11], v2 offset:432
	;; [unrolled: 1-line block ×3, first 2 shown]
	ds_read_b64 v[16:17], v2 offset:464
	v_pk_mul_f32 v[20:21], v[106:107], v[20:21] op_sel:[1,0] op_sel_hi:[0,0]
	v_fma_f32 v126, v104, v108, -v3
	v_pk_add_f32 v[18:19], v[36:37], v[124:125]
	v_pk_fma_f32 v[22:23], v[106:107], v[110:111], v[20:21] neg_lo:[0,0,1] neg_hi:[0,0,1]
	v_pk_fma_f32 v[20:21], v[106:107], v[110:111], v[20:21] op_sel_hi:[1,0,1]
	v_pk_add_f32 v[18:19], v[18:19], v[126:127]
	v_mov_b32_e32 v23, v21
	s_waitcnt vmcnt(3) lgkmcnt(3)
	v_pk_mul_f32 v[20:21], v[4:5], v[112:113] op_sel:[1,1] op_sel_hi:[0,1]
	v_pk_add_f32 v[18:19], v[18:19], v[22:23]
	v_pk_fma_f32 v[22:23], v[4:5], v[112:113], v[20:21] neg_lo:[0,0,1] neg_hi:[0,0,1]
	v_pk_fma_f32 v[4:5], v[4:5], v[112:113], v[20:21] op_sel_hi:[1,0,1]
	s_nop 0
	v_mov_b32_e32 v23, v5
	v_pk_add_f32 v[4:5], v[18:19], v[22:23]
	v_mov_b32_e32 v18, v115
	v_pk_mul_f32 v[18:19], v[6:7], v[18:19] op_sel:[1,0] op_sel_hi:[0,0]
	v_pk_fma_f32 v[20:21], v[6:7], v[114:115], v[18:19] neg_lo:[0,0,1] neg_hi:[0,0,1]
	v_pk_fma_f32 v[6:7], v[6:7], v[114:115], v[18:19] op_sel_hi:[1,0,1]
	s_nop 0
	v_mov_b32_e32 v21, v7
	s_waitcnt vmcnt(2) lgkmcnt(2)
	v_pk_mul_f32 v[6:7], v[8:9], v[116:117] op_sel:[1,1] op_sel_hi:[0,1]
	v_pk_fma_f32 v[18:19], v[8:9], v[116:117], v[6:7] neg_lo:[0,0,1] neg_hi:[0,0,1]
	v_pk_fma_f32 v[6:7], v[8:9], v[116:117], v[6:7] op_sel_hi:[1,0,1]
	v_pk_add_f32 v[4:5], v[4:5], v[20:21]
	v_mov_b32_e32 v6, v119
	v_mov_b32_e32 v19, v7
	v_pk_mul_f32 v[6:7], v[10:11], v[6:7] op_sel:[1,0] op_sel_hi:[0,0]
	v_pk_fma_f32 v[8:9], v[10:11], v[118:119], v[6:7] neg_lo:[0,0,1] neg_hi:[0,0,1]
	v_pk_fma_f32 v[6:7], v[10:11], v[118:119], v[6:7] op_sel_hi:[1,0,1]
	v_pk_add_f32 v[4:5], v[4:5], v[18:19]
	v_mov_b32_e32 v9, v7
	s_waitcnt vmcnt(1) lgkmcnt(1)
	v_pk_mul_f32 v[6:7], v[12:13], v[120:121] op_sel:[1,1] op_sel_hi:[0,1]
	v_pk_add_f32 v[4:5], v[4:5], v[8:9]
	v_pk_fma_f32 v[8:9], v[12:13], v[120:121], v[6:7] neg_lo:[0,0,1] neg_hi:[0,0,1]
	v_pk_fma_f32 v[6:7], v[12:13], v[120:121], v[6:7] op_sel_hi:[1,0,1]
	s_nop 0
	v_mov_b32_e32 v6, v123
	v_mov_b32_e32 v9, v7
	v_pk_mul_f32 v[6:7], v[14:15], v[6:7] op_sel:[1,0] op_sel_hi:[0,0]
	v_pk_add_f32 v[4:5], v[4:5], v[8:9]
	v_pk_fma_f32 v[8:9], v[14:15], v[122:123], v[6:7] neg_lo:[0,0,1] neg_hi:[0,0,1]
	v_pk_fma_f32 v[6:7], v[14:15], v[122:123], v[6:7] op_sel_hi:[1,0,1]
	s_nop 0
	v_mov_b32_e32 v9, v7
	s_waitcnt vmcnt(0) lgkmcnt(0)
	v_pk_mul_f32 v[6:7], v[16:17], v[128:129] op_sel:[1,1] op_sel_hi:[0,1]
	v_pk_add_f32 v[4:5], v[4:5], v[8:9]
	v_pk_fma_f32 v[8:9], v[16:17], v[128:129], v[6:7] neg_lo:[0,0,1] neg_hi:[0,0,1]
	v_pk_fma_f32 v[6:7], v[16:17], v[128:129], v[6:7] op_sel_hi:[1,0,1]
	s_nop 0
	v_mov_b32_e32 v9, v7
	scratch_load_dwordx2 v[6:7], off, off offset:72
	v_pk_add_f32 v[4:5], v[4:5], v[8:9]
	s_waitcnt vmcnt(0)
	v_pk_add_f32 v[4:5], v[6:7], v[4:5] neg_lo:[0,1] neg_hi:[0,1]
	scratch_store_dwordx2 off, v[4:5], off offset:72
	s_and_saveexec_b64 s[0:1], vcc
	s_cbranch_execz .LBB28_171
; %bb.170:
	scratch_load_dwordx2 v[4:5], off, off offset:64
	v_mov_b32_e32 v3, v2
	scratch_store_dwordx2 off, v[2:3], off offset:64
	s_waitcnt vmcnt(1)
	ds_write_b64 v1, v[4:5]
.LBB28_171:
	s_or_b64 exec, exec, s[0:1]
	s_waitcnt lgkmcnt(0)
	; wave barrier
	scratch_load_dwordx4 v[4:7], off, off offset:72
	scratch_load_dwordx4 v[8:11], off, off offset:88
	;; [unrolled: 1-line block ×7, first 2 shown]
	ds_read2_b64 v[32:35], v2 offset0:39 offset1:40
	ds_read2_b64 v[96:99], v2 offset0:41 offset1:42
	ds_read2_b64 v[100:103], v2 offset0:43 offset1:44
	ds_read2_b64 v[104:107], v2 offset0:45 offset1:46
	ds_read2_b64 v[108:111], v2 offset0:47 offset1:48
	ds_read2_b64 v[112:115], v2 offset0:49 offset1:50
	scratch_load_dwordx4 v[116:119], off, off offset:184
	scratch_load_dwordx4 v[120:123], off, off offset:200
	;; [unrolled: 1-line block ×3, first 2 shown]
	ds_read2_b64 v[128:131], v2 offset0:51 offset1:52
	ds_read2_b64 v[132:135], v2 offset0:53 offset1:54
	;; [unrolled: 1-line block ×4, first 2 shown]
	scratch_load_dwordx2 v[2:3], off, off offset:64
	v_cmp_lt_u32_e32 vcc, 7, v0
	s_waitcnt vmcnt(10) lgkmcnt(9)
	v_mul_f32_e32 v148, v32, v5
	v_mul_f32_e32 v5, v33, v5
	;; [unrolled: 1-line block ×3, first 2 shown]
	s_waitcnt vmcnt(9) lgkmcnt(8)
	v_mul_f32_e32 v150, v96, v9
	s_waitcnt vmcnt(8) lgkmcnt(7)
	v_mul_f32_e32 v153, v102, v15
	v_mul_f32_e32 v7, v35, v7
	;; [unrolled: 1-line block ×4, first 2 shown]
	v_fmac_f32_e32 v148, v33, v4
	v_fma_f32 v4, v32, v4, -v5
	v_fmac_f32_e32 v149, v35, v6
	v_fmac_f32_e32 v153, v103, v14
	v_fma_f32 v5, v34, v6, -v7
	v_fma_f32 v6, v96, v8, -v9
	;; [unrolled: 1-line block ×3, first 2 shown]
	v_add_f32_e32 v14, 0, v148
	v_add_f32_e32 v4, 0, v4
	v_mul_f32_e32 v151, v98, v11
	v_mul_f32_e32 v11, v99, v11
	v_fmac_f32_e32 v150, v97, v8
	v_add_f32_e32 v14, v14, v149
	v_add_f32_e32 v4, v4, v5
	v_mul_f32_e32 v152, v100, v13
	v_mul_f32_e32 v13, v101, v13
	v_fmac_f32_e32 v151, v99, v10
	v_fma_f32 v7, v98, v10, -v11
	v_add_f32_e32 v5, v14, v150
	v_add_f32_e32 v4, v4, v6
	v_fmac_f32_e32 v152, v101, v12
	v_fma_f32 v8, v100, v12, -v13
	v_add_f32_e32 v5, v5, v151
	v_add_f32_e32 v4, v4, v7
	s_waitcnt vmcnt(7) lgkmcnt(6)
	v_mul_f32_e32 v154, v104, v17
	v_mul_f32_e32 v17, v105, v17
	v_add_f32_e32 v5, v5, v152
	v_add_f32_e32 v4, v4, v8
	v_mul_f32_e32 v155, v106, v19
	v_mul_f32_e32 v19, v107, v19
	v_fmac_f32_e32 v154, v105, v16
	v_fma_f32 v10, v104, v16, -v17
	v_add_f32_e32 v5, v5, v153
	v_add_f32_e32 v4, v4, v9
	s_waitcnt vmcnt(6) lgkmcnt(5)
	v_mul_f32_e32 v156, v108, v21
	v_mul_f32_e32 v21, v109, v21
	v_fmac_f32_e32 v155, v107, v18
	v_fma_f32 v11, v106, v18, -v19
	v_add_f32_e32 v5, v5, v154
	v_add_f32_e32 v4, v4, v10
	v_mul_f32_e32 v157, v110, v23
	v_mul_f32_e32 v23, v111, v23
	v_fmac_f32_e32 v156, v109, v20
	v_fma_f32 v12, v108, v20, -v21
	v_add_f32_e32 v5, v5, v155
	v_add_f32_e32 v4, v4, v11
	s_waitcnt vmcnt(5) lgkmcnt(4)
	v_mul_f32_e32 v37, v112, v25
	v_mul_f32_e32 v25, v113, v25
	v_fmac_f32_e32 v157, v111, v22
	v_fma_f32 v13, v110, v22, -v23
	v_add_f32_e32 v5, v5, v156
	v_add_f32_e32 v4, v4, v12
	v_mul_f32_e32 v145, v114, v27
	v_mul_f32_e32 v27, v115, v27
	s_waitcnt vmcnt(4) lgkmcnt(3)
	v_pk_mul_f32 v[146:147], v[128:129], v[28:29] op_sel:[1,1] op_sel_hi:[0,1]
	v_fmac_f32_e32 v37, v113, v24
	v_fma_f32 v36, v112, v24, -v25
	v_add_f32_e32 v5, v5, v157
	v_add_f32_e32 v4, v4, v13
	v_fmac_f32_e32 v145, v115, v26
	v_fma_f32 v144, v114, v26, -v27
	v_pk_add_f32 v[4:5], v[4:5], v[36:37]
	v_pk_fma_f32 v[6:7], v[128:129], v[28:29], v[146:147] neg_lo:[0,0,1] neg_hi:[0,0,1]
	v_pk_fma_f32 v[8:9], v[128:129], v[28:29], v[146:147] op_sel_hi:[1,0,1]
	v_pk_add_f32 v[4:5], v[4:5], v[144:145]
	v_mov_b32_e32 v7, v9
	v_pk_add_f32 v[4:5], v[4:5], v[6:7]
	v_mov_b32_e32 v6, v31
	v_pk_mul_f32 v[6:7], v[130:131], v[6:7] op_sel:[1,0] op_sel_hi:[0,0]
	v_pk_fma_f32 v[8:9], v[130:131], v[30:31], v[6:7] neg_lo:[0,0,1] neg_hi:[0,0,1]
	v_pk_fma_f32 v[6:7], v[130:131], v[30:31], v[6:7] op_sel_hi:[1,0,1]
	s_nop 0
	v_mov_b32_e32 v9, v7
	s_waitcnt vmcnt(3) lgkmcnt(2)
	v_pk_mul_f32 v[6:7], v[132:133], v[116:117] op_sel:[1,1] op_sel_hi:[0,1]
	v_pk_add_f32 v[4:5], v[4:5], v[8:9]
	v_pk_fma_f32 v[8:9], v[132:133], v[116:117], v[6:7] neg_lo:[0,0,1] neg_hi:[0,0,1]
	v_pk_fma_f32 v[6:7], v[132:133], v[116:117], v[6:7] op_sel_hi:[1,0,1]
	s_nop 0
	v_mov_b32_e32 v6, v119
	v_mov_b32_e32 v9, v7
	v_pk_mul_f32 v[6:7], v[134:135], v[6:7] op_sel:[1,0] op_sel_hi:[0,0]
	v_pk_add_f32 v[4:5], v[4:5], v[8:9]
	v_pk_fma_f32 v[8:9], v[134:135], v[118:119], v[6:7] neg_lo:[0,0,1] neg_hi:[0,0,1]
	v_pk_fma_f32 v[6:7], v[134:135], v[118:119], v[6:7] op_sel_hi:[1,0,1]
	s_nop 0
	v_mov_b32_e32 v9, v7
	s_waitcnt vmcnt(2) lgkmcnt(1)
	v_pk_mul_f32 v[6:7], v[136:137], v[120:121] op_sel:[1,1] op_sel_hi:[0,1]
	v_pk_add_f32 v[4:5], v[4:5], v[8:9]
	v_pk_fma_f32 v[8:9], v[136:137], v[120:121], v[6:7] neg_lo:[0,0,1] neg_hi:[0,0,1]
	v_pk_fma_f32 v[6:7], v[136:137], v[120:121], v[6:7] op_sel_hi:[1,0,1]
	s_nop 0
	v_mov_b32_e32 v6, v123
	v_mov_b32_e32 v9, v7
	v_pk_mul_f32 v[6:7], v[138:139], v[6:7] op_sel:[1,0] op_sel_hi:[0,0]
	v_pk_add_f32 v[4:5], v[4:5], v[8:9]
	;; [unrolled: 14-line block ×3, first 2 shown]
	v_pk_fma_f32 v[8:9], v[142:143], v[126:127], v[6:7] neg_lo:[0,0,1] neg_hi:[0,0,1]
	v_pk_fma_f32 v[6:7], v[142:143], v[126:127], v[6:7] op_sel_hi:[1,0,1]
	s_nop 0
	v_mov_b32_e32 v9, v7
	v_pk_add_f32 v[4:5], v[4:5], v[8:9]
	s_waitcnt vmcnt(0)
	v_pk_add_f32 v[2:3], v[2:3], v[4:5] neg_lo:[0,1] neg_hi:[0,1]
	scratch_store_dwordx2 off, v[2:3], off offset:64
	s_and_saveexec_b64 s[0:1], vcc
	s_cbranch_execz .LBB28_173
; %bb.172:
	scratch_load_dwordx2 v[2:3], off, off offset:56
	v_mov_b32_e32 v4, 0
	v_mov_b32_e32 v5, v4
	scratch_store_dwordx2 off, v[4:5], off offset:56
	s_waitcnt vmcnt(1)
	ds_write_b64 v1, v[2:3]
.LBB28_173:
	s_or_b64 exec, exec, s[0:1]
	s_waitcnt lgkmcnt(0)
	; wave barrier
	scratch_load_dwordx4 v[2:5], off, off offset:64
	scratch_load_dwordx4 v[6:9], off, off offset:80
	;; [unrolled: 1-line block ×10, first 2 shown]
	scratch_load_dwordx2 v[36:37], off, off offset:224
	scratch_load_dwordx2 v[136:137], off, off offset:56
	v_mov_b32_e32 v10, 0
	ds_read_b128 v[104:107], v10 offset:304
	ds_read_b128 v[108:111], v10 offset:320
	;; [unrolled: 1-line block ×8, first 2 shown]
	v_cmp_lt_u32_e32 vcc, 6, v0
	s_waitcnt vmcnt(11) lgkmcnt(7)
	v_mul_f32_e32 v11, v104, v3
	v_mul_f32_e32 v3, v105, v3
	;; [unrolled: 1-line block ×4, first 2 shown]
	v_fmac_f32_e32 v11, v105, v2
	v_fma_f32 v2, v104, v2, -v3
	s_waitcnt vmcnt(10) lgkmcnt(6)
	v_mul_f32_e32 v140, v108, v7
	v_mul_f32_e32 v7, v109, v7
	v_fma_f32 v3, v106, v4, -v5
	v_add_f32_e32 v2, 0, v2
	v_mul_f32_e32 v142, v110, v9
	v_mul_f32_e32 v9, v111, v9
	v_fmac_f32_e32 v138, v107, v4
	v_fma_f32 v4, v108, v6, -v7
	v_add_f32_e32 v11, 0, v11
	v_add_f32_e32 v2, v2, v3
	s_waitcnt vmcnt(9) lgkmcnt(5)
	v_mul_f32_e32 v143, v112, v13
	v_mul_f32_e32 v13, v113, v13
	v_fmac_f32_e32 v140, v109, v6
	v_fma_f32 v5, v110, v8, -v9
	v_add_f32_e32 v11, v11, v138
	v_add_f32_e32 v2, v2, v4
	v_mul_f32_e32 v144, v114, v15
	v_mul_f32_e32 v15, v115, v15
	v_fmac_f32_e32 v142, v111, v8
	v_fma_f32 v6, v112, v12, -v13
	v_add_f32_e32 v3, v11, v140
	v_add_f32_e32 v2, v2, v5
	s_waitcnt vmcnt(8) lgkmcnt(4)
	v_mul_f32_e32 v145, v116, v17
	v_mul_f32_e32 v17, v117, v17
	v_fmac_f32_e32 v143, v113, v12
	v_fma_f32 v7, v114, v14, -v15
	v_add_f32_e32 v3, v3, v142
	;; [unrolled: 13-line block ×4, first 2 shown]
	v_add_f32_e32 v2, v2, v12
	v_fmac_f32_e32 v148, v123, v22
	v_fma_f32 v14, v124, v24, -v25
	v_add_f32_e32 v3, v3, v147
	v_add_f32_e32 v2, v2, v13
	v_mul_f32_e32 v139, v126, v27
	v_fmac_f32_e32 v149, v125, v24
	v_add_f32_e32 v3, v3, v148
	v_add_f32_e32 v12, v2, v14
	v_mul_f32_e32 v2, v127, v27
	s_waitcnt vmcnt(5)
	v_mov_b32_e32 v16, v31
	s_waitcnt lgkmcnt(1)
	v_mul_f32_e32 v141, v128, v29
	v_fmac_f32_e32 v139, v127, v26
	v_add_f32_e32 v13, v3, v149
	v_fma_f32 v138, v126, v26, -v2
	v_mul_f32_e32 v2, v129, v29
	v_pk_mul_f32 v[16:17], v[130:131], v[16:17] op_sel:[1,0] op_sel_hi:[0,0]
	v_fmac_f32_e32 v141, v129, v28
	v_fma_f32 v140, v128, v28, -v2
	v_pk_add_f32 v[12:13], v[12:13], v[138:139]
	v_pk_fma_f32 v[18:19], v[130:131], v[30:31], v[16:17] neg_lo:[0,0,1] neg_hi:[0,0,1]
	v_pk_fma_f32 v[16:17], v[130:131], v[30:31], v[16:17] op_sel_hi:[1,0,1]
	v_pk_add_f32 v[12:13], v[12:13], v[140:141]
	v_mov_b32_e32 v19, v17
	s_waitcnt vmcnt(4) lgkmcnt(0)
	v_pk_mul_f32 v[16:17], v[132:133], v[32:33] op_sel:[1,1] op_sel_hi:[0,1]
	v_pk_add_f32 v[12:13], v[12:13], v[18:19]
	v_pk_fma_f32 v[18:19], v[132:133], v[32:33], v[16:17] neg_lo:[0,0,1] neg_hi:[0,0,1]
	v_pk_fma_f32 v[16:17], v[132:133], v[32:33], v[16:17] op_sel_hi:[1,0,1]
	ds_read_b128 v[2:5], v10 offset:432
	ds_read_b128 v[6:9], v10 offset:448
	ds_read_b64 v[14:15], v10 offset:464
	v_mov_b32_e32 v16, v35
	v_mov_b32_e32 v19, v17
	v_pk_mul_f32 v[16:17], v[134:135], v[16:17] op_sel:[1,0] op_sel_hi:[0,0]
	v_pk_add_f32 v[12:13], v[12:13], v[18:19]
	v_pk_fma_f32 v[18:19], v[134:135], v[34:35], v[16:17] neg_lo:[0,0,1] neg_hi:[0,0,1]
	v_pk_fma_f32 v[16:17], v[134:135], v[34:35], v[16:17] op_sel_hi:[1,0,1]
	s_nop 0
	v_mov_b32_e32 v19, v17
	s_waitcnt vmcnt(3) lgkmcnt(2)
	v_pk_mul_f32 v[16:17], v[2:3], v[96:97] op_sel:[1,1] op_sel_hi:[0,1]
	v_pk_add_f32 v[12:13], v[12:13], v[18:19]
	v_pk_fma_f32 v[18:19], v[2:3], v[96:97], v[16:17] neg_lo:[0,0,1] neg_hi:[0,0,1]
	v_pk_fma_f32 v[2:3], v[2:3], v[96:97], v[16:17] op_sel_hi:[1,0,1]
	s_nop 0
	v_mov_b32_e32 v19, v3
	v_pk_add_f32 v[2:3], v[12:13], v[18:19]
	v_mov_b32_e32 v12, v99
	v_pk_mul_f32 v[12:13], v[4:5], v[12:13] op_sel:[1,0] op_sel_hi:[0,0]
	v_pk_fma_f32 v[16:17], v[4:5], v[98:99], v[12:13] neg_lo:[0,0,1] neg_hi:[0,0,1]
	v_pk_fma_f32 v[4:5], v[4:5], v[98:99], v[12:13] op_sel_hi:[1,0,1]
	s_nop 0
	v_mov_b32_e32 v17, v5
	s_waitcnt vmcnt(2) lgkmcnt(1)
	v_pk_mul_f32 v[4:5], v[6:7], v[100:101] op_sel:[1,1] op_sel_hi:[0,1]
	v_pk_fma_f32 v[12:13], v[6:7], v[100:101], v[4:5] neg_lo:[0,0,1] neg_hi:[0,0,1]
	v_pk_fma_f32 v[4:5], v[6:7], v[100:101], v[4:5] op_sel_hi:[1,0,1]
	v_pk_add_f32 v[2:3], v[2:3], v[16:17]
	v_mov_b32_e32 v4, v103
	v_mov_b32_e32 v13, v5
	v_pk_mul_f32 v[4:5], v[8:9], v[4:5] op_sel:[1,0] op_sel_hi:[0,0]
	v_pk_fma_f32 v[6:7], v[8:9], v[102:103], v[4:5] neg_lo:[0,0,1] neg_hi:[0,0,1]
	v_pk_fma_f32 v[4:5], v[8:9], v[102:103], v[4:5] op_sel_hi:[1,0,1]
	v_pk_add_f32 v[2:3], v[2:3], v[12:13]
	v_mov_b32_e32 v7, v5
	s_waitcnt vmcnt(1) lgkmcnt(0)
	v_pk_mul_f32 v[4:5], v[14:15], v[36:37] op_sel:[1,1] op_sel_hi:[0,1]
	v_pk_add_f32 v[2:3], v[2:3], v[6:7]
	v_pk_fma_f32 v[6:7], v[14:15], v[36:37], v[4:5] neg_lo:[0,0,1] neg_hi:[0,0,1]
	v_pk_fma_f32 v[4:5], v[14:15], v[36:37], v[4:5] op_sel_hi:[1,0,1]
	s_nop 0
	v_mov_b32_e32 v7, v5
	v_pk_add_f32 v[2:3], v[2:3], v[6:7]
	s_waitcnt vmcnt(0)
	v_pk_add_f32 v[2:3], v[136:137], v[2:3] neg_lo:[0,1] neg_hi:[0,1]
	scratch_store_dwordx2 off, v[2:3], off offset:56
	s_and_saveexec_b64 s[0:1], vcc
	s_cbranch_execz .LBB28_175
; %bb.174:
	scratch_load_dwordx2 v[2:3], off, off offset:48
	v_mov_b32_e32 v11, v10
	scratch_store_dwordx2 off, v[10:11], off offset:48
	s_waitcnt vmcnt(1)
	ds_write_b64 v1, v[2:3]
.LBB28_175:
	s_or_b64 exec, exec, s[0:1]
	s_waitcnt lgkmcnt(0)
	; wave barrier
	scratch_load_dwordx4 v[6:9], off, off offset:56
	scratch_load_dwordx4 v[12:15], off, off offset:72
	;; [unrolled: 1-line block ×7, first 2 shown]
	ds_read2_b64 v[96:99], v10 offset0:37 offset1:38
	ds_read2_b64 v[100:103], v10 offset0:39 offset1:40
	;; [unrolled: 1-line block ×6, first 2 shown]
	scratch_load_dwordx4 v[120:123], off, off offset:168
	scratch_load_dwordx4 v[124:127], off, off offset:184
	;; [unrolled: 1-line block ×4, first 2 shown]
	ds_read2_b64 v[132:135], v10 offset0:49 offset1:50
	ds_read2_b64 v[136:139], v10 offset0:51 offset1:52
	scratch_load_dwordx2 v[36:37], off, off offset:48
	v_cmp_lt_u32_e32 vcc, 5, v0
	s_waitcnt vmcnt(11) lgkmcnt(7)
	v_mul_f32_e32 v11, v96, v7
	v_mul_f32_e32 v140, v98, v9
	v_mul_f32_e32 v7, v97, v7
	v_fmac_f32_e32 v11, v97, v6
	s_waitcnt vmcnt(10) lgkmcnt(6)
	v_mul_f32_e32 v142, v100, v13
	v_mul_f32_e32 v9, v99, v9
	v_fmac_f32_e32 v140, v99, v8
	v_fma_f32 v6, v96, v6, -v7
	v_add_f32_e32 v11, 0, v11
	v_mul_f32_e32 v144, v102, v15
	v_fmac_f32_e32 v142, v101, v12
	v_fma_f32 v7, v98, v8, -v9
	v_add_f32_e32 v6, 0, v6
	v_add_f32_e32 v11, v11, v140
	s_waitcnt vmcnt(9) lgkmcnt(5)
	v_mul_f32_e32 v145, v104, v17
	v_mul_f32_e32 v13, v101, v13
	v_fmac_f32_e32 v144, v103, v14
	v_add_f32_e32 v6, v6, v7
	v_add_f32_e32 v7, v11, v142
	v_mul_f32_e32 v146, v106, v19
	v_mul_f32_e32 v15, v103, v15
	v_fmac_f32_e32 v145, v105, v16
	v_fma_f32 v8, v100, v12, -v13
	v_add_f32_e32 v7, v7, v144
	s_waitcnt vmcnt(8) lgkmcnt(4)
	v_mul_f32_e32 v147, v108, v21
	v_mul_f32_e32 v17, v105, v17
	v_fmac_f32_e32 v146, v107, v18
	v_fma_f32 v9, v102, v14, -v15
	v_add_f32_e32 v6, v6, v8
	v_add_f32_e32 v7, v7, v145
	v_mul_f32_e32 v148, v110, v23
	v_mul_f32_e32 v19, v107, v19
	v_fmac_f32_e32 v147, v109, v20
	v_fma_f32 v12, v104, v16, -v17
	v_add_f32_e32 v6, v6, v9
	v_add_f32_e32 v7, v7, v146
	s_waitcnt vmcnt(7) lgkmcnt(3)
	v_mul_f32_e32 v149, v112, v25
	v_mul_f32_e32 v21, v109, v21
	v_fmac_f32_e32 v148, v111, v22
	v_fma_f32 v13, v106, v18, -v19
	v_add_f32_e32 v6, v6, v12
	v_add_f32_e32 v7, v7, v147
	v_mul_f32_e32 v150, v114, v27
	v_mul_f32_e32 v23, v111, v23
	v_fmac_f32_e32 v149, v113, v24
	v_fma_f32 v14, v108, v20, -v21
	v_add_f32_e32 v6, v6, v13
	;; [unrolled: 13-line block ×3, first 2 shown]
	v_add_f32_e32 v7, v7, v150
	v_mul_f32_e32 v29, v117, v29
	v_fmac_f32_e32 v152, v119, v30
	v_fma_f32 v17, v114, v26, -v27
	v_add_f32_e32 v6, v6, v16
	v_add_f32_e32 v7, v7, v151
	v_fma_f32 v18, v116, v28, -v29
	v_add_f32_e32 v6, v6, v17
	v_add_f32_e32 v21, v7, v152
	v_mul_f32_e32 v7, v119, v31
	v_add_f32_e32 v6, v6, v18
	v_fma_f32 v7, v118, v30, -v7
	s_waitcnt vmcnt(5) lgkmcnt(1)
	v_mul_f32_e32 v141, v132, v33
	v_add_f32_e32 v20, v6, v7
	v_mul_f32_e32 v6, v133, v33
	v_fmac_f32_e32 v141, v133, v32
	v_fma_f32 v140, v132, v32, -v6
	v_mul_f32_e32 v6, v135, v35
	v_fma_f32 v142, v134, v34, -v6
	ds_read2_b64 v[6:9], v10 offset0:53 offset1:54
	ds_read2_b64 v[12:15], v10 offset0:55 offset1:56
	;; [unrolled: 1-line block ×3, first 2 shown]
	v_pk_add_f32 v[10:11], v[20:21], v[140:141]
	s_waitcnt vmcnt(4) lgkmcnt(3)
	v_pk_mul_f32 v[20:21], v[136:137], v[120:121] op_sel:[1,1] op_sel_hi:[0,1]
	v_mul_f32_e32 v143, v134, v35
	v_pk_fma_f32 v[22:23], v[136:137], v[120:121], v[20:21] neg_lo:[0,0,1] neg_hi:[0,0,1]
	v_pk_fma_f32 v[20:21], v[136:137], v[120:121], v[20:21] op_sel_hi:[1,0,1]
	v_fmac_f32_e32 v143, v135, v34
	v_mov_b32_e32 v20, v123
	v_pk_add_f32 v[10:11], v[10:11], v[142:143]
	v_mov_b32_e32 v23, v21
	v_pk_mul_f32 v[20:21], v[138:139], v[20:21] op_sel:[1,0] op_sel_hi:[0,0]
	v_pk_add_f32 v[10:11], v[10:11], v[22:23]
	v_pk_fma_f32 v[22:23], v[138:139], v[122:123], v[20:21] neg_lo:[0,0,1] neg_hi:[0,0,1]
	v_pk_fma_f32 v[20:21], v[138:139], v[122:123], v[20:21] op_sel_hi:[1,0,1]
	s_nop 0
	v_mov_b32_e32 v23, v21
	s_waitcnt vmcnt(3) lgkmcnt(2)
	v_pk_mul_f32 v[20:21], v[6:7], v[124:125] op_sel:[1,1] op_sel_hi:[0,1]
	v_pk_add_f32 v[10:11], v[10:11], v[22:23]
	v_pk_fma_f32 v[22:23], v[6:7], v[124:125], v[20:21] neg_lo:[0,0,1] neg_hi:[0,0,1]
	v_pk_fma_f32 v[6:7], v[6:7], v[124:125], v[20:21] op_sel_hi:[1,0,1]
	s_nop 0
	v_mov_b32_e32 v23, v7
	v_pk_add_f32 v[6:7], v[10:11], v[22:23]
	v_mov_b32_e32 v10, v127
	v_pk_mul_f32 v[10:11], v[8:9], v[10:11] op_sel:[1,0] op_sel_hi:[0,0]
	v_pk_fma_f32 v[20:21], v[8:9], v[126:127], v[10:11] neg_lo:[0,0,1] neg_hi:[0,0,1]
	v_pk_fma_f32 v[8:9], v[8:9], v[126:127], v[10:11] op_sel_hi:[1,0,1]
	s_nop 0
	v_mov_b32_e32 v21, v9
	s_waitcnt vmcnt(2) lgkmcnt(1)
	v_pk_mul_f32 v[8:9], v[12:13], v[128:129] op_sel:[1,1] op_sel_hi:[0,1]
	v_pk_fma_f32 v[10:11], v[12:13], v[128:129], v[8:9] neg_lo:[0,0,1] neg_hi:[0,0,1]
	v_pk_fma_f32 v[8:9], v[12:13], v[128:129], v[8:9] op_sel_hi:[1,0,1]
	v_pk_add_f32 v[6:7], v[6:7], v[20:21]
	v_mov_b32_e32 v8, v131
	v_mov_b32_e32 v11, v9
	v_pk_mul_f32 v[8:9], v[14:15], v[8:9] op_sel:[1,0] op_sel_hi:[0,0]
	v_pk_add_f32 v[6:7], v[6:7], v[10:11]
	v_pk_fma_f32 v[10:11], v[14:15], v[130:131], v[8:9] neg_lo:[0,0,1] neg_hi:[0,0,1]
	v_pk_fma_f32 v[8:9], v[14:15], v[130:131], v[8:9] op_sel_hi:[1,0,1]
	s_nop 0
	v_mov_b32_e32 v11, v9
	s_waitcnt vmcnt(1) lgkmcnt(0)
	v_pk_mul_f32 v[8:9], v[16:17], v[2:3] op_sel:[1,1] op_sel_hi:[0,1]
	v_pk_add_f32 v[6:7], v[6:7], v[10:11]
	v_pk_fma_f32 v[10:11], v[16:17], v[2:3], v[8:9] neg_lo:[0,0,1] neg_hi:[0,0,1]
	v_pk_fma_f32 v[2:3], v[16:17], v[2:3], v[8:9] op_sel_hi:[1,0,1]
	s_nop 0
	v_mov_b32_e32 v11, v3
	v_pk_add_f32 v[2:3], v[6:7], v[10:11]
	v_mov_b32_e32 v6, v5
	v_pk_mul_f32 v[6:7], v[18:19], v[6:7] op_sel:[1,0] op_sel_hi:[0,0]
	v_pk_fma_f32 v[8:9], v[18:19], v[4:5], v[6:7] neg_lo:[0,0,1] neg_hi:[0,0,1]
	v_pk_fma_f32 v[4:5], v[18:19], v[4:5], v[6:7] op_sel_hi:[1,0,1]
	s_nop 0
	v_mov_b32_e32 v9, v5
	v_pk_add_f32 v[2:3], v[2:3], v[8:9]
	s_waitcnt vmcnt(0)
	v_pk_add_f32 v[2:3], v[36:37], v[2:3] neg_lo:[0,1] neg_hi:[0,1]
	scratch_store_dwordx2 off, v[2:3], off offset:48
	s_and_saveexec_b64 s[0:1], vcc
	s_cbranch_execz .LBB28_177
; %bb.176:
	scratch_load_dwordx2 v[2:3], off, off offset:40
	v_mov_b32_e32 v4, 0
	v_mov_b32_e32 v5, v4
	scratch_store_dwordx2 off, v[4:5], off offset:40
	s_waitcnt vmcnt(1)
	ds_write_b64 v1, v[2:3]
.LBB28_177:
	s_or_b64 exec, exec, s[0:1]
	s_waitcnt lgkmcnt(0)
	; wave barrier
	scratch_load_dwordx4 v[6:9], off, off offset:48
	scratch_load_dwordx4 v[14:17], off, off offset:64
	;; [unrolled: 1-line block ×11, first 2 shown]
	scratch_load_dwordx2 v[22:23], off, off offset:224
	scratch_load_dwordx2 v[36:37], off, off offset:40
	v_mov_b32_e32 v96, 0
	ds_read_b128 v[110:113], v96 offset:288
	ds_read_b128 v[114:117], v96 offset:304
	;; [unrolled: 1-line block ×8, first 2 shown]
	v_cmp_lt_u32_e32 vcc, 4, v0
	s_waitcnt vmcnt(12) lgkmcnt(7)
	v_mul_f32_e32 v97, v110, v7
	v_mul_f32_e32 v142, v112, v9
	;; [unrolled: 1-line block ×3, first 2 shown]
	v_fmac_f32_e32 v97, v111, v6
	s_waitcnt vmcnt(8) lgkmcnt(3)
	v_mul_f32_e32 v151, v126, v19
	v_mul_f32_e32 v19, v127, v19
	;; [unrolled: 1-line block ×4, first 2 shown]
	v_fmac_f32_e32 v142, v113, v8
	v_fmac_f32_e32 v151, v127, v18
	v_fma_f32 v6, v110, v6, -v7
	v_fma_f32 v18, v126, v18, -v19
	v_add_f32_e32 v19, 0, v97
	v_mul_f32_e32 v146, v116, v17
	v_fmac_f32_e32 v144, v115, v14
	v_fma_f32 v7, v112, v8, -v9
	v_add_f32_e32 v6, 0, v6
	v_add_f32_e32 v19, v19, v142
	v_mul_f32_e32 v147, v118, v25
	v_fmac_f32_e32 v146, v117, v16
	v_add_f32_e32 v6, v6, v7
	v_add_f32_e32 v7, v19, v144
	v_mul_f32_e32 v148, v120, v27
	v_fmac_f32_e32 v147, v119, v24
	v_add_f32_e32 v7, v7, v146
	v_mul_f32_e32 v149, v122, v29
	v_mul_f32_e32 v15, v115, v15
	v_fmac_f32_e32 v148, v121, v26
	v_add_f32_e32 v7, v7, v147
	v_mul_f32_e32 v150, v124, v31
	v_mul_f32_e32 v17, v117, v17
	v_fmac_f32_e32 v149, v123, v28
	v_fma_f32 v8, v114, v14, -v15
	v_add_f32_e32 v7, v7, v148
	v_mul_f32_e32 v25, v119, v25
	v_fmac_f32_e32 v150, v125, v30
	v_fma_f32 v9, v116, v16, -v17
	v_add_f32_e32 v6, v6, v8
	v_add_f32_e32 v7, v7, v149
	v_mul_f32_e32 v152, v128, v21
	v_mul_f32_e32 v27, v121, v27
	v_fma_f32 v14, v118, v24, -v25
	v_add_f32_e32 v6, v6, v9
	v_add_f32_e32 v7, v7, v150
	s_waitcnt vmcnt(7) lgkmcnt(2)
	v_mul_f32_e32 v153, v130, v33
	v_mul_f32_e32 v29, v123, v29
	v_fmac_f32_e32 v152, v129, v20
	v_fma_f32 v15, v120, v26, -v27
	v_add_f32_e32 v6, v6, v14
	v_add_f32_e32 v7, v7, v151
	v_mul_f32_e32 v154, v132, v35
	v_mul_f32_e32 v31, v125, v31
	v_fmac_f32_e32 v153, v131, v32
	v_fma_f32 v16, v122, v28, -v29
	v_add_f32_e32 v6, v6, v15
	v_add_f32_e32 v7, v7, v152
	s_waitcnt vmcnt(6) lgkmcnt(1)
	v_mul_f32_e32 v155, v134, v99
	v_fmac_f32_e32 v154, v133, v34
	v_fma_f32 v17, v124, v30, -v31
	v_add_f32_e32 v6, v6, v16
	v_add_f32_e32 v7, v7, v153
	v_mul_f32_e32 v21, v129, v21
	v_fmac_f32_e32 v155, v135, v98
	v_add_f32_e32 v6, v6, v17
	v_add_f32_e32 v7, v7, v154
	;; [unrolled: 1-line block ×4, first 2 shown]
	v_fma_f32 v7, v128, v20, -v21
	v_add_f32_e32 v6, v6, v7
	v_mul_f32_e32 v7, v131, v33
	v_fma_f32 v7, v130, v32, -v7
	v_add_f32_e32 v6, v6, v7
	v_mul_f32_e32 v7, v133, v35
	v_fma_f32 v7, v132, v34, -v7
	v_add_f32_e32 v6, v6, v7
	v_mul_f32_e32 v7, v135, v99
	v_fma_f32 v7, v134, v98, -v7
	v_add_f32_e32 v24, v6, v7
	v_mul_f32_e32 v6, v137, v101
	v_mul_f32_e32 v143, v136, v101
	v_fma_f32 v142, v136, v100, -v6
	s_waitcnt vmcnt(5) lgkmcnt(0)
	v_mul_f32_e32 v6, v139, v103
	v_mov_b32_e32 v28, v105
	v_mul_f32_e32 v145, v138, v103
	v_fmac_f32_e32 v143, v137, v100
	v_fma_f32 v144, v138, v102, -v6
	ds_read_b128 v[6:9], v96 offset:416
	ds_read_b128 v[14:17], v96 offset:432
	;; [unrolled: 1-line block ×3, first 2 shown]
	ds_read_b64 v[26:27], v96 offset:464
	v_pk_mul_f32 v[28:29], v[140:141], v[28:29] op_sel:[1,0] op_sel_hi:[0,0]
	v_fmac_f32_e32 v145, v139, v102
	v_pk_add_f32 v[24:25], v[24:25], v[142:143]
	v_pk_fma_f32 v[30:31], v[140:141], v[104:105], v[28:29] neg_lo:[0,0,1] neg_hi:[0,0,1]
	v_pk_fma_f32 v[28:29], v[140:141], v[104:105], v[28:29] op_sel_hi:[1,0,1]
	v_pk_add_f32 v[24:25], v[24:25], v[144:145]
	v_mov_b32_e32 v31, v29
	s_waitcnt vmcnt(4) lgkmcnt(3)
	v_pk_mul_f32 v[28:29], v[6:7], v[106:107] op_sel:[1,1] op_sel_hi:[0,1]
	v_pk_add_f32 v[24:25], v[24:25], v[30:31]
	v_pk_fma_f32 v[30:31], v[6:7], v[106:107], v[28:29] neg_lo:[0,0,1] neg_hi:[0,0,1]
	v_pk_fma_f32 v[6:7], v[6:7], v[106:107], v[28:29] op_sel_hi:[1,0,1]
	s_nop 0
	v_mov_b32_e32 v31, v7
	v_pk_add_f32 v[6:7], v[24:25], v[30:31]
	v_mov_b32_e32 v24, v109
	v_pk_mul_f32 v[24:25], v[8:9], v[24:25] op_sel:[1,0] op_sel_hi:[0,0]
	v_pk_fma_f32 v[28:29], v[8:9], v[108:109], v[24:25] neg_lo:[0,0,1] neg_hi:[0,0,1]
	v_pk_fma_f32 v[8:9], v[8:9], v[108:109], v[24:25] op_sel_hi:[1,0,1]
	s_nop 0
	v_mov_b32_e32 v29, v9
	s_waitcnt vmcnt(3) lgkmcnt(2)
	v_pk_mul_f32 v[8:9], v[14:15], v[10:11] op_sel:[1,1] op_sel_hi:[0,1]
	v_pk_fma_f32 v[24:25], v[14:15], v[10:11], v[8:9] neg_lo:[0,0,1] neg_hi:[0,0,1]
	v_pk_fma_f32 v[8:9], v[14:15], v[10:11], v[8:9] op_sel_hi:[1,0,1]
	v_pk_add_f32 v[6:7], v[6:7], v[28:29]
	v_mov_b32_e32 v8, v13
	v_mov_b32_e32 v25, v9
	v_pk_mul_f32 v[8:9], v[16:17], v[8:9] op_sel:[1,0] op_sel_hi:[0,0]
	v_pk_fma_f32 v[10:11], v[16:17], v[12:13], v[8:9] neg_lo:[0,0,1] neg_hi:[0,0,1]
	v_pk_fma_f32 v[8:9], v[16:17], v[12:13], v[8:9] op_sel_hi:[1,0,1]
	v_pk_add_f32 v[6:7], v[6:7], v[24:25]
	v_mov_b32_e32 v11, v9
	s_waitcnt vmcnt(2) lgkmcnt(1)
	v_pk_mul_f32 v[8:9], v[18:19], v[2:3] op_sel:[1,1] op_sel_hi:[0,1]
	v_pk_add_f32 v[6:7], v[6:7], v[10:11]
	v_pk_fma_f32 v[10:11], v[18:19], v[2:3], v[8:9] neg_lo:[0,0,1] neg_hi:[0,0,1]
	v_pk_fma_f32 v[2:3], v[18:19], v[2:3], v[8:9] op_sel_hi:[1,0,1]
	s_nop 0
	v_mov_b32_e32 v11, v3
	v_pk_add_f32 v[2:3], v[6:7], v[10:11]
	v_mov_b32_e32 v6, v5
	v_pk_mul_f32 v[6:7], v[20:21], v[6:7] op_sel:[1,0] op_sel_hi:[0,0]
	v_pk_fma_f32 v[8:9], v[20:21], v[4:5], v[6:7] neg_lo:[0,0,1] neg_hi:[0,0,1]
	v_pk_fma_f32 v[4:5], v[20:21], v[4:5], v[6:7] op_sel_hi:[1,0,1]
	s_nop 0
	v_mov_b32_e32 v9, v5
	s_waitcnt vmcnt(1) lgkmcnt(0)
	v_pk_mul_f32 v[4:5], v[26:27], v[22:23] op_sel:[1,1] op_sel_hi:[0,1]
	v_pk_fma_f32 v[6:7], v[26:27], v[22:23], v[4:5] neg_lo:[0,0,1] neg_hi:[0,0,1]
	v_pk_fma_f32 v[4:5], v[26:27], v[22:23], v[4:5] op_sel_hi:[1,0,1]
	v_pk_add_f32 v[2:3], v[2:3], v[8:9]
	v_mov_b32_e32 v7, v5
	v_pk_add_f32 v[2:3], v[2:3], v[6:7]
	s_waitcnt vmcnt(0)
	v_pk_add_f32 v[2:3], v[36:37], v[2:3] neg_lo:[0,1] neg_hi:[0,1]
	scratch_store_dwordx2 off, v[2:3], off offset:40
	s_and_saveexec_b64 s[0:1], vcc
	s_cbranch_execz .LBB28_179
; %bb.178:
	scratch_load_dwordx2 v[2:3], off, off offset:32
	v_mov_b32_e32 v97, v96
	scratch_store_dwordx2 off, v[96:97], off offset:32
	s_waitcnt vmcnt(1)
	ds_write_b64 v1, v[2:3]
.LBB28_179:
	s_or_b64 exec, exec, s[0:1]
	s_waitcnt lgkmcnt(0)
	; wave barrier
	scratch_load_dwordx4 v[2:5], off, off offset:40
	scratch_load_dwordx4 v[14:17], off, off offset:56
	;; [unrolled: 1-line block ×8, first 2 shown]
	ds_read2_b64 v[106:109], v96 offset0:35 offset1:36
	ds_read2_b64 v[110:113], v96 offset0:37 offset1:38
	;; [unrolled: 1-line block ×8, first 2 shown]
	scratch_load_dwordx4 v[138:141], off, off offset:168
	scratch_load_dwordx4 v[26:29], off, off offset:184
	;; [unrolled: 1-line block ×4, first 2 shown]
	scratch_load_dwordx2 v[142:143], off, off offset:32
	v_cmp_lt_u32_e32 vcc, 3, v0
	s_waitcnt vmcnt(12) lgkmcnt(7)
	v_mul_f32_e32 v97, v106, v3
	v_mul_f32_e32 v144, v108, v5
	;; [unrolled: 1-line block ×3, first 2 shown]
	v_fmac_f32_e32 v97, v107, v2
	s_waitcnt vmcnt(8) lgkmcnt(3)
	v_mul_f32_e32 v153, v122, v19
	v_mul_f32_e32 v19, v123, v19
	;; [unrolled: 1-line block ×4, first 2 shown]
	v_fmac_f32_e32 v144, v109, v4
	v_fmac_f32_e32 v153, v123, v18
	v_fma_f32 v2, v106, v2, -v3
	v_fma_f32 v18, v122, v18, -v19
	v_add_f32_e32 v19, 0, v97
	v_mul_f32_e32 v148, v112, v17
	v_fmac_f32_e32 v146, v111, v14
	v_fma_f32 v3, v108, v4, -v5
	v_add_f32_e32 v2, 0, v2
	v_add_f32_e32 v19, v19, v144
	v_mul_f32_e32 v149, v114, v31
	v_fmac_f32_e32 v148, v113, v16
	v_add_f32_e32 v2, v2, v3
	v_add_f32_e32 v3, v19, v146
	v_mul_f32_e32 v150, v116, v33
	v_fmac_f32_e32 v149, v115, v30
	v_add_f32_e32 v3, v3, v148
	v_mul_f32_e32 v151, v118, v99
	v_fmac_f32_e32 v150, v117, v32
	;; [unrolled: 3-line block ×4, first 2 shown]
	v_add_f32_e32 v3, v3, v151
	v_mul_f32_e32 v154, v124, v21
	v_mul_f32_e32 v17, v113, v17
	v_fma_f32 v4, v110, v14, -v15
	v_add_f32_e32 v3, v3, v152
	s_waitcnt vmcnt(7) lgkmcnt(2)
	v_mul_f32_e32 v155, v126, v23
	v_mul_f32_e32 v31, v115, v31
	v_fmac_f32_e32 v154, v125, v20
	v_fma_f32 v5, v112, v16, -v17
	v_add_f32_e32 v2, v2, v4
	v_add_f32_e32 v3, v3, v153
	v_mul_f32_e32 v156, v128, v25
	v_mul_f32_e32 v33, v117, v33
	v_fmac_f32_e32 v155, v127, v22
	v_fma_f32 v14, v114, v30, -v31
	v_add_f32_e32 v2, v2, v5
	v_add_f32_e32 v3, v3, v154
	s_waitcnt vmcnt(6) lgkmcnt(1)
	v_mul_f32_e32 v157, v130, v35
	v_mul_f32_e32 v99, v119, v99
	v_fmac_f32_e32 v156, v129, v24
	v_fma_f32 v15, v116, v32, -v33
	v_add_f32_e32 v2, v2, v14
	v_add_f32_e32 v3, v3, v155
	v_mul_f32_e32 v158, v132, v37
	v_mul_f32_e32 v101, v121, v101
	v_fmac_f32_e32 v157, v131, v34
	v_fma_f32 v16, v118, v98, -v99
	v_add_f32_e32 v2, v2, v15
	v_add_f32_e32 v3, v3, v156
	v_fmac_f32_e32 v158, v133, v36
	v_fma_f32 v17, v120, v100, -v101
	v_add_f32_e32 v2, v2, v16
	v_add_f32_e32 v3, v3, v157
	v_add_f32_e32 v2, v2, v17
	v_add_f32_e32 v31, v3, v158
	v_mul_f32_e32 v3, v125, v21
	v_add_f32_e32 v2, v2, v18
	v_fma_f32 v3, v124, v20, -v3
	v_add_f32_e32 v2, v2, v3
	v_mul_f32_e32 v3, v127, v23
	v_fma_f32 v3, v126, v22, -v3
	v_add_f32_e32 v2, v2, v3
	v_mul_f32_e32 v3, v129, v25
	v_fma_f32 v3, v128, v24, -v3
	v_add_f32_e32 v2, v2, v3
	v_mul_f32_e32 v3, v131, v35
	v_fma_f32 v3, v130, v34, -v3
	v_add_f32_e32 v2, v2, v3
	v_mul_f32_e32 v3, v133, v37
	v_fma_f32 v3, v132, v36, -v3
	v_add_f32_e32 v30, v2, v3
	s_waitcnt vmcnt(5) lgkmcnt(0)
	v_mul_f32_e32 v2, v135, v103
	v_fma_f32 v144, v134, v102, -v2
	v_mul_f32_e32 v2, v137, v105
	v_fma_f32 v146, v136, v104, -v2
	ds_read2_b64 v[2:5], v96 offset0:51 offset1:52
	ds_read2_b64 v[14:17], v96 offset0:53 offset1:54
	;; [unrolled: 1-line block ×4, first 2 shown]
	v_mul_f32_e32 v145, v134, v103
	v_mul_f32_e32 v147, v136, v105
	v_fmac_f32_e32 v145, v135, v102
	s_waitcnt vmcnt(4) lgkmcnt(3)
	v_pk_mul_f32 v[32:33], v[2:3], v[138:139] op_sel:[1,1] op_sel_hi:[0,1]
	v_fmac_f32_e32 v147, v137, v104
	v_pk_add_f32 v[30:31], v[30:31], v[144:145]
	v_pk_fma_f32 v[34:35], v[2:3], v[138:139], v[32:33] neg_lo:[0,0,1] neg_hi:[0,0,1]
	v_pk_fma_f32 v[2:3], v[2:3], v[138:139], v[32:33] op_sel_hi:[1,0,1]
	v_pk_add_f32 v[30:31], v[30:31], v[146:147]
	v_mov_b32_e32 v35, v3
	v_pk_add_f32 v[2:3], v[30:31], v[34:35]
	v_mov_b32_e32 v30, v141
	v_pk_mul_f32 v[30:31], v[4:5], v[30:31] op_sel:[1,0] op_sel_hi:[0,0]
	v_pk_fma_f32 v[32:33], v[4:5], v[140:141], v[30:31] neg_lo:[0,0,1] neg_hi:[0,0,1]
	v_pk_fma_f32 v[4:5], v[4:5], v[140:141], v[30:31] op_sel_hi:[1,0,1]
	s_nop 0
	v_mov_b32_e32 v33, v5
	s_waitcnt vmcnt(3) lgkmcnt(2)
	v_pk_mul_f32 v[4:5], v[14:15], v[26:27] op_sel:[1,1] op_sel_hi:[0,1]
	v_pk_fma_f32 v[30:31], v[14:15], v[26:27], v[4:5] neg_lo:[0,0,1] neg_hi:[0,0,1]
	v_pk_fma_f32 v[4:5], v[14:15], v[26:27], v[4:5] op_sel_hi:[1,0,1]
	v_pk_add_f32 v[2:3], v[2:3], v[32:33]
	v_mov_b32_e32 v4, v29
	v_mov_b32_e32 v31, v5
	v_pk_mul_f32 v[4:5], v[16:17], v[4:5] op_sel:[1,0] op_sel_hi:[0,0]
	v_pk_fma_f32 v[14:15], v[16:17], v[28:29], v[4:5] neg_lo:[0,0,1] neg_hi:[0,0,1]
	v_pk_fma_f32 v[4:5], v[16:17], v[28:29], v[4:5] op_sel_hi:[1,0,1]
	v_pk_add_f32 v[2:3], v[2:3], v[30:31]
	v_mov_b32_e32 v15, v5
	s_waitcnt vmcnt(2) lgkmcnt(1)
	v_pk_mul_f32 v[4:5], v[18:19], v[10:11] op_sel:[1,1] op_sel_hi:[0,1]
	v_pk_add_f32 v[2:3], v[2:3], v[14:15]
	v_pk_fma_f32 v[14:15], v[18:19], v[10:11], v[4:5] neg_lo:[0,0,1] neg_hi:[0,0,1]
	v_pk_fma_f32 v[4:5], v[18:19], v[10:11], v[4:5] op_sel_hi:[1,0,1]
	s_nop 0
	v_mov_b32_e32 v4, v13
	v_mov_b32_e32 v15, v5
	v_pk_mul_f32 v[4:5], v[20:21], v[4:5] op_sel:[1,0] op_sel_hi:[0,0]
	v_pk_fma_f32 v[10:11], v[20:21], v[12:13], v[4:5] neg_lo:[0,0,1] neg_hi:[0,0,1]
	v_pk_fma_f32 v[4:5], v[20:21], v[12:13], v[4:5] op_sel_hi:[1,0,1]
	v_pk_add_f32 v[2:3], v[2:3], v[14:15]
	v_mov_b32_e32 v11, v5
	s_waitcnt vmcnt(1) lgkmcnt(0)
	v_pk_mul_f32 v[4:5], v[22:23], v[6:7] op_sel:[1,1] op_sel_hi:[0,1]
	v_pk_add_f32 v[2:3], v[2:3], v[10:11]
	v_pk_fma_f32 v[10:11], v[22:23], v[6:7], v[4:5] neg_lo:[0,0,1] neg_hi:[0,0,1]
	v_pk_fma_f32 v[4:5], v[22:23], v[6:7], v[4:5] op_sel_hi:[1,0,1]
	s_nop 0
	v_mov_b32_e32 v4, v9
	v_mov_b32_e32 v11, v5
	v_pk_mul_f32 v[4:5], v[24:25], v[4:5] op_sel:[1,0] op_sel_hi:[0,0]
	v_pk_fma_f32 v[6:7], v[24:25], v[8:9], v[4:5] neg_lo:[0,0,1] neg_hi:[0,0,1]
	v_pk_fma_f32 v[4:5], v[24:25], v[8:9], v[4:5] op_sel_hi:[1,0,1]
	v_pk_add_f32 v[2:3], v[2:3], v[10:11]
	v_mov_b32_e32 v7, v5
	v_pk_add_f32 v[2:3], v[2:3], v[6:7]
	s_waitcnt vmcnt(0)
	v_pk_add_f32 v[2:3], v[142:143], v[2:3] neg_lo:[0,1] neg_hi:[0,1]
	scratch_store_dwordx2 off, v[2:3], off offset:32
	s_and_saveexec_b64 s[0:1], vcc
	s_cbranch_execz .LBB28_181
; %bb.180:
	scratch_load_dwordx2 v[2:3], off, off offset:24
	v_mov_b32_e32 v4, 0
	v_mov_b32_e32 v5, v4
	scratch_store_dwordx2 off, v[4:5], off offset:24
	s_waitcnt vmcnt(1)
	ds_write_b64 v1, v[2:3]
.LBB28_181:
	s_or_b64 exec, exec, s[0:1]
	v_mov_b32_e32 v2, 0
	s_waitcnt lgkmcnt(0)
	; wave barrier
	ds_read_b128 v[4:7], v2 offset:272
	ds_read_b128 v[8:11], v2 offset:288
	;; [unrolled: 1-line block ×4, first 2 shown]
	scratch_load_dwordx4 v[20:23], off, off offset:32
	scratch_load_dwordx4 v[100:103], off, off offset:96
	;; [unrolled: 1-line block ×3, first 2 shown]
	ds_read_b128 v[96:99], v2 offset:336
	ds_read_b128 v[104:107], v2 offset:352
	;; [unrolled: 1-line block ×5, first 2 shown]
	v_cmp_lt_u32_e32 vcc, 2, v0
	scratch_load_dwordx4 v[108:111], off, off offset:112
	scratch_load_dwordx4 v[116:119], off, off offset:128
	scratch_load_dwordx4 v[124:127], off, off offset:144
	s_waitcnt vmcnt(5) lgkmcnt(8)
	v_mul_f32_e32 v3, v4, v21
	v_fmac_f32_e32 v3, v5, v20
	v_mul_f32_e32 v24, v6, v23
	v_add_f32_e32 v3, 0, v3
	v_fmac_f32_e32 v24, v7, v22
	v_add_f32_e32 v3, v3, v24
	scratch_load_dwordx4 v[24:27], off, off offset:48
	s_waitcnt vmcnt(4) lgkmcnt(0)
	v_mul_f32_e32 v151, v128, v133
	v_fmac_f32_e32 v151, v129, v132
	s_waitcnt vmcnt(1)
	v_mul_f32_e32 v149, v122, v127
	v_fmac_f32_e32 v149, v123, v126
	s_waitcnt vmcnt(0)
	v_mul_f32_e32 v28, v8, v25
	v_fmac_f32_e32 v28, v9, v24
	v_add_f32_e32 v3, v3, v28
	v_mul_f32_e32 v28, v10, v27
	v_fmac_f32_e32 v28, v11, v26
	v_add_f32_e32 v3, v3, v28
	scratch_load_dwordx4 v[28:31], off, off offset:64
	s_waitcnt vmcnt(0)
	v_mul_f32_e32 v32, v12, v29
	v_fmac_f32_e32 v32, v13, v28
	v_add_f32_e32 v3, v3, v32
	v_mul_f32_e32 v32, v14, v31
	v_fmac_f32_e32 v32, v15, v30
	v_add_f32_e32 v3, v3, v32
	scratch_load_dwordx4 v[32:35], off, off offset:80
	scratch_load_dwordx4 v[136:139], off, off offset:176
	;; [unrolled: 1-line block ×4, first 2 shown]
	scratch_load_dwordx2 v[152:153], off, off offset:224
	s_waitcnt vmcnt(4)
	v_mul_f32_e32 v36, v16, v33
	v_fmac_f32_e32 v36, v17, v32
	v_add_f32_e32 v3, v3, v36
	v_mul_f32_e32 v36, v18, v35
	v_fmac_f32_e32 v36, v19, v34
	v_add_f32_e32 v3, v3, v36
	;; [unrolled: 3-line block ×9, first 2 shown]
	v_mul_f32_e32 v3, v5, v21
	v_fma_f32 v3, v4, v20, -v3
	v_mul_f32_e32 v4, v7, v23
	v_add_f32_e32 v3, 0, v3
	v_fma_f32 v4, v6, v22, -v4
	v_add_f32_e32 v3, v3, v4
	v_mul_f32_e32 v4, v9, v25
	v_fma_f32 v4, v8, v24, -v4
	v_add_f32_e32 v3, v3, v4
	v_mul_f32_e32 v4, v11, v27
	;; [unrolled: 3-line block ×14, first 2 shown]
	v_mov_b32_e32 v20, v135
	v_fma_f32 v148, v122, v126, -v3
	v_mul_f32_e32 v3, v129, v133
	ds_read_b128 v[4:7], v2 offset:416
	ds_read_b128 v[8:11], v2 offset:432
	;; [unrolled: 1-line block ×3, first 2 shown]
	ds_read_b64 v[16:17], v2 offset:464
	v_pk_mul_f32 v[20:21], v[130:131], v[20:21] op_sel:[1,0] op_sel_hi:[0,0]
	v_fma_f32 v150, v128, v132, -v3
	v_pk_add_f32 v[18:19], v[36:37], v[148:149]
	v_pk_fma_f32 v[22:23], v[130:131], v[134:135], v[20:21] neg_lo:[0,0,1] neg_hi:[0,0,1]
	v_pk_fma_f32 v[20:21], v[130:131], v[134:135], v[20:21] op_sel_hi:[1,0,1]
	v_pk_add_f32 v[18:19], v[18:19], v[150:151]
	v_mov_b32_e32 v23, v21
	s_waitcnt vmcnt(3) lgkmcnt(3)
	v_pk_mul_f32 v[20:21], v[4:5], v[136:137] op_sel:[1,1] op_sel_hi:[0,1]
	v_pk_add_f32 v[18:19], v[18:19], v[22:23]
	v_pk_fma_f32 v[22:23], v[4:5], v[136:137], v[20:21] neg_lo:[0,0,1] neg_hi:[0,0,1]
	v_pk_fma_f32 v[4:5], v[4:5], v[136:137], v[20:21] op_sel_hi:[1,0,1]
	s_nop 0
	v_mov_b32_e32 v23, v5
	v_pk_add_f32 v[4:5], v[18:19], v[22:23]
	v_mov_b32_e32 v18, v139
	v_pk_mul_f32 v[18:19], v[6:7], v[18:19] op_sel:[1,0] op_sel_hi:[0,0]
	v_pk_fma_f32 v[20:21], v[6:7], v[138:139], v[18:19] neg_lo:[0,0,1] neg_hi:[0,0,1]
	v_pk_fma_f32 v[6:7], v[6:7], v[138:139], v[18:19] op_sel_hi:[1,0,1]
	s_nop 0
	v_mov_b32_e32 v21, v7
	s_waitcnt vmcnt(2) lgkmcnt(2)
	v_pk_mul_f32 v[6:7], v[8:9], v[140:141] op_sel:[1,1] op_sel_hi:[0,1]
	v_pk_fma_f32 v[18:19], v[8:9], v[140:141], v[6:7] neg_lo:[0,0,1] neg_hi:[0,0,1]
	v_pk_fma_f32 v[6:7], v[8:9], v[140:141], v[6:7] op_sel_hi:[1,0,1]
	v_pk_add_f32 v[4:5], v[4:5], v[20:21]
	v_mov_b32_e32 v6, v143
	v_mov_b32_e32 v19, v7
	v_pk_mul_f32 v[6:7], v[10:11], v[6:7] op_sel:[1,0] op_sel_hi:[0,0]
	v_pk_fma_f32 v[8:9], v[10:11], v[142:143], v[6:7] neg_lo:[0,0,1] neg_hi:[0,0,1]
	v_pk_fma_f32 v[6:7], v[10:11], v[142:143], v[6:7] op_sel_hi:[1,0,1]
	v_pk_add_f32 v[4:5], v[4:5], v[18:19]
	v_mov_b32_e32 v9, v7
	s_waitcnt vmcnt(1) lgkmcnt(1)
	v_pk_mul_f32 v[6:7], v[12:13], v[144:145] op_sel:[1,1] op_sel_hi:[0,1]
	v_pk_add_f32 v[4:5], v[4:5], v[8:9]
	v_pk_fma_f32 v[8:9], v[12:13], v[144:145], v[6:7] neg_lo:[0,0,1] neg_hi:[0,0,1]
	v_pk_fma_f32 v[6:7], v[12:13], v[144:145], v[6:7] op_sel_hi:[1,0,1]
	s_nop 0
	v_mov_b32_e32 v6, v147
	v_mov_b32_e32 v9, v7
	v_pk_mul_f32 v[6:7], v[14:15], v[6:7] op_sel:[1,0] op_sel_hi:[0,0]
	v_pk_add_f32 v[4:5], v[4:5], v[8:9]
	v_pk_fma_f32 v[8:9], v[14:15], v[146:147], v[6:7] neg_lo:[0,0,1] neg_hi:[0,0,1]
	v_pk_fma_f32 v[6:7], v[14:15], v[146:147], v[6:7] op_sel_hi:[1,0,1]
	s_nop 0
	v_mov_b32_e32 v9, v7
	s_waitcnt vmcnt(0) lgkmcnt(0)
	v_pk_mul_f32 v[6:7], v[16:17], v[152:153] op_sel:[1,1] op_sel_hi:[0,1]
	v_pk_add_f32 v[4:5], v[4:5], v[8:9]
	v_pk_fma_f32 v[8:9], v[16:17], v[152:153], v[6:7] neg_lo:[0,0,1] neg_hi:[0,0,1]
	v_pk_fma_f32 v[6:7], v[16:17], v[152:153], v[6:7] op_sel_hi:[1,0,1]
	s_nop 0
	v_mov_b32_e32 v9, v7
	scratch_load_dwordx2 v[6:7], off, off offset:24
	v_pk_add_f32 v[4:5], v[4:5], v[8:9]
	s_waitcnt vmcnt(0)
	v_pk_add_f32 v[4:5], v[6:7], v[4:5] neg_lo:[0,1] neg_hi:[0,1]
	scratch_store_dwordx2 off, v[4:5], off offset:24
	s_and_saveexec_b64 s[0:1], vcc
	s_cbranch_execz .LBB28_183
; %bb.182:
	scratch_load_dwordx2 v[4:5], off, off offset:16
	v_mov_b32_e32 v3, v2
	scratch_store_dwordx2 off, v[2:3], off offset:16
	s_waitcnt vmcnt(1)
	ds_write_b64 v1, v[4:5]
.LBB28_183:
	s_or_b64 exec, exec, s[0:1]
	s_waitcnt lgkmcnt(0)
	; wave barrier
	scratch_load_dwordx4 v[8:11], off, off offset:24
	scratch_load_dwordx4 v[16:19], off, off offset:40
	;; [unrolled: 1-line block ×8, first 2 shown]
	ds_read2_b64 v[4:7], v2 offset0:33 offset1:34
	ds_read2_b64 v[96:99], v2 offset0:41 offset1:42
	;; [unrolled: 1-line block ×3, first 2 shown]
	scratch_load_dwordx4 v[132:135], off, off offset:152
	v_cmp_lt_u32_e32 vcc, 1, v0
	ds_read2_b64 v[104:107], v2 offset0:43 offset1:44
	ds_read2_b64 v[112:115], v2 offset0:45 offset1:46
	;; [unrolled: 1-line block ×3, first 2 shown]
	s_waitcnt vmcnt(8) lgkmcnt(5)
	v_mul_f32_e32 v3, v4, v9
	v_fmac_f32_e32 v3, v5, v8
	v_mul_f32_e32 v12, v6, v11
	v_add_f32_e32 v3, 0, v3
	v_fmac_f32_e32 v12, v7, v10
	v_add_f32_e32 v3, v3, v12
	ds_read2_b64 v[12:15], v2 offset0:35 offset1:36
	s_waitcnt vmcnt(7) lgkmcnt(0)
	v_mul_f32_e32 v20, v12, v17
	v_fmac_f32_e32 v20, v13, v16
	v_add_f32_e32 v3, v3, v20
	v_mul_f32_e32 v20, v14, v19
	v_fmac_f32_e32 v20, v15, v18
	v_add_f32_e32 v3, v3, v20
	ds_read2_b64 v[20:23], v2 offset0:37 offset1:38
	s_waitcnt vmcnt(0)
	v_mul_f32_e32 v153, v128, v133
	v_fmac_f32_e32 v153, v129, v132
	v_mul_f32_e32 v155, v130, v135
	v_fmac_f32_e32 v155, v131, v134
	s_waitcnt lgkmcnt(0)
	v_mul_f32_e32 v28, v20, v25
	v_fmac_f32_e32 v28, v21, v24
	v_add_f32_e32 v3, v3, v28
	v_mul_f32_e32 v28, v22, v27
	v_fmac_f32_e32 v28, v23, v26
	v_add_f32_e32 v3, v3, v28
	ds_read2_b64 v[28:31], v2 offset0:39 offset1:40
	scratch_load_dwordx4 v[136:139], off, off offset:168
	scratch_load_dwordx4 v[140:143], off, off offset:184
	;; [unrolled: 1-line block ×4, first 2 shown]
	s_waitcnt lgkmcnt(0)
	v_mul_f32_e32 v36, v28, v33
	v_fmac_f32_e32 v36, v29, v32
	v_add_f32_e32 v3, v3, v36
	v_mul_f32_e32 v36, v30, v35
	v_fmac_f32_e32 v36, v31, v34
	v_add_f32_e32 v3, v3, v36
	;; [unrolled: 3-line block ×10, first 2 shown]
	v_mul_f32_e32 v3, v5, v9
	v_fma_f32 v3, v4, v8, -v3
	v_mul_f32_e32 v4, v7, v11
	v_add_f32_e32 v3, 0, v3
	v_fma_f32 v4, v6, v10, -v4
	v_add_f32_e32 v3, v3, v4
	v_mul_f32_e32 v4, v13, v17
	v_fma_f32 v4, v12, v16, -v4
	v_add_f32_e32 v3, v3, v4
	v_mul_f32_e32 v4, v15, v19
	;; [unrolled: 3-line block ×14, first 2 shown]
	v_fma_f32 v4, v122, v126, -v4
	v_add_f32_e32 v36, v3, v4
	ds_read2_b64 v[4:7], v2 offset0:51 offset1:52
	ds_read2_b64 v[8:11], v2 offset0:53 offset1:54
	;; [unrolled: 1-line block ×4, first 2 shown]
	v_mul_f32_e32 v3, v129, v133
	s_waitcnt vmcnt(3) lgkmcnt(3)
	v_pk_mul_f32 v[20:21], v[4:5], v[136:137] op_sel:[1,1] op_sel_hi:[0,1]
	v_pk_fma_f32 v[22:23], v[4:5], v[136:137], v[20:21] neg_lo:[0,0,1] neg_hi:[0,0,1]
	v_pk_fma_f32 v[4:5], v[4:5], v[136:137], v[20:21] op_sel_hi:[1,0,1]
	v_fma_f32 v152, v128, v132, -v3
	v_mov_b32_e32 v4, v139
	v_mov_b32_e32 v23, v5
	v_pk_mul_f32 v[4:5], v[6:7], v[4:5] op_sel:[1,0] op_sel_hi:[0,0]
	v_mul_f32_e32 v3, v131, v135
	v_pk_fma_f32 v[20:21], v[6:7], v[138:139], v[4:5] neg_lo:[0,0,1] neg_hi:[0,0,1]
	v_pk_fma_f32 v[4:5], v[6:7], v[138:139], v[4:5] op_sel_hi:[1,0,1]
	v_fma_f32 v154, v130, v134, -v3
	v_pk_add_f32 v[2:3], v[36:37], v[152:153]
	v_mov_b32_e32 v21, v5
	s_waitcnt vmcnt(2) lgkmcnt(2)
	v_pk_mul_f32 v[4:5], v[8:9], v[140:141] op_sel:[1,1] op_sel_hi:[0,1]
	v_pk_add_f32 v[2:3], v[2:3], v[154:155]
	v_pk_fma_f32 v[6:7], v[8:9], v[140:141], v[4:5] neg_lo:[0,0,1] neg_hi:[0,0,1]
	v_pk_fma_f32 v[4:5], v[8:9], v[140:141], v[4:5] op_sel_hi:[1,0,1]
	v_pk_add_f32 v[2:3], v[2:3], v[22:23]
	v_mov_b32_e32 v4, v143
	v_pk_add_f32 v[2:3], v[2:3], v[20:21]
	v_mov_b32_e32 v7, v5
	v_pk_mul_f32 v[4:5], v[10:11], v[4:5] op_sel:[1,0] op_sel_hi:[0,0]
	v_pk_add_f32 v[2:3], v[2:3], v[6:7]
	v_pk_fma_f32 v[6:7], v[10:11], v[142:143], v[4:5] neg_lo:[0,0,1] neg_hi:[0,0,1]
	v_pk_fma_f32 v[4:5], v[10:11], v[142:143], v[4:5] op_sel_hi:[1,0,1]
	s_nop 0
	v_mov_b32_e32 v7, v5
	s_waitcnt vmcnt(1) lgkmcnt(1)
	v_pk_mul_f32 v[4:5], v[12:13], v[144:145] op_sel:[1,1] op_sel_hi:[0,1]
	v_pk_add_f32 v[2:3], v[2:3], v[6:7]
	v_pk_fma_f32 v[6:7], v[12:13], v[144:145], v[4:5] neg_lo:[0,0,1] neg_hi:[0,0,1]
	v_pk_fma_f32 v[4:5], v[12:13], v[144:145], v[4:5] op_sel_hi:[1,0,1]
	s_nop 0
	v_mov_b32_e32 v4, v147
	v_mov_b32_e32 v7, v5
	v_pk_mul_f32 v[4:5], v[14:15], v[4:5] op_sel:[1,0] op_sel_hi:[0,0]
	v_pk_add_f32 v[2:3], v[2:3], v[6:7]
	v_pk_fma_f32 v[6:7], v[14:15], v[146:147], v[4:5] neg_lo:[0,0,1] neg_hi:[0,0,1]
	v_pk_fma_f32 v[4:5], v[14:15], v[146:147], v[4:5] op_sel_hi:[1,0,1]
	s_nop 0
	v_mov_b32_e32 v7, v5
	s_waitcnt vmcnt(0) lgkmcnt(0)
	v_pk_mul_f32 v[4:5], v[16:17], v[148:149] op_sel:[1,1] op_sel_hi:[0,1]
	v_pk_add_f32 v[2:3], v[2:3], v[6:7]
	v_pk_fma_f32 v[6:7], v[16:17], v[148:149], v[4:5] neg_lo:[0,0,1] neg_hi:[0,0,1]
	v_pk_fma_f32 v[4:5], v[16:17], v[148:149], v[4:5] op_sel_hi:[1,0,1]
	s_nop 0
	v_mov_b32_e32 v4, v151
	v_mov_b32_e32 v7, v5
	v_pk_mul_f32 v[4:5], v[18:19], v[4:5] op_sel:[1,0] op_sel_hi:[0,0]
	v_pk_add_f32 v[2:3], v[2:3], v[6:7]
	v_pk_fma_f32 v[6:7], v[18:19], v[150:151], v[4:5] neg_lo:[0,0,1] neg_hi:[0,0,1]
	v_pk_fma_f32 v[4:5], v[18:19], v[150:151], v[4:5] op_sel_hi:[1,0,1]
	s_nop 0
	v_mov_b32_e32 v7, v5
	scratch_load_dwordx2 v[4:5], off, off offset:16
	v_pk_add_f32 v[2:3], v[2:3], v[6:7]
	s_waitcnt vmcnt(0)
	v_pk_add_f32 v[2:3], v[4:5], v[2:3] neg_lo:[0,1] neg_hi:[0,1]
	scratch_store_dwordx2 off, v[2:3], off offset:16
	s_and_saveexec_b64 s[0:1], vcc
	s_cbranch_execz .LBB28_185
; %bb.184:
	scratch_load_dwordx2 v[2:3], off, off offset:8
	v_mov_b32_e32 v4, 0
	v_mov_b32_e32 v5, v4
	scratch_store_dwordx2 off, v[4:5], off offset:8
	s_waitcnt vmcnt(1)
	ds_write_b64 v1, v[2:3]
.LBB28_185:
	s_or_b64 exec, exec, s[0:1]
	v_mov_b32_e32 v2, 0
	s_waitcnt lgkmcnt(0)
	; wave barrier
	ds_read_b128 v[4:7], v2 offset:256
	ds_read_b128 v[8:11], v2 offset:272
	;; [unrolled: 1-line block ×4, first 2 shown]
	scratch_load_dwordx4 v[20:23], off, off offset:16
	scratch_load_dwordx4 v[100:103], off, off offset:80
	;; [unrolled: 1-line block ×4, first 2 shown]
	ds_read_b128 v[96:99], v2 offset:320
	ds_read_b128 v[104:107], v2 offset:336
	;; [unrolled: 1-line block ×6, first 2 shown]
	v_cmp_ne_u32_e32 vcc, 0, v0
	scratch_load_dwordx4 v[108:111], off, off offset:96
	scratch_load_dwordx4 v[116:119], off, off offset:112
	;; [unrolled: 1-line block ×3, first 2 shown]
	s_waitcnt vmcnt(6) lgkmcnt(9)
	v_mul_f32_e32 v3, v4, v21
	v_fmac_f32_e32 v3, v5, v20
	v_mul_f32_e32 v24, v6, v23
	v_add_f32_e32 v3, 0, v3
	v_fmac_f32_e32 v24, v7, v22
	v_add_f32_e32 v3, v3, v24
	scratch_load_dwordx4 v[24:27], off, off offset:32
	s_waitcnt vmcnt(5) lgkmcnt(1)
	v_mul_f32_e32 v157, v130, v135
	v_fmac_f32_e32 v157, v131, v134
	s_waitcnt vmcnt(4) lgkmcnt(0)
	v_mul_f32_e32 v159, v136, v141
	v_fmac_f32_e32 v159, v137, v140
	s_waitcnt vmcnt(0)
	v_mul_f32_e32 v28, v8, v25
	v_fmac_f32_e32 v28, v9, v24
	v_add_f32_e32 v3, v3, v28
	v_mul_f32_e32 v28, v10, v27
	v_fmac_f32_e32 v28, v11, v26
	v_add_f32_e32 v3, v3, v28
	scratch_load_dwordx4 v[28:31], off, off offset:48
	s_waitcnt vmcnt(0)
	v_mul_f32_e32 v32, v12, v29
	v_fmac_f32_e32 v32, v13, v28
	v_add_f32_e32 v3, v3, v32
	v_mul_f32_e32 v32, v14, v31
	v_fmac_f32_e32 v32, v15, v30
	v_add_f32_e32 v3, v3, v32
	scratch_load_dwordx4 v[32:35], off, off offset:64
	scratch_load_dwordx4 v[144:147], off, off offset:176
	;; [unrolled: 1-line block ×4, first 2 shown]
	scratch_load_dwordx2 v[160:161], off, off offset:224
	s_waitcnt vmcnt(4)
	v_mul_f32_e32 v36, v16, v33
	v_fmac_f32_e32 v36, v17, v32
	v_add_f32_e32 v3, v3, v36
	v_mul_f32_e32 v36, v18, v35
	v_fmac_f32_e32 v36, v19, v34
	v_add_f32_e32 v3, v3, v36
	v_mul_f32_e32 v36, v96, v101
	v_fmac_f32_e32 v36, v97, v100
	v_add_f32_e32 v3, v3, v36
	v_mul_f32_e32 v36, v98, v103
	v_fmac_f32_e32 v36, v99, v102
	v_add_f32_e32 v3, v3, v36
	v_mul_f32_e32 v36, v104, v109
	v_fmac_f32_e32 v36, v105, v108
	v_add_f32_e32 v3, v3, v36
	v_mul_f32_e32 v36, v106, v111
	v_fmac_f32_e32 v36, v107, v110
	v_add_f32_e32 v3, v3, v36
	v_mul_f32_e32 v36, v112, v117
	v_fmac_f32_e32 v36, v113, v116
	v_add_f32_e32 v3, v3, v36
	v_mul_f32_e32 v36, v114, v119
	v_fmac_f32_e32 v36, v115, v118
	v_add_f32_e32 v3, v3, v36
	v_mul_f32_e32 v36, v120, v125
	v_fmac_f32_e32 v36, v121, v124
	v_add_f32_e32 v3, v3, v36
	v_mul_f32_e32 v36, v122, v127
	v_fmac_f32_e32 v36, v123, v126
	v_add_f32_e32 v3, v3, v36
	v_mul_f32_e32 v36, v128, v133
	v_fmac_f32_e32 v36, v129, v132
	v_add_f32_e32 v37, v3, v36
	v_mul_f32_e32 v3, v5, v21
	v_fma_f32 v3, v4, v20, -v3
	v_mul_f32_e32 v4, v7, v23
	v_add_f32_e32 v3, 0, v3
	v_fma_f32 v4, v6, v22, -v4
	v_add_f32_e32 v3, v3, v4
	v_mul_f32_e32 v4, v9, v25
	v_fma_f32 v4, v8, v24, -v4
	v_add_f32_e32 v3, v3, v4
	v_mul_f32_e32 v4, v11, v27
	;; [unrolled: 3-line block ×16, first 2 shown]
	v_mov_b32_e32 v20, v143
	v_fma_f32 v156, v130, v134, -v3
	v_mul_f32_e32 v3, v137, v141
	ds_read_b128 v[4:7], v2 offset:416
	ds_read_b128 v[8:11], v2 offset:432
	;; [unrolled: 1-line block ×3, first 2 shown]
	ds_read_b64 v[16:17], v2 offset:464
	v_pk_mul_f32 v[20:21], v[138:139], v[20:21] op_sel:[1,0] op_sel_hi:[0,0]
	v_fma_f32 v158, v136, v140, -v3
	v_pk_add_f32 v[18:19], v[36:37], v[156:157]
	v_pk_fma_f32 v[22:23], v[138:139], v[142:143], v[20:21] neg_lo:[0,0,1] neg_hi:[0,0,1]
	v_pk_fma_f32 v[20:21], v[138:139], v[142:143], v[20:21] op_sel_hi:[1,0,1]
	v_pk_add_f32 v[18:19], v[18:19], v[158:159]
	v_mov_b32_e32 v23, v21
	s_waitcnt vmcnt(3) lgkmcnt(3)
	v_pk_mul_f32 v[20:21], v[4:5], v[144:145] op_sel:[1,1] op_sel_hi:[0,1]
	v_pk_add_f32 v[18:19], v[18:19], v[22:23]
	v_pk_fma_f32 v[22:23], v[4:5], v[144:145], v[20:21] neg_lo:[0,0,1] neg_hi:[0,0,1]
	v_pk_fma_f32 v[4:5], v[4:5], v[144:145], v[20:21] op_sel_hi:[1,0,1]
	s_nop 0
	v_mov_b32_e32 v23, v5
	v_pk_add_f32 v[4:5], v[18:19], v[22:23]
	v_mov_b32_e32 v18, v147
	v_pk_mul_f32 v[18:19], v[6:7], v[18:19] op_sel:[1,0] op_sel_hi:[0,0]
	v_pk_fma_f32 v[20:21], v[6:7], v[146:147], v[18:19] neg_lo:[0,0,1] neg_hi:[0,0,1]
	v_pk_fma_f32 v[6:7], v[6:7], v[146:147], v[18:19] op_sel_hi:[1,0,1]
	s_nop 0
	v_mov_b32_e32 v21, v7
	s_waitcnt vmcnt(2) lgkmcnt(2)
	v_pk_mul_f32 v[6:7], v[8:9], v[148:149] op_sel:[1,1] op_sel_hi:[0,1]
	v_pk_fma_f32 v[18:19], v[8:9], v[148:149], v[6:7] neg_lo:[0,0,1] neg_hi:[0,0,1]
	v_pk_fma_f32 v[6:7], v[8:9], v[148:149], v[6:7] op_sel_hi:[1,0,1]
	v_pk_add_f32 v[4:5], v[4:5], v[20:21]
	v_mov_b32_e32 v6, v151
	v_mov_b32_e32 v19, v7
	v_pk_mul_f32 v[6:7], v[10:11], v[6:7] op_sel:[1,0] op_sel_hi:[0,0]
	v_pk_fma_f32 v[8:9], v[10:11], v[150:151], v[6:7] neg_lo:[0,0,1] neg_hi:[0,0,1]
	v_pk_fma_f32 v[6:7], v[10:11], v[150:151], v[6:7] op_sel_hi:[1,0,1]
	v_pk_add_f32 v[4:5], v[4:5], v[18:19]
	v_mov_b32_e32 v9, v7
	s_waitcnt vmcnt(1) lgkmcnt(1)
	v_pk_mul_f32 v[6:7], v[12:13], v[152:153] op_sel:[1,1] op_sel_hi:[0,1]
	v_pk_add_f32 v[4:5], v[4:5], v[8:9]
	v_pk_fma_f32 v[8:9], v[12:13], v[152:153], v[6:7] neg_lo:[0,0,1] neg_hi:[0,0,1]
	v_pk_fma_f32 v[6:7], v[12:13], v[152:153], v[6:7] op_sel_hi:[1,0,1]
	s_nop 0
	v_mov_b32_e32 v6, v155
	v_mov_b32_e32 v9, v7
	v_pk_mul_f32 v[6:7], v[14:15], v[6:7] op_sel:[1,0] op_sel_hi:[0,0]
	v_pk_add_f32 v[4:5], v[4:5], v[8:9]
	v_pk_fma_f32 v[8:9], v[14:15], v[154:155], v[6:7] neg_lo:[0,0,1] neg_hi:[0,0,1]
	v_pk_fma_f32 v[6:7], v[14:15], v[154:155], v[6:7] op_sel_hi:[1,0,1]
	s_nop 0
	v_mov_b32_e32 v9, v7
	s_waitcnt vmcnt(0) lgkmcnt(0)
	v_pk_mul_f32 v[6:7], v[16:17], v[160:161] op_sel:[1,1] op_sel_hi:[0,1]
	v_pk_add_f32 v[4:5], v[4:5], v[8:9]
	v_pk_fma_f32 v[8:9], v[16:17], v[160:161], v[6:7] neg_lo:[0,0,1] neg_hi:[0,0,1]
	v_pk_fma_f32 v[6:7], v[16:17], v[160:161], v[6:7] op_sel_hi:[1,0,1]
	s_nop 0
	v_mov_b32_e32 v9, v7
	scratch_load_dwordx2 v[6:7], off, off offset:8
	v_pk_add_f32 v[4:5], v[4:5], v[8:9]
	s_waitcnt vmcnt(0)
	v_pk_add_f32 v[4:5], v[6:7], v[4:5] neg_lo:[0,1] neg_hi:[0,1]
	scratch_store_dwordx2 off, v[4:5], off offset:8
	s_and_saveexec_b64 s[0:1], vcc
	s_cbranch_execz .LBB28_187
; %bb.186:
	scratch_load_dwordx2 v[4:5], off, off
	v_mov_b32_e32 v3, v2
	scratch_store_dwordx2 off, v[2:3], off
	s_waitcnt vmcnt(1)
	ds_write_b64 v1, v[4:5]
.LBB28_187:
	s_or_b64 exec, exec, s[0:1]
	s_waitcnt lgkmcnt(0)
	; wave barrier
	scratch_load_dwordx4 v[8:11], off, off offset:8
	scratch_load_dwordx4 v[16:19], off, off offset:24
	;; [unrolled: 1-line block ×10, first 2 shown]
	ds_read2_b64 v[4:7], v2 offset0:31 offset1:32
	ds_read2_b64 v[12:15], v2 offset0:33 offset1:34
	;; [unrolled: 1-line block ×10, first 2 shown]
	scratch_load_dwordx4 v[144:147], off, off offset:168
	scratch_load_dwordx4 v[148:151], off, off offset:184
	;; [unrolled: 1-line block ×4, first 2 shown]
	s_and_b64 vcc, exec, s[18:19]
	s_waitcnt vmcnt(13) lgkmcnt(9)
	v_mul_f32_e32 v0, v4, v9
	v_fmac_f32_e32 v0, v5, v8
	v_mul_f32_e32 v1, v6, v11
	v_add_f32_e32 v0, 0, v0
	v_fmac_f32_e32 v1, v7, v10
	v_add_f32_e32 v0, v0, v1
	s_waitcnt vmcnt(12) lgkmcnt(8)
	v_mul_f32_e32 v1, v12, v17
	v_fmac_f32_e32 v1, v13, v16
	v_add_f32_e32 v0, v0, v1
	v_mul_f32_e32 v1, v14, v19
	v_fmac_f32_e32 v1, v15, v18
	v_add_f32_e32 v0, v0, v1
	s_waitcnt vmcnt(11) lgkmcnt(7)
	v_mul_f32_e32 v1, v20, v25
	v_fmac_f32_e32 v1, v21, v24
	v_add_f32_e32 v0, v0, v1
	v_mul_f32_e32 v1, v22, v27
	;; [unrolled: 7-line block ×8, first 2 shown]
	v_fmac_f32_e32 v1, v131, v134
	v_add_f32_e32 v37, v0, v1
	v_mul_f32_e32 v0, v5, v9
	v_fma_f32 v0, v4, v8, -v0
	v_mul_f32_e32 v1, v7, v11
	v_add_f32_e32 v0, 0, v0
	v_fma_f32 v1, v6, v10, -v1
	v_add_f32_e32 v0, v0, v1
	v_mul_f32_e32 v1, v13, v17
	v_fma_f32 v1, v12, v16, -v1
	v_add_f32_e32 v0, v0, v1
	v_mul_f32_e32 v1, v15, v19
	;; [unrolled: 3-line block ×16, first 2 shown]
	v_fma_f32 v1, v130, v134, -v1
	v_add_f32_e32 v36, v0, v1
	s_waitcnt vmcnt(4) lgkmcnt(0)
	v_mul_f32_e32 v0, v137, v141
	v_fma_f32 v160, v136, v140, -v0
	v_mul_f32_e32 v0, v139, v143
	v_fma_f32 v162, v138, v142, -v0
	ds_read2_b64 v[4:7], v2 offset0:51 offset1:52
	ds_read2_b64 v[8:11], v2 offset0:53 offset1:54
	;; [unrolled: 1-line block ×4, first 2 shown]
	v_mul_f32_e32 v161, v136, v141
	v_fmac_f32_e32 v161, v137, v140
	v_mul_f32_e32 v163, v138, v143
	s_waitcnt vmcnt(3) lgkmcnt(3)
	v_pk_mul_f32 v[18:19], v[4:5], v[144:145] op_sel:[1,1] op_sel_hi:[0,1]
	v_fmac_f32_e32 v163, v139, v142
	v_pk_add_f32 v[16:17], v[36:37], v[160:161]
	v_pk_fma_f32 v[20:21], v[4:5], v[144:145], v[18:19] neg_lo:[0,0,1] neg_hi:[0,0,1]
	v_pk_fma_f32 v[4:5], v[4:5], v[144:145], v[18:19] op_sel_hi:[1,0,1]
	v_pk_add_f32 v[16:17], v[16:17], v[162:163]
	v_mov_b32_e32 v21, v5
	v_pk_add_f32 v[4:5], v[16:17], v[20:21]
	v_mov_b32_e32 v16, v147
	v_pk_mul_f32 v[16:17], v[6:7], v[16:17] op_sel:[1,0] op_sel_hi:[0,0]
	v_pk_fma_f32 v[18:19], v[6:7], v[146:147], v[16:17] neg_lo:[0,0,1] neg_hi:[0,0,1]
	v_pk_fma_f32 v[6:7], v[6:7], v[146:147], v[16:17] op_sel_hi:[1,0,1]
	s_nop 0
	v_mov_b32_e32 v19, v7
	s_waitcnt vmcnt(2) lgkmcnt(2)
	v_pk_mul_f32 v[6:7], v[8:9], v[148:149] op_sel:[1,1] op_sel_hi:[0,1]
	v_pk_fma_f32 v[16:17], v[8:9], v[148:149], v[6:7] neg_lo:[0,0,1] neg_hi:[0,0,1]
	v_pk_fma_f32 v[6:7], v[8:9], v[148:149], v[6:7] op_sel_hi:[1,0,1]
	v_pk_add_f32 v[4:5], v[4:5], v[18:19]
	v_mov_b32_e32 v6, v151
	v_mov_b32_e32 v17, v7
	v_pk_mul_f32 v[6:7], v[10:11], v[6:7] op_sel:[1,0] op_sel_hi:[0,0]
	v_pk_fma_f32 v[8:9], v[10:11], v[150:151], v[6:7] neg_lo:[0,0,1] neg_hi:[0,0,1]
	v_pk_fma_f32 v[6:7], v[10:11], v[150:151], v[6:7] op_sel_hi:[1,0,1]
	v_pk_add_f32 v[4:5], v[4:5], v[16:17]
	v_mov_b32_e32 v9, v7
	s_waitcnt vmcnt(1) lgkmcnt(1)
	v_pk_mul_f32 v[6:7], v[12:13], v[152:153] op_sel:[1,1] op_sel_hi:[0,1]
	v_pk_add_f32 v[4:5], v[4:5], v[8:9]
	v_pk_fma_f32 v[8:9], v[12:13], v[152:153], v[6:7] neg_lo:[0,0,1] neg_hi:[0,0,1]
	v_pk_fma_f32 v[6:7], v[12:13], v[152:153], v[6:7] op_sel_hi:[1,0,1]
	s_nop 0
	v_mov_b32_e32 v6, v155
	v_mov_b32_e32 v9, v7
	v_pk_mul_f32 v[6:7], v[14:15], v[6:7] op_sel:[1,0] op_sel_hi:[0,0]
	v_pk_add_f32 v[4:5], v[4:5], v[8:9]
	v_pk_fma_f32 v[8:9], v[14:15], v[154:155], v[6:7] neg_lo:[0,0,1] neg_hi:[0,0,1]
	v_pk_fma_f32 v[6:7], v[14:15], v[154:155], v[6:7] op_sel_hi:[1,0,1]
	s_nop 0
	v_mov_b32_e32 v9, v7
	s_waitcnt vmcnt(0) lgkmcnt(0)
	v_pk_mul_f32 v[6:7], v[0:1], v[156:157] op_sel:[1,1] op_sel_hi:[0,1]
	v_pk_add_f32 v[4:5], v[4:5], v[8:9]
	v_pk_fma_f32 v[8:9], v[0:1], v[156:157], v[6:7] neg_lo:[0,0,1] neg_hi:[0,0,1]
	v_pk_fma_f32 v[0:1], v[0:1], v[156:157], v[6:7] op_sel_hi:[1,0,1]
	s_nop 0
	v_mov_b32_e32 v9, v1
	v_pk_add_f32 v[0:1], v[4:5], v[8:9]
	v_mov_b32_e32 v4, v159
	v_pk_mul_f32 v[4:5], v[2:3], v[4:5] op_sel:[1,0] op_sel_hi:[0,0]
	v_pk_fma_f32 v[6:7], v[2:3], v[158:159], v[4:5] neg_lo:[0,0,1] neg_hi:[0,0,1]
	v_pk_fma_f32 v[2:3], v[2:3], v[158:159], v[4:5] op_sel_hi:[1,0,1]
	s_nop 0
	v_mov_b32_e32 v7, v3
	scratch_load_dwordx2 v[2:3], off, off
	v_pk_add_f32 v[0:1], v[0:1], v[6:7]
	s_waitcnt vmcnt(0)
	v_pk_add_f32 v[0:1], v[2:3], v[0:1] neg_lo:[0,1] neg_hi:[0,1]
	scratch_store_dwordx2 off, v[0:1], off
	s_cbranch_vccz .LBB28_244
; %bb.188:
	v_mov_b32_e32 v0, 0
	global_load_dword v1, v0, s[16:17] offset:108
	s_waitcnt vmcnt(0)
	v_readfirstlane_b32 s0, v1
	s_add_i32 s0, s0, -1
	s_cmp_lg_u32 s0, 27
	s_cbranch_scc0 .LBB28_190
; %bb.189:
	s_lshl_b32 s0, s0, 3
	s_nop 0
	scratch_load_dwordx2 v[2:3], off, s0
	scratch_load_dwordx2 v[4:5], off, off offset:216
	s_waitcnt vmcnt(1)
	scratch_store_dwordx2 off, v[2:3], off offset:216
	s_waitcnt vmcnt(1)
	scratch_store_dwordx2 off, v[4:5], s0
.LBB28_190:
	global_load_dword v0, v0, s[16:17] offset:104
	s_waitcnt vmcnt(0)
	v_readfirstlane_b32 s0, v0
	s_add_i32 s0, s0, -1
	s_cmp_eq_u32 s0, 26
	s_cbranch_scc1 .LBB28_192
; %bb.191:
	s_lshl_b32 s0, s0, 3
	s_nop 0
	scratch_load_dwordx2 v[0:1], off, s0
	scratch_load_dwordx2 v[2:3], off, off offset:208
	s_waitcnt vmcnt(1)
	scratch_store_dwordx2 off, v[0:1], off offset:208
	s_waitcnt vmcnt(1)
	scratch_store_dwordx2 off, v[2:3], s0
.LBB28_192:
	v_mov_b32_e32 v0, 0
	global_load_dword v1, v0, s[16:17] offset:100
	s_waitcnt vmcnt(0)
	v_readfirstlane_b32 s0, v1
	s_add_i32 s0, s0, -1
	s_cmp_eq_u32 s0, 25
	s_cbranch_scc1 .LBB28_194
; %bb.193:
	s_lshl_b32 s0, s0, 3
	s_nop 0
	scratch_load_dwordx2 v[2:3], off, s0
	scratch_load_dwordx2 v[4:5], off, off offset:200
	s_waitcnt vmcnt(1)
	scratch_store_dwordx2 off, v[2:3], off offset:200
	s_waitcnt vmcnt(1)
	scratch_store_dwordx2 off, v[4:5], s0
.LBB28_194:
	global_load_dword v0, v0, s[16:17] offset:96
	s_waitcnt vmcnt(0)
	v_readfirstlane_b32 s0, v0
	s_add_i32 s0, s0, -1
	s_cmp_eq_u32 s0, 24
	s_cbranch_scc1 .LBB28_196
; %bb.195:
	s_lshl_b32 s0, s0, 3
	s_nop 0
	scratch_load_dwordx2 v[0:1], off, s0
	scratch_load_dwordx2 v[2:3], off, off offset:192
	s_waitcnt vmcnt(1)
	scratch_store_dwordx2 off, v[0:1], off offset:192
	s_waitcnt vmcnt(1)
	scratch_store_dwordx2 off, v[2:3], s0
.LBB28_196:
	v_mov_b32_e32 v0, 0
	global_load_dword v1, v0, s[16:17] offset:92
	s_waitcnt vmcnt(0)
	v_readfirstlane_b32 s0, v1
	s_add_i32 s0, s0, -1
	s_cmp_eq_u32 s0, 23
	s_cbranch_scc1 .LBB28_198
; %bb.197:
	s_lshl_b32 s0, s0, 3
	s_nop 0
	scratch_load_dwordx2 v[2:3], off, s0
	scratch_load_dwordx2 v[4:5], off, off offset:184
	s_waitcnt vmcnt(1)
	scratch_store_dwordx2 off, v[2:3], off offset:184
	s_waitcnt vmcnt(1)
	scratch_store_dwordx2 off, v[4:5], s0
.LBB28_198:
	;; [unrolled: 33-line block ×13, first 2 shown]
	global_load_dword v2, v0, s[16:17]
	s_nop 0
	scratch_load_dwordx2 v[0:1], off, off
	s_waitcnt vmcnt(1)
	v_readfirstlane_b32 s0, v2
	s_add_i32 s0, s0, -1
	s_cmp_eq_u32 s0, 0
	s_cbranch_scc1 .LBB28_244
; %bb.243:
	s_lshl_b32 s0, s0, 3
	s_nop 0
	scratch_load_dwordx2 v[2:3], off, s0
	s_waitcnt vmcnt(0)
	scratch_store_dwordx2 off, v[2:3], off
	scratch_store_dwordx2 off, v[0:1], s0
	scratch_load_dwordx2 v[0:1], off, off
.LBB28_244:
	s_nop 0
	scratch_load_dwordx4 v[2:5], off, off offset:8
	scratch_load_dwordx4 v[6:9], off, off offset:24
	;; [unrolled: 1-line block ×14, first 2 shown]
	s_waitcnt vmcnt(14)
	global_store_dwordx2 v[40:41], v[0:1], off
	s_waitcnt vmcnt(14)
	global_store_dwordx2 v[48:49], v[2:3], off
	global_store_dwordx2 v[42:43], v[4:5], off
	s_waitcnt vmcnt(15)
	global_store_dwordx2 v[44:45], v[6:7], off
	;; [unrolled: 3-line block ×14, first 2 shown]
	global_store_dwordx2 v[38:39], v[114:115], off
	s_endpgm
	.section	.rodata,"a",@progbits
	.p2align	6, 0x0
	.amdhsa_kernel _ZN9rocsolver6v33100L18getri_kernel_smallILi29E19rocblas_complex_numIfEPS3_EEvT1_iilPiilS6_bb
		.amdhsa_group_segment_fixed_size 472
		.amdhsa_private_segment_fixed_size 240
		.amdhsa_kernarg_size 60
		.amdhsa_user_sgpr_count 2
		.amdhsa_user_sgpr_dispatch_ptr 0
		.amdhsa_user_sgpr_queue_ptr 0
		.amdhsa_user_sgpr_kernarg_segment_ptr 1
		.amdhsa_user_sgpr_dispatch_id 0
		.amdhsa_user_sgpr_kernarg_preload_length 0
		.amdhsa_user_sgpr_kernarg_preload_offset 0
		.amdhsa_user_sgpr_private_segment_size 0
		.amdhsa_uses_dynamic_stack 0
		.amdhsa_enable_private_segment 1
		.amdhsa_system_sgpr_workgroup_id_x 1
		.amdhsa_system_sgpr_workgroup_id_y 0
		.amdhsa_system_sgpr_workgroup_id_z 0
		.amdhsa_system_sgpr_workgroup_info 0
		.amdhsa_system_vgpr_workitem_id 0
		.amdhsa_next_free_vgpr 164
		.amdhsa_next_free_sgpr 20
		.amdhsa_accum_offset 164
		.amdhsa_reserve_vcc 1
		.amdhsa_float_round_mode_32 0
		.amdhsa_float_round_mode_16_64 0
		.amdhsa_float_denorm_mode_32 3
		.amdhsa_float_denorm_mode_16_64 3
		.amdhsa_dx10_clamp 1
		.amdhsa_ieee_mode 1
		.amdhsa_fp16_overflow 0
		.amdhsa_tg_split 0
		.amdhsa_exception_fp_ieee_invalid_op 0
		.amdhsa_exception_fp_denorm_src 0
		.amdhsa_exception_fp_ieee_div_zero 0
		.amdhsa_exception_fp_ieee_overflow 0
		.amdhsa_exception_fp_ieee_underflow 0
		.amdhsa_exception_fp_ieee_inexact 0
		.amdhsa_exception_int_div_zero 0
	.end_amdhsa_kernel
	.section	.text._ZN9rocsolver6v33100L18getri_kernel_smallILi29E19rocblas_complex_numIfEPS3_EEvT1_iilPiilS6_bb,"axG",@progbits,_ZN9rocsolver6v33100L18getri_kernel_smallILi29E19rocblas_complex_numIfEPS3_EEvT1_iilPiilS6_bb,comdat
.Lfunc_end28:
	.size	_ZN9rocsolver6v33100L18getri_kernel_smallILi29E19rocblas_complex_numIfEPS3_EEvT1_iilPiilS6_bb, .Lfunc_end28-_ZN9rocsolver6v33100L18getri_kernel_smallILi29E19rocblas_complex_numIfEPS3_EEvT1_iilPiilS6_bb
                                        ; -- End function
	.set _ZN9rocsolver6v33100L18getri_kernel_smallILi29E19rocblas_complex_numIfEPS3_EEvT1_iilPiilS6_bb.num_vgpr, 164
	.set _ZN9rocsolver6v33100L18getri_kernel_smallILi29E19rocblas_complex_numIfEPS3_EEvT1_iilPiilS6_bb.num_agpr, 0
	.set _ZN9rocsolver6v33100L18getri_kernel_smallILi29E19rocblas_complex_numIfEPS3_EEvT1_iilPiilS6_bb.numbered_sgpr, 20
	.set _ZN9rocsolver6v33100L18getri_kernel_smallILi29E19rocblas_complex_numIfEPS3_EEvT1_iilPiilS6_bb.num_named_barrier, 0
	.set _ZN9rocsolver6v33100L18getri_kernel_smallILi29E19rocblas_complex_numIfEPS3_EEvT1_iilPiilS6_bb.private_seg_size, 240
	.set _ZN9rocsolver6v33100L18getri_kernel_smallILi29E19rocblas_complex_numIfEPS3_EEvT1_iilPiilS6_bb.uses_vcc, 1
	.set _ZN9rocsolver6v33100L18getri_kernel_smallILi29E19rocblas_complex_numIfEPS3_EEvT1_iilPiilS6_bb.uses_flat_scratch, 0
	.set _ZN9rocsolver6v33100L18getri_kernel_smallILi29E19rocblas_complex_numIfEPS3_EEvT1_iilPiilS6_bb.has_dyn_sized_stack, 0
	.set _ZN9rocsolver6v33100L18getri_kernel_smallILi29E19rocblas_complex_numIfEPS3_EEvT1_iilPiilS6_bb.has_recursion, 0
	.set _ZN9rocsolver6v33100L18getri_kernel_smallILi29E19rocblas_complex_numIfEPS3_EEvT1_iilPiilS6_bb.has_indirect_call, 0
	.section	.AMDGPU.csdata,"",@progbits
; Kernel info:
; codeLenInByte = 30568
; TotalNumSgprs: 26
; NumVgprs: 164
; NumAgprs: 0
; TotalNumVgprs: 164
; ScratchSize: 240
; MemoryBound: 0
; FloatMode: 240
; IeeeMode: 1
; LDSByteSize: 472 bytes/workgroup (compile time only)
; SGPRBlocks: 3
; VGPRBlocks: 20
; NumSGPRsForWavesPerEU: 26
; NumVGPRsForWavesPerEU: 164
; AccumOffset: 164
; Occupancy: 3
; WaveLimiterHint : 1
; COMPUTE_PGM_RSRC2:SCRATCH_EN: 1
; COMPUTE_PGM_RSRC2:USER_SGPR: 2
; COMPUTE_PGM_RSRC2:TRAP_HANDLER: 0
; COMPUTE_PGM_RSRC2:TGID_X_EN: 1
; COMPUTE_PGM_RSRC2:TGID_Y_EN: 0
; COMPUTE_PGM_RSRC2:TGID_Z_EN: 0
; COMPUTE_PGM_RSRC2:TIDIG_COMP_CNT: 0
; COMPUTE_PGM_RSRC3_GFX90A:ACCUM_OFFSET: 40
; COMPUTE_PGM_RSRC3_GFX90A:TG_SPLIT: 0
	.section	.text._ZN9rocsolver6v33100L18getri_kernel_smallILi30E19rocblas_complex_numIfEPS3_EEvT1_iilPiilS6_bb,"axG",@progbits,_ZN9rocsolver6v33100L18getri_kernel_smallILi30E19rocblas_complex_numIfEPS3_EEvT1_iilPiilS6_bb,comdat
	.globl	_ZN9rocsolver6v33100L18getri_kernel_smallILi30E19rocblas_complex_numIfEPS3_EEvT1_iilPiilS6_bb ; -- Begin function _ZN9rocsolver6v33100L18getri_kernel_smallILi30E19rocblas_complex_numIfEPS3_EEvT1_iilPiilS6_bb
	.p2align	8
	.type	_ZN9rocsolver6v33100L18getri_kernel_smallILi30E19rocblas_complex_numIfEPS3_EEvT1_iilPiilS6_bb,@function
_ZN9rocsolver6v33100L18getri_kernel_smallILi30E19rocblas_complex_numIfEPS3_EEvT1_iilPiilS6_bb: ; @_ZN9rocsolver6v33100L18getri_kernel_smallILi30E19rocblas_complex_numIfEPS3_EEvT1_iilPiilS6_bb
; %bb.0:
	v_cmp_gt_u32_e32 vcc, 30, v0
	s_and_saveexec_b64 s[4:5], vcc
	s_cbranch_execz .LBB29_134
; %bb.1:
	s_load_dword s8, s[0:1], 0x38
	s_load_dwordx4 s[12:15], s[0:1], 0x10
	s_load_dwordx4 s[4:7], s[0:1], 0x28
                                        ; implicit-def: $sgpr16_sgpr17
	s_waitcnt lgkmcnt(0)
	s_bitcmp1_b32 s8, 8
	s_cselect_b64 s[18:19], -1, 0
	s_ashr_i32 s3, s2, 31
	s_bfe_u32 s8, s8, 0x10008
	s_cmp_eq_u32 s8, 0
	s_cbranch_scc1 .LBB29_3
; %bb.2:
	s_load_dword s8, s[0:1], 0x20
	s_mul_i32 s9, s4, s3
	s_mul_hi_u32 s10, s4, s2
	s_mul_i32 s5, s5, s2
	s_add_i32 s10, s10, s9
	s_add_i32 s5, s10, s5
	s_mul_i32 s4, s4, s2
	s_waitcnt lgkmcnt(0)
	s_ashr_i32 s9, s8, 31
	s_lshl_b64 s[4:5], s[4:5], 2
	s_add_u32 s10, s14, s4
	s_addc_u32 s11, s15, s5
	s_lshl_b64 s[4:5], s[8:9], 2
	s_add_u32 s16, s10, s4
	s_addc_u32 s17, s11, s5
.LBB29_3:
	s_load_dwordx4 s[8:11], s[0:1], 0x0
	s_load_dword s4, s[0:1], 0x38
	s_mul_i32 s5, s12, s3
	s_mul_hi_u32 s14, s12, s2
	s_add_i32 s5, s14, s5
	s_waitcnt lgkmcnt(0)
	s_ashr_i32 s1, s10, 31
	s_mov_b32 s0, s10
	s_mul_i32 s10, s13, s2
	s_add_i32 s13, s5, s10
	s_mul_i32 s12, s12, s2
	s_lshl_b64 s[12:13], s[12:13], 3
	s_add_u32 s5, s8, s12
	s_addc_u32 s8, s9, s13
	s_lshl_b64 s[0:1], s[0:1], 3
	s_add_u32 s0, s5, s0
	s_addc_u32 s1, s8, s1
	s_add_i32 s5, s11, s11
	v_add_u32_e32 v4, s5, v0
	v_ashrrev_i32_e32 v5, 31, v4
	v_lshl_add_u64 v[42:43], v[4:5], 3, s[0:1]
	v_add_u32_e32 v4, s11, v4
	v_ashrrev_i32_e32 v5, 31, v4
	v_lshl_add_u64 v[44:45], v[4:5], 3, s[0:1]
	;; [unrolled: 3-line block ×25, first 2 shown]
	v_add_u32_e32 v4, s11, v4
	v_lshlrev_b32_e32 v2, 3, v0
	v_mov_b32_e32 v3, 0
	v_ashrrev_i32_e32 v5, 31, v4
	v_lshl_add_u64 v[38:39], s[0:1], 0, v[2:3]
	s_ashr_i32 s9, s11, 31
	s_mov_b32 s8, s11
	v_lshl_add_u64 v[92:93], v[4:5], 3, s[0:1]
	v_add_u32_e32 v4, s11, v4
	v_lshl_add_u64 v[40:41], s[8:9], 3, v[38:39]
	v_ashrrev_i32_e32 v5, 31, v4
	global_load_dwordx2 v[6:7], v2, s[0:1]
	global_load_dwordx2 v[8:9], v[40:41], off
	global_load_dwordx2 v[10:11], v[42:43], off
	;; [unrolled: 1-line block ×24, first 2 shown]
	v_lshl_add_u64 v[94:95], v[4:5], 3, s[0:1]
	global_load_dwordx2 v[116:117], v[88:89], off
	global_load_dwordx2 v[118:119], v[90:91], off
	;; [unrolled: 1-line block ×4, first 2 shown]
	v_add_u32_e32 v4, s11, v4
	v_ashrrev_i32_e32 v5, 31, v4
	v_lshl_add_u64 v[96:97], v[4:5], 3, s[0:1]
	global_load_dwordx2 v[124:125], v[96:97], off
	s_bitcmp0_b32 s4, 0
	s_mov_b64 s[4:5], -1
	s_waitcnt vmcnt(28)
	scratch_store_dwordx4 off, v[6:9], off
	s_waitcnt vmcnt(27)
	scratch_store_dwordx4 off, v[10:13], off offset:16
	s_waitcnt vmcnt(26)
	scratch_store_dwordx4 off, v[14:17], off offset:32
	;; [unrolled: 2-line block ×14, first 2 shown]
	s_cbranch_scc1 .LBB29_132
; %bb.4:
	v_cmp_eq_u32_e64 s[0:1], 0, v0
	s_and_saveexec_b64 s[4:5], s[0:1]
; %bb.5:
	v_mov_b32_e32 v1, 0
	ds_write_b32 v1, v1 offset:480
; %bb.6:
	s_or_b64 exec, exec, s[4:5]
	s_waitcnt lgkmcnt(0)
	; wave barrier
	scratch_load_dwordx2 v[4:5], v2, off
	s_waitcnt vmcnt(0)
	v_cmp_eq_f32_e32 vcc, 0, v4
	v_cmp_eq_f32_e64 s[4:5], 0, v5
	s_and_b64 s[4:5], vcc, s[4:5]
	s_and_saveexec_b64 s[8:9], s[4:5]
	s_cbranch_execz .LBB29_10
; %bb.7:
	v_mov_b32_e32 v1, 0
	ds_read_b32 v4, v1 offset:480
	v_add_u32_e32 v3, 1, v0
	s_waitcnt lgkmcnt(0)
	v_readfirstlane_b32 s4, v4
	s_cmp_eq_u32 s4, 0
	s_cselect_b64 s[10:11], -1, 0
	v_cmp_gt_i32_e32 vcc, s4, v3
	s_or_b64 s[10:11], s[10:11], vcc
	s_and_b64 exec, exec, s[10:11]
	s_cbranch_execz .LBB29_10
; %bb.8:
	s_mov_b64 s[10:11], 0
	v_mov_b32_e32 v4, s4
.LBB29_9:                               ; =>This Inner Loop Header: Depth=1
	ds_cmpst_rtn_b32 v4, v1, v4, v3 offset:480
	s_waitcnt lgkmcnt(0)
	v_cmp_ne_u32_e32 vcc, 0, v4
	v_cmp_le_i32_e64 s[4:5], v4, v3
	s_and_b64 s[4:5], vcc, s[4:5]
	s_and_b64 s[4:5], exec, s[4:5]
	s_or_b64 s[10:11], s[4:5], s[10:11]
	s_andn2_b64 exec, exec, s[10:11]
	s_cbranch_execnz .LBB29_9
.LBB29_10:
	s_or_b64 exec, exec, s[8:9]
	v_mov_b32_e32 v3, 0
	; wave barrier
	ds_read_b32 v1, v3 offset:480
	s_and_saveexec_b64 s[4:5], s[0:1]
	s_cbranch_execz .LBB29_12
; %bb.11:
	s_lshl_b64 s[8:9], s[2:3], 2
	s_add_u32 s8, s6, s8
	s_addc_u32 s9, s7, s9
	s_waitcnt lgkmcnt(0)
	global_store_dword v3, v1, s[8:9]
.LBB29_12:
	s_or_b64 exec, exec, s[4:5]
	s_waitcnt lgkmcnt(0)
	v_cmp_ne_u32_e32 vcc, 0, v1
	s_mov_b64 s[4:5], 0
	s_cbranch_vccnz .LBB29_132
; %bb.13:
	v_mov_b32_e32 v3, v2
	scratch_load_dwordx2 v[4:5], v3, off
                                        ; implicit-def: $vgpr7
                                        ; implicit-def: $vgpr8
	s_waitcnt vmcnt(0)
	v_cmp_ngt_f32_e64 s[4:5], |v4|, |v5|
	s_and_saveexec_b64 s[8:9], s[4:5]
	s_xor_b64 s[4:5], exec, s[8:9]
	s_cbranch_execz .LBB29_15
; %bb.14:
	v_div_scale_f32 v1, s[8:9], v5, v5, v4
	v_rcp_f32_e32 v6, v1
	v_div_scale_f32 v7, vcc, v4, v5, v4
	v_fma_f32 v8, -v1, v6, 1.0
	v_fmac_f32_e32 v6, v8, v6
	v_mul_f32_e32 v8, v7, v6
	v_fma_f32 v9, -v1, v8, v7
	v_fmac_f32_e32 v8, v9, v6
	v_fma_f32 v1, -v1, v8, v7
	v_div_fmas_f32 v1, v1, v6, v8
	v_div_fixup_f32 v1, v1, v5, v4
	v_fmac_f32_e32 v5, v4, v1
	v_div_scale_f32 v4, s[8:9], v5, v5, -1.0
	v_rcp_f32_e32 v6, v4
	s_nop 0
	v_fma_f32 v7, -v4, v6, 1.0
	v_fmac_f32_e32 v6, v7, v6
	v_div_scale_f32 v7, vcc, -1.0, v5, -1.0
	v_mul_f32_e32 v8, v7, v6
	v_fma_f32 v9, -v4, v8, v7
	v_fmac_f32_e32 v8, v9, v6
	v_fma_f32 v4, -v4, v8, v7
	v_div_fmas_f32 v4, v4, v6, v8
	v_div_fixup_f32 v7, v4, v5, -1.0
	v_mul_f32_e32 v8, v1, v7
	v_xor_b32_e32 v6, 0x80000000, v8
                                        ; implicit-def: $vgpr4_vgpr5
.LBB29_15:
	s_andn2_saveexec_b64 s[4:5], s[4:5]
	s_cbranch_execz .LBB29_17
; %bb.16:
	v_div_scale_f32 v1, s[8:9], v4, v4, v5
	v_rcp_f32_e32 v6, v1
	v_div_scale_f32 v7, vcc, v5, v4, v5
	v_fma_f32 v8, -v1, v6, 1.0
	v_fmac_f32_e32 v6, v8, v6
	v_mul_f32_e32 v8, v7, v6
	v_fma_f32 v9, -v1, v8, v7
	v_fmac_f32_e32 v8, v9, v6
	v_fma_f32 v1, -v1, v8, v7
	v_div_fmas_f32 v1, v1, v6, v8
	v_div_fixup_f32 v1, v1, v4, v5
	v_fmac_f32_e32 v4, v5, v1
	v_div_scale_f32 v5, s[8:9], v4, v4, 1.0
	v_rcp_f32_e32 v6, v5
	s_nop 0
	v_fma_f32 v7, -v5, v6, 1.0
	v_fmac_f32_e32 v6, v7, v6
	v_div_scale_f32 v7, vcc, 1.0, v4, 1.0
	v_mul_f32_e32 v8, v7, v6
	v_fma_f32 v9, -v5, v8, v7
	v_fmac_f32_e32 v8, v9, v6
	v_fma_f32 v5, -v5, v8, v7
	v_div_fmas_f32 v5, v5, v6, v8
	v_div_fixup_f32 v6, v5, v4, 1.0
	v_xor_b32_e32 v8, 0x80000000, v6
	v_mul_f32_e64 v7, v1, -v6
.LBB29_17:
	s_or_b64 exec, exec, s[4:5]
	scratch_store_dwordx2 v3, v[6:7], off
	scratch_load_dwordx2 v[4:5], off, off offset:8
	v_xor_b32_e32 v9, 0x80000000, v7
	v_add_u32_e32 v1, 0xf0, v2
	s_waitcnt vmcnt(0)
	ds_write2_b64 v2, v[8:9], v[4:5] offset1:30
	s_waitcnt lgkmcnt(0)
	; wave barrier
	s_and_saveexec_b64 s[4:5], s[0:1]
	s_cbranch_execz .LBB29_19
; %bb.18:
	scratch_load_dwordx2 v[4:5], v3, off
	ds_read_b64 v[6:7], v1
	v_mov_b32_e32 v8, 0
	ds_read_b64 v[8:9], v8 offset:8
	s_waitcnt vmcnt(0) lgkmcnt(1)
	v_pk_mul_f32 v[10:11], v[6:7], v[4:5] op_sel:[1,1] op_sel_hi:[0,1]
	v_pk_fma_f32 v[12:13], v[6:7], v[4:5], v[10:11] neg_lo:[0,0,1] neg_hi:[0,0,1]
	v_pk_fma_f32 v[4:5], v[6:7], v[4:5], v[10:11] op_sel_hi:[1,0,1]
	s_nop 0
	v_mov_b32_e32 v13, v5
	v_pk_add_f32 v[4:5], v[12:13], 0 op_sel_hi:[1,0]
	s_waitcnt lgkmcnt(0)
	v_pk_mul_f32 v[6:7], v[4:5], v[8:9] op_sel:[1,1] op_sel_hi:[0,1]
	v_pk_fma_f32 v[10:11], v[4:5], v[8:9], v[6:7] neg_lo:[0,0,1] neg_hi:[0,0,1]
	v_pk_fma_f32 v[4:5], v[4:5], v[8:9], v[6:7] op_sel_hi:[1,0,1]
	s_nop 0
	v_mov_b32_e32 v11, v5
	scratch_store_dwordx2 off, v[10:11], off offset:8
.LBB29_19:
	s_or_b64 exec, exec, s[4:5]
	; wave barrier
	scratch_load_dwordx2 v[4:5], off, off offset:16
	v_cmp_gt_u32_e32 vcc, 2, v0
	s_waitcnt vmcnt(0)
	ds_write_b64 v1, v[4:5]
	s_waitcnt lgkmcnt(0)
	; wave barrier
	s_and_saveexec_b64 s[4:5], vcc
	s_cbranch_execz .LBB29_23
; %bb.20:
	scratch_load_dwordx2 v[4:5], v3, off
	ds_read_b64 v[6:7], v1
	s_waitcnt vmcnt(0) lgkmcnt(0)
	v_pk_mul_f32 v[8:9], v[6:7], v[4:5] op_sel:[1,1] op_sel_hi:[0,1]
	v_pk_fma_f32 v[10:11], v[6:7], v[4:5], v[8:9] neg_lo:[0,0,1] neg_hi:[0,0,1]
	v_pk_fma_f32 v[4:5], v[6:7], v[4:5], v[8:9] op_sel_hi:[1,0,1]
	s_nop 0
	v_mov_b32_e32 v11, v5
	v_pk_add_f32 v[4:5], v[10:11], 0 op_sel_hi:[1,0]
	s_and_saveexec_b64 s[8:9], s[0:1]
	s_cbranch_execz .LBB29_22
; %bb.21:
	scratch_load_dwordx2 v[6:7], off, off offset:8
	v_mov_b32_e32 v3, 0
	ds_read_b64 v[8:9], v3 offset:248
	s_waitcnt vmcnt(0) lgkmcnt(0)
	v_pk_mul_f32 v[10:11], v[8:9], v[6:7] op_sel:[1,1] op_sel_hi:[0,1]
	v_pk_fma_f32 v[12:13], v[8:9], v[6:7], v[10:11] neg_lo:[0,0,1] neg_hi:[0,0,1]
	v_pk_fma_f32 v[6:7], v[8:9], v[6:7], v[10:11] op_sel_hi:[1,0,1]
	s_nop 0
	v_mov_b32_e32 v13, v7
	v_pk_add_f32 v[4:5], v[4:5], v[12:13]
.LBB29_22:
	s_or_b64 exec, exec, s[8:9]
	v_mov_b32_e32 v3, 0
	ds_read_b64 v[6:7], v3 offset:16
	s_waitcnt lgkmcnt(0)
	v_pk_mul_f32 v[8:9], v[4:5], v[6:7] op_sel:[1,1] op_sel_hi:[0,1]
	v_pk_fma_f32 v[10:11], v[4:5], v[6:7], v[8:9] neg_lo:[0,0,1] neg_hi:[0,0,1]
	v_pk_fma_f32 v[4:5], v[4:5], v[6:7], v[8:9] op_sel_hi:[1,0,1]
	s_nop 0
	v_mov_b32_e32 v11, v5
	scratch_store_dwordx2 off, v[10:11], off offset:16
.LBB29_23:
	s_or_b64 exec, exec, s[4:5]
	; wave barrier
	scratch_load_dwordx2 v[4:5], off, off offset:24
	v_cmp_gt_u32_e32 vcc, 3, v0
	v_add_u32_e32 v6, -1, v0
	s_waitcnt vmcnt(0)
	ds_write_b64 v1, v[4:5]
	s_waitcnt lgkmcnt(0)
	; wave barrier
	s_and_saveexec_b64 s[0:1], vcc
	s_cbranch_execz .LBB29_27
; %bb.24:
	v_mov_b32_e32 v4, 0
	v_add_u32_e32 v3, -1, v0
	v_add_u32_e32 v7, 0xf0, v2
	v_mov_b32_e32 v8, v2
	s_mov_b64 s[4:5], 0
	v_mov_b32_e32 v5, v4
.LBB29_25:                              ; =>This Inner Loop Header: Depth=1
	scratch_load_dwordx2 v[10:11], v8, off
	ds_read_b64 v[12:13], v7
	v_add_u32_e32 v3, 1, v3
	v_cmp_lt_u32_e32 vcc, 1, v3
	v_add_u32_e32 v7, 8, v7
	v_add_u32_e32 v8, 8, v8
	s_or_b64 s[4:5], vcc, s[4:5]
	s_waitcnt vmcnt(0) lgkmcnt(0)
	v_pk_mul_f32 v[14:15], v[12:13], v[10:11] op_sel:[1,1] op_sel_hi:[0,1]
	v_pk_fma_f32 v[16:17], v[12:13], v[10:11], v[14:15] neg_lo:[0,0,1] neg_hi:[0,0,1]
	v_pk_fma_f32 v[10:11], v[12:13], v[10:11], v[14:15] op_sel_hi:[1,0,1]
	s_nop 0
	v_mov_b32_e32 v17, v11
	v_pk_add_f32 v[4:5], v[4:5], v[16:17]
	s_andn2_b64 exec, exec, s[4:5]
	s_cbranch_execnz .LBB29_25
; %bb.26:
	s_or_b64 exec, exec, s[4:5]
	v_mov_b32_e32 v3, 0
	ds_read_b64 v[8:9], v3 offset:24
	s_waitcnt lgkmcnt(0)
	v_pk_mul_f32 v[10:11], v[4:5], v[8:9] op_sel:[1,1] op_sel_hi:[0,1]
	v_pk_fma_f32 v[12:13], v[4:5], v[8:9], v[10:11] neg_lo:[0,0,1] neg_hi:[0,0,1]
	v_pk_fma_f32 v[4:5], v[4:5], v[8:9], v[10:11] op_sel_hi:[1,0,1]
	s_nop 0
	v_mov_b32_e32 v13, v5
	scratch_store_dwordx2 off, v[12:13], off offset:24
.LBB29_27:
	s_or_b64 exec, exec, s[0:1]
	; wave barrier
	scratch_load_dwordx2 v[4:5], off, off offset:32
	v_cmp_gt_u32_e32 vcc, 4, v0
	s_waitcnt vmcnt(0)
	ds_write_b64 v1, v[4:5]
	s_waitcnt lgkmcnt(0)
	; wave barrier
	s_and_saveexec_b64 s[0:1], vcc
	s_cbranch_execz .LBB29_31
; %bb.28:
	v_mov_b32_e32 v4, 0
	v_add_u32_e32 v3, -1, v0
	v_add_u32_e32 v7, 0xf0, v2
	v_mov_b32_e32 v8, v2
	s_mov_b64 s[4:5], 0
	v_mov_b32_e32 v5, v4
.LBB29_29:                              ; =>This Inner Loop Header: Depth=1
	scratch_load_dwordx2 v[10:11], v8, off
	ds_read_b64 v[12:13], v7
	v_add_u32_e32 v3, 1, v3
	v_cmp_lt_u32_e32 vcc, 2, v3
	v_add_u32_e32 v7, 8, v7
	v_add_u32_e32 v8, 8, v8
	s_or_b64 s[4:5], vcc, s[4:5]
	s_waitcnt vmcnt(0) lgkmcnt(0)
	v_pk_mul_f32 v[14:15], v[12:13], v[10:11] op_sel:[1,1] op_sel_hi:[0,1]
	v_pk_fma_f32 v[16:17], v[12:13], v[10:11], v[14:15] neg_lo:[0,0,1] neg_hi:[0,0,1]
	v_pk_fma_f32 v[10:11], v[12:13], v[10:11], v[14:15] op_sel_hi:[1,0,1]
	s_nop 0
	v_mov_b32_e32 v17, v11
	v_pk_add_f32 v[4:5], v[4:5], v[16:17]
	s_andn2_b64 exec, exec, s[4:5]
	s_cbranch_execnz .LBB29_29
; %bb.30:
	s_or_b64 exec, exec, s[4:5]
	v_mov_b32_e32 v3, 0
	ds_read_b64 v[8:9], v3 offset:32
	s_waitcnt lgkmcnt(0)
	v_pk_mul_f32 v[10:11], v[4:5], v[8:9] op_sel:[1,1] op_sel_hi:[0,1]
	v_pk_fma_f32 v[12:13], v[4:5], v[8:9], v[10:11] neg_lo:[0,0,1] neg_hi:[0,0,1]
	v_pk_fma_f32 v[4:5], v[4:5], v[8:9], v[10:11] op_sel_hi:[1,0,1]
	s_nop 0
	v_mov_b32_e32 v13, v5
	scratch_store_dwordx2 off, v[12:13], off offset:32
.LBB29_31:
	s_or_b64 exec, exec, s[0:1]
	; wave barrier
	scratch_load_dwordx2 v[4:5], off, off offset:40
	v_cmp_gt_u32_e32 vcc, 5, v0
	;; [unrolled: 46-line block ×19, first 2 shown]
	s_waitcnt vmcnt(0)
	ds_write_b64 v1, v[4:5]
	s_waitcnt lgkmcnt(0)
	; wave barrier
	s_and_saveexec_b64 s[0:1], vcc
	s_cbranch_execz .LBB29_103
; %bb.100:
	v_mov_b32_e32 v4, 0
	v_add_u32_e32 v3, -1, v0
	v_add_u32_e32 v7, 0xf0, v2
	v_mov_b32_e32 v8, v2
	s_mov_b64 s[4:5], 0
	v_mov_b32_e32 v5, v4
.LBB29_101:                             ; =>This Inner Loop Header: Depth=1
	scratch_load_dwordx2 v[10:11], v8, off
	ds_read_b64 v[12:13], v7
	v_add_u32_e32 v3, 1, v3
	v_cmp_lt_u32_e32 vcc, 20, v3
	v_add_u32_e32 v7, 8, v7
	v_add_u32_e32 v8, 8, v8
	s_or_b64 s[4:5], vcc, s[4:5]
	s_waitcnt vmcnt(0) lgkmcnt(0)
	v_pk_mul_f32 v[14:15], v[12:13], v[10:11] op_sel:[1,1] op_sel_hi:[0,1]
	v_pk_fma_f32 v[16:17], v[12:13], v[10:11], v[14:15] neg_lo:[0,0,1] neg_hi:[0,0,1]
	v_pk_fma_f32 v[10:11], v[12:13], v[10:11], v[14:15] op_sel_hi:[1,0,1]
	s_nop 0
	v_mov_b32_e32 v17, v11
	v_pk_add_f32 v[4:5], v[4:5], v[16:17]
	s_andn2_b64 exec, exec, s[4:5]
	s_cbranch_execnz .LBB29_101
; %bb.102:
	s_or_b64 exec, exec, s[4:5]
	v_mov_b32_e32 v3, 0
	ds_read_b64 v[8:9], v3 offset:176
	s_waitcnt lgkmcnt(0)
	v_pk_mul_f32 v[10:11], v[4:5], v[8:9] op_sel:[1,1] op_sel_hi:[0,1]
	v_pk_fma_f32 v[12:13], v[4:5], v[8:9], v[10:11] neg_lo:[0,0,1] neg_hi:[0,0,1]
	v_pk_fma_f32 v[4:5], v[4:5], v[8:9], v[10:11] op_sel_hi:[1,0,1]
	s_nop 0
	v_mov_b32_e32 v13, v5
	scratch_store_dwordx2 off, v[12:13], off offset:176
.LBB29_103:
	s_or_b64 exec, exec, s[0:1]
	; wave barrier
	scratch_load_dwordx2 v[4:5], off, off offset:184
	v_cmp_gt_u32_e32 vcc, 23, v0
	s_waitcnt vmcnt(0)
	ds_write_b64 v1, v[4:5]
	s_waitcnt lgkmcnt(0)
	; wave barrier
	s_and_saveexec_b64 s[0:1], vcc
	s_cbranch_execz .LBB29_107
; %bb.104:
	v_mov_b32_e32 v4, 0
	v_add_u32_e32 v3, -1, v0
	v_add_u32_e32 v7, 0xf0, v2
	v_mov_b32_e32 v8, v2
	s_mov_b64 s[4:5], 0
	v_mov_b32_e32 v5, v4
.LBB29_105:                             ; =>This Inner Loop Header: Depth=1
	scratch_load_dwordx2 v[10:11], v8, off
	ds_read_b64 v[12:13], v7
	v_add_u32_e32 v3, 1, v3
	v_cmp_lt_u32_e32 vcc, 21, v3
	v_add_u32_e32 v7, 8, v7
	v_add_u32_e32 v8, 8, v8
	s_or_b64 s[4:5], vcc, s[4:5]
	s_waitcnt vmcnt(0) lgkmcnt(0)
	v_pk_mul_f32 v[14:15], v[12:13], v[10:11] op_sel:[1,1] op_sel_hi:[0,1]
	v_pk_fma_f32 v[16:17], v[12:13], v[10:11], v[14:15] neg_lo:[0,0,1] neg_hi:[0,0,1]
	v_pk_fma_f32 v[10:11], v[12:13], v[10:11], v[14:15] op_sel_hi:[1,0,1]
	s_nop 0
	v_mov_b32_e32 v17, v11
	v_pk_add_f32 v[4:5], v[4:5], v[16:17]
	s_andn2_b64 exec, exec, s[4:5]
	s_cbranch_execnz .LBB29_105
; %bb.106:
	s_or_b64 exec, exec, s[4:5]
	v_mov_b32_e32 v3, 0
	ds_read_b64 v[8:9], v3 offset:184
	s_waitcnt lgkmcnt(0)
	v_pk_mul_f32 v[10:11], v[4:5], v[8:9] op_sel:[1,1] op_sel_hi:[0,1]
	v_pk_fma_f32 v[12:13], v[4:5], v[8:9], v[10:11] neg_lo:[0,0,1] neg_hi:[0,0,1]
	v_pk_fma_f32 v[4:5], v[4:5], v[8:9], v[10:11] op_sel_hi:[1,0,1]
	s_nop 0
	v_mov_b32_e32 v13, v5
	scratch_store_dwordx2 off, v[12:13], off offset:184
.LBB29_107:
	s_or_b64 exec, exec, s[0:1]
	; wave barrier
	scratch_load_dwordx2 v[4:5], off, off offset:192
	v_cmp_gt_u32_e32 vcc, 24, v0
	;; [unrolled: 46-line block ×6, first 2 shown]
	s_waitcnt vmcnt(0)
	ds_write_b64 v1, v[4:5]
	s_waitcnt lgkmcnt(0)
	; wave barrier
	s_and_saveexec_b64 s[0:1], vcc
	s_cbranch_execz .LBB29_127
; %bb.124:
	v_mov_b32_e32 v4, 0
	v_add_u32_e32 v3, -1, v0
	v_add_u32_e32 v7, 0xf0, v2
	v_mov_b32_e32 v8, v2
	s_mov_b64 s[4:5], 0
	v_mov_b32_e32 v5, v4
.LBB29_125:                             ; =>This Inner Loop Header: Depth=1
	scratch_load_dwordx2 v[10:11], v8, off
	ds_read_b64 v[12:13], v7
	v_add_u32_e32 v3, 1, v3
	v_cmp_lt_u32_e32 vcc, 26, v3
	v_add_u32_e32 v7, 8, v7
	v_add_u32_e32 v8, 8, v8
	s_or_b64 s[4:5], vcc, s[4:5]
	s_waitcnt vmcnt(0) lgkmcnt(0)
	v_pk_mul_f32 v[14:15], v[12:13], v[10:11] op_sel:[1,1] op_sel_hi:[0,1]
	v_pk_fma_f32 v[16:17], v[12:13], v[10:11], v[14:15] neg_lo:[0,0,1] neg_hi:[0,0,1]
	v_pk_fma_f32 v[10:11], v[12:13], v[10:11], v[14:15] op_sel_hi:[1,0,1]
	s_nop 0
	v_mov_b32_e32 v17, v11
	v_pk_add_f32 v[4:5], v[4:5], v[16:17]
	s_andn2_b64 exec, exec, s[4:5]
	s_cbranch_execnz .LBB29_125
; %bb.126:
	s_or_b64 exec, exec, s[4:5]
	v_mov_b32_e32 v3, 0
	ds_read_b64 v[8:9], v3 offset:224
	s_waitcnt lgkmcnt(0)
	v_pk_mul_f32 v[10:11], v[4:5], v[8:9] op_sel:[1,1] op_sel_hi:[0,1]
	v_pk_fma_f32 v[12:13], v[4:5], v[8:9], v[10:11] neg_lo:[0,0,1] neg_hi:[0,0,1]
	v_pk_fma_f32 v[4:5], v[4:5], v[8:9], v[10:11] op_sel_hi:[1,0,1]
	s_nop 0
	v_mov_b32_e32 v13, v5
	scratch_store_dwordx2 off, v[12:13], off offset:224
.LBB29_127:
	s_or_b64 exec, exec, s[0:1]
	; wave barrier
	scratch_load_dwordx2 v[4:5], off, off offset:232
	v_cmp_ne_u32_e32 vcc, 29, v0
	s_waitcnt vmcnt(0)
	ds_write_b64 v1, v[4:5]
	s_waitcnt lgkmcnt(0)
	; wave barrier
	s_and_saveexec_b64 s[0:1], vcc
	s_cbranch_execz .LBB29_131
; %bb.128:
	v_add_u32_e32 v1, 0xf0, v2
	v_mov_b32_e32 v4, v2
	v_mov_b32_e32 v2, 0
	s_mov_b64 s[4:5], 0
	v_mov_b32_e32 v3, v2
.LBB29_129:                             ; =>This Inner Loop Header: Depth=1
	scratch_load_dwordx2 v[8:9], v4, off
	ds_read_b64 v[10:11], v1
	v_add_u32_e32 v6, 1, v6
	v_cmp_lt_u32_e32 vcc, 27, v6
	v_add_u32_e32 v1, 8, v1
	v_add_u32_e32 v4, 8, v4
	s_or_b64 s[4:5], vcc, s[4:5]
	s_waitcnt vmcnt(0) lgkmcnt(0)
	v_pk_mul_f32 v[12:13], v[10:11], v[8:9] op_sel:[1,1] op_sel_hi:[0,1]
	v_pk_fma_f32 v[14:15], v[10:11], v[8:9], v[12:13] neg_lo:[0,0,1] neg_hi:[0,0,1]
	v_pk_fma_f32 v[8:9], v[10:11], v[8:9], v[12:13] op_sel_hi:[1,0,1]
	s_nop 0
	v_mov_b32_e32 v15, v9
	v_pk_add_f32 v[2:3], v[2:3], v[14:15]
	s_andn2_b64 exec, exec, s[4:5]
	s_cbranch_execnz .LBB29_129
; %bb.130:
	s_or_b64 exec, exec, s[4:5]
	v_mov_b32_e32 v1, 0
	ds_read_b64 v[4:5], v1 offset:232
	s_waitcnt lgkmcnt(0)
	v_pk_mul_f32 v[6:7], v[2:3], v[4:5] op_sel:[1,1] op_sel_hi:[0,1]
	v_pk_fma_f32 v[8:9], v[2:3], v[4:5], v[6:7] neg_lo:[0,0,1] neg_hi:[0,0,1]
	v_pk_fma_f32 v[2:3], v[2:3], v[4:5], v[6:7] op_sel_hi:[1,0,1]
	s_nop 0
	v_mov_b32_e32 v9, v3
	scratch_store_dwordx2 off, v[8:9], off offset:232
.LBB29_131:
	s_or_b64 exec, exec, s[0:1]
	s_mov_b64 s[4:5], -1
	; wave barrier
.LBB29_132:
	s_and_b64 vcc, exec, s[4:5]
	s_cbranch_vccz .LBB29_134
; %bb.133:
	s_lshl_b64 s[0:1], s[2:3], 2
	s_add_u32 s0, s6, s0
	s_addc_u32 s1, s7, s1
	v_mov_b32_e32 v1, 0
	global_load_dword v1, v1, s[0:1]
	s_waitcnt vmcnt(0)
	v_cmp_ne_u32_e32 vcc, 0, v1
	s_cbranch_vccz .LBB29_135
.LBB29_134:
	s_endpgm
.LBB29_135:
	v_mov_b32_e32 v1, 0xf0
	v_lshl_add_u32 v1, v0, 3, v1
	v_cmp_eq_u32_e32 vcc, 29, v0
	s_and_saveexec_b64 s[0:1], vcc
	s_cbranch_execz .LBB29_137
; %bb.136:
	scratch_load_dwordx2 v[2:3], off, off offset:224
	v_mov_b32_e32 v4, 0
	v_mov_b32_e32 v5, v4
	scratch_store_dwordx2 off, v[4:5], off offset:224
	s_waitcnt vmcnt(1)
	ds_write_b64 v1, v[2:3]
.LBB29_137:
	s_or_b64 exec, exec, s[0:1]
	s_waitcnt lgkmcnt(0)
	; wave barrier
	scratch_load_dwordx2 v[4:5], off, off offset:232
	scratch_load_dwordx2 v[6:7], off, off offset:224
	v_mov_b32_e32 v2, 0
	ds_read_b64 v[8:9], v2 offset:472
	v_cmp_lt_u32_e32 vcc, 27, v0
	s_waitcnt vmcnt(1) lgkmcnt(0)
	v_pk_mul_f32 v[10:11], v[8:9], v[4:5] op_sel:[1,1] op_sel_hi:[0,1]
	v_pk_fma_f32 v[12:13], v[8:9], v[4:5], v[10:11] neg_lo:[0,0,1] neg_hi:[0,0,1]
	v_pk_fma_f32 v[4:5], v[8:9], v[4:5], v[10:11] op_sel_hi:[1,0,1]
	s_nop 0
	v_mov_b32_e32 v13, v5
	v_pk_add_f32 v[4:5], v[12:13], 0 op_sel_hi:[1,0]
	s_waitcnt vmcnt(0)
	v_pk_add_f32 v[4:5], v[6:7], v[4:5] neg_lo:[0,1] neg_hi:[0,1]
	scratch_store_dwordx2 off, v[4:5], off offset:224
	s_and_saveexec_b64 s[0:1], vcc
	s_cbranch_execz .LBB29_139
; %bb.138:
	scratch_load_dwordx2 v[4:5], off, off offset:216
	v_mov_b32_e32 v3, v2
	scratch_store_dwordx2 off, v[2:3], off offset:216
	s_waitcnt vmcnt(1)
	ds_write_b64 v1, v[4:5]
.LBB29_139:
	s_or_b64 exec, exec, s[0:1]
	s_waitcnt lgkmcnt(0)
	; wave barrier
	scratch_load_dwordx4 v[4:7], off, off offset:224
	scratch_load_dwordx2 v[12:13], off, off offset:216
	ds_read_b128 v[8:11], v2 offset:464
	v_cmp_lt_u32_e32 vcc, 26, v0
	s_waitcnt vmcnt(1) lgkmcnt(0)
	v_pk_mul_f32 v[2:3], v[8:9], v[4:5] op_sel:[1,1] op_sel_hi:[0,1]
	v_mov_b32_e32 v14, v7
	v_pk_fma_f32 v[16:17], v[8:9], v[4:5], v[2:3] neg_lo:[0,0,1] neg_hi:[0,0,1]
	v_pk_fma_f32 v[2:3], v[8:9], v[4:5], v[2:3] op_sel_hi:[1,0,1]
	v_pk_mul_f32 v[4:5], v[10:11], v[14:15] op_sel:[1,0] op_sel_hi:[0,0]
	v_mov_b32_e32 v17, v3
	v_pk_fma_f32 v[2:3], v[10:11], v[6:7], v[4:5] neg_lo:[0,0,1] neg_hi:[0,0,1]
	v_pk_fma_f32 v[4:5], v[10:11], v[6:7], v[4:5] op_sel_hi:[1,0,1]
	v_pk_add_f32 v[6:7], v[16:17], 0 op_sel_hi:[1,0]
	v_mov_b32_e32 v3, v5
	v_pk_add_f32 v[2:3], v[6:7], v[2:3]
	s_waitcnt vmcnt(0)
	v_pk_add_f32 v[2:3], v[12:13], v[2:3] neg_lo:[0,1] neg_hi:[0,1]
	scratch_store_dwordx2 off, v[2:3], off offset:216
	s_and_saveexec_b64 s[0:1], vcc
	s_cbranch_execz .LBB29_141
; %bb.140:
	scratch_load_dwordx2 v[2:3], off, off offset:208
	v_mov_b32_e32 v4, 0
	v_mov_b32_e32 v5, v4
	scratch_store_dwordx2 off, v[4:5], off offset:208
	s_waitcnt vmcnt(1)
	ds_write_b64 v1, v[2:3]
.LBB29_141:
	s_or_b64 exec, exec, s[0:1]
	s_waitcnt lgkmcnt(0)
	; wave barrier
	scratch_load_dwordx4 v[4:7], off, off offset:216
	scratch_load_dwordx2 v[12:13], off, off offset:232
	scratch_load_dwordx2 v[14:15], off, off offset:208
	v_mov_b32_e32 v2, 0
	ds_read2_b64 v[8:11], v2 offset0:57 offset1:58
	ds_read_b64 v[16:17], v2 offset:472
	v_cmp_lt_u32_e32 vcc, 25, v0
	s_waitcnt vmcnt(2) lgkmcnt(1)
	v_pk_mul_f32 v[18:19], v[8:9], v[4:5] op_sel:[1,1] op_sel_hi:[0,1]
	v_mov_b32_e32 v20, v7
	v_pk_fma_f32 v[24:25], v[8:9], v[4:5], v[18:19] neg_lo:[0,0,1] neg_hi:[0,0,1]
	v_pk_fma_f32 v[4:5], v[8:9], v[4:5], v[18:19] op_sel_hi:[1,0,1]
	v_pk_mul_f32 v[8:9], v[10:11], v[20:21] op_sel:[1,0] op_sel_hi:[0,0]
	s_waitcnt vmcnt(1) lgkmcnt(0)
	v_pk_mul_f32 v[22:23], v[16:17], v[12:13] op_sel:[1,1] op_sel_hi:[0,1]
	v_mov_b32_e32 v25, v5
	v_pk_fma_f32 v[4:5], v[10:11], v[6:7], v[8:9] neg_lo:[0,0,1] neg_hi:[0,0,1]
	v_pk_fma_f32 v[6:7], v[10:11], v[6:7], v[8:9] op_sel_hi:[1,0,1]
	v_pk_fma_f32 v[18:19], v[16:17], v[12:13], v[22:23] neg_lo:[0,0,1] neg_hi:[0,0,1]
	v_pk_fma_f32 v[12:13], v[16:17], v[12:13], v[22:23] op_sel_hi:[1,0,1]
	v_pk_add_f32 v[8:9], v[24:25], 0 op_sel_hi:[1,0]
	v_mov_b32_e32 v5, v7
	v_mov_b32_e32 v19, v13
	v_pk_add_f32 v[4:5], v[8:9], v[4:5]
	s_nop 0
	v_pk_add_f32 v[4:5], v[4:5], v[18:19]
	s_waitcnt vmcnt(0)
	v_pk_add_f32 v[4:5], v[14:15], v[4:5] neg_lo:[0,1] neg_hi:[0,1]
	scratch_store_dwordx2 off, v[4:5], off offset:208
	s_and_saveexec_b64 s[0:1], vcc
	s_cbranch_execz .LBB29_143
; %bb.142:
	scratch_load_dwordx2 v[4:5], off, off offset:200
	v_mov_b32_e32 v3, v2
	scratch_store_dwordx2 off, v[2:3], off offset:200
	s_waitcnt vmcnt(1)
	ds_write_b64 v1, v[4:5]
.LBB29_143:
	s_or_b64 exec, exec, s[0:1]
	s_waitcnt lgkmcnt(0)
	; wave barrier
	scratch_load_dwordx4 v[4:7], off, off offset:208
	scratch_load_dwordx4 v[8:11], off, off offset:224
	scratch_load_dwordx2 v[20:21], off, off offset:200
	ds_read_b128 v[12:15], v2 offset:448
	ds_read_b128 v[16:19], v2 offset:464
	v_cmp_lt_u32_e32 vcc, 24, v0
	s_waitcnt vmcnt(2) lgkmcnt(1)
	v_pk_mul_f32 v[2:3], v[12:13], v[4:5] op_sel:[1,1] op_sel_hi:[0,1]
	v_mov_b32_e32 v22, v7
	s_waitcnt vmcnt(1) lgkmcnt(0)
	v_pk_mul_f32 v[24:25], v[16:17], v[8:9] op_sel:[1,1] op_sel_hi:[0,1]
	v_mov_b32_e32 v26, v11
	v_pk_fma_f32 v[28:29], v[12:13], v[4:5], v[2:3] neg_lo:[0,0,1] neg_hi:[0,0,1]
	v_pk_fma_f32 v[2:3], v[12:13], v[4:5], v[2:3] op_sel_hi:[1,0,1]
	v_pk_mul_f32 v[4:5], v[14:15], v[22:23] op_sel:[1,0] op_sel_hi:[0,0]
	v_pk_fma_f32 v[12:13], v[16:17], v[8:9], v[24:25] neg_lo:[0,0,1] neg_hi:[0,0,1]
	v_pk_fma_f32 v[8:9], v[16:17], v[8:9], v[24:25] op_sel_hi:[1,0,1]
	v_pk_mul_f32 v[16:17], v[18:19], v[26:27] op_sel:[1,0] op_sel_hi:[0,0]
	v_mov_b32_e32 v29, v3
	v_pk_fma_f32 v[2:3], v[14:15], v[6:7], v[4:5] neg_lo:[0,0,1] neg_hi:[0,0,1]
	v_pk_fma_f32 v[4:5], v[14:15], v[6:7], v[4:5] op_sel_hi:[1,0,1]
	v_mov_b32_e32 v13, v9
	v_pk_fma_f32 v[6:7], v[18:19], v[10:11], v[16:17] neg_lo:[0,0,1] neg_hi:[0,0,1]
	v_pk_fma_f32 v[8:9], v[18:19], v[10:11], v[16:17] op_sel_hi:[1,0,1]
	v_pk_add_f32 v[10:11], v[28:29], 0 op_sel_hi:[1,0]
	v_mov_b32_e32 v3, v5
	v_pk_add_f32 v[2:3], v[10:11], v[2:3]
	v_mov_b32_e32 v7, v9
	v_pk_add_f32 v[2:3], v[2:3], v[12:13]
	s_nop 0
	v_pk_add_f32 v[2:3], v[2:3], v[6:7]
	s_waitcnt vmcnt(0)
	v_pk_add_f32 v[2:3], v[20:21], v[2:3] neg_lo:[0,1] neg_hi:[0,1]
	scratch_store_dwordx2 off, v[2:3], off offset:200
	s_and_saveexec_b64 s[0:1], vcc
	s_cbranch_execz .LBB29_145
; %bb.144:
	scratch_load_dwordx2 v[2:3], off, off offset:192
	v_mov_b32_e32 v4, 0
	v_mov_b32_e32 v5, v4
	scratch_store_dwordx2 off, v[4:5], off offset:192
	s_waitcnt vmcnt(1)
	ds_write_b64 v1, v[2:3]
.LBB29_145:
	s_or_b64 exec, exec, s[0:1]
	s_waitcnt lgkmcnt(0)
	; wave barrier
	scratch_load_dwordx4 v[4:7], off, off offset:200
	scratch_load_dwordx4 v[8:11], off, off offset:216
	scratch_load_dwordx2 v[20:21], off, off offset:232
	scratch_load_dwordx2 v[22:23], off, off offset:192
	v_mov_b32_e32 v2, 0
	ds_read2_b64 v[12:15], v2 offset0:55 offset1:56
	ds_read2_b64 v[16:19], v2 offset0:57 offset1:58
	ds_read_b64 v[24:25], v2 offset:472
	v_cmp_lt_u32_e32 vcc, 23, v0
	s_waitcnt vmcnt(3) lgkmcnt(2)
	v_pk_mul_f32 v[26:27], v[12:13], v[4:5] op_sel:[1,1] op_sel_hi:[0,1]
	v_mov_b32_e32 v28, v7
	v_pk_fma_f32 v[36:37], v[12:13], v[4:5], v[26:27] neg_lo:[0,0,1] neg_hi:[0,0,1]
	v_pk_fma_f32 v[4:5], v[12:13], v[4:5], v[26:27] op_sel_hi:[1,0,1]
	v_pk_mul_f32 v[12:13], v[14:15], v[28:29] op_sel:[1,0] op_sel_hi:[0,0]
	s_waitcnt vmcnt(2) lgkmcnt(1)
	v_pk_mul_f32 v[30:31], v[16:17], v[8:9] op_sel:[1,1] op_sel_hi:[0,1]
	v_mov_b32_e32 v32, v11
	v_mov_b32_e32 v37, v5
	v_pk_fma_f32 v[4:5], v[14:15], v[6:7], v[12:13] neg_lo:[0,0,1] neg_hi:[0,0,1]
	v_pk_fma_f32 v[6:7], v[14:15], v[6:7], v[12:13] op_sel_hi:[1,0,1]
	v_pk_fma_f32 v[26:27], v[16:17], v[8:9], v[30:31] neg_lo:[0,0,1] neg_hi:[0,0,1]
	v_pk_fma_f32 v[8:9], v[16:17], v[8:9], v[30:31] op_sel_hi:[1,0,1]
	v_pk_mul_f32 v[16:17], v[18:19], v[32:33] op_sel:[1,0] op_sel_hi:[0,0]
	v_pk_add_f32 v[12:13], v[36:37], 0 op_sel_hi:[1,0]
	v_mov_b32_e32 v5, v7
	s_waitcnt vmcnt(1) lgkmcnt(0)
	v_pk_mul_f32 v[34:35], v[24:25], v[20:21] op_sel:[1,1] op_sel_hi:[0,1]
	v_mov_b32_e32 v27, v9
	v_pk_fma_f32 v[8:9], v[18:19], v[10:11], v[16:17] neg_lo:[0,0,1] neg_hi:[0,0,1]
	v_pk_fma_f32 v[10:11], v[18:19], v[10:11], v[16:17] op_sel_hi:[1,0,1]
	v_pk_add_f32 v[4:5], v[12:13], v[4:5]
	v_pk_fma_f32 v[28:29], v[24:25], v[20:21], v[34:35] neg_lo:[0,0,1] neg_hi:[0,0,1]
	v_pk_fma_f32 v[20:21], v[24:25], v[20:21], v[34:35] op_sel_hi:[1,0,1]
	v_mov_b32_e32 v9, v11
	v_pk_add_f32 v[4:5], v[4:5], v[26:27]
	v_mov_b32_e32 v29, v21
	v_pk_add_f32 v[4:5], v[4:5], v[8:9]
	s_nop 0
	v_pk_add_f32 v[4:5], v[4:5], v[28:29]
	s_waitcnt vmcnt(0)
	v_pk_add_f32 v[4:5], v[22:23], v[4:5] neg_lo:[0,1] neg_hi:[0,1]
	scratch_store_dwordx2 off, v[4:5], off offset:192
	s_and_saveexec_b64 s[0:1], vcc
	s_cbranch_execz .LBB29_147
; %bb.146:
	scratch_load_dwordx2 v[4:5], off, off offset:184
	v_mov_b32_e32 v3, v2
	scratch_store_dwordx2 off, v[2:3], off offset:184
	s_waitcnt vmcnt(1)
	ds_write_b64 v1, v[4:5]
.LBB29_147:
	s_or_b64 exec, exec, s[0:1]
	s_waitcnt lgkmcnt(0)
	; wave barrier
	scratch_load_dwordx4 v[4:7], off, off offset:192
	scratch_load_dwordx4 v[8:11], off, off offset:208
	;; [unrolled: 1-line block ×3, first 2 shown]
	scratch_load_dwordx2 v[28:29], off, off offset:184
	ds_read_b128 v[16:19], v2 offset:432
	ds_read_b128 v[20:23], v2 offset:448
	;; [unrolled: 1-line block ×3, first 2 shown]
	v_cmp_lt_u32_e32 vcc, 22, v0
	s_waitcnt vmcnt(3) lgkmcnt(2)
	v_pk_mul_f32 v[2:3], v[16:17], v[4:5] op_sel:[1,1] op_sel_hi:[0,1]
	v_mov_b32_e32 v30, v7
	s_waitcnt vmcnt(2) lgkmcnt(1)
	v_pk_mul_f32 v[32:33], v[20:21], v[8:9] op_sel:[1,1] op_sel_hi:[0,1]
	v_mov_b32_e32 v34, v11
	;; [unrolled: 3-line block ×3, first 2 shown]
	v_pk_fma_f32 v[100:101], v[16:17], v[4:5], v[2:3] neg_lo:[0,0,1] neg_hi:[0,0,1]
	v_pk_fma_f32 v[2:3], v[16:17], v[4:5], v[2:3] op_sel_hi:[1,0,1]
	v_pk_mul_f32 v[4:5], v[18:19], v[30:31] op_sel:[1,0] op_sel_hi:[0,0]
	v_pk_fma_f32 v[16:17], v[20:21], v[8:9], v[32:33] neg_lo:[0,0,1] neg_hi:[0,0,1]
	v_pk_fma_f32 v[8:9], v[20:21], v[8:9], v[32:33] op_sel_hi:[1,0,1]
	v_pk_mul_f32 v[20:21], v[22:23], v[34:35] op_sel:[1,0] op_sel_hi:[0,0]
	;; [unrolled: 3-line block ×3, first 2 shown]
	v_mov_b32_e32 v101, v3
	v_pk_fma_f32 v[2:3], v[18:19], v[6:7], v[4:5] neg_lo:[0,0,1] neg_hi:[0,0,1]
	v_pk_fma_f32 v[4:5], v[18:19], v[6:7], v[4:5] op_sel_hi:[1,0,1]
	v_mov_b32_e32 v17, v9
	v_pk_fma_f32 v[6:7], v[22:23], v[10:11], v[20:21] neg_lo:[0,0,1] neg_hi:[0,0,1]
	v_pk_fma_f32 v[8:9], v[22:23], v[10:11], v[20:21] op_sel_hi:[1,0,1]
	;; [unrolled: 3-line block ×3, first 2 shown]
	v_pk_add_f32 v[14:15], v[100:101], 0 op_sel_hi:[1,0]
	v_mov_b32_e32 v3, v5
	v_pk_add_f32 v[2:3], v[14:15], v[2:3]
	v_mov_b32_e32 v7, v9
	v_pk_add_f32 v[2:3], v[2:3], v[16:17]
	;; [unrolled: 2-line block ×3, first 2 shown]
	s_nop 0
	v_pk_add_f32 v[2:3], v[2:3], v[30:31]
	s_nop 0
	v_pk_add_f32 v[2:3], v[2:3], v[10:11]
	s_waitcnt vmcnt(0)
	v_pk_add_f32 v[2:3], v[28:29], v[2:3] neg_lo:[0,1] neg_hi:[0,1]
	scratch_store_dwordx2 off, v[2:3], off offset:184
	s_and_saveexec_b64 s[0:1], vcc
	s_cbranch_execz .LBB29_149
; %bb.148:
	scratch_load_dwordx2 v[2:3], off, off offset:176
	v_mov_b32_e32 v4, 0
	v_mov_b32_e32 v5, v4
	scratch_store_dwordx2 off, v[4:5], off offset:176
	s_waitcnt vmcnt(1)
	ds_write_b64 v1, v[2:3]
.LBB29_149:
	s_or_b64 exec, exec, s[0:1]
	s_waitcnt lgkmcnt(0)
	; wave barrier
	scratch_load_dwordx4 v[4:7], off, off offset:184
	scratch_load_dwordx4 v[8:11], off, off offset:200
	;; [unrolled: 1-line block ×3, first 2 shown]
	scratch_load_dwordx2 v[28:29], off, off offset:232
	scratch_load_dwordx2 v[30:31], off, off offset:176
	v_mov_b32_e32 v2, 0
	ds_read2_b64 v[16:19], v2 offset0:53 offset1:54
	ds_read2_b64 v[20:23], v2 offset0:55 offset1:56
	;; [unrolled: 1-line block ×3, first 2 shown]
	ds_read_b64 v[32:33], v2 offset:472
	v_cmp_lt_u32_e32 vcc, 21, v0
	s_waitcnt vmcnt(4) lgkmcnt(3)
	v_pk_mul_f32 v[34:35], v[16:17], v[4:5] op_sel:[1,1] op_sel_hi:[0,1]
	v_mov_b32_e32 v36, v7
	v_pk_fma_f32 v[108:109], v[16:17], v[4:5], v[34:35] neg_lo:[0,0,1] neg_hi:[0,0,1]
	v_pk_fma_f32 v[4:5], v[16:17], v[4:5], v[34:35] op_sel_hi:[1,0,1]
	v_pk_mul_f32 v[16:17], v[18:19], v[36:37] op_sel:[1,0] op_sel_hi:[0,0]
	s_waitcnt vmcnt(3) lgkmcnt(2)
	v_pk_mul_f32 v[98:99], v[20:21], v[8:9] op_sel:[1,1] op_sel_hi:[0,1]
	v_mov_b32_e32 v100, v11
	v_mov_b32_e32 v109, v5
	v_pk_fma_f32 v[4:5], v[18:19], v[6:7], v[16:17] neg_lo:[0,0,1] neg_hi:[0,0,1]
	v_pk_fma_f32 v[6:7], v[18:19], v[6:7], v[16:17] op_sel_hi:[1,0,1]
	v_pk_fma_f32 v[34:35], v[20:21], v[8:9], v[98:99] neg_lo:[0,0,1] neg_hi:[0,0,1]
	v_pk_fma_f32 v[8:9], v[20:21], v[8:9], v[98:99] op_sel_hi:[1,0,1]
	v_pk_mul_f32 v[20:21], v[22:23], v[100:101] op_sel:[1,0] op_sel_hi:[0,0]
	v_pk_add_f32 v[16:17], v[108:109], 0 op_sel_hi:[1,0]
	v_mov_b32_e32 v5, v7
	s_waitcnt vmcnt(2) lgkmcnt(1)
	v_pk_mul_f32 v[102:103], v[24:25], v[12:13] op_sel:[1,1] op_sel_hi:[0,1]
	v_mov_b32_e32 v104, v15
	v_mov_b32_e32 v35, v9
	v_pk_fma_f32 v[8:9], v[22:23], v[10:11], v[20:21] neg_lo:[0,0,1] neg_hi:[0,0,1]
	v_pk_fma_f32 v[10:11], v[22:23], v[10:11], v[20:21] op_sel_hi:[1,0,1]
	v_pk_add_f32 v[4:5], v[16:17], v[4:5]
	v_pk_fma_f32 v[36:37], v[24:25], v[12:13], v[102:103] neg_lo:[0,0,1] neg_hi:[0,0,1]
	v_pk_fma_f32 v[12:13], v[24:25], v[12:13], v[102:103] op_sel_hi:[1,0,1]
	v_pk_mul_f32 v[24:25], v[26:27], v[104:105] op_sel:[1,0] op_sel_hi:[0,0]
	v_mov_b32_e32 v9, v11
	v_pk_add_f32 v[4:5], v[4:5], v[34:35]
	s_waitcnt vmcnt(1) lgkmcnt(0)
	v_pk_mul_f32 v[106:107], v[32:33], v[28:29] op_sel:[1,1] op_sel_hi:[0,1]
	v_mov_b32_e32 v37, v13
	v_pk_fma_f32 v[12:13], v[26:27], v[14:15], v[24:25] neg_lo:[0,0,1] neg_hi:[0,0,1]
	v_pk_fma_f32 v[14:15], v[26:27], v[14:15], v[24:25] op_sel_hi:[1,0,1]
	v_pk_add_f32 v[4:5], v[4:5], v[8:9]
	v_pk_fma_f32 v[98:99], v[32:33], v[28:29], v[106:107] neg_lo:[0,0,1] neg_hi:[0,0,1]
	v_pk_fma_f32 v[28:29], v[32:33], v[28:29], v[106:107] op_sel_hi:[1,0,1]
	v_mov_b32_e32 v13, v15
	v_pk_add_f32 v[4:5], v[4:5], v[36:37]
	v_mov_b32_e32 v99, v29
	v_pk_add_f32 v[4:5], v[4:5], v[12:13]
	s_nop 0
	v_pk_add_f32 v[4:5], v[4:5], v[98:99]
	s_waitcnt vmcnt(0)
	v_pk_add_f32 v[4:5], v[30:31], v[4:5] neg_lo:[0,1] neg_hi:[0,1]
	scratch_store_dwordx2 off, v[4:5], off offset:176
	s_and_saveexec_b64 s[0:1], vcc
	s_cbranch_execz .LBB29_151
; %bb.150:
	scratch_load_dwordx2 v[4:5], off, off offset:168
	v_mov_b32_e32 v3, v2
	scratch_store_dwordx2 off, v[2:3], off offset:168
	s_waitcnt vmcnt(1)
	ds_write_b64 v1, v[4:5]
.LBB29_151:
	s_or_b64 exec, exec, s[0:1]
	s_waitcnt lgkmcnt(0)
	; wave barrier
	scratch_load_dwordx4 v[4:7], off, off offset:176
	scratch_load_dwordx4 v[8:11], off, off offset:192
	;; [unrolled: 1-line block ×4, first 2 shown]
	scratch_load_dwordx2 v[36:37], off, off offset:168
	ds_read_b128 v[20:23], v2 offset:416
	ds_read_b128 v[24:27], v2 offset:432
	;; [unrolled: 1-line block ×4, first 2 shown]
	v_cmp_lt_u32_e32 vcc, 20, v0
	s_waitcnt vmcnt(4) lgkmcnt(3)
	v_pk_mul_f32 v[2:3], v[20:21], v[4:5] op_sel:[1,1] op_sel_hi:[0,1]
	v_mov_b32_e32 v98, v7
	s_waitcnt vmcnt(3) lgkmcnt(2)
	v_pk_mul_f32 v[100:101], v[24:25], v[8:9] op_sel:[1,1] op_sel_hi:[0,1]
	v_mov_b32_e32 v102, v11
	;; [unrolled: 3-line block ×4, first 2 shown]
	v_pk_fma_f32 v[112:113], v[20:21], v[4:5], v[2:3] neg_lo:[0,0,1] neg_hi:[0,0,1]
	v_pk_fma_f32 v[2:3], v[20:21], v[4:5], v[2:3] op_sel_hi:[1,0,1]
	v_pk_mul_f32 v[4:5], v[22:23], v[98:99] op_sel:[1,0] op_sel_hi:[0,0]
	v_pk_fma_f32 v[20:21], v[24:25], v[8:9], v[100:101] neg_lo:[0,0,1] neg_hi:[0,0,1]
	v_pk_fma_f32 v[8:9], v[24:25], v[8:9], v[100:101] op_sel_hi:[1,0,1]
	v_pk_mul_f32 v[24:25], v[26:27], v[102:103] op_sel:[1,0] op_sel_hi:[0,0]
	;; [unrolled: 3-line block ×4, first 2 shown]
	v_mov_b32_e32 v113, v3
	v_pk_fma_f32 v[2:3], v[22:23], v[6:7], v[4:5] neg_lo:[0,0,1] neg_hi:[0,0,1]
	v_pk_fma_f32 v[4:5], v[22:23], v[6:7], v[4:5] op_sel_hi:[1,0,1]
	v_mov_b32_e32 v21, v9
	v_pk_fma_f32 v[6:7], v[26:27], v[10:11], v[24:25] neg_lo:[0,0,1] neg_hi:[0,0,1]
	v_pk_fma_f32 v[8:9], v[26:27], v[10:11], v[24:25] op_sel_hi:[1,0,1]
	;; [unrolled: 3-line block ×4, first 2 shown]
	v_pk_add_f32 v[18:19], v[112:113], 0 op_sel_hi:[1,0]
	v_mov_b32_e32 v3, v5
	v_pk_add_f32 v[2:3], v[18:19], v[2:3]
	v_mov_b32_e32 v7, v9
	v_pk_add_f32 v[2:3], v[2:3], v[20:21]
	;; [unrolled: 2-line block ×4, first 2 shown]
	s_nop 0
	v_pk_add_f32 v[2:3], v[2:3], v[10:11]
	s_nop 0
	v_pk_add_f32 v[2:3], v[2:3], v[100:101]
	;; [unrolled: 2-line block ×3, first 2 shown]
	s_waitcnt vmcnt(0)
	v_pk_add_f32 v[2:3], v[36:37], v[2:3] neg_lo:[0,1] neg_hi:[0,1]
	scratch_store_dwordx2 off, v[2:3], off offset:168
	s_and_saveexec_b64 s[0:1], vcc
	s_cbranch_execz .LBB29_153
; %bb.152:
	scratch_load_dwordx2 v[2:3], off, off offset:160
	v_mov_b32_e32 v4, 0
	v_mov_b32_e32 v5, v4
	scratch_store_dwordx2 off, v[4:5], off offset:160
	s_waitcnt vmcnt(1)
	ds_write_b64 v1, v[2:3]
.LBB29_153:
	s_or_b64 exec, exec, s[0:1]
	s_waitcnt lgkmcnt(0)
	; wave barrier
	scratch_load_dwordx4 v[4:7], off, off offset:168
	scratch_load_dwordx4 v[8:11], off, off offset:184
	;; [unrolled: 1-line block ×4, first 2 shown]
	scratch_load_dwordx2 v[36:37], off, off offset:232
	scratch_load_dwordx2 v[98:99], off, off offset:160
	v_mov_b32_e32 v2, 0
	ds_read2_b64 v[20:23], v2 offset0:51 offset1:52
	ds_read2_b64 v[24:27], v2 offset0:53 offset1:54
	;; [unrolled: 1-line block ×4, first 2 shown]
	ds_read_b64 v[100:101], v2 offset:472
	v_cmp_lt_u32_e32 vcc, 19, v0
	s_waitcnt vmcnt(5) lgkmcnt(4)
	v_mul_f32_e32 v103, v20, v5
	v_mul_f32_e32 v3, v21, v5
	v_mov_b32_e32 v104, v7
	s_waitcnt vmcnt(4) lgkmcnt(3)
	v_pk_mul_f32 v[106:107], v[24:25], v[8:9] op_sel:[1,1] op_sel_hi:[0,1]
	v_mov_b32_e32 v108, v11
	s_waitcnt vmcnt(1) lgkmcnt(0)
	v_pk_mul_f32 v[118:119], v[100:101], v[36:37] op_sel:[1,1] op_sel_hi:[0,1]
	v_fmac_f32_e32 v103, v21, v4
	v_fma_f32 v102, v20, v4, -v3
	v_pk_mul_f32 v[4:5], v[22:23], v[104:105] op_sel:[1,0] op_sel_hi:[0,0]
	v_pk_fma_f32 v[20:21], v[24:25], v[8:9], v[106:107] neg_lo:[0,0,1] neg_hi:[0,0,1]
	v_pk_fma_f32 v[8:9], v[24:25], v[8:9], v[106:107] op_sel_hi:[1,0,1]
	v_pk_mul_f32 v[24:25], v[26:27], v[108:109] op_sel:[1,0] op_sel_hi:[0,0]
	v_pk_fma_f32 v[108:109], v[100:101], v[36:37], v[118:119] neg_lo:[0,0,1] neg_hi:[0,0,1]
	v_pk_fma_f32 v[36:37], v[100:101], v[36:37], v[118:119] op_sel_hi:[1,0,1]
	v_pk_add_f32 v[100:101], v[102:103], 0 op_sel_hi:[1,0]
	v_pk_fma_f32 v[102:103], v[22:23], v[6:7], v[4:5] neg_lo:[0,0,1] neg_hi:[0,0,1]
	v_pk_fma_f32 v[4:5], v[22:23], v[6:7], v[4:5] op_sel_hi:[1,0,1]
	v_pk_mul_f32 v[110:111], v[28:29], v[12:13] op_sel:[1,1] op_sel_hi:[0,1]
	v_mov_b32_e32 v103, v5
	v_mov_b32_e32 v112, v15
	;; [unrolled: 1-line block ×3, first 2 shown]
	v_pk_fma_f32 v[6:7], v[26:27], v[10:11], v[24:25] neg_lo:[0,0,1] neg_hi:[0,0,1]
	v_pk_fma_f32 v[8:9], v[26:27], v[10:11], v[24:25] op_sel_hi:[1,0,1]
	v_pk_add_f32 v[4:5], v[100:101], v[102:103]
	v_pk_fma_f32 v[104:105], v[28:29], v[12:13], v[110:111] neg_lo:[0,0,1] neg_hi:[0,0,1]
	v_pk_fma_f32 v[12:13], v[28:29], v[12:13], v[110:111] op_sel_hi:[1,0,1]
	v_pk_mul_f32 v[28:29], v[30:31], v[112:113] op_sel:[1,0] op_sel_hi:[0,0]
	v_mov_b32_e32 v7, v9
	v_pk_add_f32 v[4:5], v[4:5], v[20:21]
	v_pk_mul_f32 v[114:115], v[32:33], v[16:17] op_sel:[1,1] op_sel_hi:[0,1]
	v_mov_b32_e32 v116, v19
	v_mov_b32_e32 v105, v13
	v_pk_fma_f32 v[10:11], v[30:31], v[14:15], v[28:29] neg_lo:[0,0,1] neg_hi:[0,0,1]
	v_pk_fma_f32 v[12:13], v[30:31], v[14:15], v[28:29] op_sel_hi:[1,0,1]
	v_pk_add_f32 v[4:5], v[4:5], v[6:7]
	v_pk_fma_f32 v[106:107], v[32:33], v[16:17], v[114:115] neg_lo:[0,0,1] neg_hi:[0,0,1]
	v_pk_fma_f32 v[16:17], v[32:33], v[16:17], v[114:115] op_sel_hi:[1,0,1]
	v_pk_mul_f32 v[32:33], v[34:35], v[116:117] op_sel:[1,0] op_sel_hi:[0,0]
	v_mov_b32_e32 v11, v13
	v_pk_add_f32 v[4:5], v[4:5], v[104:105]
	v_mov_b32_e32 v107, v17
	v_pk_fma_f32 v[14:15], v[34:35], v[18:19], v[32:33] neg_lo:[0,0,1] neg_hi:[0,0,1]
	v_pk_fma_f32 v[16:17], v[34:35], v[18:19], v[32:33] op_sel_hi:[1,0,1]
	v_pk_add_f32 v[4:5], v[4:5], v[10:11]
	v_mov_b32_e32 v15, v17
	v_pk_add_f32 v[4:5], v[4:5], v[106:107]
	v_mov_b32_e32 v109, v37
	v_pk_add_f32 v[4:5], v[4:5], v[14:15]
	s_nop 0
	v_pk_add_f32 v[4:5], v[4:5], v[108:109]
	s_waitcnt vmcnt(0)
	v_pk_add_f32 v[4:5], v[98:99], v[4:5] neg_lo:[0,1] neg_hi:[0,1]
	scratch_store_dwordx2 off, v[4:5], off offset:160
	s_and_saveexec_b64 s[0:1], vcc
	s_cbranch_execz .LBB29_155
; %bb.154:
	scratch_load_dwordx2 v[4:5], off, off offset:152
	v_mov_b32_e32 v3, v2
	scratch_store_dwordx2 off, v[2:3], off offset:152
	s_waitcnt vmcnt(1)
	ds_write_b64 v1, v[4:5]
.LBB29_155:
	s_or_b64 exec, exec, s[0:1]
	s_waitcnt lgkmcnt(0)
	; wave barrier
	scratch_load_dwordx4 v[4:7], off, off offset:160
	scratch_load_dwordx4 v[8:11], off, off offset:176
	;; [unrolled: 1-line block ×5, first 2 shown]
	scratch_load_dwordx2 v[36:37], off, off offset:152
	ds_read_b128 v[24:27], v2 offset:400
	ds_read_b128 v[28:31], v2 offset:416
	;; [unrolled: 1-line block ×5, first 2 shown]
	v_cmp_lt_u32_e32 vcc, 18, v0
	s_waitcnt vmcnt(5) lgkmcnt(4)
	v_mul_f32_e32 v3, v24, v5
	v_mul_f32_e32 v2, v25, v5
	;; [unrolled: 1-line block ×4, first 2 shown]
	s_waitcnt vmcnt(4) lgkmcnt(3)
	v_pk_mul_f32 v[108:109], v[28:29], v[8:9] op_sel:[1,1] op_sel_hi:[0,1]
	v_mov_b32_e32 v110, v11
	v_fmac_f32_e32 v3, v25, v4
	v_fma_f32 v2, v24, v4, -v2
	v_fmac_f32_e32 v107, v27, v6
	v_fma_f32 v106, v26, v6, -v5
	v_pk_fma_f32 v[4:5], v[28:29], v[8:9], v[108:109] neg_lo:[0,0,1] neg_hi:[0,0,1]
	v_pk_fma_f32 v[6:7], v[28:29], v[8:9], v[108:109] op_sel_hi:[1,0,1]
	v_pk_mul_f32 v[8:9], v[30:31], v[110:111] op_sel:[1,0] op_sel_hi:[0,0]
	v_pk_add_f32 v[2:3], v[2:3], 0 op_sel_hi:[1,0]
	s_waitcnt vmcnt(3) lgkmcnt(2)
	v_pk_mul_f32 v[112:113], v[32:33], v[12:13] op_sel:[1,1] op_sel_hi:[0,1]
	v_mov_b32_e32 v114, v15
	v_mov_b32_e32 v5, v7
	v_pk_fma_f32 v[6:7], v[30:31], v[10:11], v[8:9] neg_lo:[0,0,1] neg_hi:[0,0,1]
	v_pk_fma_f32 v[8:9], v[30:31], v[10:11], v[8:9] op_sel_hi:[1,0,1]
	v_pk_add_f32 v[2:3], v[2:3], v[106:107]
	v_pk_fma_f32 v[24:25], v[32:33], v[12:13], v[112:113] neg_lo:[0,0,1] neg_hi:[0,0,1]
	v_pk_fma_f32 v[12:13], v[32:33], v[12:13], v[112:113] op_sel_hi:[1,0,1]
	v_pk_mul_f32 v[26:27], v[34:35], v[114:115] op_sel:[1,0] op_sel_hi:[0,0]
	v_mov_b32_e32 v7, v9
	v_pk_add_f32 v[2:3], v[2:3], v[4:5]
	s_waitcnt vmcnt(2) lgkmcnt(1)
	v_pk_mul_f32 v[116:117], v[98:99], v[16:17] op_sel:[1,1] op_sel_hi:[0,1]
	v_mov_b32_e32 v118, v19
	v_mov_b32_e32 v25, v13
	v_pk_fma_f32 v[10:11], v[34:35], v[14:15], v[26:27] neg_lo:[0,0,1] neg_hi:[0,0,1]
	v_pk_fma_f32 v[12:13], v[34:35], v[14:15], v[26:27] op_sel_hi:[1,0,1]
	v_pk_add_f32 v[2:3], v[2:3], v[6:7]
	v_pk_fma_f32 v[28:29], v[98:99], v[16:17], v[116:117] neg_lo:[0,0,1] neg_hi:[0,0,1]
	v_pk_fma_f32 v[16:17], v[98:99], v[16:17], v[116:117] op_sel_hi:[1,0,1]
	v_pk_mul_f32 v[32:33], v[100:101], v[118:119] op_sel:[1,0] op_sel_hi:[0,0]
	v_mov_b32_e32 v11, v13
	v_pk_add_f32 v[2:3], v[2:3], v[24:25]
	;; [unrolled: 12-line block ×3, first 2 shown]
	v_mov_b32_e32 v99, v21
	v_pk_fma_f32 v[18:19], v[104:105], v[22:23], v[102:103] neg_lo:[0,0,1] neg_hi:[0,0,1]
	v_pk_fma_f32 v[20:21], v[104:105], v[22:23], v[102:103] op_sel_hi:[1,0,1]
	v_pk_add_f32 v[2:3], v[2:3], v[14:15]
	v_mov_b32_e32 v19, v21
	v_pk_add_f32 v[2:3], v[2:3], v[98:99]
	s_nop 0
	v_pk_add_f32 v[2:3], v[2:3], v[18:19]
	s_waitcnt vmcnt(0)
	v_pk_add_f32 v[2:3], v[36:37], v[2:3] neg_lo:[0,1] neg_hi:[0,1]
	scratch_store_dwordx2 off, v[2:3], off offset:152
	s_and_saveexec_b64 s[0:1], vcc
	s_cbranch_execz .LBB29_157
; %bb.156:
	scratch_load_dwordx2 v[2:3], off, off offset:144
	v_mov_b32_e32 v4, 0
	v_mov_b32_e32 v5, v4
	scratch_store_dwordx2 off, v[4:5], off offset:144
	s_waitcnt vmcnt(1)
	ds_write_b64 v1, v[2:3]
.LBB29_157:
	s_or_b64 exec, exec, s[0:1]
	s_waitcnt lgkmcnt(0)
	; wave barrier
	scratch_load_dwordx4 v[4:7], off, off offset:152
	scratch_load_dwordx4 v[8:11], off, off offset:168
	;; [unrolled: 1-line block ×5, first 2 shown]
	scratch_load_dwordx2 v[36:37], off, off offset:232
	scratch_load_dwordx2 v[106:107], off, off offset:144
	v_mov_b32_e32 v2, 0
	ds_read2_b64 v[24:27], v2 offset0:49 offset1:50
	ds_read2_b64 v[28:31], v2 offset0:51 offset1:52
	;; [unrolled: 1-line block ×5, first 2 shown]
	ds_read_b64 v[108:109], v2 offset:472
	v_cmp_lt_u32_e32 vcc, 17, v0
	s_waitcnt vmcnt(6) lgkmcnt(5)
	v_mul_f32_e32 v3, v24, v5
	v_mul_f32_e32 v5, v25, v5
	;; [unrolled: 1-line block ×3, first 2 shown]
	s_waitcnt vmcnt(5) lgkmcnt(4)
	v_mul_f32_e32 v113, v28, v9
	v_mul_f32_e32 v7, v27, v7
	;; [unrolled: 1-line block ×3, first 2 shown]
	v_mov_b32_e32 v114, v11
	s_waitcnt vmcnt(2) lgkmcnt(1)
	v_pk_mul_f32 v[124:125], v[102:103], v[20:21] op_sel:[1,1] op_sel_hi:[0,1]
	v_fmac_f32_e32 v3, v25, v4
	v_fma_f32 v115, v24, v4, -v5
	v_pk_mul_f32 v[120:121], v[98:99], v[16:17] op_sel:[1,1] op_sel_hi:[0,1]
	s_waitcnt vmcnt(1) lgkmcnt(0)
	v_pk_mul_f32 v[128:129], v[108:109], v[36:37] op_sel:[1,1] op_sel_hi:[0,1]
	v_fmac_f32_e32 v111, v27, v6
	v_fmac_f32_e32 v113, v29, v8
	v_fma_f32 v110, v26, v6, -v7
	v_fma_f32 v112, v28, v8, -v9
	v_pk_mul_f32 v[4:5], v[30:31], v[114:115] op_sel:[1,0] op_sel_hi:[0,0]
	v_pk_fma_f32 v[28:29], v[102:103], v[20:21], v[124:125] neg_lo:[0,0,1] neg_hi:[0,0,1]
	v_pk_fma_f32 v[20:21], v[102:103], v[20:21], v[124:125] op_sel_hi:[1,0,1]
	v_add_f32_e32 v103, 0, v3
	v_add_f32_e32 v102, 0, v115
	v_pk_mul_f32 v[116:117], v[32:33], v[12:13] op_sel:[1,1] op_sel_hi:[0,1]
	v_mov_b32_e32 v118, v15
	v_pk_fma_f32 v[24:25], v[98:99], v[16:17], v[120:121] neg_lo:[0,0,1] neg_hi:[0,0,1]
	v_pk_fma_f32 v[16:17], v[98:99], v[16:17], v[120:121] op_sel_hi:[1,0,1]
	v_pk_fma_f32 v[98:99], v[108:109], v[36:37], v[128:129] neg_lo:[0,0,1] neg_hi:[0,0,1]
	v_pk_fma_f32 v[36:37], v[108:109], v[36:37], v[128:129] op_sel_hi:[1,0,1]
	;; [unrolled: 2-line block ×3, first 2 shown]
	v_mov_b32_e32 v29, v21
	v_pk_add_f32 v[20:21], v[102:103], v[110:111]
	v_pk_fma_f32 v[6:7], v[32:33], v[12:13], v[116:117] neg_lo:[0,0,1] neg_hi:[0,0,1]
	v_pk_fma_f32 v[8:9], v[32:33], v[12:13], v[116:117] op_sel_hi:[1,0,1]
	v_pk_mul_f32 v[12:13], v[34:35], v[118:119] op_sel:[1,0] op_sel_hi:[0,0]
	v_mov_b32_e32 v109, v5
	v_pk_add_f32 v[4:5], v[20:21], v[112:113]
	v_mov_b32_e32 v122, v19
	v_mov_b32_e32 v7, v9
	v_pk_fma_f32 v[8:9], v[34:35], v[14:15], v[12:13] neg_lo:[0,0,1] neg_hi:[0,0,1]
	v_pk_fma_f32 v[10:11], v[34:35], v[14:15], v[12:13] op_sel_hi:[1,0,1]
	v_pk_add_f32 v[4:5], v[4:5], v[108:109]
	v_pk_mul_f32 v[26:27], v[100:101], v[122:123] op_sel:[1,0] op_sel_hi:[0,0]
	v_mov_b32_e32 v9, v11
	v_pk_add_f32 v[4:5], v[4:5], v[6:7]
	v_mov_b32_e32 v126, v23
	v_mov_b32_e32 v25, v17
	v_pk_fma_f32 v[12:13], v[100:101], v[18:19], v[26:27] neg_lo:[0,0,1] neg_hi:[0,0,1]
	v_pk_fma_f32 v[14:15], v[100:101], v[18:19], v[26:27] op_sel_hi:[1,0,1]
	v_pk_add_f32 v[4:5], v[4:5], v[8:9]
	v_pk_mul_f32 v[32:33], v[104:105], v[126:127] op_sel:[1,0] op_sel_hi:[0,0]
	v_mov_b32_e32 v13, v15
	v_pk_add_f32 v[4:5], v[4:5], v[24:25]
	v_pk_fma_f32 v[16:17], v[104:105], v[22:23], v[32:33] neg_lo:[0,0,1] neg_hi:[0,0,1]
	v_pk_fma_f32 v[18:19], v[104:105], v[22:23], v[32:33] op_sel_hi:[1,0,1]
	v_pk_add_f32 v[4:5], v[4:5], v[12:13]
	v_mov_b32_e32 v17, v19
	v_pk_add_f32 v[4:5], v[4:5], v[28:29]
	v_mov_b32_e32 v99, v37
	v_pk_add_f32 v[4:5], v[4:5], v[16:17]
	s_nop 0
	v_pk_add_f32 v[4:5], v[4:5], v[98:99]
	s_waitcnt vmcnt(0)
	v_pk_add_f32 v[4:5], v[106:107], v[4:5] neg_lo:[0,1] neg_hi:[0,1]
	scratch_store_dwordx2 off, v[4:5], off offset:144
	s_and_saveexec_b64 s[0:1], vcc
	s_cbranch_execz .LBB29_159
; %bb.158:
	scratch_load_dwordx2 v[4:5], off, off offset:136
	v_mov_b32_e32 v3, v2
	scratch_store_dwordx2 off, v[2:3], off offset:136
	s_waitcnt vmcnt(1)
	ds_write_b64 v1, v[4:5]
.LBB29_159:
	s_or_b64 exec, exec, s[0:1]
	s_waitcnt lgkmcnt(0)
	; wave barrier
	scratch_load_dwordx4 v[4:7], off, off offset:144
	scratch_load_dwordx4 v[8:11], off, off offset:160
	;; [unrolled: 1-line block ×6, first 2 shown]
	scratch_load_dwordx2 v[36:37], off, off offset:136
	ds_read_b128 v[28:31], v2 offset:384
	ds_read_b128 v[32:35], v2 offset:400
	;; [unrolled: 1-line block ×6, first 2 shown]
	v_cmp_lt_u32_e32 vcc, 16, v0
	s_waitcnt vmcnt(6) lgkmcnt(5)
	v_mul_f32_e32 v119, v28, v5
	v_mul_f32_e32 v123, v30, v7
	s_waitcnt vmcnt(5) lgkmcnt(4)
	v_mul_f32_e32 v3, v32, v9
	v_mul_f32_e32 v2, v29, v5
	v_mul_f32_e32 v5, v31, v7
	v_mul_f32_e32 v7, v33, v9
	s_waitcnt vmcnt(1) lgkmcnt(0)
	v_pk_mul_f32 v[128:129], v[110:111], v[24:25] op_sel:[1,1] op_sel_hi:[0,1]
	v_pk_mul_f32 v[116:117], v[98:99], v[12:13] op_sel:[1,1] op_sel_hi:[0,1]
	v_fmac_f32_e32 v119, v29, v4
	v_fmac_f32_e32 v3, v33, v8
	v_fma_f32 v127, v28, v4, -v2
	v_fma_f32 v2, v32, v8, -v7
	v_pk_fma_f32 v[32:33], v[110:111], v[24:25], v[128:129] neg_lo:[0,0,1] neg_hi:[0,0,1]
	v_pk_fma_f32 v[24:25], v[110:111], v[24:25], v[128:129] op_sel_hi:[1,0,1]
	v_fmac_f32_e32 v123, v31, v6
	v_fma_f32 v131, v30, v6, -v5
	v_pk_fma_f32 v[4:5], v[98:99], v[12:13], v[116:117] neg_lo:[0,0,1] neg_hi:[0,0,1]
	v_pk_fma_f32 v[6:7], v[98:99], v[12:13], v[116:117] op_sel_hi:[1,0,1]
	v_add_f32_e32 v24, 0, v119
	v_add_f32_e32 v98, 0, v127
	v_mul_f32_e32 v115, v34, v11
	v_mul_f32_e32 v9, v35, v11
	v_mov_b32_e32 v118, v15
	v_mov_b32_e32 v33, v25
	v_add_f32_e32 v25, v24, v123
	v_add_f32_e32 v24, v98, v131
	v_fmac_f32_e32 v115, v35, v10
	v_fma_f32 v114, v34, v10, -v9
	v_pk_mul_f32 v[8:9], v[100:101], v[118:119] op_sel:[1,0] op_sel_hi:[0,0]
	v_pk_add_f32 v[2:3], v[24:25], v[2:3]
	v_pk_mul_f32 v[120:121], v[102:103], v[16:17] op_sel:[1,1] op_sel_hi:[0,1]
	v_mov_b32_e32 v122, v19
	v_mov_b32_e32 v5, v7
	v_pk_fma_f32 v[6:7], v[100:101], v[14:15], v[8:9] neg_lo:[0,0,1] neg_hi:[0,0,1]
	v_pk_fma_f32 v[8:9], v[100:101], v[14:15], v[8:9] op_sel_hi:[1,0,1]
	v_pk_add_f32 v[2:3], v[2:3], v[114:115]
	v_pk_fma_f32 v[10:11], v[102:103], v[16:17], v[120:121] neg_lo:[0,0,1] neg_hi:[0,0,1]
	v_pk_fma_f32 v[12:13], v[102:103], v[16:17], v[120:121] op_sel_hi:[1,0,1]
	v_pk_mul_f32 v[16:17], v[104:105], v[122:123] op_sel:[1,0] op_sel_hi:[0,0]
	v_mov_b32_e32 v7, v9
	v_pk_add_f32 v[2:3], v[2:3], v[4:5]
	v_pk_mul_f32 v[124:125], v[106:107], v[20:21] op_sel:[1,1] op_sel_hi:[0,1]
	v_mov_b32_e32 v126, v23
	v_mov_b32_e32 v11, v13
	v_pk_fma_f32 v[12:13], v[104:105], v[18:19], v[16:17] neg_lo:[0,0,1] neg_hi:[0,0,1]
	v_pk_fma_f32 v[14:15], v[104:105], v[18:19], v[16:17] op_sel_hi:[1,0,1]
	v_pk_add_f32 v[2:3], v[2:3], v[6:7]
	v_pk_fma_f32 v[28:29], v[106:107], v[20:21], v[124:125] neg_lo:[0,0,1] neg_hi:[0,0,1]
	v_pk_fma_f32 v[20:21], v[106:107], v[20:21], v[124:125] op_sel_hi:[1,0,1]
	v_pk_mul_f32 v[30:31], v[108:109], v[126:127] op_sel:[1,0] op_sel_hi:[0,0]
	v_mov_b32_e32 v13, v15
	v_pk_add_f32 v[2:3], v[2:3], v[10:11]
	v_mov_b32_e32 v130, v27
	v_mov_b32_e32 v29, v21
	v_pk_fma_f32 v[16:17], v[108:109], v[22:23], v[30:31] neg_lo:[0,0,1] neg_hi:[0,0,1]
	v_pk_fma_f32 v[18:19], v[108:109], v[22:23], v[30:31] op_sel_hi:[1,0,1]
	v_pk_add_f32 v[2:3], v[2:3], v[12:13]
	v_pk_mul_f32 v[34:35], v[112:113], v[130:131] op_sel:[1,0] op_sel_hi:[0,0]
	v_mov_b32_e32 v17, v19
	v_pk_add_f32 v[2:3], v[2:3], v[28:29]
	v_pk_fma_f32 v[20:21], v[112:113], v[26:27], v[34:35] neg_lo:[0,0,1] neg_hi:[0,0,1]
	v_pk_fma_f32 v[22:23], v[112:113], v[26:27], v[34:35] op_sel_hi:[1,0,1]
	v_pk_add_f32 v[2:3], v[2:3], v[16:17]
	v_mov_b32_e32 v21, v23
	v_pk_add_f32 v[2:3], v[2:3], v[32:33]
	s_nop 0
	v_pk_add_f32 v[2:3], v[2:3], v[20:21]
	s_waitcnt vmcnt(0)
	v_pk_add_f32 v[2:3], v[36:37], v[2:3] neg_lo:[0,1] neg_hi:[0,1]
	scratch_store_dwordx2 off, v[2:3], off offset:136
	s_and_saveexec_b64 s[0:1], vcc
	s_cbranch_execz .LBB29_161
; %bb.160:
	scratch_load_dwordx2 v[2:3], off, off offset:128
	v_mov_b32_e32 v4, 0
	v_mov_b32_e32 v5, v4
	scratch_store_dwordx2 off, v[4:5], off offset:128
	s_waitcnt vmcnt(1)
	ds_write_b64 v1, v[2:3]
.LBB29_161:
	s_or_b64 exec, exec, s[0:1]
	s_waitcnt lgkmcnt(0)
	; wave barrier
	scratch_load_dwordx4 v[8:11], off, off offset:136
	scratch_load_dwordx4 v[16:19], off, off offset:152
	v_mov_b32_e32 v2, 0
	ds_read2_b64 v[4:7], v2 offset0:47 offset1:48
	scratch_load_dwordx4 v[24:27], off, off offset:168
	v_cmp_lt_u32_e32 vcc, 15, v0
	s_waitcnt vmcnt(2) lgkmcnt(0)
	v_mul_f32_e32 v3, v4, v9
	v_fmac_f32_e32 v3, v5, v8
	v_mul_f32_e32 v12, v6, v11
	v_add_f32_e32 v3, 0, v3
	v_fmac_f32_e32 v12, v7, v10
	v_add_f32_e32 v3, v3, v12
	ds_read2_b64 v[12:15], v2 offset0:49 offset1:50
	s_waitcnt vmcnt(1) lgkmcnt(0)
	v_mul_f32_e32 v20, v12, v17
	v_fmac_f32_e32 v20, v13, v16
	v_add_f32_e32 v37, v3, v20
	ds_read2_b64 v[20:23], v2 offset0:51 offset1:52
	scratch_load_dwordx4 v[28:31], off, off offset:184
	scratch_load_dwordx4 v[32:35], off, off offset:200
	;; [unrolled: 1-line block ×3, first 2 shown]
	scratch_load_dwordx2 v[106:107], off, off offset:232
	v_mul_f32_e32 v3, v5, v9
	v_fma_f32 v3, v4, v8, -v3
	v_mul_f32_e32 v4, v7, v11
	v_add_f32_e32 v3, 0, v3
	v_fma_f32 v4, v6, v10, -v4
	v_add_f32_e32 v3, v3, v4
	v_mul_f32_e32 v4, v13, v17
	v_fma_f32 v4, v12, v16, -v4
	v_add_f32_e32 v36, v3, v4
	v_mul_f32_e32 v3, v15, v19
	v_fma_f32 v102, v14, v18, -v3
	s_waitcnt vmcnt(4) lgkmcnt(0)
	v_mul_f32_e32 v3, v21, v25
	v_mul_f32_e32 v103, v14, v19
	v_mul_f32_e32 v105, v20, v25
	v_fma_f32 v104, v20, v24, -v3
	v_mov_b32_e32 v20, v27
	v_fmac_f32_e32 v103, v15, v18
	v_fmac_f32_e32 v105, v21, v24
	ds_read2_b64 v[4:7], v2 offset0:53 offset1:54
	ds_read2_b64 v[8:11], v2 offset0:55 offset1:56
	;; [unrolled: 1-line block ×3, first 2 shown]
	ds_read_b64 v[16:17], v2 offset:472
	v_pk_mul_f32 v[20:21], v[22:23], v[20:21] op_sel:[1,0] op_sel_hi:[0,0]
	v_pk_fma_f32 v[24:25], v[22:23], v[26:27], v[20:21] neg_lo:[0,0,1] neg_hi:[0,0,1]
	v_pk_fma_f32 v[20:21], v[22:23], v[26:27], v[20:21] op_sel_hi:[1,0,1]
	v_pk_add_f32 v[18:19], v[36:37], v[102:103]
	v_mov_b32_e32 v25, v21
	v_pk_add_f32 v[18:19], v[18:19], v[104:105]
	s_waitcnt vmcnt(3) lgkmcnt(3)
	v_pk_mul_f32 v[20:21], v[4:5], v[28:29] op_sel:[1,1] op_sel_hi:[0,1]
	v_pk_fma_f32 v[22:23], v[4:5], v[28:29], v[20:21] neg_lo:[0,0,1] neg_hi:[0,0,1]
	v_pk_fma_f32 v[4:5], v[4:5], v[28:29], v[20:21] op_sel_hi:[1,0,1]
	v_pk_add_f32 v[18:19], v[18:19], v[24:25]
	v_mov_b32_e32 v23, v5
	v_pk_add_f32 v[4:5], v[18:19], v[22:23]
	v_mov_b32_e32 v18, v31
	v_pk_mul_f32 v[18:19], v[6:7], v[18:19] op_sel:[1,0] op_sel_hi:[0,0]
	v_pk_fma_f32 v[20:21], v[6:7], v[30:31], v[18:19] neg_lo:[0,0,1] neg_hi:[0,0,1]
	v_pk_fma_f32 v[6:7], v[6:7], v[30:31], v[18:19] op_sel_hi:[1,0,1]
	s_nop 0
	v_mov_b32_e32 v21, v7
	s_waitcnt vmcnt(2) lgkmcnt(2)
	v_pk_mul_f32 v[6:7], v[8:9], v[32:33] op_sel:[1,1] op_sel_hi:[0,1]
	v_pk_fma_f32 v[18:19], v[8:9], v[32:33], v[6:7] neg_lo:[0,0,1] neg_hi:[0,0,1]
	v_pk_fma_f32 v[6:7], v[8:9], v[32:33], v[6:7] op_sel_hi:[1,0,1]
	v_pk_add_f32 v[4:5], v[4:5], v[20:21]
	v_mov_b32_e32 v6, v35
	v_mov_b32_e32 v19, v7
	v_pk_mul_f32 v[6:7], v[10:11], v[6:7] op_sel:[1,0] op_sel_hi:[0,0]
	v_pk_fma_f32 v[8:9], v[10:11], v[34:35], v[6:7] neg_lo:[0,0,1] neg_hi:[0,0,1]
	v_pk_fma_f32 v[6:7], v[10:11], v[34:35], v[6:7] op_sel_hi:[1,0,1]
	v_pk_add_f32 v[4:5], v[4:5], v[18:19]
	v_mov_b32_e32 v9, v7
	s_waitcnt vmcnt(1) lgkmcnt(1)
	v_pk_mul_f32 v[6:7], v[12:13], v[98:99] op_sel:[1,1] op_sel_hi:[0,1]
	v_pk_add_f32 v[4:5], v[4:5], v[8:9]
	v_pk_fma_f32 v[8:9], v[12:13], v[98:99], v[6:7] neg_lo:[0,0,1] neg_hi:[0,0,1]
	v_pk_fma_f32 v[6:7], v[12:13], v[98:99], v[6:7] op_sel_hi:[1,0,1]
	s_nop 0
	v_mov_b32_e32 v6, v101
	v_mov_b32_e32 v9, v7
	v_pk_mul_f32 v[6:7], v[14:15], v[6:7] op_sel:[1,0] op_sel_hi:[0,0]
	v_pk_add_f32 v[4:5], v[4:5], v[8:9]
	v_pk_fma_f32 v[8:9], v[14:15], v[100:101], v[6:7] neg_lo:[0,0,1] neg_hi:[0,0,1]
	v_pk_fma_f32 v[6:7], v[14:15], v[100:101], v[6:7] op_sel_hi:[1,0,1]
	s_nop 0
	v_mov_b32_e32 v9, v7
	s_waitcnt vmcnt(0) lgkmcnt(0)
	v_pk_mul_f32 v[6:7], v[16:17], v[106:107] op_sel:[1,1] op_sel_hi:[0,1]
	v_pk_add_f32 v[4:5], v[4:5], v[8:9]
	v_pk_fma_f32 v[8:9], v[16:17], v[106:107], v[6:7] neg_lo:[0,0,1] neg_hi:[0,0,1]
	v_pk_fma_f32 v[6:7], v[16:17], v[106:107], v[6:7] op_sel_hi:[1,0,1]
	s_nop 0
	v_mov_b32_e32 v9, v7
	scratch_load_dwordx2 v[6:7], off, off offset:128
	v_pk_add_f32 v[4:5], v[4:5], v[8:9]
	s_waitcnt vmcnt(0)
	v_pk_add_f32 v[4:5], v[6:7], v[4:5] neg_lo:[0,1] neg_hi:[0,1]
	scratch_store_dwordx2 off, v[4:5], off offset:128
	s_and_saveexec_b64 s[0:1], vcc
	s_cbranch_execz .LBB29_163
; %bb.162:
	scratch_load_dwordx2 v[4:5], off, off offset:120
	v_mov_b32_e32 v3, v2
	scratch_store_dwordx2 off, v[2:3], off offset:120
	s_waitcnt vmcnt(1)
	ds_write_b64 v1, v[4:5]
.LBB29_163:
	s_or_b64 exec, exec, s[0:1]
	s_waitcnt lgkmcnt(0)
	; wave barrier
	ds_read_b128 v[4:7], v2 offset:368
	ds_read_b128 v[8:11], v2 offset:384
	;; [unrolled: 1-line block ×4, first 2 shown]
	scratch_load_dwordx4 v[20:23], off, off offset:128
	v_cmp_lt_u32_e32 vcc, 14, v0
	s_waitcnt vmcnt(0) lgkmcnt(3)
	v_mul_f32_e32 v3, v4, v21
	v_fmac_f32_e32 v3, v5, v20
	v_mul_f32_e32 v24, v6, v23
	v_add_f32_e32 v3, 0, v3
	v_fmac_f32_e32 v24, v7, v22
	v_add_f32_e32 v3, v3, v24
	scratch_load_dwordx4 v[24:27], off, off offset:144
	s_waitcnt vmcnt(0) lgkmcnt(2)
	v_mul_f32_e32 v28, v8, v25
	v_fmac_f32_e32 v28, v9, v24
	v_add_f32_e32 v3, v3, v28
	v_mul_f32_e32 v28, v10, v27
	v_fmac_f32_e32 v28, v11, v26
	v_add_f32_e32 v37, v3, v28
	scratch_load_dwordx4 v[28:31], off, off offset:160
	scratch_load_dwordx4 v[32:35], off, off offset:176
	;; [unrolled: 1-line block ×5, first 2 shown]
	v_mul_f32_e32 v3, v5, v21
	v_fma_f32 v3, v4, v20, -v3
	v_mul_f32_e32 v4, v7, v23
	v_add_f32_e32 v3, 0, v3
	v_fma_f32 v4, v6, v22, -v4
	v_add_f32_e32 v3, v3, v4
	v_mul_f32_e32 v4, v9, v25
	v_fma_f32 v4, v8, v24, -v4
	v_add_f32_e32 v3, v3, v4
	v_mul_f32_e32 v4, v11, v27
	v_fma_f32 v4, v10, v26, -v4
	v_add_f32_e32 v36, v3, v4
	s_waitcnt vmcnt(3) lgkmcnt(0)
	v_pk_mul_f32 v[20:21], v[16:17], v[32:33] op_sel:[1,1] op_sel_hi:[0,1]
	v_pk_fma_f32 v[22:23], v[16:17], v[32:33], v[20:21] neg_lo:[0,0,1] neg_hi:[0,0,1]
	v_mul_f32_e32 v3, v13, v29
	v_mul_f32_e32 v111, v12, v29
	;; [unrolled: 1-line block ×3, first 2 shown]
	v_fma_f32 v110, v12, v28, -v3
	v_mul_f32_e32 v3, v15, v31
	v_pk_fma_f32 v[16:17], v[16:17], v[32:33], v[20:21] op_sel_hi:[1,0,1]
	v_fmac_f32_e32 v111, v13, v28
	v_fmac_f32_e32 v113, v15, v30
	v_fma_f32 v112, v14, v30, -v3
	ds_read_b128 v[4:7], v2 offset:432
	ds_read_b128 v[8:11], v2 offset:448
	;; [unrolled: 1-line block ×3, first 2 shown]
	v_mov_b32_e32 v16, v35
	v_mov_b32_e32 v23, v17
	v_pk_mul_f32 v[16:17], v[18:19], v[16:17] op_sel:[1,0] op_sel_hi:[0,0]
	v_pk_fma_f32 v[20:21], v[18:19], v[34:35], v[16:17] neg_lo:[0,0,1] neg_hi:[0,0,1]
	v_pk_fma_f32 v[16:17], v[18:19], v[34:35], v[16:17] op_sel_hi:[1,0,1]
	v_pk_add_f32 v[2:3], v[36:37], v[110:111]
	v_mov_b32_e32 v21, v17
	s_waitcnt vmcnt(2) lgkmcnt(2)
	v_pk_mul_f32 v[16:17], v[4:5], v[98:99] op_sel:[1,1] op_sel_hi:[0,1]
	v_pk_fma_f32 v[18:19], v[4:5], v[98:99], v[16:17] neg_lo:[0,0,1] neg_hi:[0,0,1]
	v_pk_fma_f32 v[4:5], v[4:5], v[98:99], v[16:17] op_sel_hi:[1,0,1]
	v_pk_add_f32 v[2:3], v[2:3], v[112:113]
	v_mov_b32_e32 v4, v101
	v_mov_b32_e32 v19, v5
	v_pk_mul_f32 v[4:5], v[6:7], v[4:5] op_sel:[1,0] op_sel_hi:[0,0]
	v_pk_fma_f32 v[16:17], v[6:7], v[100:101], v[4:5] neg_lo:[0,0,1] neg_hi:[0,0,1]
	v_pk_fma_f32 v[4:5], v[6:7], v[100:101], v[4:5] op_sel_hi:[1,0,1]
	v_pk_add_f32 v[2:3], v[2:3], v[22:23]
	v_mov_b32_e32 v17, v5
	s_waitcnt vmcnt(1) lgkmcnt(1)
	v_pk_mul_f32 v[4:5], v[8:9], v[102:103] op_sel:[1,1] op_sel_hi:[0,1]
	v_pk_add_f32 v[2:3], v[2:3], v[20:21]
	v_pk_fma_f32 v[6:7], v[8:9], v[102:103], v[4:5] neg_lo:[0,0,1] neg_hi:[0,0,1]
	v_pk_fma_f32 v[4:5], v[8:9], v[102:103], v[4:5] op_sel_hi:[1,0,1]
	v_pk_add_f32 v[2:3], v[2:3], v[18:19]
	v_mov_b32_e32 v4, v105
	v_pk_add_f32 v[2:3], v[2:3], v[16:17]
	v_mov_b32_e32 v7, v5
	v_pk_mul_f32 v[4:5], v[10:11], v[4:5] op_sel:[1,0] op_sel_hi:[0,0]
	v_pk_add_f32 v[2:3], v[2:3], v[6:7]
	v_pk_fma_f32 v[6:7], v[10:11], v[104:105], v[4:5] neg_lo:[0,0,1] neg_hi:[0,0,1]
	v_pk_fma_f32 v[4:5], v[10:11], v[104:105], v[4:5] op_sel_hi:[1,0,1]
	s_nop 0
	v_mov_b32_e32 v7, v5
	s_waitcnt vmcnt(0) lgkmcnt(0)
	v_pk_mul_f32 v[4:5], v[12:13], v[106:107] op_sel:[1,1] op_sel_hi:[0,1]
	v_pk_add_f32 v[2:3], v[2:3], v[6:7]
	v_pk_fma_f32 v[6:7], v[12:13], v[106:107], v[4:5] neg_lo:[0,0,1] neg_hi:[0,0,1]
	v_pk_fma_f32 v[4:5], v[12:13], v[106:107], v[4:5] op_sel_hi:[1,0,1]
	s_nop 0
	v_mov_b32_e32 v4, v109
	v_mov_b32_e32 v7, v5
	v_pk_mul_f32 v[4:5], v[14:15], v[4:5] op_sel:[1,0] op_sel_hi:[0,0]
	v_pk_add_f32 v[2:3], v[2:3], v[6:7]
	v_pk_fma_f32 v[6:7], v[14:15], v[108:109], v[4:5] neg_lo:[0,0,1] neg_hi:[0,0,1]
	v_pk_fma_f32 v[4:5], v[14:15], v[108:109], v[4:5] op_sel_hi:[1,0,1]
	s_nop 0
	v_mov_b32_e32 v7, v5
	scratch_load_dwordx2 v[4:5], off, off offset:120
	v_pk_add_f32 v[2:3], v[2:3], v[6:7]
	s_waitcnt vmcnt(0)
	v_pk_add_f32 v[2:3], v[4:5], v[2:3] neg_lo:[0,1] neg_hi:[0,1]
	scratch_store_dwordx2 off, v[2:3], off offset:120
	s_and_saveexec_b64 s[0:1], vcc
	s_cbranch_execz .LBB29_165
; %bb.164:
	scratch_load_dwordx2 v[2:3], off, off offset:112
	v_mov_b32_e32 v4, 0
	v_mov_b32_e32 v5, v4
	scratch_store_dwordx2 off, v[4:5], off offset:112
	s_waitcnt vmcnt(1)
	ds_write_b64 v1, v[2:3]
.LBB29_165:
	s_or_b64 exec, exec, s[0:1]
	s_waitcnt lgkmcnt(0)
	; wave barrier
	scratch_load_dwordx4 v[8:11], off, off offset:120
	scratch_load_dwordx4 v[16:19], off, off offset:136
	;; [unrolled: 1-line block ×4, first 2 shown]
	v_mov_b32_e32 v2, 0
	ds_read2_b64 v[4:7], v2 offset0:45 offset1:46
	v_cmp_lt_u32_e32 vcc, 13, v0
	s_waitcnt vmcnt(3) lgkmcnt(0)
	v_mul_f32_e32 v3, v4, v9
	v_fmac_f32_e32 v3, v5, v8
	v_mul_f32_e32 v12, v6, v11
	v_add_f32_e32 v3, 0, v3
	v_fmac_f32_e32 v12, v7, v10
	v_add_f32_e32 v3, v3, v12
	ds_read2_b64 v[12:15], v2 offset0:47 offset1:48
	s_waitcnt vmcnt(2) lgkmcnt(0)
	v_mul_f32_e32 v20, v12, v17
	v_fmac_f32_e32 v20, v13, v16
	v_add_f32_e32 v3, v3, v20
	v_mul_f32_e32 v20, v14, v19
	v_fmac_f32_e32 v20, v15, v18
	v_add_f32_e32 v3, v3, v20
	ds_read2_b64 v[20:23], v2 offset0:49 offset1:50
	s_waitcnt vmcnt(1) lgkmcnt(0)
	v_mul_f32_e32 v28, v20, v25
	v_fmac_f32_e32 v28, v21, v24
	v_add_f32_e32 v37, v3, v28
	ds_read2_b64 v[28:31], v2 offset0:51 offset1:52
	scratch_load_dwordx4 v[98:101], off, off offset:184
	scratch_load_dwordx4 v[102:105], off, off offset:200
	;; [unrolled: 1-line block ×3, first 2 shown]
	scratch_load_dwordx2 v[114:115], off, off offset:232
	v_mul_f32_e32 v3, v5, v9
	v_fma_f32 v3, v4, v8, -v3
	v_mul_f32_e32 v4, v7, v11
	v_add_f32_e32 v3, 0, v3
	v_fma_f32 v4, v6, v10, -v4
	v_add_f32_e32 v3, v3, v4
	v_mul_f32_e32 v4, v13, v17
	v_fma_f32 v4, v12, v16, -v4
	v_add_f32_e32 v3, v3, v4
	v_mul_f32_e32 v4, v15, v19
	;; [unrolled: 3-line block ×3, first 2 shown]
	v_fma_f32 v4, v20, v24, -v4
	v_mul_f32_e32 v111, v22, v27
	v_add_f32_e32 v36, v3, v4
	v_mul_f32_e32 v3, v23, v27
	s_waitcnt vmcnt(4)
	v_mov_b32_e32 v20, v35
	v_fmac_f32_e32 v111, v23, v26
	s_waitcnt lgkmcnt(0)
	v_mul_f32_e32 v113, v28, v33
	v_fma_f32 v110, v22, v26, -v3
	v_mul_f32_e32 v3, v29, v33
	ds_read2_b64 v[4:7], v2 offset0:53 offset1:54
	ds_read2_b64 v[8:11], v2 offset0:55 offset1:56
	;; [unrolled: 1-line block ×3, first 2 shown]
	ds_read_b64 v[16:17], v2 offset:472
	v_pk_mul_f32 v[20:21], v[30:31], v[20:21] op_sel:[1,0] op_sel_hi:[0,0]
	v_fmac_f32_e32 v113, v29, v32
	v_fma_f32 v112, v28, v32, -v3
	v_pk_add_f32 v[18:19], v[36:37], v[110:111]
	v_pk_fma_f32 v[22:23], v[30:31], v[34:35], v[20:21] neg_lo:[0,0,1] neg_hi:[0,0,1]
	v_pk_fma_f32 v[20:21], v[30:31], v[34:35], v[20:21] op_sel_hi:[1,0,1]
	v_pk_add_f32 v[18:19], v[18:19], v[112:113]
	v_mov_b32_e32 v23, v21
	v_pk_add_f32 v[18:19], v[18:19], v[22:23]
	s_waitcnt vmcnt(3) lgkmcnt(3)
	v_pk_mul_f32 v[20:21], v[4:5], v[98:99] op_sel:[1,1] op_sel_hi:[0,1]
	v_pk_fma_f32 v[22:23], v[4:5], v[98:99], v[20:21] neg_lo:[0,0,1] neg_hi:[0,0,1]
	v_pk_fma_f32 v[4:5], v[4:5], v[98:99], v[20:21] op_sel_hi:[1,0,1]
	s_nop 0
	v_mov_b32_e32 v23, v5
	v_pk_add_f32 v[4:5], v[18:19], v[22:23]
	v_mov_b32_e32 v18, v101
	v_pk_mul_f32 v[18:19], v[6:7], v[18:19] op_sel:[1,0] op_sel_hi:[0,0]
	v_pk_fma_f32 v[20:21], v[6:7], v[100:101], v[18:19] neg_lo:[0,0,1] neg_hi:[0,0,1]
	v_pk_fma_f32 v[6:7], v[6:7], v[100:101], v[18:19] op_sel_hi:[1,0,1]
	s_nop 0
	v_mov_b32_e32 v21, v7
	s_waitcnt vmcnt(2) lgkmcnt(2)
	v_pk_mul_f32 v[6:7], v[8:9], v[102:103] op_sel:[1,1] op_sel_hi:[0,1]
	v_pk_fma_f32 v[18:19], v[8:9], v[102:103], v[6:7] neg_lo:[0,0,1] neg_hi:[0,0,1]
	v_pk_fma_f32 v[6:7], v[8:9], v[102:103], v[6:7] op_sel_hi:[1,0,1]
	v_pk_add_f32 v[4:5], v[4:5], v[20:21]
	v_mov_b32_e32 v6, v105
	v_mov_b32_e32 v19, v7
	v_pk_mul_f32 v[6:7], v[10:11], v[6:7] op_sel:[1,0] op_sel_hi:[0,0]
	v_pk_fma_f32 v[8:9], v[10:11], v[104:105], v[6:7] neg_lo:[0,0,1] neg_hi:[0,0,1]
	v_pk_fma_f32 v[6:7], v[10:11], v[104:105], v[6:7] op_sel_hi:[1,0,1]
	v_pk_add_f32 v[4:5], v[4:5], v[18:19]
	v_mov_b32_e32 v9, v7
	s_waitcnt vmcnt(1) lgkmcnt(1)
	v_pk_mul_f32 v[6:7], v[12:13], v[106:107] op_sel:[1,1] op_sel_hi:[0,1]
	v_pk_add_f32 v[4:5], v[4:5], v[8:9]
	v_pk_fma_f32 v[8:9], v[12:13], v[106:107], v[6:7] neg_lo:[0,0,1] neg_hi:[0,0,1]
	v_pk_fma_f32 v[6:7], v[12:13], v[106:107], v[6:7] op_sel_hi:[1,0,1]
	s_nop 0
	v_mov_b32_e32 v6, v109
	v_mov_b32_e32 v9, v7
	v_pk_mul_f32 v[6:7], v[14:15], v[6:7] op_sel:[1,0] op_sel_hi:[0,0]
	v_pk_add_f32 v[4:5], v[4:5], v[8:9]
	v_pk_fma_f32 v[8:9], v[14:15], v[108:109], v[6:7] neg_lo:[0,0,1] neg_hi:[0,0,1]
	v_pk_fma_f32 v[6:7], v[14:15], v[108:109], v[6:7] op_sel_hi:[1,0,1]
	s_nop 0
	v_mov_b32_e32 v9, v7
	s_waitcnt vmcnt(0) lgkmcnt(0)
	v_pk_mul_f32 v[6:7], v[16:17], v[114:115] op_sel:[1,1] op_sel_hi:[0,1]
	v_pk_add_f32 v[4:5], v[4:5], v[8:9]
	v_pk_fma_f32 v[8:9], v[16:17], v[114:115], v[6:7] neg_lo:[0,0,1] neg_hi:[0,0,1]
	v_pk_fma_f32 v[6:7], v[16:17], v[114:115], v[6:7] op_sel_hi:[1,0,1]
	s_nop 0
	v_mov_b32_e32 v9, v7
	scratch_load_dwordx2 v[6:7], off, off offset:112
	v_pk_add_f32 v[4:5], v[4:5], v[8:9]
	s_waitcnt vmcnt(0)
	v_pk_add_f32 v[4:5], v[6:7], v[4:5] neg_lo:[0,1] neg_hi:[0,1]
	scratch_store_dwordx2 off, v[4:5], off offset:112
	s_and_saveexec_b64 s[0:1], vcc
	s_cbranch_execz .LBB29_167
; %bb.166:
	scratch_load_dwordx2 v[4:5], off, off offset:104
	v_mov_b32_e32 v3, v2
	scratch_store_dwordx2 off, v[2:3], off offset:104
	s_waitcnt vmcnt(1)
	ds_write_b64 v1, v[4:5]
.LBB29_167:
	s_or_b64 exec, exec, s[0:1]
	s_waitcnt lgkmcnt(0)
	; wave barrier
	ds_read_b128 v[4:7], v2 offset:352
	ds_read_b128 v[8:11], v2 offset:368
	;; [unrolled: 1-line block ×4, first 2 shown]
	scratch_load_dwordx4 v[20:23], off, off offset:112
	v_cmp_lt_u32_e32 vcc, 12, v0
	s_waitcnt vmcnt(0) lgkmcnt(3)
	v_mul_f32_e32 v3, v4, v21
	v_fmac_f32_e32 v3, v5, v20
	v_mul_f32_e32 v24, v6, v23
	v_add_f32_e32 v3, 0, v3
	v_fmac_f32_e32 v24, v7, v22
	v_add_f32_e32 v3, v3, v24
	scratch_load_dwordx4 v[24:27], off, off offset:128
	s_waitcnt vmcnt(0) lgkmcnt(2)
	v_mul_f32_e32 v28, v8, v25
	v_fmac_f32_e32 v28, v9, v24
	v_add_f32_e32 v3, v3, v28
	v_mul_f32_e32 v28, v10, v27
	v_fmac_f32_e32 v28, v11, v26
	v_add_f32_e32 v3, v3, v28
	scratch_load_dwordx4 v[28:31], off, off offset:144
	s_waitcnt vmcnt(0) lgkmcnt(1)
	v_mul_f32_e32 v32, v12, v29
	v_fmac_f32_e32 v32, v13, v28
	v_add_f32_e32 v3, v3, v32
	v_mul_f32_e32 v32, v14, v31
	v_fmac_f32_e32 v32, v15, v30
	v_add_f32_e32 v37, v3, v32
	scratch_load_dwordx4 v[32:35], off, off offset:160
	scratch_load_dwordx4 v[98:101], off, off offset:176
	scratch_load_dwordx4 v[102:105], off, off offset:192
	scratch_load_dwordx4 v[106:109], off, off offset:208
	scratch_load_dwordx4 v[110:113], off, off offset:224
	v_mul_f32_e32 v3, v5, v21
	v_fma_f32 v3, v4, v20, -v3
	v_mul_f32_e32 v4, v7, v23
	v_add_f32_e32 v3, 0, v3
	v_fma_f32 v4, v6, v22, -v4
	v_add_f32_e32 v3, v3, v4
	v_mul_f32_e32 v4, v9, v25
	v_fma_f32 v4, v8, v24, -v4
	v_add_f32_e32 v3, v3, v4
	v_mul_f32_e32 v4, v11, v27
	;; [unrolled: 3-line block ×4, first 2 shown]
	v_fma_f32 v4, v14, v30, -v4
	v_add_f32_e32 v36, v3, v4
	s_waitcnt vmcnt(4) lgkmcnt(0)
	v_mul_f32_e32 v3, v17, v33
	v_mul_f32_e32 v115, v16, v33
	;; [unrolled: 1-line block ×3, first 2 shown]
	v_fma_f32 v114, v16, v32, -v3
	v_mul_f32_e32 v3, v19, v35
	v_fmac_f32_e32 v115, v17, v32
	v_fmac_f32_e32 v117, v19, v34
	v_fma_f32 v116, v18, v34, -v3
	ds_read_b128 v[4:7], v2 offset:416
	ds_read_b128 v[8:11], v2 offset:432
	;; [unrolled: 1-line block ×4, first 2 shown]
	v_pk_add_f32 v[2:3], v[36:37], v[114:115]
	s_waitcnt vmcnt(3) lgkmcnt(3)
	v_pk_mul_f32 v[20:21], v[4:5], v[98:99] op_sel:[1,1] op_sel_hi:[0,1]
	v_pk_fma_f32 v[22:23], v[4:5], v[98:99], v[20:21] neg_lo:[0,0,1] neg_hi:[0,0,1]
	v_pk_fma_f32 v[4:5], v[4:5], v[98:99], v[20:21] op_sel_hi:[1,0,1]
	v_pk_add_f32 v[2:3], v[2:3], v[116:117]
	v_mov_b32_e32 v4, v101
	v_mov_b32_e32 v23, v5
	v_pk_mul_f32 v[4:5], v[6:7], v[4:5] op_sel:[1,0] op_sel_hi:[0,0]
	v_pk_fma_f32 v[20:21], v[6:7], v[100:101], v[4:5] neg_lo:[0,0,1] neg_hi:[0,0,1]
	v_pk_fma_f32 v[4:5], v[6:7], v[100:101], v[4:5] op_sel_hi:[1,0,1]
	v_pk_add_f32 v[2:3], v[2:3], v[22:23]
	v_mov_b32_e32 v21, v5
	s_waitcnt vmcnt(2) lgkmcnt(2)
	v_pk_mul_f32 v[4:5], v[8:9], v[102:103] op_sel:[1,1] op_sel_hi:[0,1]
	v_pk_fma_f32 v[6:7], v[8:9], v[102:103], v[4:5] neg_lo:[0,0,1] neg_hi:[0,0,1]
	v_pk_fma_f32 v[4:5], v[8:9], v[102:103], v[4:5] op_sel_hi:[1,0,1]
	v_pk_add_f32 v[2:3], v[2:3], v[20:21]
	v_mov_b32_e32 v4, v105
	v_mov_b32_e32 v7, v5
	v_pk_mul_f32 v[4:5], v[10:11], v[4:5] op_sel:[1,0] op_sel_hi:[0,0]
	v_pk_add_f32 v[2:3], v[2:3], v[6:7]
	v_pk_fma_f32 v[6:7], v[10:11], v[104:105], v[4:5] neg_lo:[0,0,1] neg_hi:[0,0,1]
	v_pk_fma_f32 v[4:5], v[10:11], v[104:105], v[4:5] op_sel_hi:[1,0,1]
	s_nop 0
	v_mov_b32_e32 v7, v5
	s_waitcnt vmcnt(1) lgkmcnt(1)
	v_pk_mul_f32 v[4:5], v[12:13], v[106:107] op_sel:[1,1] op_sel_hi:[0,1]
	v_pk_add_f32 v[2:3], v[2:3], v[6:7]
	v_pk_fma_f32 v[6:7], v[12:13], v[106:107], v[4:5] neg_lo:[0,0,1] neg_hi:[0,0,1]
	v_pk_fma_f32 v[4:5], v[12:13], v[106:107], v[4:5] op_sel_hi:[1,0,1]
	s_nop 0
	v_mov_b32_e32 v4, v109
	v_mov_b32_e32 v7, v5
	v_pk_mul_f32 v[4:5], v[14:15], v[4:5] op_sel:[1,0] op_sel_hi:[0,0]
	v_pk_add_f32 v[2:3], v[2:3], v[6:7]
	v_pk_fma_f32 v[6:7], v[14:15], v[108:109], v[4:5] neg_lo:[0,0,1] neg_hi:[0,0,1]
	v_pk_fma_f32 v[4:5], v[14:15], v[108:109], v[4:5] op_sel_hi:[1,0,1]
	s_nop 0
	v_mov_b32_e32 v7, v5
	s_waitcnt vmcnt(0) lgkmcnt(0)
	v_pk_mul_f32 v[4:5], v[16:17], v[110:111] op_sel:[1,1] op_sel_hi:[0,1]
	v_pk_add_f32 v[2:3], v[2:3], v[6:7]
	v_pk_fma_f32 v[6:7], v[16:17], v[110:111], v[4:5] neg_lo:[0,0,1] neg_hi:[0,0,1]
	v_pk_fma_f32 v[4:5], v[16:17], v[110:111], v[4:5] op_sel_hi:[1,0,1]
	s_nop 0
	v_mov_b32_e32 v4, v113
	v_mov_b32_e32 v7, v5
	v_pk_mul_f32 v[4:5], v[18:19], v[4:5] op_sel:[1,0] op_sel_hi:[0,0]
	v_pk_add_f32 v[2:3], v[2:3], v[6:7]
	v_pk_fma_f32 v[6:7], v[18:19], v[112:113], v[4:5] neg_lo:[0,0,1] neg_hi:[0,0,1]
	v_pk_fma_f32 v[4:5], v[18:19], v[112:113], v[4:5] op_sel_hi:[1,0,1]
	s_nop 0
	v_mov_b32_e32 v7, v5
	scratch_load_dwordx2 v[4:5], off, off offset:104
	v_pk_add_f32 v[2:3], v[2:3], v[6:7]
	s_waitcnt vmcnt(0)
	v_pk_add_f32 v[2:3], v[4:5], v[2:3] neg_lo:[0,1] neg_hi:[0,1]
	scratch_store_dwordx2 off, v[2:3], off offset:104
	s_and_saveexec_b64 s[0:1], vcc
	s_cbranch_execz .LBB29_169
; %bb.168:
	scratch_load_dwordx2 v[2:3], off, off offset:96
	v_mov_b32_e32 v4, 0
	v_mov_b32_e32 v5, v4
	scratch_store_dwordx2 off, v[4:5], off offset:96
	s_waitcnt vmcnt(1)
	ds_write_b64 v1, v[2:3]
.LBB29_169:
	s_or_b64 exec, exec, s[0:1]
	s_waitcnt lgkmcnt(0)
	; wave barrier
	scratch_load_dwordx4 v[8:11], off, off offset:104
	scratch_load_dwordx4 v[16:19], off, off offset:120
	;; [unrolled: 1-line block ×4, first 2 shown]
	v_mov_b32_e32 v2, 0
	ds_read2_b64 v[4:7], v2 offset0:43 offset1:44
	ds_read2_b64 v[98:101], v2 offset0:51 offset1:52
	scratch_load_dwordx4 v[102:105], off, off offset:168
	v_cmp_lt_u32_e32 vcc, 11, v0
	s_waitcnt vmcnt(4) lgkmcnt(1)
	v_mul_f32_e32 v3, v4, v9
	v_fmac_f32_e32 v3, v5, v8
	v_mul_f32_e32 v12, v6, v11
	v_add_f32_e32 v3, 0, v3
	v_fmac_f32_e32 v12, v7, v10
	v_add_f32_e32 v3, v3, v12
	ds_read2_b64 v[12:15], v2 offset0:45 offset1:46
	s_waitcnt vmcnt(0) lgkmcnt(1)
	v_mul_f32_e32 v121, v98, v103
	v_fmac_f32_e32 v121, v99, v102
	s_waitcnt lgkmcnt(0)
	v_mul_f32_e32 v20, v12, v17
	v_fmac_f32_e32 v20, v13, v16
	v_add_f32_e32 v3, v3, v20
	v_mul_f32_e32 v20, v14, v19
	v_fmac_f32_e32 v20, v15, v18
	v_add_f32_e32 v3, v3, v20
	ds_read2_b64 v[20:23], v2 offset0:47 offset1:48
	s_waitcnt lgkmcnt(0)
	v_mul_f32_e32 v28, v20, v25
	v_fmac_f32_e32 v28, v21, v24
	v_add_f32_e32 v3, v3, v28
	v_mul_f32_e32 v28, v22, v27
	v_fmac_f32_e32 v28, v23, v26
	v_add_f32_e32 v3, v3, v28
	ds_read2_b64 v[28:31], v2 offset0:49 offset1:50
	scratch_load_dwordx4 v[106:109], off, off offset:184
	scratch_load_dwordx4 v[110:113], off, off offset:200
	;; [unrolled: 1-line block ×3, first 2 shown]
	scratch_load_dwordx2 v[122:123], off, off offset:232
	s_waitcnt lgkmcnt(0)
	v_mul_f32_e32 v36, v28, v33
	v_fmac_f32_e32 v36, v29, v32
	v_add_f32_e32 v37, v3, v36
	v_mul_f32_e32 v3, v5, v9
	v_fma_f32 v3, v4, v8, -v3
	v_mul_f32_e32 v4, v7, v11
	v_add_f32_e32 v3, 0, v3
	v_fma_f32 v4, v6, v10, -v4
	v_add_f32_e32 v3, v3, v4
	v_mul_f32_e32 v4, v13, v17
	v_fma_f32 v4, v12, v16, -v4
	v_add_f32_e32 v3, v3, v4
	v_mul_f32_e32 v4, v15, v19
	v_fma_f32 v4, v14, v18, -v4
	v_add_f32_e32 v3, v3, v4
	v_mul_f32_e32 v4, v21, v25
	v_fma_f32 v4, v20, v24, -v4
	v_add_f32_e32 v3, v3, v4
	v_mul_f32_e32 v4, v23, v27
	v_fma_f32 v4, v22, v26, -v4
	v_add_f32_e32 v3, v3, v4
	v_mul_f32_e32 v4, v29, v33
	v_fma_f32 v4, v28, v32, -v4
	v_mul_f32_e32 v119, v30, v35
	v_add_f32_e32 v36, v3, v4
	v_mul_f32_e32 v3, v31, v35
	v_mov_b32_e32 v20, v105
	v_fmac_f32_e32 v119, v31, v34
	v_fma_f32 v118, v30, v34, -v3
	v_mul_f32_e32 v3, v99, v103
	ds_read2_b64 v[4:7], v2 offset0:53 offset1:54
	ds_read2_b64 v[8:11], v2 offset0:55 offset1:56
	;; [unrolled: 1-line block ×3, first 2 shown]
	ds_read_b64 v[16:17], v2 offset:472
	v_pk_mul_f32 v[20:21], v[100:101], v[20:21] op_sel:[1,0] op_sel_hi:[0,0]
	v_fma_f32 v120, v98, v102, -v3
	v_pk_add_f32 v[18:19], v[36:37], v[118:119]
	v_pk_fma_f32 v[22:23], v[100:101], v[104:105], v[20:21] neg_lo:[0,0,1] neg_hi:[0,0,1]
	v_pk_fma_f32 v[20:21], v[100:101], v[104:105], v[20:21] op_sel_hi:[1,0,1]
	v_pk_add_f32 v[18:19], v[18:19], v[120:121]
	v_mov_b32_e32 v23, v21
	v_pk_add_f32 v[18:19], v[18:19], v[22:23]
	s_waitcnt vmcnt(3) lgkmcnt(3)
	v_pk_mul_f32 v[20:21], v[4:5], v[106:107] op_sel:[1,1] op_sel_hi:[0,1]
	v_pk_fma_f32 v[22:23], v[4:5], v[106:107], v[20:21] neg_lo:[0,0,1] neg_hi:[0,0,1]
	v_pk_fma_f32 v[4:5], v[4:5], v[106:107], v[20:21] op_sel_hi:[1,0,1]
	s_nop 0
	v_mov_b32_e32 v23, v5
	v_pk_add_f32 v[4:5], v[18:19], v[22:23]
	v_mov_b32_e32 v18, v109
	v_pk_mul_f32 v[18:19], v[6:7], v[18:19] op_sel:[1,0] op_sel_hi:[0,0]
	v_pk_fma_f32 v[20:21], v[6:7], v[108:109], v[18:19] neg_lo:[0,0,1] neg_hi:[0,0,1]
	v_pk_fma_f32 v[6:7], v[6:7], v[108:109], v[18:19] op_sel_hi:[1,0,1]
	s_nop 0
	v_mov_b32_e32 v21, v7
	s_waitcnt vmcnt(2) lgkmcnt(2)
	v_pk_mul_f32 v[6:7], v[8:9], v[110:111] op_sel:[1,1] op_sel_hi:[0,1]
	v_pk_fma_f32 v[18:19], v[8:9], v[110:111], v[6:7] neg_lo:[0,0,1] neg_hi:[0,0,1]
	v_pk_fma_f32 v[6:7], v[8:9], v[110:111], v[6:7] op_sel_hi:[1,0,1]
	v_pk_add_f32 v[4:5], v[4:5], v[20:21]
	v_mov_b32_e32 v6, v113
	v_mov_b32_e32 v19, v7
	v_pk_mul_f32 v[6:7], v[10:11], v[6:7] op_sel:[1,0] op_sel_hi:[0,0]
	v_pk_fma_f32 v[8:9], v[10:11], v[112:113], v[6:7] neg_lo:[0,0,1] neg_hi:[0,0,1]
	v_pk_fma_f32 v[6:7], v[10:11], v[112:113], v[6:7] op_sel_hi:[1,0,1]
	v_pk_add_f32 v[4:5], v[4:5], v[18:19]
	v_mov_b32_e32 v9, v7
	s_waitcnt vmcnt(1) lgkmcnt(1)
	v_pk_mul_f32 v[6:7], v[12:13], v[114:115] op_sel:[1,1] op_sel_hi:[0,1]
	v_pk_add_f32 v[4:5], v[4:5], v[8:9]
	v_pk_fma_f32 v[8:9], v[12:13], v[114:115], v[6:7] neg_lo:[0,0,1] neg_hi:[0,0,1]
	v_pk_fma_f32 v[6:7], v[12:13], v[114:115], v[6:7] op_sel_hi:[1,0,1]
	s_nop 0
	v_mov_b32_e32 v6, v117
	v_mov_b32_e32 v9, v7
	v_pk_mul_f32 v[6:7], v[14:15], v[6:7] op_sel:[1,0] op_sel_hi:[0,0]
	v_pk_add_f32 v[4:5], v[4:5], v[8:9]
	v_pk_fma_f32 v[8:9], v[14:15], v[116:117], v[6:7] neg_lo:[0,0,1] neg_hi:[0,0,1]
	v_pk_fma_f32 v[6:7], v[14:15], v[116:117], v[6:7] op_sel_hi:[1,0,1]
	s_nop 0
	v_mov_b32_e32 v9, v7
	s_waitcnt vmcnt(0) lgkmcnt(0)
	v_pk_mul_f32 v[6:7], v[16:17], v[122:123] op_sel:[1,1] op_sel_hi:[0,1]
	v_pk_add_f32 v[4:5], v[4:5], v[8:9]
	v_pk_fma_f32 v[8:9], v[16:17], v[122:123], v[6:7] neg_lo:[0,0,1] neg_hi:[0,0,1]
	v_pk_fma_f32 v[6:7], v[16:17], v[122:123], v[6:7] op_sel_hi:[1,0,1]
	s_nop 0
	v_mov_b32_e32 v9, v7
	scratch_load_dwordx2 v[6:7], off, off offset:96
	v_pk_add_f32 v[4:5], v[4:5], v[8:9]
	s_waitcnt vmcnt(0)
	v_pk_add_f32 v[4:5], v[6:7], v[4:5] neg_lo:[0,1] neg_hi:[0,1]
	scratch_store_dwordx2 off, v[4:5], off offset:96
	s_and_saveexec_b64 s[0:1], vcc
	s_cbranch_execz .LBB29_171
; %bb.170:
	scratch_load_dwordx2 v[4:5], off, off offset:88
	v_mov_b32_e32 v3, v2
	scratch_store_dwordx2 off, v[2:3], off offset:88
	s_waitcnt vmcnt(1)
	ds_write_b64 v1, v[4:5]
.LBB29_171:
	s_or_b64 exec, exec, s[0:1]
	s_waitcnt lgkmcnt(0)
	; wave barrier
	ds_read_b128 v[4:7], v2 offset:336
	ds_read_b128 v[8:11], v2 offset:352
	;; [unrolled: 1-line block ×4, first 2 shown]
	scratch_load_dwordx4 v[20:23], off, off offset:96
	scratch_load_dwordx4 v[102:105], off, off offset:160
	ds_read_b128 v[98:101], v2 offset:400
	v_cmp_lt_u32_e32 vcc, 10, v0
	s_waitcnt vmcnt(1) lgkmcnt(4)
	v_mul_f32_e32 v3, v4, v21
	v_fmac_f32_e32 v3, v5, v20
	v_mul_f32_e32 v24, v6, v23
	v_add_f32_e32 v3, 0, v3
	v_fmac_f32_e32 v24, v7, v22
	v_add_f32_e32 v3, v3, v24
	scratch_load_dwordx4 v[24:27], off, off offset:112
	s_waitcnt vmcnt(1) lgkmcnt(0)
	v_mul_f32_e32 v123, v98, v103
	v_fmac_f32_e32 v123, v99, v102
	v_mul_f32_e32 v125, v100, v105
	v_fmac_f32_e32 v125, v101, v104
	s_waitcnt vmcnt(0)
	v_mul_f32_e32 v28, v8, v25
	v_fmac_f32_e32 v28, v9, v24
	v_add_f32_e32 v3, v3, v28
	v_mul_f32_e32 v28, v10, v27
	v_fmac_f32_e32 v28, v11, v26
	v_add_f32_e32 v3, v3, v28
	scratch_load_dwordx4 v[28:31], off, off offset:128
	s_waitcnt vmcnt(0)
	v_mul_f32_e32 v32, v12, v29
	v_fmac_f32_e32 v32, v13, v28
	v_add_f32_e32 v3, v3, v32
	v_mul_f32_e32 v32, v14, v31
	v_fmac_f32_e32 v32, v15, v30
	v_add_f32_e32 v3, v3, v32
	scratch_load_dwordx4 v[32:35], off, off offset:144
	scratch_load_dwordx4 v[106:109], off, off offset:176
	;; [unrolled: 1-line block ×5, first 2 shown]
	s_waitcnt vmcnt(4)
	v_mul_f32_e32 v36, v16, v33
	v_fmac_f32_e32 v36, v17, v32
	v_add_f32_e32 v3, v3, v36
	v_mul_f32_e32 v36, v18, v35
	v_fmac_f32_e32 v36, v19, v34
	v_add_f32_e32 v37, v3, v36
	v_mul_f32_e32 v3, v5, v21
	v_fma_f32 v3, v4, v20, -v3
	v_mul_f32_e32 v4, v7, v23
	v_add_f32_e32 v3, 0, v3
	v_fma_f32 v4, v6, v22, -v4
	v_add_f32_e32 v3, v3, v4
	v_mul_f32_e32 v4, v9, v25
	v_fma_f32 v4, v8, v24, -v4
	v_add_f32_e32 v3, v3, v4
	v_mul_f32_e32 v4, v11, v27
	;; [unrolled: 3-line block ×6, first 2 shown]
	v_fma_f32 v4, v18, v34, -v4
	v_add_f32_e32 v36, v3, v4
	ds_read_b128 v[4:7], v2 offset:416
	ds_read_b128 v[8:11], v2 offset:432
	;; [unrolled: 1-line block ×4, first 2 shown]
	v_mul_f32_e32 v3, v99, v103
	s_waitcnt vmcnt(3) lgkmcnt(3)
	v_pk_mul_f32 v[20:21], v[4:5], v[106:107] op_sel:[1,1] op_sel_hi:[0,1]
	v_pk_fma_f32 v[22:23], v[4:5], v[106:107], v[20:21] neg_lo:[0,0,1] neg_hi:[0,0,1]
	v_pk_fma_f32 v[4:5], v[4:5], v[106:107], v[20:21] op_sel_hi:[1,0,1]
	v_fma_f32 v122, v98, v102, -v3
	v_mov_b32_e32 v4, v109
	v_mov_b32_e32 v23, v5
	v_pk_mul_f32 v[4:5], v[6:7], v[4:5] op_sel:[1,0] op_sel_hi:[0,0]
	v_mul_f32_e32 v3, v101, v105
	v_pk_fma_f32 v[20:21], v[6:7], v[108:109], v[4:5] neg_lo:[0,0,1] neg_hi:[0,0,1]
	v_pk_fma_f32 v[4:5], v[6:7], v[108:109], v[4:5] op_sel_hi:[1,0,1]
	v_fma_f32 v124, v100, v104, -v3
	v_pk_add_f32 v[2:3], v[36:37], v[122:123]
	v_mov_b32_e32 v21, v5
	s_waitcnt vmcnt(2) lgkmcnt(2)
	v_pk_mul_f32 v[4:5], v[8:9], v[110:111] op_sel:[1,1] op_sel_hi:[0,1]
	v_pk_add_f32 v[2:3], v[2:3], v[124:125]
	v_pk_fma_f32 v[6:7], v[8:9], v[110:111], v[4:5] neg_lo:[0,0,1] neg_hi:[0,0,1]
	v_pk_fma_f32 v[4:5], v[8:9], v[110:111], v[4:5] op_sel_hi:[1,0,1]
	v_pk_add_f32 v[2:3], v[2:3], v[22:23]
	v_mov_b32_e32 v4, v113
	v_pk_add_f32 v[2:3], v[2:3], v[20:21]
	v_mov_b32_e32 v7, v5
	v_pk_mul_f32 v[4:5], v[10:11], v[4:5] op_sel:[1,0] op_sel_hi:[0,0]
	v_pk_add_f32 v[2:3], v[2:3], v[6:7]
	v_pk_fma_f32 v[6:7], v[10:11], v[112:113], v[4:5] neg_lo:[0,0,1] neg_hi:[0,0,1]
	v_pk_fma_f32 v[4:5], v[10:11], v[112:113], v[4:5] op_sel_hi:[1,0,1]
	s_nop 0
	v_mov_b32_e32 v7, v5
	s_waitcnt vmcnt(1) lgkmcnt(1)
	v_pk_mul_f32 v[4:5], v[12:13], v[114:115] op_sel:[1,1] op_sel_hi:[0,1]
	v_pk_add_f32 v[2:3], v[2:3], v[6:7]
	v_pk_fma_f32 v[6:7], v[12:13], v[114:115], v[4:5] neg_lo:[0,0,1] neg_hi:[0,0,1]
	v_pk_fma_f32 v[4:5], v[12:13], v[114:115], v[4:5] op_sel_hi:[1,0,1]
	s_nop 0
	v_mov_b32_e32 v4, v117
	v_mov_b32_e32 v7, v5
	v_pk_mul_f32 v[4:5], v[14:15], v[4:5] op_sel:[1,0] op_sel_hi:[0,0]
	v_pk_add_f32 v[2:3], v[2:3], v[6:7]
	v_pk_fma_f32 v[6:7], v[14:15], v[116:117], v[4:5] neg_lo:[0,0,1] neg_hi:[0,0,1]
	v_pk_fma_f32 v[4:5], v[14:15], v[116:117], v[4:5] op_sel_hi:[1,0,1]
	s_nop 0
	v_mov_b32_e32 v7, v5
	s_waitcnt vmcnt(0) lgkmcnt(0)
	v_pk_mul_f32 v[4:5], v[16:17], v[118:119] op_sel:[1,1] op_sel_hi:[0,1]
	v_pk_add_f32 v[2:3], v[2:3], v[6:7]
	v_pk_fma_f32 v[6:7], v[16:17], v[118:119], v[4:5] neg_lo:[0,0,1] neg_hi:[0,0,1]
	v_pk_fma_f32 v[4:5], v[16:17], v[118:119], v[4:5] op_sel_hi:[1,0,1]
	s_nop 0
	v_mov_b32_e32 v4, v121
	v_mov_b32_e32 v7, v5
	v_pk_mul_f32 v[4:5], v[18:19], v[4:5] op_sel:[1,0] op_sel_hi:[0,0]
	v_pk_add_f32 v[2:3], v[2:3], v[6:7]
	v_pk_fma_f32 v[6:7], v[18:19], v[120:121], v[4:5] neg_lo:[0,0,1] neg_hi:[0,0,1]
	v_pk_fma_f32 v[4:5], v[18:19], v[120:121], v[4:5] op_sel_hi:[1,0,1]
	s_nop 0
	v_mov_b32_e32 v7, v5
	scratch_load_dwordx2 v[4:5], off, off offset:88
	v_pk_add_f32 v[2:3], v[2:3], v[6:7]
	s_waitcnt vmcnt(0)
	v_pk_add_f32 v[2:3], v[4:5], v[2:3] neg_lo:[0,1] neg_hi:[0,1]
	scratch_store_dwordx2 off, v[2:3], off offset:88
	s_and_saveexec_b64 s[0:1], vcc
	s_cbranch_execz .LBB29_173
; %bb.172:
	scratch_load_dwordx2 v[2:3], off, off offset:80
	v_mov_b32_e32 v4, 0
	v_mov_b32_e32 v5, v4
	scratch_store_dwordx2 off, v[4:5], off offset:80
	s_waitcnt vmcnt(1)
	ds_write_b64 v1, v[2:3]
.LBB29_173:
	s_or_b64 exec, exec, s[0:1]
	s_waitcnt lgkmcnt(0)
	; wave barrier
	scratch_load_dwordx4 v[4:7], off, off offset:88
	scratch_load_dwordx4 v[8:11], off, off offset:104
	;; [unrolled: 1-line block ×9, first 2 shown]
	scratch_load_dwordx2 v[36:37], off, off offset:232
	scratch_load_dwordx2 v[138:139], off, off offset:80
	v_mov_b32_e32 v2, 0
	ds_read2_b64 v[102:105], v2 offset0:41 offset1:42
	ds_read2_b64 v[106:109], v2 offset0:43 offset1:44
	ds_read2_b64 v[110:113], v2 offset0:45 offset1:46
	ds_read2_b64 v[114:117], v2 offset0:47 offset1:48
	ds_read2_b64 v[118:121], v2 offset0:49 offset1:50
	ds_read2_b64 v[122:125], v2 offset0:51 offset1:52
	ds_read2_b64 v[126:129], v2 offset0:53 offset1:54
	ds_read2_b64 v[130:133], v2 offset0:55 offset1:56
	ds_read2_b64 v[134:137], v2 offset0:57 offset1:58
	ds_read_b64 v[140:141], v2 offset:472
	v_cmp_lt_u32_e32 vcc, 9, v0
	s_waitcnt vmcnt(10) lgkmcnt(9)
	v_mul_f32_e32 v147, v104, v7
	v_mul_f32_e32 v3, v102, v5
	;; [unrolled: 1-line block ×3, first 2 shown]
	v_fmac_f32_e32 v147, v105, v6
	s_waitcnt vmcnt(9) lgkmcnt(8)
	v_mul_f32_e32 v148, v106, v9
	s_waitcnt vmcnt(5)
	v_mov_b32_e32 v146, v27
	v_mul_f32_e32 v149, v108, v11
	s_waitcnt lgkmcnt(7)
	v_mul_f32_e32 v151, v112, v15
	v_mul_f32_e32 v7, v105, v7
	v_mul_f32_e32 v9, v107, v9
	v_mul_f32_e32 v11, v109, v11
	v_mul_f32_e32 v15, v113, v15
	v_fmac_f32_e32 v3, v103, v4
	v_fma_f32 v102, v102, v4, -v5
	s_waitcnt lgkmcnt(4)
	v_pk_mul_f32 v[4:5], v[124:125], v[146:147] op_sel:[1,0] op_sel_hi:[0,0]
	v_fmac_f32_e32 v148, v107, v8
	v_fma_f32 v103, v104, v6, -v7
	v_fma_f32 v8, v106, v8, -v9
	;; [unrolled: 1-line block ×4, first 2 shown]
	v_add_f32_e32 v3, 0, v3
	v_add_f32_e32 v15, 0, v102
	v_pk_fma_f32 v[6:7], v[124:125], v[26:27], v[4:5] neg_lo:[0,0,1] neg_hi:[0,0,1]
	v_pk_fma_f32 v[4:5], v[124:125], v[26:27], v[4:5] op_sel_hi:[1,0,1]
	v_add_f32_e32 v3, v3, v147
	v_add_f32_e32 v4, v15, v103
	v_mul_f32_e32 v150, v110, v13
	v_mul_f32_e32 v13, v111, v13
	v_fmac_f32_e32 v149, v109, v10
	v_add_f32_e32 v3, v3, v148
	v_add_f32_e32 v4, v4, v8
	v_fmac_f32_e32 v150, v111, v12
	v_fma_f32 v10, v110, v12, -v13
	v_add_f32_e32 v3, v3, v149
	v_add_f32_e32 v4, v4, v9
	v_mul_f32_e32 v152, v114, v17
	v_mul_f32_e32 v17, v115, v17
	v_fmac_f32_e32 v151, v113, v14
	v_add_f32_e32 v3, v3, v150
	v_add_f32_e32 v4, v4, v10
	v_mul_f32_e32 v153, v116, v19
	v_mul_f32_e32 v19, v117, v19
	v_fmac_f32_e32 v152, v115, v16
	v_fma_f32 v12, v114, v16, -v17
	v_add_f32_e32 v3, v3, v151
	v_add_f32_e32 v4, v4, v11
	v_mul_f32_e32 v154, v118, v21
	v_mul_f32_e32 v21, v119, v21
	v_fmac_f32_e32 v153, v117, v18
	v_fma_f32 v13, v116, v18, -v19
	;; [unrolled: 6-line block ×4, first 2 shown]
	v_mov_b32_e32 v7, v5
	v_add_f32_e32 v5, v3, v154
	v_add_f32_e32 v4, v4, v14
	v_fmac_f32_e32 v145, v123, v24
	v_fma_f32 v144, v122, v24, -v25
	v_pk_add_f32 v[4:5], v[4:5], v[142:143]
	s_nop 0
	v_pk_add_f32 v[4:5], v[4:5], v[144:145]
	s_nop 0
	v_pk_add_f32 v[4:5], v[4:5], v[6:7]
	s_waitcnt vmcnt(4) lgkmcnt(3)
	v_pk_mul_f32 v[6:7], v[126:127], v[28:29] op_sel:[1,1] op_sel_hi:[0,1]
	v_pk_fma_f32 v[8:9], v[126:127], v[28:29], v[6:7] neg_lo:[0,0,1] neg_hi:[0,0,1]
	v_pk_fma_f32 v[6:7], v[126:127], v[28:29], v[6:7] op_sel_hi:[1,0,1]
	s_nop 0
	v_mov_b32_e32 v6, v31
	v_mov_b32_e32 v9, v7
	v_pk_mul_f32 v[6:7], v[128:129], v[6:7] op_sel:[1,0] op_sel_hi:[0,0]
	v_pk_add_f32 v[4:5], v[4:5], v[8:9]
	v_pk_fma_f32 v[8:9], v[128:129], v[30:31], v[6:7] neg_lo:[0,0,1] neg_hi:[0,0,1]
	v_pk_fma_f32 v[6:7], v[128:129], v[30:31], v[6:7] op_sel_hi:[1,0,1]
	s_nop 0
	v_mov_b32_e32 v9, v7
	s_waitcnt vmcnt(3) lgkmcnt(2)
	v_pk_mul_f32 v[6:7], v[130:131], v[32:33] op_sel:[1,1] op_sel_hi:[0,1]
	v_pk_add_f32 v[4:5], v[4:5], v[8:9]
	v_pk_fma_f32 v[8:9], v[130:131], v[32:33], v[6:7] neg_lo:[0,0,1] neg_hi:[0,0,1]
	v_pk_fma_f32 v[6:7], v[130:131], v[32:33], v[6:7] op_sel_hi:[1,0,1]
	s_nop 0
	v_mov_b32_e32 v6, v35
	v_mov_b32_e32 v9, v7
	v_pk_mul_f32 v[6:7], v[132:133], v[6:7] op_sel:[1,0] op_sel_hi:[0,0]
	v_pk_add_f32 v[4:5], v[4:5], v[8:9]
	v_pk_fma_f32 v[8:9], v[132:133], v[34:35], v[6:7] neg_lo:[0,0,1] neg_hi:[0,0,1]
	v_pk_fma_f32 v[6:7], v[132:133], v[34:35], v[6:7] op_sel_hi:[1,0,1]
	s_nop 0
	v_mov_b32_e32 v9, v7
	s_waitcnt vmcnt(2) lgkmcnt(1)
	v_pk_mul_f32 v[6:7], v[134:135], v[98:99] op_sel:[1,1] op_sel_hi:[0,1]
	v_pk_add_f32 v[4:5], v[4:5], v[8:9]
	;; [unrolled: 14-line block ×3, first 2 shown]
	v_pk_fma_f32 v[8:9], v[140:141], v[36:37], v[6:7] neg_lo:[0,0,1] neg_hi:[0,0,1]
	v_pk_fma_f32 v[6:7], v[140:141], v[36:37], v[6:7] op_sel_hi:[1,0,1]
	s_nop 0
	v_mov_b32_e32 v9, v7
	v_pk_add_f32 v[4:5], v[4:5], v[8:9]
	s_waitcnt vmcnt(0)
	v_pk_add_f32 v[4:5], v[138:139], v[4:5] neg_lo:[0,1] neg_hi:[0,1]
	scratch_store_dwordx2 off, v[4:5], off offset:80
	s_and_saveexec_b64 s[0:1], vcc
	s_cbranch_execz .LBB29_175
; %bb.174:
	scratch_load_dwordx2 v[4:5], off, off offset:72
	v_mov_b32_e32 v3, v2
	scratch_store_dwordx2 off, v[2:3], off offset:72
	s_waitcnt vmcnt(1)
	ds_write_b64 v1, v[4:5]
.LBB29_175:
	s_or_b64 exec, exec, s[0:1]
	s_waitcnt lgkmcnt(0)
	; wave barrier
	scratch_load_dwordx4 v[4:7], off, off offset:80
	scratch_load_dwordx4 v[8:11], off, off offset:96
	;; [unrolled: 1-line block ×7, first 2 shown]
	ds_read_b128 v[32:35], v2 offset:320
	ds_read_b128 v[98:101], v2 offset:336
	;; [unrolled: 1-line block ×6, first 2 shown]
	scratch_load_dwordx4 v[118:121], off, off offset:192
	scratch_load_dwordx4 v[122:125], off, off offset:208
	;; [unrolled: 1-line block ×3, first 2 shown]
	ds_read_b128 v[130:133], v2 offset:416
	ds_read_b128 v[134:137], v2 offset:432
	;; [unrolled: 1-line block ×4, first 2 shown]
	scratch_load_dwordx2 v[2:3], off, off offset:72
	v_cmp_lt_u32_e32 vcc, 8, v0
	s_waitcnt vmcnt(10) lgkmcnt(9)
	v_mul_f32_e32 v150, v32, v5
	v_mul_f32_e32 v5, v33, v5
	;; [unrolled: 1-line block ×3, first 2 shown]
	s_waitcnt vmcnt(9) lgkmcnt(8)
	v_mul_f32_e32 v152, v98, v9
	s_waitcnt vmcnt(8) lgkmcnt(7)
	v_mul_f32_e32 v155, v104, v15
	v_mul_f32_e32 v7, v35, v7
	;; [unrolled: 1-line block ×4, first 2 shown]
	v_fmac_f32_e32 v150, v33, v4
	v_fma_f32 v4, v32, v4, -v5
	v_fmac_f32_e32 v151, v35, v6
	v_fmac_f32_e32 v155, v105, v14
	v_fma_f32 v5, v34, v6, -v7
	v_fma_f32 v6, v98, v8, -v9
	;; [unrolled: 1-line block ×3, first 2 shown]
	v_add_f32_e32 v14, 0, v150
	v_add_f32_e32 v4, 0, v4
	v_mul_f32_e32 v153, v100, v11
	v_mul_f32_e32 v11, v101, v11
	v_fmac_f32_e32 v152, v99, v8
	v_add_f32_e32 v14, v14, v151
	v_add_f32_e32 v4, v4, v5
	v_mul_f32_e32 v154, v102, v13
	v_mul_f32_e32 v13, v103, v13
	v_fmac_f32_e32 v153, v101, v10
	v_fma_f32 v7, v100, v10, -v11
	v_add_f32_e32 v5, v14, v152
	v_add_f32_e32 v4, v4, v6
	v_fmac_f32_e32 v154, v103, v12
	v_fma_f32 v8, v102, v12, -v13
	v_add_f32_e32 v5, v5, v153
	v_add_f32_e32 v4, v4, v7
	s_waitcnt vmcnt(7) lgkmcnt(6)
	v_mul_f32_e32 v156, v106, v17
	v_mul_f32_e32 v17, v107, v17
	v_add_f32_e32 v5, v5, v154
	v_add_f32_e32 v4, v4, v8
	v_mul_f32_e32 v157, v108, v19
	v_mul_f32_e32 v19, v109, v19
	v_fmac_f32_e32 v156, v107, v16
	v_fma_f32 v10, v106, v16, -v17
	v_add_f32_e32 v5, v5, v155
	v_add_f32_e32 v4, v4, v9
	s_waitcnt vmcnt(6) lgkmcnt(5)
	v_mul_f32_e32 v158, v110, v21
	v_mul_f32_e32 v21, v111, v21
	v_fmac_f32_e32 v157, v109, v18
	v_fma_f32 v11, v108, v18, -v19
	v_add_f32_e32 v5, v5, v156
	v_add_f32_e32 v4, v4, v10
	v_mul_f32_e32 v159, v112, v23
	v_mul_f32_e32 v23, v113, v23
	v_fmac_f32_e32 v158, v111, v20
	v_fma_f32 v12, v110, v20, -v21
	v_add_f32_e32 v5, v5, v157
	v_add_f32_e32 v4, v4, v11
	s_waitcnt vmcnt(5) lgkmcnt(4)
	v_mul_f32_e32 v37, v114, v25
	v_mul_f32_e32 v25, v115, v25
	v_fmac_f32_e32 v159, v113, v22
	v_fma_f32 v13, v112, v22, -v23
	v_add_f32_e32 v5, v5, v158
	v_add_f32_e32 v4, v4, v12
	v_mul_f32_e32 v147, v116, v27
	v_mul_f32_e32 v27, v117, v27
	s_waitcnt vmcnt(4) lgkmcnt(3)
	v_pk_mul_f32 v[148:149], v[130:131], v[28:29] op_sel:[1,1] op_sel_hi:[0,1]
	v_fmac_f32_e32 v37, v115, v24
	v_fma_f32 v36, v114, v24, -v25
	v_add_f32_e32 v5, v5, v159
	v_add_f32_e32 v4, v4, v13
	v_fmac_f32_e32 v147, v117, v26
	v_fma_f32 v146, v116, v26, -v27
	v_pk_add_f32 v[4:5], v[4:5], v[36:37]
	v_pk_fma_f32 v[6:7], v[130:131], v[28:29], v[148:149] neg_lo:[0,0,1] neg_hi:[0,0,1]
	v_pk_fma_f32 v[8:9], v[130:131], v[28:29], v[148:149] op_sel_hi:[1,0,1]
	v_pk_add_f32 v[4:5], v[4:5], v[146:147]
	v_mov_b32_e32 v7, v9
	v_pk_add_f32 v[4:5], v[4:5], v[6:7]
	v_mov_b32_e32 v6, v31
	v_pk_mul_f32 v[6:7], v[132:133], v[6:7] op_sel:[1,0] op_sel_hi:[0,0]
	v_pk_fma_f32 v[8:9], v[132:133], v[30:31], v[6:7] neg_lo:[0,0,1] neg_hi:[0,0,1]
	v_pk_fma_f32 v[6:7], v[132:133], v[30:31], v[6:7] op_sel_hi:[1,0,1]
	s_nop 0
	v_mov_b32_e32 v9, v7
	s_waitcnt vmcnt(3) lgkmcnt(2)
	v_pk_mul_f32 v[6:7], v[134:135], v[118:119] op_sel:[1,1] op_sel_hi:[0,1]
	v_pk_add_f32 v[4:5], v[4:5], v[8:9]
	v_pk_fma_f32 v[8:9], v[134:135], v[118:119], v[6:7] neg_lo:[0,0,1] neg_hi:[0,0,1]
	v_pk_fma_f32 v[6:7], v[134:135], v[118:119], v[6:7] op_sel_hi:[1,0,1]
	s_nop 0
	v_mov_b32_e32 v6, v121
	v_mov_b32_e32 v9, v7
	v_pk_mul_f32 v[6:7], v[136:137], v[6:7] op_sel:[1,0] op_sel_hi:[0,0]
	v_pk_add_f32 v[4:5], v[4:5], v[8:9]
	v_pk_fma_f32 v[8:9], v[136:137], v[120:121], v[6:7] neg_lo:[0,0,1] neg_hi:[0,0,1]
	v_pk_fma_f32 v[6:7], v[136:137], v[120:121], v[6:7] op_sel_hi:[1,0,1]
	s_nop 0
	v_mov_b32_e32 v9, v7
	s_waitcnt vmcnt(2) lgkmcnt(1)
	v_pk_mul_f32 v[6:7], v[138:139], v[122:123] op_sel:[1,1] op_sel_hi:[0,1]
	v_pk_add_f32 v[4:5], v[4:5], v[8:9]
	v_pk_fma_f32 v[8:9], v[138:139], v[122:123], v[6:7] neg_lo:[0,0,1] neg_hi:[0,0,1]
	v_pk_fma_f32 v[6:7], v[138:139], v[122:123], v[6:7] op_sel_hi:[1,0,1]
	s_nop 0
	v_mov_b32_e32 v6, v125
	v_mov_b32_e32 v9, v7
	v_pk_mul_f32 v[6:7], v[140:141], v[6:7] op_sel:[1,0] op_sel_hi:[0,0]
	v_pk_add_f32 v[4:5], v[4:5], v[8:9]
	;; [unrolled: 14-line block ×3, first 2 shown]
	v_pk_fma_f32 v[8:9], v[144:145], v[128:129], v[6:7] neg_lo:[0,0,1] neg_hi:[0,0,1]
	v_pk_fma_f32 v[6:7], v[144:145], v[128:129], v[6:7] op_sel_hi:[1,0,1]
	s_nop 0
	v_mov_b32_e32 v9, v7
	v_pk_add_f32 v[4:5], v[4:5], v[8:9]
	s_waitcnt vmcnt(0)
	v_pk_add_f32 v[2:3], v[2:3], v[4:5] neg_lo:[0,1] neg_hi:[0,1]
	scratch_store_dwordx2 off, v[2:3], off offset:72
	s_and_saveexec_b64 s[0:1], vcc
	s_cbranch_execz .LBB29_177
; %bb.176:
	scratch_load_dwordx2 v[2:3], off, off offset:64
	v_mov_b32_e32 v4, 0
	v_mov_b32_e32 v5, v4
	scratch_store_dwordx2 off, v[4:5], off offset:64
	s_waitcnt vmcnt(1)
	ds_write_b64 v1, v[2:3]
.LBB29_177:
	s_or_b64 exec, exec, s[0:1]
	s_waitcnt lgkmcnt(0)
	; wave barrier
	scratch_load_dwordx4 v[2:5], off, off offset:72
	scratch_load_dwordx4 v[8:11], off, off offset:88
	;; [unrolled: 1-line block ×10, first 2 shown]
	scratch_load_dwordx2 v[36:37], off, off offset:232
	scratch_load_dwordx2 v[138:139], off, off offset:64
	v_mov_b32_e32 v6, 0
	ds_read2_b64 v[106:109], v6 offset0:39 offset1:40
	ds_read2_b64 v[110:113], v6 offset0:41 offset1:42
	;; [unrolled: 1-line block ×8, first 2 shown]
	v_cmp_lt_u32_e32 vcc, 7, v0
	s_waitcnt vmcnt(11) lgkmcnt(7)
	v_mul_f32_e32 v7, v106, v3
	v_mul_f32_e32 v3, v107, v3
	;; [unrolled: 1-line block ×4, first 2 shown]
	v_fmac_f32_e32 v7, v107, v2
	v_fma_f32 v2, v106, v2, -v3
	s_waitcnt vmcnt(10) lgkmcnt(6)
	v_mul_f32_e32 v142, v110, v9
	v_mul_f32_e32 v9, v111, v9
	v_fma_f32 v3, v108, v4, -v5
	v_add_f32_e32 v2, 0, v2
	v_mul_f32_e32 v144, v112, v11
	v_mul_f32_e32 v11, v113, v11
	v_fmac_f32_e32 v140, v109, v4
	v_fma_f32 v4, v110, v8, -v9
	v_add_f32_e32 v7, 0, v7
	v_add_f32_e32 v2, v2, v3
	s_waitcnt vmcnt(9) lgkmcnt(5)
	v_mul_f32_e32 v145, v114, v13
	v_mul_f32_e32 v13, v115, v13
	v_fmac_f32_e32 v142, v111, v8
	v_fma_f32 v5, v112, v10, -v11
	v_add_f32_e32 v7, v7, v140
	v_add_f32_e32 v2, v2, v4
	v_mul_f32_e32 v146, v116, v15
	v_mul_f32_e32 v15, v117, v15
	v_fmac_f32_e32 v144, v113, v10
	v_fma_f32 v8, v114, v12, -v13
	v_add_f32_e32 v3, v7, v142
	v_add_f32_e32 v2, v2, v5
	s_waitcnt vmcnt(8) lgkmcnt(4)
	v_mul_f32_e32 v147, v118, v17
	v_mul_f32_e32 v17, v119, v17
	v_fmac_f32_e32 v145, v115, v12
	v_fma_f32 v9, v116, v14, -v15
	v_add_f32_e32 v3, v3, v144
	;; [unrolled: 13-line block ×4, first 2 shown]
	v_add_f32_e32 v2, v2, v12
	v_fmac_f32_e32 v150, v125, v22
	v_fma_f32 v14, v126, v24, -v25
	v_add_f32_e32 v3, v3, v149
	v_add_f32_e32 v2, v2, v13
	v_mul_f32_e32 v141, v128, v27
	v_fmac_f32_e32 v151, v127, v24
	v_add_f32_e32 v3, v3, v150
	v_add_f32_e32 v12, v2, v14
	v_mul_f32_e32 v2, v129, v27
	s_waitcnt vmcnt(5)
	v_mov_b32_e32 v16, v31
	s_waitcnt lgkmcnt(1)
	v_mul_f32_e32 v143, v130, v29
	v_fmac_f32_e32 v141, v129, v26
	v_add_f32_e32 v13, v3, v151
	v_fma_f32 v140, v128, v26, -v2
	v_mul_f32_e32 v2, v131, v29
	v_pk_mul_f32 v[16:17], v[132:133], v[16:17] op_sel:[1,0] op_sel_hi:[0,0]
	v_fmac_f32_e32 v143, v131, v28
	v_fma_f32 v142, v130, v28, -v2
	v_pk_add_f32 v[12:13], v[12:13], v[140:141]
	v_pk_fma_f32 v[18:19], v[132:133], v[30:31], v[16:17] neg_lo:[0,0,1] neg_hi:[0,0,1]
	v_pk_fma_f32 v[16:17], v[132:133], v[30:31], v[16:17] op_sel_hi:[1,0,1]
	v_pk_add_f32 v[12:13], v[12:13], v[142:143]
	v_mov_b32_e32 v19, v17
	s_waitcnt vmcnt(4) lgkmcnt(0)
	v_pk_mul_f32 v[16:17], v[134:135], v[32:33] op_sel:[1,1] op_sel_hi:[0,1]
	v_pk_add_f32 v[12:13], v[12:13], v[18:19]
	v_pk_fma_f32 v[18:19], v[134:135], v[32:33], v[16:17] neg_lo:[0,0,1] neg_hi:[0,0,1]
	v_pk_fma_f32 v[16:17], v[134:135], v[32:33], v[16:17] op_sel_hi:[1,0,1]
	ds_read2_b64 v[2:5], v6 offset0:55 offset1:56
	ds_read2_b64 v[8:11], v6 offset0:57 offset1:58
	ds_read_b64 v[14:15], v6 offset:472
	v_mov_b32_e32 v16, v35
	v_mov_b32_e32 v19, v17
	v_pk_mul_f32 v[16:17], v[136:137], v[16:17] op_sel:[1,0] op_sel_hi:[0,0]
	v_pk_add_f32 v[12:13], v[12:13], v[18:19]
	v_pk_fma_f32 v[18:19], v[136:137], v[34:35], v[16:17] neg_lo:[0,0,1] neg_hi:[0,0,1]
	v_pk_fma_f32 v[16:17], v[136:137], v[34:35], v[16:17] op_sel_hi:[1,0,1]
	s_nop 0
	v_mov_b32_e32 v19, v17
	s_waitcnt vmcnt(3) lgkmcnt(2)
	v_pk_mul_f32 v[16:17], v[2:3], v[98:99] op_sel:[1,1] op_sel_hi:[0,1]
	v_pk_add_f32 v[12:13], v[12:13], v[18:19]
	v_pk_fma_f32 v[18:19], v[2:3], v[98:99], v[16:17] neg_lo:[0,0,1] neg_hi:[0,0,1]
	v_pk_fma_f32 v[2:3], v[2:3], v[98:99], v[16:17] op_sel_hi:[1,0,1]
	s_nop 0
	v_mov_b32_e32 v19, v3
	v_pk_add_f32 v[2:3], v[12:13], v[18:19]
	v_mov_b32_e32 v12, v101
	v_pk_mul_f32 v[12:13], v[4:5], v[12:13] op_sel:[1,0] op_sel_hi:[0,0]
	v_pk_fma_f32 v[16:17], v[4:5], v[100:101], v[12:13] neg_lo:[0,0,1] neg_hi:[0,0,1]
	v_pk_fma_f32 v[4:5], v[4:5], v[100:101], v[12:13] op_sel_hi:[1,0,1]
	s_nop 0
	v_mov_b32_e32 v17, v5
	s_waitcnt vmcnt(2) lgkmcnt(1)
	v_pk_mul_f32 v[4:5], v[8:9], v[102:103] op_sel:[1,1] op_sel_hi:[0,1]
	v_pk_fma_f32 v[12:13], v[8:9], v[102:103], v[4:5] neg_lo:[0,0,1] neg_hi:[0,0,1]
	v_pk_fma_f32 v[4:5], v[8:9], v[102:103], v[4:5] op_sel_hi:[1,0,1]
	v_pk_add_f32 v[2:3], v[2:3], v[16:17]
	v_mov_b32_e32 v4, v105
	v_mov_b32_e32 v13, v5
	v_pk_mul_f32 v[4:5], v[10:11], v[4:5] op_sel:[1,0] op_sel_hi:[0,0]
	v_pk_fma_f32 v[8:9], v[10:11], v[104:105], v[4:5] neg_lo:[0,0,1] neg_hi:[0,0,1]
	v_pk_fma_f32 v[4:5], v[10:11], v[104:105], v[4:5] op_sel_hi:[1,0,1]
	v_pk_add_f32 v[2:3], v[2:3], v[12:13]
	v_mov_b32_e32 v9, v5
	s_waitcnt vmcnt(1) lgkmcnt(0)
	v_pk_mul_f32 v[4:5], v[14:15], v[36:37] op_sel:[1,1] op_sel_hi:[0,1]
	v_pk_add_f32 v[2:3], v[2:3], v[8:9]
	v_pk_fma_f32 v[8:9], v[14:15], v[36:37], v[4:5] neg_lo:[0,0,1] neg_hi:[0,0,1]
	v_pk_fma_f32 v[4:5], v[14:15], v[36:37], v[4:5] op_sel_hi:[1,0,1]
	s_nop 0
	v_mov_b32_e32 v9, v5
	v_pk_add_f32 v[2:3], v[2:3], v[8:9]
	s_waitcnt vmcnt(0)
	v_pk_add_f32 v[2:3], v[138:139], v[2:3] neg_lo:[0,1] neg_hi:[0,1]
	scratch_store_dwordx2 off, v[2:3], off offset:64
	s_and_saveexec_b64 s[0:1], vcc
	s_cbranch_execz .LBB29_179
; %bb.178:
	scratch_load_dwordx2 v[2:3], off, off offset:56
	v_mov_b32_e32 v7, v6
	scratch_store_dwordx2 off, v[6:7], off offset:56
	s_waitcnt vmcnt(1)
	ds_write_b64 v1, v[2:3]
.LBB29_179:
	s_or_b64 exec, exec, s[0:1]
	s_waitcnt lgkmcnt(0)
	; wave barrier
	scratch_load_dwordx4 v[8:11], off, off offset:64
	scratch_load_dwordx4 v[12:15], off, off offset:80
	;; [unrolled: 1-line block ×7, first 2 shown]
	ds_read_b128 v[98:101], v6 offset:304
	ds_read_b128 v[102:105], v6 offset:320
	;; [unrolled: 1-line block ×6, first 2 shown]
	scratch_load_dwordx4 v[122:125], off, off offset:176
	scratch_load_dwordx4 v[126:129], off, off offset:192
	;; [unrolled: 1-line block ×4, first 2 shown]
	ds_read_b128 v[134:137], v6 offset:400
	ds_read_b128 v[138:141], v6 offset:416
	scratch_load_dwordx2 v[36:37], off, off offset:56
	v_cmp_lt_u32_e32 vcc, 6, v0
	s_waitcnt vmcnt(11) lgkmcnt(7)
	v_mul_f32_e32 v7, v98, v9
	v_mul_f32_e32 v142, v100, v11
	;; [unrolled: 1-line block ×3, first 2 shown]
	v_fmac_f32_e32 v7, v99, v8
	s_waitcnt vmcnt(10) lgkmcnt(6)
	v_mul_f32_e32 v144, v102, v13
	v_mul_f32_e32 v11, v101, v11
	v_fmac_f32_e32 v142, v101, v10
	v_fma_f32 v8, v98, v8, -v9
	v_add_f32_e32 v7, 0, v7
	v_mul_f32_e32 v146, v104, v15
	v_mul_f32_e32 v13, v103, v13
	v_fmac_f32_e32 v144, v103, v12
	v_fma_f32 v9, v100, v10, -v11
	v_add_f32_e32 v8, 0, v8
	v_add_f32_e32 v7, v7, v142
	s_waitcnt vmcnt(9) lgkmcnt(5)
	v_mul_f32_e32 v147, v106, v17
	v_mul_f32_e32 v15, v105, v15
	v_fmac_f32_e32 v146, v105, v14
	v_fma_f32 v10, v102, v12, -v13
	v_add_f32_e32 v8, v8, v9
	v_add_f32_e32 v7, v7, v144
	v_mul_f32_e32 v148, v108, v19
	v_mul_f32_e32 v17, v107, v17
	v_fmac_f32_e32 v147, v107, v16
	v_fma_f32 v11, v104, v14, -v15
	v_add_f32_e32 v8, v8, v10
	v_add_f32_e32 v7, v7, v146
	s_waitcnt vmcnt(8) lgkmcnt(4)
	v_mul_f32_e32 v149, v110, v21
	v_mul_f32_e32 v19, v109, v19
	v_fmac_f32_e32 v148, v109, v18
	v_fma_f32 v12, v106, v16, -v17
	v_add_f32_e32 v8, v8, v11
	;; [unrolled: 13-line block ×4, first 2 shown]
	v_add_f32_e32 v7, v7, v151
	v_mul_f32_e32 v154, v120, v31
	v_mul_f32_e32 v29, v119, v29
	v_fmac_f32_e32 v153, v119, v28
	v_fma_f32 v17, v116, v26, -v27
	v_add_f32_e32 v8, v8, v16
	v_add_f32_e32 v7, v7, v152
	v_fmac_f32_e32 v154, v121, v30
	v_fma_f32 v18, v118, v28, -v29
	v_add_f32_e32 v8, v8, v17
	v_add_f32_e32 v7, v7, v153
	;; [unrolled: 1-line block ×4, first 2 shown]
	v_mul_f32_e32 v8, v121, v31
	v_fma_f32 v8, v120, v30, -v8
	s_waitcnt vmcnt(5) lgkmcnt(1)
	v_mul_f32_e32 v143, v134, v33
	v_add_f32_e32 v20, v7, v8
	v_mul_f32_e32 v7, v135, v33
	v_fmac_f32_e32 v143, v135, v32
	v_fma_f32 v142, v134, v32, -v7
	v_mul_f32_e32 v7, v137, v35
	v_fma_f32 v144, v136, v34, -v7
	ds_read_b128 v[8:11], v6 offset:432
	ds_read_b128 v[12:15], v6 offset:448
	;; [unrolled: 1-line block ×3, first 2 shown]
	v_pk_add_f32 v[6:7], v[20:21], v[142:143]
	s_waitcnt vmcnt(4) lgkmcnt(3)
	v_pk_mul_f32 v[20:21], v[138:139], v[122:123] op_sel:[1,1] op_sel_hi:[0,1]
	v_mul_f32_e32 v145, v136, v35
	v_pk_fma_f32 v[22:23], v[138:139], v[122:123], v[20:21] neg_lo:[0,0,1] neg_hi:[0,0,1]
	v_pk_fma_f32 v[20:21], v[138:139], v[122:123], v[20:21] op_sel_hi:[1,0,1]
	v_fmac_f32_e32 v145, v137, v34
	v_mov_b32_e32 v20, v125
	v_pk_add_f32 v[6:7], v[6:7], v[144:145]
	v_mov_b32_e32 v23, v21
	v_pk_mul_f32 v[20:21], v[140:141], v[20:21] op_sel:[1,0] op_sel_hi:[0,0]
	v_pk_add_f32 v[6:7], v[6:7], v[22:23]
	v_pk_fma_f32 v[22:23], v[140:141], v[124:125], v[20:21] neg_lo:[0,0,1] neg_hi:[0,0,1]
	v_pk_fma_f32 v[20:21], v[140:141], v[124:125], v[20:21] op_sel_hi:[1,0,1]
	s_nop 0
	v_mov_b32_e32 v23, v21
	s_waitcnt vmcnt(3) lgkmcnt(2)
	v_pk_mul_f32 v[20:21], v[8:9], v[126:127] op_sel:[1,1] op_sel_hi:[0,1]
	v_pk_add_f32 v[6:7], v[6:7], v[22:23]
	v_pk_fma_f32 v[22:23], v[8:9], v[126:127], v[20:21] neg_lo:[0,0,1] neg_hi:[0,0,1]
	v_pk_fma_f32 v[8:9], v[8:9], v[126:127], v[20:21] op_sel_hi:[1,0,1]
	s_nop 0
	v_mov_b32_e32 v8, v129
	v_mov_b32_e32 v23, v9
	v_pk_mul_f32 v[8:9], v[10:11], v[8:9] op_sel:[1,0] op_sel_hi:[0,0]
	v_pk_fma_f32 v[20:21], v[10:11], v[128:129], v[8:9] neg_lo:[0,0,1] neg_hi:[0,0,1]
	v_pk_fma_f32 v[8:9], v[10:11], v[128:129], v[8:9] op_sel_hi:[1,0,1]
	v_pk_add_f32 v[6:7], v[6:7], v[22:23]
	v_mov_b32_e32 v21, v9
	s_waitcnt vmcnt(2) lgkmcnt(1)
	v_pk_mul_f32 v[8:9], v[12:13], v[130:131] op_sel:[1,1] op_sel_hi:[0,1]
	v_pk_fma_f32 v[10:11], v[12:13], v[130:131], v[8:9] neg_lo:[0,0,1] neg_hi:[0,0,1]
	v_pk_fma_f32 v[8:9], v[12:13], v[130:131], v[8:9] op_sel_hi:[1,0,1]
	v_pk_add_f32 v[6:7], v[6:7], v[20:21]
	v_mov_b32_e32 v8, v133
	v_mov_b32_e32 v11, v9
	v_pk_mul_f32 v[8:9], v[14:15], v[8:9] op_sel:[1,0] op_sel_hi:[0,0]
	v_pk_add_f32 v[6:7], v[6:7], v[10:11]
	v_pk_fma_f32 v[10:11], v[14:15], v[132:133], v[8:9] neg_lo:[0,0,1] neg_hi:[0,0,1]
	v_pk_fma_f32 v[8:9], v[14:15], v[132:133], v[8:9] op_sel_hi:[1,0,1]
	s_nop 0
	v_mov_b32_e32 v11, v9
	s_waitcnt vmcnt(1) lgkmcnt(0)
	v_pk_mul_f32 v[8:9], v[16:17], v[2:3] op_sel:[1,1] op_sel_hi:[0,1]
	v_pk_add_f32 v[6:7], v[6:7], v[10:11]
	v_pk_fma_f32 v[10:11], v[16:17], v[2:3], v[8:9] neg_lo:[0,0,1] neg_hi:[0,0,1]
	v_pk_fma_f32 v[2:3], v[16:17], v[2:3], v[8:9] op_sel_hi:[1,0,1]
	s_nop 0
	v_mov_b32_e32 v11, v3
	v_pk_add_f32 v[2:3], v[6:7], v[10:11]
	v_mov_b32_e32 v6, v5
	v_pk_mul_f32 v[6:7], v[18:19], v[6:7] op_sel:[1,0] op_sel_hi:[0,0]
	v_pk_fma_f32 v[8:9], v[18:19], v[4:5], v[6:7] neg_lo:[0,0,1] neg_hi:[0,0,1]
	v_pk_fma_f32 v[4:5], v[18:19], v[4:5], v[6:7] op_sel_hi:[1,0,1]
	s_nop 0
	v_mov_b32_e32 v9, v5
	v_pk_add_f32 v[2:3], v[2:3], v[8:9]
	s_waitcnt vmcnt(0)
	v_pk_add_f32 v[2:3], v[36:37], v[2:3] neg_lo:[0,1] neg_hi:[0,1]
	scratch_store_dwordx2 off, v[2:3], off offset:56
	s_and_saveexec_b64 s[0:1], vcc
	s_cbranch_execz .LBB29_181
; %bb.180:
	scratch_load_dwordx2 v[2:3], off, off offset:48
	v_mov_b32_e32 v4, 0
	v_mov_b32_e32 v5, v4
	scratch_store_dwordx2 off, v[4:5], off offset:48
	s_waitcnt vmcnt(1)
	ds_write_b64 v1, v[2:3]
.LBB29_181:
	s_or_b64 exec, exec, s[0:1]
	s_waitcnt lgkmcnt(0)
	; wave barrier
	scratch_load_dwordx4 v[2:5], off, off offset:56
	scratch_load_dwordx4 v[14:17], off, off offset:72
	;; [unrolled: 1-line block ×11, first 2 shown]
	scratch_load_dwordx2 v[22:23], off, off offset:232
	scratch_load_dwordx2 v[36:37], off, off offset:48
	v_mov_b32_e32 v98, 0
	ds_read2_b64 v[112:115], v98 offset0:37 offset1:38
	ds_read2_b64 v[116:119], v98 offset0:39 offset1:40
	;; [unrolled: 1-line block ×8, first 2 shown]
	v_cmp_lt_u32_e32 vcc, 5, v0
	s_waitcnt vmcnt(12) lgkmcnt(7)
	v_mul_f32_e32 v99, v112, v3
	v_mul_f32_e32 v144, v114, v5
	;; [unrolled: 1-line block ×3, first 2 shown]
	v_fmac_f32_e32 v99, v113, v2
	s_waitcnt vmcnt(8) lgkmcnt(3)
	v_mul_f32_e32 v153, v128, v19
	v_mul_f32_e32 v19, v129, v19
	;; [unrolled: 1-line block ×4, first 2 shown]
	v_fmac_f32_e32 v144, v115, v4
	v_fmac_f32_e32 v153, v129, v18
	v_fma_f32 v2, v112, v2, -v3
	v_fma_f32 v18, v128, v18, -v19
	v_add_f32_e32 v19, 0, v99
	v_mul_f32_e32 v148, v118, v17
	v_fmac_f32_e32 v146, v117, v14
	v_fma_f32 v3, v114, v4, -v5
	v_add_f32_e32 v2, 0, v2
	v_add_f32_e32 v19, v19, v144
	v_mul_f32_e32 v149, v120, v25
	v_fmac_f32_e32 v148, v119, v16
	v_add_f32_e32 v2, v2, v3
	v_add_f32_e32 v3, v19, v146
	v_mul_f32_e32 v150, v122, v27
	v_fmac_f32_e32 v149, v121, v24
	v_add_f32_e32 v3, v3, v148
	v_mul_f32_e32 v151, v124, v29
	v_mul_f32_e32 v15, v117, v15
	v_fmac_f32_e32 v150, v123, v26
	v_add_f32_e32 v3, v3, v149
	v_mul_f32_e32 v152, v126, v31
	v_mul_f32_e32 v17, v119, v17
	v_fmac_f32_e32 v151, v125, v28
	v_fma_f32 v4, v116, v14, -v15
	v_add_f32_e32 v3, v3, v150
	v_mul_f32_e32 v25, v121, v25
	v_fmac_f32_e32 v152, v127, v30
	v_fma_f32 v5, v118, v16, -v17
	v_add_f32_e32 v2, v2, v4
	v_add_f32_e32 v3, v3, v151
	v_mul_f32_e32 v154, v130, v21
	v_mul_f32_e32 v27, v123, v27
	v_fma_f32 v14, v120, v24, -v25
	v_add_f32_e32 v2, v2, v5
	v_add_f32_e32 v3, v3, v152
	s_waitcnt vmcnt(7) lgkmcnt(2)
	v_mul_f32_e32 v155, v132, v33
	v_mul_f32_e32 v29, v125, v29
	v_fmac_f32_e32 v154, v131, v20
	v_fma_f32 v15, v122, v26, -v27
	v_add_f32_e32 v2, v2, v14
	v_add_f32_e32 v3, v3, v153
	v_mul_f32_e32 v156, v134, v35
	v_mul_f32_e32 v31, v127, v31
	v_fmac_f32_e32 v155, v133, v32
	v_fma_f32 v16, v124, v28, -v29
	v_add_f32_e32 v2, v2, v15
	v_add_f32_e32 v3, v3, v154
	s_waitcnt vmcnt(6) lgkmcnt(1)
	v_mul_f32_e32 v157, v136, v101
	v_fmac_f32_e32 v156, v135, v34
	v_fma_f32 v17, v126, v30, -v31
	v_add_f32_e32 v2, v2, v16
	v_add_f32_e32 v3, v3, v155
	v_mul_f32_e32 v21, v131, v21
	v_fmac_f32_e32 v157, v137, v100
	v_add_f32_e32 v2, v2, v17
	v_add_f32_e32 v3, v3, v156
	;; [unrolled: 1-line block ×4, first 2 shown]
	v_fma_f32 v3, v130, v20, -v21
	v_add_f32_e32 v2, v2, v3
	v_mul_f32_e32 v3, v133, v33
	v_fma_f32 v3, v132, v32, -v3
	v_add_f32_e32 v2, v2, v3
	v_mul_f32_e32 v3, v135, v35
	;; [unrolled: 3-line block ×4, first 2 shown]
	v_mul_f32_e32 v145, v138, v103
	v_fma_f32 v144, v138, v102, -v2
	s_waitcnt vmcnt(5) lgkmcnt(0)
	v_mul_f32_e32 v2, v141, v105
	v_mov_b32_e32 v28, v107
	v_mul_f32_e32 v147, v140, v105
	v_fmac_f32_e32 v145, v139, v102
	v_fma_f32 v146, v140, v104, -v2
	ds_read2_b64 v[2:5], v98 offset0:53 offset1:54
	ds_read2_b64 v[14:17], v98 offset0:55 offset1:56
	;; [unrolled: 1-line block ×3, first 2 shown]
	ds_read_b64 v[26:27], v98 offset:472
	v_pk_mul_f32 v[28:29], v[142:143], v[28:29] op_sel:[1,0] op_sel_hi:[0,0]
	v_fmac_f32_e32 v147, v141, v104
	v_pk_add_f32 v[24:25], v[24:25], v[144:145]
	v_pk_fma_f32 v[30:31], v[142:143], v[106:107], v[28:29] neg_lo:[0,0,1] neg_hi:[0,0,1]
	v_pk_fma_f32 v[28:29], v[142:143], v[106:107], v[28:29] op_sel_hi:[1,0,1]
	v_pk_add_f32 v[24:25], v[24:25], v[146:147]
	v_mov_b32_e32 v31, v29
	s_waitcnt vmcnt(4) lgkmcnt(3)
	v_pk_mul_f32 v[28:29], v[2:3], v[108:109] op_sel:[1,1] op_sel_hi:[0,1]
	v_pk_add_f32 v[24:25], v[24:25], v[30:31]
	v_pk_fma_f32 v[30:31], v[2:3], v[108:109], v[28:29] neg_lo:[0,0,1] neg_hi:[0,0,1]
	v_pk_fma_f32 v[2:3], v[2:3], v[108:109], v[28:29] op_sel_hi:[1,0,1]
	s_nop 0
	v_mov_b32_e32 v31, v3
	v_pk_add_f32 v[2:3], v[24:25], v[30:31]
	v_mov_b32_e32 v24, v111
	v_pk_mul_f32 v[24:25], v[4:5], v[24:25] op_sel:[1,0] op_sel_hi:[0,0]
	v_pk_fma_f32 v[28:29], v[4:5], v[110:111], v[24:25] neg_lo:[0,0,1] neg_hi:[0,0,1]
	v_pk_fma_f32 v[4:5], v[4:5], v[110:111], v[24:25] op_sel_hi:[1,0,1]
	s_nop 0
	v_mov_b32_e32 v29, v5
	s_waitcnt vmcnt(3) lgkmcnt(2)
	v_pk_mul_f32 v[4:5], v[14:15], v[10:11] op_sel:[1,1] op_sel_hi:[0,1]
	v_pk_fma_f32 v[24:25], v[14:15], v[10:11], v[4:5] neg_lo:[0,0,1] neg_hi:[0,0,1]
	v_pk_fma_f32 v[4:5], v[14:15], v[10:11], v[4:5] op_sel_hi:[1,0,1]
	v_pk_add_f32 v[2:3], v[2:3], v[28:29]
	v_mov_b32_e32 v4, v13
	v_mov_b32_e32 v25, v5
	v_pk_mul_f32 v[4:5], v[16:17], v[4:5] op_sel:[1,0] op_sel_hi:[0,0]
	v_pk_fma_f32 v[10:11], v[16:17], v[12:13], v[4:5] neg_lo:[0,0,1] neg_hi:[0,0,1]
	v_pk_fma_f32 v[4:5], v[16:17], v[12:13], v[4:5] op_sel_hi:[1,0,1]
	v_pk_add_f32 v[2:3], v[2:3], v[24:25]
	v_mov_b32_e32 v11, v5
	s_waitcnt vmcnt(2) lgkmcnt(1)
	v_pk_mul_f32 v[4:5], v[18:19], v[6:7] op_sel:[1,1] op_sel_hi:[0,1]
	v_pk_add_f32 v[2:3], v[2:3], v[10:11]
	v_pk_fma_f32 v[10:11], v[18:19], v[6:7], v[4:5] neg_lo:[0,0,1] neg_hi:[0,0,1]
	v_pk_fma_f32 v[4:5], v[18:19], v[6:7], v[4:5] op_sel_hi:[1,0,1]
	s_nop 0
	v_mov_b32_e32 v4, v9
	v_mov_b32_e32 v11, v5
	v_pk_mul_f32 v[4:5], v[20:21], v[4:5] op_sel:[1,0] op_sel_hi:[0,0]
	v_pk_fma_f32 v[6:7], v[20:21], v[8:9], v[4:5] neg_lo:[0,0,1] neg_hi:[0,0,1]
	v_pk_fma_f32 v[4:5], v[20:21], v[8:9], v[4:5] op_sel_hi:[1,0,1]
	v_pk_add_f32 v[2:3], v[2:3], v[10:11]
	v_mov_b32_e32 v7, v5
	s_waitcnt vmcnt(1) lgkmcnt(0)
	v_pk_mul_f32 v[4:5], v[26:27], v[22:23] op_sel:[1,1] op_sel_hi:[0,1]
	v_pk_add_f32 v[2:3], v[2:3], v[6:7]
	v_pk_fma_f32 v[6:7], v[26:27], v[22:23], v[4:5] neg_lo:[0,0,1] neg_hi:[0,0,1]
	v_pk_fma_f32 v[4:5], v[26:27], v[22:23], v[4:5] op_sel_hi:[1,0,1]
	s_nop 0
	v_mov_b32_e32 v7, v5
	v_pk_add_f32 v[2:3], v[2:3], v[6:7]
	s_waitcnt vmcnt(0)
	v_pk_add_f32 v[2:3], v[36:37], v[2:3] neg_lo:[0,1] neg_hi:[0,1]
	scratch_store_dwordx2 off, v[2:3], off offset:48
	s_and_saveexec_b64 s[0:1], vcc
	s_cbranch_execz .LBB29_183
; %bb.182:
	scratch_load_dwordx2 v[2:3], off, off offset:40
	v_mov_b32_e32 v99, v98
	scratch_store_dwordx2 off, v[98:99], off offset:40
	s_waitcnt vmcnt(1)
	ds_write_b64 v1, v[2:3]
.LBB29_183:
	s_or_b64 exec, exec, s[0:1]
	s_waitcnt lgkmcnt(0)
	; wave barrier
	scratch_load_dwordx4 v[6:9], off, off offset:48
	scratch_load_dwordx4 v[18:21], off, off offset:64
	;; [unrolled: 1-line block ×8, first 2 shown]
	ds_read_b128 v[108:111], v98 offset:288
	ds_read_b128 v[112:115], v98 offset:304
	;; [unrolled: 1-line block ×8, first 2 shown]
	scratch_load_dwordx4 v[140:143], off, off offset:176
	scratch_load_dwordx4 v[26:29], off, off offset:192
	;; [unrolled: 1-line block ×4, first 2 shown]
	scratch_load_dwordx2 v[144:145], off, off offset:40
	v_cmp_lt_u32_e32 vcc, 4, v0
	s_waitcnt vmcnt(12) lgkmcnt(7)
	v_mul_f32_e32 v99, v108, v7
	v_mul_f32_e32 v146, v110, v9
	;; [unrolled: 1-line block ×3, first 2 shown]
	v_fmac_f32_e32 v99, v109, v6
	s_waitcnt vmcnt(8) lgkmcnt(3)
	v_mul_f32_e32 v155, v124, v15
	v_mul_f32_e32 v15, v125, v15
	;; [unrolled: 1-line block ×4, first 2 shown]
	v_fmac_f32_e32 v146, v111, v8
	v_fmac_f32_e32 v155, v125, v14
	v_fma_f32 v6, v108, v6, -v7
	v_fma_f32 v14, v124, v14, -v15
	v_add_f32_e32 v15, 0, v99
	v_mul_f32_e32 v150, v114, v21
	v_fmac_f32_e32 v148, v113, v18
	v_fma_f32 v7, v110, v8, -v9
	v_add_f32_e32 v6, 0, v6
	v_add_f32_e32 v15, v15, v146
	v_mul_f32_e32 v151, v116, v35
	v_fmac_f32_e32 v150, v115, v20
	v_add_f32_e32 v6, v6, v7
	v_add_f32_e32 v7, v15, v148
	v_mul_f32_e32 v152, v118, v37
	v_fmac_f32_e32 v151, v117, v34
	v_add_f32_e32 v7, v7, v150
	v_mul_f32_e32 v153, v120, v101
	v_fmac_f32_e32 v152, v119, v36
	;; [unrolled: 3-line block ×4, first 2 shown]
	v_add_f32_e32 v7, v7, v153
	v_mul_f32_e32 v156, v126, v17
	v_mul_f32_e32 v21, v115, v21
	v_fma_f32 v8, v112, v18, -v19
	v_add_f32_e32 v7, v7, v154
	s_waitcnt vmcnt(7) lgkmcnt(2)
	v_mul_f32_e32 v157, v128, v23
	v_mul_f32_e32 v35, v117, v35
	v_fmac_f32_e32 v156, v127, v16
	v_fma_f32 v9, v114, v20, -v21
	v_add_f32_e32 v6, v6, v8
	v_add_f32_e32 v7, v7, v155
	v_mul_f32_e32 v158, v130, v25
	v_mul_f32_e32 v37, v119, v37
	v_fmac_f32_e32 v157, v129, v22
	v_fma_f32 v18, v116, v34, -v35
	v_add_f32_e32 v6, v6, v9
	v_add_f32_e32 v7, v7, v156
	s_waitcnt vmcnt(6) lgkmcnt(1)
	v_mul_f32_e32 v159, v132, v31
	v_mul_f32_e32 v101, v121, v101
	v_fmac_f32_e32 v158, v131, v24
	v_fma_f32 v19, v118, v36, -v37
	v_add_f32_e32 v6, v6, v18
	v_add_f32_e32 v7, v7, v157
	v_mul_f32_e32 v160, v134, v33
	v_mul_f32_e32 v103, v123, v103
	v_fmac_f32_e32 v159, v133, v30
	v_fma_f32 v20, v120, v100, -v101
	v_add_f32_e32 v6, v6, v19
	v_add_f32_e32 v7, v7, v158
	v_fmac_f32_e32 v160, v135, v32
	v_fma_f32 v21, v122, v102, -v103
	v_add_f32_e32 v6, v6, v20
	v_add_f32_e32 v7, v7, v159
	;; [unrolled: 1-line block ×4, first 2 shown]
	v_mul_f32_e32 v7, v127, v17
	v_add_f32_e32 v6, v6, v14
	v_fma_f32 v7, v126, v16, -v7
	v_add_f32_e32 v6, v6, v7
	v_mul_f32_e32 v7, v129, v23
	v_fma_f32 v7, v128, v22, -v7
	v_add_f32_e32 v6, v6, v7
	v_mul_f32_e32 v7, v131, v25
	v_fma_f32 v7, v130, v24, -v7
	v_add_f32_e32 v6, v6, v7
	v_mul_f32_e32 v7, v133, v31
	v_fma_f32 v7, v132, v30, -v7
	v_add_f32_e32 v6, v6, v7
	v_mul_f32_e32 v7, v135, v33
	v_fma_f32 v7, v134, v32, -v7
	v_add_f32_e32 v34, v6, v7
	s_waitcnt vmcnt(5) lgkmcnt(0)
	v_mul_f32_e32 v6, v137, v105
	v_fma_f32 v146, v136, v104, -v6
	v_mul_f32_e32 v6, v139, v107
	v_fma_f32 v148, v138, v106, -v6
	ds_read_b128 v[6:9], v98 offset:416
	ds_read_b128 v[14:17], v98 offset:432
	;; [unrolled: 1-line block ×4, first 2 shown]
	v_mul_f32_e32 v147, v136, v105
	v_mul_f32_e32 v149, v138, v107
	v_fmac_f32_e32 v147, v137, v104
	s_waitcnt vmcnt(4) lgkmcnt(3)
	v_pk_mul_f32 v[32:33], v[6:7], v[140:141] op_sel:[1,1] op_sel_hi:[0,1]
	v_fmac_f32_e32 v149, v139, v106
	v_pk_add_f32 v[30:31], v[34:35], v[146:147]
	v_pk_fma_f32 v[34:35], v[6:7], v[140:141], v[32:33] neg_lo:[0,0,1] neg_hi:[0,0,1]
	v_pk_fma_f32 v[6:7], v[6:7], v[140:141], v[32:33] op_sel_hi:[1,0,1]
	v_pk_add_f32 v[30:31], v[30:31], v[148:149]
	v_mov_b32_e32 v35, v7
	v_pk_add_f32 v[6:7], v[30:31], v[34:35]
	v_mov_b32_e32 v30, v143
	v_pk_mul_f32 v[30:31], v[8:9], v[30:31] op_sel:[1,0] op_sel_hi:[0,0]
	v_pk_fma_f32 v[32:33], v[8:9], v[142:143], v[30:31] neg_lo:[0,0,1] neg_hi:[0,0,1]
	v_pk_fma_f32 v[8:9], v[8:9], v[142:143], v[30:31] op_sel_hi:[1,0,1]
	s_nop 0
	v_mov_b32_e32 v33, v9
	s_waitcnt vmcnt(3) lgkmcnt(2)
	v_pk_mul_f32 v[8:9], v[14:15], v[26:27] op_sel:[1,1] op_sel_hi:[0,1]
	v_pk_fma_f32 v[30:31], v[14:15], v[26:27], v[8:9] neg_lo:[0,0,1] neg_hi:[0,0,1]
	v_pk_fma_f32 v[8:9], v[14:15], v[26:27], v[8:9] op_sel_hi:[1,0,1]
	v_pk_add_f32 v[6:7], v[6:7], v[32:33]
	v_mov_b32_e32 v8, v29
	v_mov_b32_e32 v31, v9
	v_pk_mul_f32 v[8:9], v[16:17], v[8:9] op_sel:[1,0] op_sel_hi:[0,0]
	v_pk_fma_f32 v[14:15], v[16:17], v[28:29], v[8:9] neg_lo:[0,0,1] neg_hi:[0,0,1]
	v_pk_fma_f32 v[8:9], v[16:17], v[28:29], v[8:9] op_sel_hi:[1,0,1]
	v_pk_add_f32 v[6:7], v[6:7], v[30:31]
	v_mov_b32_e32 v15, v9
	s_waitcnt vmcnt(2) lgkmcnt(1)
	v_pk_mul_f32 v[8:9], v[18:19], v[10:11] op_sel:[1,1] op_sel_hi:[0,1]
	v_pk_add_f32 v[6:7], v[6:7], v[14:15]
	v_pk_fma_f32 v[14:15], v[18:19], v[10:11], v[8:9] neg_lo:[0,0,1] neg_hi:[0,0,1]
	v_pk_fma_f32 v[8:9], v[18:19], v[10:11], v[8:9] op_sel_hi:[1,0,1]
	s_nop 0
	v_mov_b32_e32 v8, v13
	v_mov_b32_e32 v15, v9
	v_pk_mul_f32 v[8:9], v[20:21], v[8:9] op_sel:[1,0] op_sel_hi:[0,0]
	v_pk_fma_f32 v[10:11], v[20:21], v[12:13], v[8:9] neg_lo:[0,0,1] neg_hi:[0,0,1]
	v_pk_fma_f32 v[8:9], v[20:21], v[12:13], v[8:9] op_sel_hi:[1,0,1]
	v_pk_add_f32 v[6:7], v[6:7], v[14:15]
	v_mov_b32_e32 v11, v9
	s_waitcnt vmcnt(1) lgkmcnt(0)
	v_pk_mul_f32 v[8:9], v[22:23], v[2:3] op_sel:[1,1] op_sel_hi:[0,1]
	v_pk_add_f32 v[6:7], v[6:7], v[10:11]
	v_pk_fma_f32 v[10:11], v[22:23], v[2:3], v[8:9] neg_lo:[0,0,1] neg_hi:[0,0,1]
	v_pk_fma_f32 v[2:3], v[22:23], v[2:3], v[8:9] op_sel_hi:[1,0,1]
	s_nop 0
	v_mov_b32_e32 v11, v3
	v_pk_add_f32 v[2:3], v[6:7], v[10:11]
	v_mov_b32_e32 v6, v5
	v_pk_mul_f32 v[6:7], v[24:25], v[6:7] op_sel:[1,0] op_sel_hi:[0,0]
	v_pk_fma_f32 v[8:9], v[24:25], v[4:5], v[6:7] neg_lo:[0,0,1] neg_hi:[0,0,1]
	v_pk_fma_f32 v[4:5], v[24:25], v[4:5], v[6:7] op_sel_hi:[1,0,1]
	s_nop 0
	v_mov_b32_e32 v9, v5
	v_pk_add_f32 v[2:3], v[2:3], v[8:9]
	s_waitcnt vmcnt(0)
	v_pk_add_f32 v[2:3], v[144:145], v[2:3] neg_lo:[0,1] neg_hi:[0,1]
	scratch_store_dwordx2 off, v[2:3], off offset:40
	s_and_saveexec_b64 s[0:1], vcc
	s_cbranch_execz .LBB29_185
; %bb.184:
	scratch_load_dwordx2 v[2:3], off, off offset:32
	v_mov_b32_e32 v4, 0
	v_mov_b32_e32 v5, v4
	scratch_store_dwordx2 off, v[4:5], off offset:32
	s_waitcnt vmcnt(1)
	ds_write_b64 v1, v[2:3]
.LBB29_185:
	s_or_b64 exec, exec, s[0:1]
	s_waitcnt lgkmcnt(0)
	; wave barrier
	scratch_load_dwordx4 v[8:11], off, off offset:40
	scratch_load_dwordx4 v[16:19], off, off offset:56
	;; [unrolled: 1-line block ×8, first 2 shown]
	v_mov_b32_e32 v2, 0
	ds_read2_b64 v[4:7], v2 offset0:35 offset1:36
	ds_read2_b64 v[98:101], v2 offset0:43 offset1:44
	scratch_load_dwordx4 v[134:137], off, off offset:168
	ds_read2_b64 v[130:133], v2 offset0:51 offset1:52
	v_cmp_lt_u32_e32 vcc, 3, v0
	ds_read2_b64 v[106:109], v2 offset0:45 offset1:46
	ds_read2_b64 v[114:117], v2 offset0:47 offset1:48
	;; [unrolled: 1-line block ×3, first 2 shown]
	s_waitcnt vmcnt(8) lgkmcnt(5)
	v_mul_f32_e32 v3, v4, v9
	v_fmac_f32_e32 v3, v5, v8
	v_mul_f32_e32 v12, v6, v11
	v_add_f32_e32 v3, 0, v3
	v_fmac_f32_e32 v12, v7, v10
	v_add_f32_e32 v3, v3, v12
	ds_read2_b64 v[12:15], v2 offset0:37 offset1:38
	s_waitcnt vmcnt(1) lgkmcnt(1)
	v_mul_f32_e32 v151, v124, v129
	v_fmac_f32_e32 v151, v125, v128
	s_waitcnt lgkmcnt(0)
	v_mul_f32_e32 v20, v12, v17
	v_fmac_f32_e32 v20, v13, v16
	v_add_f32_e32 v3, v3, v20
	v_mul_f32_e32 v20, v14, v19
	v_fmac_f32_e32 v20, v15, v18
	v_add_f32_e32 v3, v3, v20
	ds_read2_b64 v[20:23], v2 offset0:39 offset1:40
	s_waitcnt vmcnt(0)
	v_mul_f32_e32 v153, v130, v135
	v_fmac_f32_e32 v153, v131, v134
	s_waitcnt lgkmcnt(0)
	v_mul_f32_e32 v28, v20, v25
	v_fmac_f32_e32 v28, v21, v24
	v_add_f32_e32 v3, v3, v28
	v_mul_f32_e32 v28, v22, v27
	v_fmac_f32_e32 v28, v23, v26
	v_add_f32_e32 v3, v3, v28
	ds_read2_b64 v[28:31], v2 offset0:41 offset1:42
	scratch_load_dwordx4 v[138:141], off, off offset:184
	scratch_load_dwordx4 v[142:145], off, off offset:200
	;; [unrolled: 1-line block ×3, first 2 shown]
	scratch_load_dwordx2 v[154:155], off, off offset:232
	s_waitcnt lgkmcnt(0)
	v_mul_f32_e32 v36, v28, v33
	v_fmac_f32_e32 v36, v29, v32
	v_add_f32_e32 v3, v3, v36
	v_mul_f32_e32 v36, v30, v35
	v_fmac_f32_e32 v36, v31, v34
	v_add_f32_e32 v3, v3, v36
	;; [unrolled: 3-line block ×9, first 2 shown]
	v_mul_f32_e32 v3, v5, v9
	v_fma_f32 v3, v4, v8, -v3
	v_mul_f32_e32 v4, v7, v11
	v_add_f32_e32 v3, 0, v3
	v_fma_f32 v4, v6, v10, -v4
	v_add_f32_e32 v3, v3, v4
	v_mul_f32_e32 v4, v13, v17
	v_fma_f32 v4, v12, v16, -v4
	v_add_f32_e32 v3, v3, v4
	v_mul_f32_e32 v4, v15, v19
	;; [unrolled: 3-line block ×14, first 2 shown]
	v_mov_b32_e32 v20, v137
	v_fma_f32 v150, v124, v128, -v3
	v_mul_f32_e32 v3, v131, v135
	ds_read2_b64 v[4:7], v2 offset0:53 offset1:54
	ds_read2_b64 v[8:11], v2 offset0:55 offset1:56
	;; [unrolled: 1-line block ×3, first 2 shown]
	ds_read_b64 v[16:17], v2 offset:472
	v_pk_mul_f32 v[20:21], v[132:133], v[20:21] op_sel:[1,0] op_sel_hi:[0,0]
	v_fma_f32 v152, v130, v134, -v3
	v_pk_add_f32 v[18:19], v[36:37], v[150:151]
	v_pk_fma_f32 v[22:23], v[132:133], v[136:137], v[20:21] neg_lo:[0,0,1] neg_hi:[0,0,1]
	v_pk_fma_f32 v[20:21], v[132:133], v[136:137], v[20:21] op_sel_hi:[1,0,1]
	v_pk_add_f32 v[18:19], v[18:19], v[152:153]
	v_mov_b32_e32 v23, v21
	s_waitcnt vmcnt(3) lgkmcnt(3)
	v_pk_mul_f32 v[20:21], v[4:5], v[138:139] op_sel:[1,1] op_sel_hi:[0,1]
	v_pk_add_f32 v[18:19], v[18:19], v[22:23]
	v_pk_fma_f32 v[22:23], v[4:5], v[138:139], v[20:21] neg_lo:[0,0,1] neg_hi:[0,0,1]
	v_pk_fma_f32 v[4:5], v[4:5], v[138:139], v[20:21] op_sel_hi:[1,0,1]
	s_nop 0
	v_mov_b32_e32 v23, v5
	v_pk_add_f32 v[4:5], v[18:19], v[22:23]
	v_mov_b32_e32 v18, v141
	v_pk_mul_f32 v[18:19], v[6:7], v[18:19] op_sel:[1,0] op_sel_hi:[0,0]
	v_pk_fma_f32 v[20:21], v[6:7], v[140:141], v[18:19] neg_lo:[0,0,1] neg_hi:[0,0,1]
	v_pk_fma_f32 v[6:7], v[6:7], v[140:141], v[18:19] op_sel_hi:[1,0,1]
	s_nop 0
	v_mov_b32_e32 v21, v7
	s_waitcnt vmcnt(2) lgkmcnt(2)
	v_pk_mul_f32 v[6:7], v[8:9], v[142:143] op_sel:[1,1] op_sel_hi:[0,1]
	v_pk_fma_f32 v[18:19], v[8:9], v[142:143], v[6:7] neg_lo:[0,0,1] neg_hi:[0,0,1]
	v_pk_fma_f32 v[6:7], v[8:9], v[142:143], v[6:7] op_sel_hi:[1,0,1]
	v_pk_add_f32 v[4:5], v[4:5], v[20:21]
	v_mov_b32_e32 v6, v145
	v_mov_b32_e32 v19, v7
	v_pk_mul_f32 v[6:7], v[10:11], v[6:7] op_sel:[1,0] op_sel_hi:[0,0]
	v_pk_fma_f32 v[8:9], v[10:11], v[144:145], v[6:7] neg_lo:[0,0,1] neg_hi:[0,0,1]
	v_pk_fma_f32 v[6:7], v[10:11], v[144:145], v[6:7] op_sel_hi:[1,0,1]
	v_pk_add_f32 v[4:5], v[4:5], v[18:19]
	v_mov_b32_e32 v9, v7
	s_waitcnt vmcnt(1) lgkmcnt(1)
	v_pk_mul_f32 v[6:7], v[12:13], v[146:147] op_sel:[1,1] op_sel_hi:[0,1]
	v_pk_add_f32 v[4:5], v[4:5], v[8:9]
	v_pk_fma_f32 v[8:9], v[12:13], v[146:147], v[6:7] neg_lo:[0,0,1] neg_hi:[0,0,1]
	v_pk_fma_f32 v[6:7], v[12:13], v[146:147], v[6:7] op_sel_hi:[1,0,1]
	s_nop 0
	v_mov_b32_e32 v6, v149
	v_mov_b32_e32 v9, v7
	v_pk_mul_f32 v[6:7], v[14:15], v[6:7] op_sel:[1,0] op_sel_hi:[0,0]
	v_pk_add_f32 v[4:5], v[4:5], v[8:9]
	v_pk_fma_f32 v[8:9], v[14:15], v[148:149], v[6:7] neg_lo:[0,0,1] neg_hi:[0,0,1]
	v_pk_fma_f32 v[6:7], v[14:15], v[148:149], v[6:7] op_sel_hi:[1,0,1]
	s_nop 0
	v_mov_b32_e32 v9, v7
	s_waitcnt vmcnt(0) lgkmcnt(0)
	v_pk_mul_f32 v[6:7], v[16:17], v[154:155] op_sel:[1,1] op_sel_hi:[0,1]
	v_pk_add_f32 v[4:5], v[4:5], v[8:9]
	v_pk_fma_f32 v[8:9], v[16:17], v[154:155], v[6:7] neg_lo:[0,0,1] neg_hi:[0,0,1]
	v_pk_fma_f32 v[6:7], v[16:17], v[154:155], v[6:7] op_sel_hi:[1,0,1]
	s_nop 0
	v_mov_b32_e32 v9, v7
	scratch_load_dwordx2 v[6:7], off, off offset:32
	v_pk_add_f32 v[4:5], v[4:5], v[8:9]
	s_waitcnt vmcnt(0)
	v_pk_add_f32 v[4:5], v[6:7], v[4:5] neg_lo:[0,1] neg_hi:[0,1]
	scratch_store_dwordx2 off, v[4:5], off offset:32
	s_and_saveexec_b64 s[0:1], vcc
	s_cbranch_execz .LBB29_187
; %bb.186:
	scratch_load_dwordx2 v[4:5], off, off offset:24
	v_mov_b32_e32 v3, v2
	scratch_store_dwordx2 off, v[2:3], off offset:24
	s_waitcnt vmcnt(1)
	ds_write_b64 v1, v[4:5]
.LBB29_187:
	s_or_b64 exec, exec, s[0:1]
	s_waitcnt lgkmcnt(0)
	; wave barrier
	ds_read_b128 v[4:7], v2 offset:272
	ds_read_b128 v[8:11], v2 offset:288
	;; [unrolled: 1-line block ×4, first 2 shown]
	scratch_load_dwordx4 v[20:23], off, off offset:32
	scratch_load_dwordx4 v[102:105], off, off offset:96
	ds_read_b128 v[98:101], v2 offset:336
	ds_read_b128 v[106:109], v2 offset:352
	ds_read_b128 v[114:117], v2 offset:368
	ds_read_b128 v[122:125], v2 offset:384
	ds_read_b128 v[130:133], v2 offset:400
	scratch_load_dwordx4 v[134:137], off, off offset:160
	v_cmp_lt_u32_e32 vcc, 2, v0
	scratch_load_dwordx4 v[110:113], off, off offset:112
	scratch_load_dwordx4 v[118:121], off, off offset:128
	;; [unrolled: 1-line block ×3, first 2 shown]
	s_waitcnt vmcnt(5) lgkmcnt(8)
	v_mul_f32_e32 v3, v4, v21
	v_fmac_f32_e32 v3, v5, v20
	v_mul_f32_e32 v24, v6, v23
	v_add_f32_e32 v3, 0, v3
	v_fmac_f32_e32 v24, v7, v22
	v_add_f32_e32 v3, v3, v24
	scratch_load_dwordx4 v[24:27], off, off offset:48
	s_waitcnt vmcnt(4) lgkmcnt(0)
	v_mul_f32_e32 v155, v130, v135
	v_fmac_f32_e32 v155, v131, v134
	v_mul_f32_e32 v157, v132, v137
	v_fmac_f32_e32 v157, v133, v136
	s_waitcnt vmcnt(0)
	v_mul_f32_e32 v28, v8, v25
	v_fmac_f32_e32 v28, v9, v24
	v_add_f32_e32 v3, v3, v28
	v_mul_f32_e32 v28, v10, v27
	v_fmac_f32_e32 v28, v11, v26
	v_add_f32_e32 v3, v3, v28
	scratch_load_dwordx4 v[28:31], off, off offset:64
	s_waitcnt vmcnt(0)
	v_mul_f32_e32 v32, v12, v29
	v_fmac_f32_e32 v32, v13, v28
	v_add_f32_e32 v3, v3, v32
	v_mul_f32_e32 v32, v14, v31
	v_fmac_f32_e32 v32, v15, v30
	v_add_f32_e32 v3, v3, v32
	scratch_load_dwordx4 v[32:35], off, off offset:80
	scratch_load_dwordx4 v[138:141], off, off offset:176
	;; [unrolled: 1-line block ×5, first 2 shown]
	s_waitcnt vmcnt(4)
	v_mul_f32_e32 v36, v16, v33
	v_fmac_f32_e32 v36, v17, v32
	v_add_f32_e32 v3, v3, v36
	v_mul_f32_e32 v36, v18, v35
	v_fmac_f32_e32 v36, v19, v34
	v_add_f32_e32 v3, v3, v36
	;; [unrolled: 3-line block ×10, first 2 shown]
	v_mul_f32_e32 v3, v5, v21
	v_fma_f32 v3, v4, v20, -v3
	v_mul_f32_e32 v4, v7, v23
	v_add_f32_e32 v3, 0, v3
	v_fma_f32 v4, v6, v22, -v4
	v_add_f32_e32 v3, v3, v4
	v_mul_f32_e32 v4, v9, v25
	v_fma_f32 v4, v8, v24, -v4
	v_add_f32_e32 v3, v3, v4
	v_mul_f32_e32 v4, v11, v27
	v_fma_f32 v4, v10, v26, -v4
	v_add_f32_e32 v3, v3, v4
	v_mul_f32_e32 v4, v13, v29
	v_fma_f32 v4, v12, v28, -v4
	v_add_f32_e32 v3, v3, v4
	v_mul_f32_e32 v4, v15, v31
	v_fma_f32 v4, v14, v30, -v4
	v_add_f32_e32 v3, v3, v4
	v_mul_f32_e32 v4, v17, v33
	v_fma_f32 v4, v16, v32, -v4
	v_add_f32_e32 v3, v3, v4
	v_mul_f32_e32 v4, v19, v35
	v_fma_f32 v4, v18, v34, -v4
	v_add_f32_e32 v3, v3, v4
	v_mul_f32_e32 v4, v99, v103
	v_fma_f32 v4, v98, v102, -v4
	v_add_f32_e32 v3, v3, v4
	v_mul_f32_e32 v4, v101, v105
	v_fma_f32 v4, v100, v104, -v4
	v_add_f32_e32 v3, v3, v4
	v_mul_f32_e32 v4, v107, v111
	v_fma_f32 v4, v106, v110, -v4
	v_add_f32_e32 v3, v3, v4
	v_mul_f32_e32 v4, v109, v113
	v_fma_f32 v4, v108, v112, -v4
	v_add_f32_e32 v3, v3, v4
	v_mul_f32_e32 v4, v115, v119
	v_fma_f32 v4, v114, v118, -v4
	v_add_f32_e32 v3, v3, v4
	v_mul_f32_e32 v4, v117, v121
	v_fma_f32 v4, v116, v120, -v4
	v_add_f32_e32 v3, v3, v4
	v_mul_f32_e32 v4, v123, v127
	v_fma_f32 v4, v122, v126, -v4
	v_add_f32_e32 v3, v3, v4
	v_mul_f32_e32 v4, v125, v129
	v_fma_f32 v4, v124, v128, -v4
	v_add_f32_e32 v36, v3, v4
	ds_read_b128 v[4:7], v2 offset:416
	ds_read_b128 v[8:11], v2 offset:432
	;; [unrolled: 1-line block ×4, first 2 shown]
	v_mul_f32_e32 v3, v131, v135
	s_waitcnt vmcnt(3) lgkmcnt(3)
	v_pk_mul_f32 v[20:21], v[4:5], v[138:139] op_sel:[1,1] op_sel_hi:[0,1]
	v_pk_fma_f32 v[22:23], v[4:5], v[138:139], v[20:21] neg_lo:[0,0,1] neg_hi:[0,0,1]
	v_pk_fma_f32 v[4:5], v[4:5], v[138:139], v[20:21] op_sel_hi:[1,0,1]
	v_fma_f32 v154, v130, v134, -v3
	v_mov_b32_e32 v4, v141
	v_mov_b32_e32 v23, v5
	v_pk_mul_f32 v[4:5], v[6:7], v[4:5] op_sel:[1,0] op_sel_hi:[0,0]
	v_mul_f32_e32 v3, v133, v137
	v_pk_fma_f32 v[20:21], v[6:7], v[140:141], v[4:5] neg_lo:[0,0,1] neg_hi:[0,0,1]
	v_pk_fma_f32 v[4:5], v[6:7], v[140:141], v[4:5] op_sel_hi:[1,0,1]
	v_fma_f32 v156, v132, v136, -v3
	v_pk_add_f32 v[2:3], v[36:37], v[154:155]
	v_mov_b32_e32 v21, v5
	s_waitcnt vmcnt(2) lgkmcnt(2)
	v_pk_mul_f32 v[4:5], v[8:9], v[142:143] op_sel:[1,1] op_sel_hi:[0,1]
	v_pk_add_f32 v[2:3], v[2:3], v[156:157]
	v_pk_fma_f32 v[6:7], v[8:9], v[142:143], v[4:5] neg_lo:[0,0,1] neg_hi:[0,0,1]
	v_pk_fma_f32 v[4:5], v[8:9], v[142:143], v[4:5] op_sel_hi:[1,0,1]
	v_pk_add_f32 v[2:3], v[2:3], v[22:23]
	v_mov_b32_e32 v4, v145
	v_pk_add_f32 v[2:3], v[2:3], v[20:21]
	v_mov_b32_e32 v7, v5
	v_pk_mul_f32 v[4:5], v[10:11], v[4:5] op_sel:[1,0] op_sel_hi:[0,0]
	v_pk_add_f32 v[2:3], v[2:3], v[6:7]
	v_pk_fma_f32 v[6:7], v[10:11], v[144:145], v[4:5] neg_lo:[0,0,1] neg_hi:[0,0,1]
	v_pk_fma_f32 v[4:5], v[10:11], v[144:145], v[4:5] op_sel_hi:[1,0,1]
	s_nop 0
	v_mov_b32_e32 v7, v5
	s_waitcnt vmcnt(1) lgkmcnt(1)
	v_pk_mul_f32 v[4:5], v[12:13], v[146:147] op_sel:[1,1] op_sel_hi:[0,1]
	v_pk_add_f32 v[2:3], v[2:3], v[6:7]
	v_pk_fma_f32 v[6:7], v[12:13], v[146:147], v[4:5] neg_lo:[0,0,1] neg_hi:[0,0,1]
	v_pk_fma_f32 v[4:5], v[12:13], v[146:147], v[4:5] op_sel_hi:[1,0,1]
	s_nop 0
	v_mov_b32_e32 v4, v149
	v_mov_b32_e32 v7, v5
	v_pk_mul_f32 v[4:5], v[14:15], v[4:5] op_sel:[1,0] op_sel_hi:[0,0]
	v_pk_add_f32 v[2:3], v[2:3], v[6:7]
	v_pk_fma_f32 v[6:7], v[14:15], v[148:149], v[4:5] neg_lo:[0,0,1] neg_hi:[0,0,1]
	v_pk_fma_f32 v[4:5], v[14:15], v[148:149], v[4:5] op_sel_hi:[1,0,1]
	s_nop 0
	v_mov_b32_e32 v7, v5
	s_waitcnt vmcnt(0) lgkmcnt(0)
	v_pk_mul_f32 v[4:5], v[16:17], v[150:151] op_sel:[1,1] op_sel_hi:[0,1]
	v_pk_add_f32 v[2:3], v[2:3], v[6:7]
	v_pk_fma_f32 v[6:7], v[16:17], v[150:151], v[4:5] neg_lo:[0,0,1] neg_hi:[0,0,1]
	v_pk_fma_f32 v[4:5], v[16:17], v[150:151], v[4:5] op_sel_hi:[1,0,1]
	s_nop 0
	v_mov_b32_e32 v4, v153
	v_mov_b32_e32 v7, v5
	v_pk_mul_f32 v[4:5], v[18:19], v[4:5] op_sel:[1,0] op_sel_hi:[0,0]
	v_pk_add_f32 v[2:3], v[2:3], v[6:7]
	v_pk_fma_f32 v[6:7], v[18:19], v[152:153], v[4:5] neg_lo:[0,0,1] neg_hi:[0,0,1]
	v_pk_fma_f32 v[4:5], v[18:19], v[152:153], v[4:5] op_sel_hi:[1,0,1]
	s_nop 0
	v_mov_b32_e32 v7, v5
	scratch_load_dwordx2 v[4:5], off, off offset:24
	v_pk_add_f32 v[2:3], v[2:3], v[6:7]
	s_waitcnt vmcnt(0)
	v_pk_add_f32 v[2:3], v[4:5], v[2:3] neg_lo:[0,1] neg_hi:[0,1]
	scratch_store_dwordx2 off, v[2:3], off offset:24
	s_and_saveexec_b64 s[0:1], vcc
	s_cbranch_execz .LBB29_189
; %bb.188:
	scratch_load_dwordx2 v[2:3], off, off offset:16
	v_mov_b32_e32 v4, 0
	v_mov_b32_e32 v5, v4
	scratch_store_dwordx2 off, v[4:5], off offset:16
	s_waitcnt vmcnt(1)
	ds_write_b64 v1, v[2:3]
.LBB29_189:
	s_or_b64 exec, exec, s[0:1]
	s_waitcnt lgkmcnt(0)
	; wave barrier
	scratch_load_dwordx4 v[8:11], off, off offset:24
	scratch_load_dwordx4 v[16:19], off, off offset:40
	;; [unrolled: 1-line block ×10, first 2 shown]
	v_mov_b32_e32 v2, 0
	ds_read2_b64 v[4:7], v2 offset0:33 offset1:34
	ds_read2_b64 v[98:101], v2 offset0:41 offset1:42
	ds_read2_b64 v[130:133], v2 offset0:49 offset1:50
	ds_read2_b64 v[138:141], v2 offset0:51 offset1:52
	v_cmp_lt_u32_e32 vcc, 1, v0
	ds_read2_b64 v[106:109], v2 offset0:43 offset1:44
	ds_read2_b64 v[114:117], v2 offset0:45 offset1:46
	ds_read2_b64 v[122:125], v2 offset0:47 offset1:48
	s_waitcnt vmcnt(9) lgkmcnt(6)
	v_mul_f32_e32 v3, v4, v9
	v_fmac_f32_e32 v3, v5, v8
	v_mul_f32_e32 v12, v6, v11
	v_add_f32_e32 v3, 0, v3
	v_fmac_f32_e32 v12, v7, v10
	v_add_f32_e32 v3, v3, v12
	ds_read2_b64 v[12:15], v2 offset0:35 offset1:36
	s_waitcnt vmcnt(1) lgkmcnt(5)
	v_mul_f32_e32 v159, v132, v137
	v_fmac_f32_e32 v159, v133, v136
	s_waitcnt vmcnt(0) lgkmcnt(4)
	v_mul_f32_e32 v161, v138, v143
	s_waitcnt lgkmcnt(0)
	v_mul_f32_e32 v20, v12, v17
	v_fmac_f32_e32 v20, v13, v16
	v_add_f32_e32 v3, v3, v20
	v_mul_f32_e32 v20, v14, v19
	v_fmac_f32_e32 v20, v15, v18
	v_add_f32_e32 v3, v3, v20
	ds_read2_b64 v[20:23], v2 offset0:37 offset1:38
	v_fmac_f32_e32 v161, v139, v142
	s_waitcnt lgkmcnt(0)
	v_mul_f32_e32 v28, v20, v25
	v_fmac_f32_e32 v28, v21, v24
	v_add_f32_e32 v3, v3, v28
	v_mul_f32_e32 v28, v22, v27
	v_fmac_f32_e32 v28, v23, v26
	v_add_f32_e32 v3, v3, v28
	ds_read2_b64 v[28:31], v2 offset0:39 offset1:40
	scratch_load_dwordx4 v[146:149], off, off offset:184
	scratch_load_dwordx4 v[150:153], off, off offset:200
	;; [unrolled: 1-line block ×3, first 2 shown]
	scratch_load_dwordx2 v[162:163], off, off offset:232
	s_waitcnt lgkmcnt(0)
	v_mul_f32_e32 v36, v28, v33
	v_fmac_f32_e32 v36, v29, v32
	v_add_f32_e32 v3, v3, v36
	v_mul_f32_e32 v36, v30, v35
	v_fmac_f32_e32 v36, v31, v34
	v_add_f32_e32 v3, v3, v36
	;; [unrolled: 3-line block ×11, first 2 shown]
	v_mul_f32_e32 v3, v5, v9
	v_fma_f32 v3, v4, v8, -v3
	v_mul_f32_e32 v4, v7, v11
	v_add_f32_e32 v3, 0, v3
	v_fma_f32 v4, v6, v10, -v4
	v_add_f32_e32 v3, v3, v4
	v_mul_f32_e32 v4, v13, v17
	v_fma_f32 v4, v12, v16, -v4
	v_add_f32_e32 v3, v3, v4
	v_mul_f32_e32 v4, v15, v19
	;; [unrolled: 3-line block ×16, first 2 shown]
	v_mov_b32_e32 v20, v145
	v_fma_f32 v158, v132, v136, -v3
	v_mul_f32_e32 v3, v139, v143
	ds_read2_b64 v[4:7], v2 offset0:53 offset1:54
	ds_read2_b64 v[8:11], v2 offset0:55 offset1:56
	;; [unrolled: 1-line block ×3, first 2 shown]
	ds_read_b64 v[16:17], v2 offset:472
	v_pk_mul_f32 v[20:21], v[140:141], v[20:21] op_sel:[1,0] op_sel_hi:[0,0]
	v_fma_f32 v160, v138, v142, -v3
	v_pk_add_f32 v[18:19], v[36:37], v[158:159]
	v_pk_fma_f32 v[22:23], v[140:141], v[144:145], v[20:21] neg_lo:[0,0,1] neg_hi:[0,0,1]
	v_pk_fma_f32 v[20:21], v[140:141], v[144:145], v[20:21] op_sel_hi:[1,0,1]
	v_pk_add_f32 v[18:19], v[18:19], v[160:161]
	v_mov_b32_e32 v23, v21
	s_waitcnt vmcnt(3) lgkmcnt(3)
	v_pk_mul_f32 v[20:21], v[4:5], v[146:147] op_sel:[1,1] op_sel_hi:[0,1]
	v_pk_add_f32 v[18:19], v[18:19], v[22:23]
	v_pk_fma_f32 v[22:23], v[4:5], v[146:147], v[20:21] neg_lo:[0,0,1] neg_hi:[0,0,1]
	v_pk_fma_f32 v[4:5], v[4:5], v[146:147], v[20:21] op_sel_hi:[1,0,1]
	s_nop 0
	v_mov_b32_e32 v23, v5
	v_pk_add_f32 v[4:5], v[18:19], v[22:23]
	v_mov_b32_e32 v18, v149
	v_pk_mul_f32 v[18:19], v[6:7], v[18:19] op_sel:[1,0] op_sel_hi:[0,0]
	v_pk_fma_f32 v[20:21], v[6:7], v[148:149], v[18:19] neg_lo:[0,0,1] neg_hi:[0,0,1]
	v_pk_fma_f32 v[6:7], v[6:7], v[148:149], v[18:19] op_sel_hi:[1,0,1]
	s_nop 0
	v_mov_b32_e32 v21, v7
	s_waitcnt vmcnt(2) lgkmcnt(2)
	v_pk_mul_f32 v[6:7], v[8:9], v[150:151] op_sel:[1,1] op_sel_hi:[0,1]
	v_pk_fma_f32 v[18:19], v[8:9], v[150:151], v[6:7] neg_lo:[0,0,1] neg_hi:[0,0,1]
	v_pk_fma_f32 v[6:7], v[8:9], v[150:151], v[6:7] op_sel_hi:[1,0,1]
	v_pk_add_f32 v[4:5], v[4:5], v[20:21]
	v_mov_b32_e32 v6, v153
	v_mov_b32_e32 v19, v7
	v_pk_mul_f32 v[6:7], v[10:11], v[6:7] op_sel:[1,0] op_sel_hi:[0,0]
	v_pk_fma_f32 v[8:9], v[10:11], v[152:153], v[6:7] neg_lo:[0,0,1] neg_hi:[0,0,1]
	v_pk_fma_f32 v[6:7], v[10:11], v[152:153], v[6:7] op_sel_hi:[1,0,1]
	v_pk_add_f32 v[4:5], v[4:5], v[18:19]
	v_mov_b32_e32 v9, v7
	s_waitcnt vmcnt(1) lgkmcnt(1)
	v_pk_mul_f32 v[6:7], v[12:13], v[154:155] op_sel:[1,1] op_sel_hi:[0,1]
	v_pk_add_f32 v[4:5], v[4:5], v[8:9]
	v_pk_fma_f32 v[8:9], v[12:13], v[154:155], v[6:7] neg_lo:[0,0,1] neg_hi:[0,0,1]
	v_pk_fma_f32 v[6:7], v[12:13], v[154:155], v[6:7] op_sel_hi:[1,0,1]
	s_nop 0
	v_mov_b32_e32 v6, v157
	v_mov_b32_e32 v9, v7
	v_pk_mul_f32 v[6:7], v[14:15], v[6:7] op_sel:[1,0] op_sel_hi:[0,0]
	v_pk_add_f32 v[4:5], v[4:5], v[8:9]
	v_pk_fma_f32 v[8:9], v[14:15], v[156:157], v[6:7] neg_lo:[0,0,1] neg_hi:[0,0,1]
	v_pk_fma_f32 v[6:7], v[14:15], v[156:157], v[6:7] op_sel_hi:[1,0,1]
	s_nop 0
	v_mov_b32_e32 v9, v7
	s_waitcnt vmcnt(0) lgkmcnt(0)
	v_pk_mul_f32 v[6:7], v[16:17], v[162:163] op_sel:[1,1] op_sel_hi:[0,1]
	v_pk_add_f32 v[4:5], v[4:5], v[8:9]
	v_pk_fma_f32 v[8:9], v[16:17], v[162:163], v[6:7] neg_lo:[0,0,1] neg_hi:[0,0,1]
	v_pk_fma_f32 v[6:7], v[16:17], v[162:163], v[6:7] op_sel_hi:[1,0,1]
	s_nop 0
	v_mov_b32_e32 v9, v7
	scratch_load_dwordx2 v[6:7], off, off offset:16
	v_pk_add_f32 v[4:5], v[4:5], v[8:9]
	s_waitcnt vmcnt(0)
	v_pk_add_f32 v[4:5], v[6:7], v[4:5] neg_lo:[0,1] neg_hi:[0,1]
	scratch_store_dwordx2 off, v[4:5], off offset:16
	s_and_saveexec_b64 s[0:1], vcc
	s_cbranch_execz .LBB29_191
; %bb.190:
	scratch_load_dwordx2 v[4:5], off, off offset:8
	v_mov_b32_e32 v3, v2
	scratch_store_dwordx2 off, v[2:3], off offset:8
	s_waitcnt vmcnt(1)
	ds_write_b64 v1, v[4:5]
.LBB29_191:
	s_or_b64 exec, exec, s[0:1]
	s_waitcnt lgkmcnt(0)
	; wave barrier
	ds_read_b128 v[4:7], v2 offset:256
	ds_read_b128 v[8:11], v2 offset:272
	;; [unrolled: 1-line block ×4, first 2 shown]
	scratch_load_dwordx4 v[20:23], off, off offset:16
	scratch_load_dwordx4 v[102:105], off, off offset:80
	;; [unrolled: 1-line block ×4, first 2 shown]
	ds_read_b128 v[98:101], v2 offset:320
	ds_read_b128 v[106:109], v2 offset:336
	;; [unrolled: 1-line block ×6, first 2 shown]
	v_cmp_ne_u32_e32 vcc, 0, v0
	scratch_load_dwordx4 v[110:113], off, off offset:96
	scratch_load_dwordx4 v[118:121], off, off offset:112
	;; [unrolled: 1-line block ×3, first 2 shown]
	s_waitcnt vmcnt(6) lgkmcnt(9)
	v_mul_f32_e32 v3, v4, v21
	v_fmac_f32_e32 v3, v5, v20
	v_mul_f32_e32 v24, v6, v23
	v_add_f32_e32 v3, 0, v3
	v_fmac_f32_e32 v24, v7, v22
	v_add_f32_e32 v3, v3, v24
	scratch_load_dwordx4 v[24:27], off, off offset:32
	s_waitcnt vmcnt(4) lgkmcnt(0)
	v_mul_f32_e32 v163, v138, v143
	v_fmac_f32_e32 v163, v139, v142
	v_mul_f32_e32 v165, v140, v145
	v_fmac_f32_e32 v165, v141, v144
	s_waitcnt vmcnt(0)
	v_mul_f32_e32 v28, v8, v25
	v_fmac_f32_e32 v28, v9, v24
	v_add_f32_e32 v3, v3, v28
	v_mul_f32_e32 v28, v10, v27
	v_fmac_f32_e32 v28, v11, v26
	v_add_f32_e32 v3, v3, v28
	scratch_load_dwordx4 v[28:31], off, off offset:48
	s_waitcnt vmcnt(0)
	v_mul_f32_e32 v32, v12, v29
	v_fmac_f32_e32 v32, v13, v28
	v_add_f32_e32 v3, v3, v32
	v_mul_f32_e32 v32, v14, v31
	v_fmac_f32_e32 v32, v15, v30
	v_add_f32_e32 v3, v3, v32
	scratch_load_dwordx4 v[32:35], off, off offset:64
	scratch_load_dwordx4 v[146:149], off, off offset:176
	;; [unrolled: 1-line block ×5, first 2 shown]
	s_waitcnt vmcnt(4)
	v_mul_f32_e32 v36, v16, v33
	v_fmac_f32_e32 v36, v17, v32
	v_add_f32_e32 v3, v3, v36
	v_mul_f32_e32 v36, v18, v35
	v_fmac_f32_e32 v36, v19, v34
	v_add_f32_e32 v3, v3, v36
	;; [unrolled: 3-line block ×12, first 2 shown]
	v_mul_f32_e32 v3, v5, v21
	v_fma_f32 v3, v4, v20, -v3
	v_mul_f32_e32 v4, v7, v23
	v_add_f32_e32 v3, 0, v3
	v_fma_f32 v4, v6, v22, -v4
	v_add_f32_e32 v3, v3, v4
	v_mul_f32_e32 v4, v9, v25
	v_fma_f32 v4, v8, v24, -v4
	v_add_f32_e32 v3, v3, v4
	v_mul_f32_e32 v4, v11, v27
	;; [unrolled: 3-line block ×16, first 2 shown]
	v_fma_f32 v4, v132, v136, -v4
	v_add_f32_e32 v36, v3, v4
	ds_read_b128 v[4:7], v2 offset:416
	ds_read_b128 v[8:11], v2 offset:432
	;; [unrolled: 1-line block ×4, first 2 shown]
	v_mul_f32_e32 v3, v139, v143
	s_waitcnt vmcnt(3) lgkmcnt(3)
	v_pk_mul_f32 v[20:21], v[4:5], v[146:147] op_sel:[1,1] op_sel_hi:[0,1]
	v_pk_fma_f32 v[22:23], v[4:5], v[146:147], v[20:21] neg_lo:[0,0,1] neg_hi:[0,0,1]
	v_pk_fma_f32 v[4:5], v[4:5], v[146:147], v[20:21] op_sel_hi:[1,0,1]
	v_fma_f32 v162, v138, v142, -v3
	v_mov_b32_e32 v4, v149
	v_mov_b32_e32 v23, v5
	v_pk_mul_f32 v[4:5], v[6:7], v[4:5] op_sel:[1,0] op_sel_hi:[0,0]
	v_mul_f32_e32 v3, v141, v145
	v_pk_fma_f32 v[20:21], v[6:7], v[148:149], v[4:5] neg_lo:[0,0,1] neg_hi:[0,0,1]
	v_pk_fma_f32 v[4:5], v[6:7], v[148:149], v[4:5] op_sel_hi:[1,0,1]
	v_fma_f32 v164, v140, v144, -v3
	v_pk_add_f32 v[2:3], v[36:37], v[162:163]
	v_mov_b32_e32 v21, v5
	s_waitcnt vmcnt(2) lgkmcnt(2)
	v_pk_mul_f32 v[4:5], v[8:9], v[150:151] op_sel:[1,1] op_sel_hi:[0,1]
	v_pk_add_f32 v[2:3], v[2:3], v[164:165]
	v_pk_fma_f32 v[6:7], v[8:9], v[150:151], v[4:5] neg_lo:[0,0,1] neg_hi:[0,0,1]
	v_pk_fma_f32 v[4:5], v[8:9], v[150:151], v[4:5] op_sel_hi:[1,0,1]
	v_pk_add_f32 v[2:3], v[2:3], v[22:23]
	v_mov_b32_e32 v4, v153
	v_pk_add_f32 v[2:3], v[2:3], v[20:21]
	v_mov_b32_e32 v7, v5
	v_pk_mul_f32 v[4:5], v[10:11], v[4:5] op_sel:[1,0] op_sel_hi:[0,0]
	v_pk_add_f32 v[2:3], v[2:3], v[6:7]
	v_pk_fma_f32 v[6:7], v[10:11], v[152:153], v[4:5] neg_lo:[0,0,1] neg_hi:[0,0,1]
	v_pk_fma_f32 v[4:5], v[10:11], v[152:153], v[4:5] op_sel_hi:[1,0,1]
	s_nop 0
	v_mov_b32_e32 v7, v5
	s_waitcnt vmcnt(1) lgkmcnt(1)
	v_pk_mul_f32 v[4:5], v[12:13], v[154:155] op_sel:[1,1] op_sel_hi:[0,1]
	v_pk_add_f32 v[2:3], v[2:3], v[6:7]
	v_pk_fma_f32 v[6:7], v[12:13], v[154:155], v[4:5] neg_lo:[0,0,1] neg_hi:[0,0,1]
	v_pk_fma_f32 v[4:5], v[12:13], v[154:155], v[4:5] op_sel_hi:[1,0,1]
	s_nop 0
	v_mov_b32_e32 v4, v157
	v_mov_b32_e32 v7, v5
	v_pk_mul_f32 v[4:5], v[14:15], v[4:5] op_sel:[1,0] op_sel_hi:[0,0]
	v_pk_add_f32 v[2:3], v[2:3], v[6:7]
	v_pk_fma_f32 v[6:7], v[14:15], v[156:157], v[4:5] neg_lo:[0,0,1] neg_hi:[0,0,1]
	v_pk_fma_f32 v[4:5], v[14:15], v[156:157], v[4:5] op_sel_hi:[1,0,1]
	s_nop 0
	v_mov_b32_e32 v7, v5
	s_waitcnt vmcnt(0) lgkmcnt(0)
	v_pk_mul_f32 v[4:5], v[16:17], v[158:159] op_sel:[1,1] op_sel_hi:[0,1]
	v_pk_add_f32 v[2:3], v[2:3], v[6:7]
	v_pk_fma_f32 v[6:7], v[16:17], v[158:159], v[4:5] neg_lo:[0,0,1] neg_hi:[0,0,1]
	v_pk_fma_f32 v[4:5], v[16:17], v[158:159], v[4:5] op_sel_hi:[1,0,1]
	s_nop 0
	v_mov_b32_e32 v4, v161
	v_mov_b32_e32 v7, v5
	v_pk_mul_f32 v[4:5], v[18:19], v[4:5] op_sel:[1,0] op_sel_hi:[0,0]
	v_pk_add_f32 v[2:3], v[2:3], v[6:7]
	v_pk_fma_f32 v[6:7], v[18:19], v[160:161], v[4:5] neg_lo:[0,0,1] neg_hi:[0,0,1]
	v_pk_fma_f32 v[4:5], v[18:19], v[160:161], v[4:5] op_sel_hi:[1,0,1]
	s_nop 0
	v_mov_b32_e32 v7, v5
	scratch_load_dwordx2 v[4:5], off, off offset:8
	v_pk_add_f32 v[2:3], v[2:3], v[6:7]
	s_waitcnt vmcnt(0)
	v_pk_add_f32 v[2:3], v[4:5], v[2:3] neg_lo:[0,1] neg_hi:[0,1]
	scratch_store_dwordx2 off, v[2:3], off offset:8
	s_and_saveexec_b64 s[0:1], vcc
	s_cbranch_execz .LBB29_193
; %bb.192:
	scratch_load_dwordx2 v[2:3], off, off
	v_mov_b32_e32 v4, 0
	v_mov_b32_e32 v5, v4
	scratch_store_dwordx2 off, v[4:5], off
	s_waitcnt vmcnt(1)
	ds_write_b64 v1, v[2:3]
.LBB29_193:
	s_or_b64 exec, exec, s[0:1]
	s_waitcnt lgkmcnt(0)
	; wave barrier
	scratch_load_dwordx4 v[8:11], off, off offset:8
	scratch_load_dwordx4 v[16:19], off, off offset:24
	;; [unrolled: 1-line block ×10, first 2 shown]
	v_mov_b32_e32 v2, 0
	scratch_load_dwordx4 v[150:153], off, off offset:168
	ds_read2_b64 v[4:7], v2 offset0:31 offset1:32
	ds_read2_b64 v[12:15], v2 offset0:33 offset1:34
	;; [unrolled: 1-line block ×11, first 2 shown]
	scratch_load_dwordx4 v[154:157], off, off offset:184
	scratch_load_dwordx4 v[158:161], off, off offset:200
	;; [unrolled: 1-line block ×3, first 2 shown]
	scratch_load_dwordx2 v[168:169], off, off offset:232
	s_and_b64 vcc, exec, s[18:19]
	s_waitcnt vmcnt(14) lgkmcnt(10)
	v_mul_f32_e32 v0, v4, v9
	v_fmac_f32_e32 v0, v5, v8
	v_mul_f32_e32 v1, v6, v11
	v_add_f32_e32 v0, 0, v0
	v_fmac_f32_e32 v1, v7, v10
	v_add_f32_e32 v0, v0, v1
	s_waitcnt vmcnt(13) lgkmcnt(9)
	v_mul_f32_e32 v1, v12, v17
	v_fmac_f32_e32 v1, v13, v16
	v_add_f32_e32 v0, v0, v1
	v_mul_f32_e32 v1, v14, v19
	v_fmac_f32_e32 v1, v15, v18
	v_add_f32_e32 v0, v0, v1
	s_waitcnt vmcnt(12) lgkmcnt(8)
	v_mul_f32_e32 v1, v20, v25
	v_fmac_f32_e32 v1, v21, v24
	v_add_f32_e32 v0, v0, v1
	v_mul_f32_e32 v1, v22, v27
	;; [unrolled: 7-line block ×9, first 2 shown]
	v_fma_f32 v0, v4, v8, -v0
	v_mul_f32_e32 v3, v7, v11
	v_add_f32_e32 v0, 0, v0
	v_fma_f32 v3, v6, v10, -v3
	v_add_f32_e32 v0, v0, v3
	v_mul_f32_e32 v3, v13, v17
	v_fma_f32 v3, v12, v16, -v3
	v_add_f32_e32 v0, v0, v3
	v_mul_f32_e32 v3, v15, v19
	;; [unrolled: 3-line block ×17, first 2 shown]
	v_fma_f32 v3, v138, v142, -v3
	v_mul_f32_e32 v37, v140, v145
	v_add_f32_e32 v0, v0, v3
	v_mul_f32_e32 v3, v141, v145
	s_waitcnt vmcnt(4)
	v_mov_b32_e32 v18, v153
	v_fmac_f32_e32 v37, v141, v144
	s_waitcnt lgkmcnt(0)
	v_mul_f32_e32 v167, v146, v151
	v_fma_f32 v36, v140, v144, -v3
	v_mul_f32_e32 v3, v147, v151
	ds_read2_b64 v[4:7], v2 offset0:53 offset1:54
	ds_read2_b64 v[8:11], v2 offset0:55 offset1:56
	;; [unrolled: 1-line block ×3, first 2 shown]
	ds_read_b64 v[16:17], v2 offset:472
	v_pk_mul_f32 v[18:19], v[148:149], v[18:19] op_sel:[1,0] op_sel_hi:[0,0]
	v_fmac_f32_e32 v167, v147, v150
	v_fma_f32 v166, v146, v150, -v3
	v_pk_add_f32 v[0:1], v[0:1], v[36:37]
	v_pk_fma_f32 v[20:21], v[148:149], v[152:153], v[18:19] neg_lo:[0,0,1] neg_hi:[0,0,1]
	v_pk_fma_f32 v[18:19], v[148:149], v[152:153], v[18:19] op_sel_hi:[1,0,1]
	v_pk_add_f32 v[0:1], v[0:1], v[166:167]
	v_mov_b32_e32 v21, v19
	s_waitcnt vmcnt(3) lgkmcnt(3)
	v_pk_mul_f32 v[18:19], v[4:5], v[154:155] op_sel:[1,1] op_sel_hi:[0,1]
	v_pk_add_f32 v[0:1], v[0:1], v[20:21]
	v_pk_fma_f32 v[20:21], v[4:5], v[154:155], v[18:19] neg_lo:[0,0,1] neg_hi:[0,0,1]
	v_pk_fma_f32 v[4:5], v[4:5], v[154:155], v[18:19] op_sel_hi:[1,0,1]
	s_nop 0
	v_mov_b32_e32 v4, v157
	v_mov_b32_e32 v21, v5
	v_pk_mul_f32 v[4:5], v[6:7], v[4:5] op_sel:[1,0] op_sel_hi:[0,0]
	v_pk_fma_f32 v[18:19], v[6:7], v[156:157], v[4:5] neg_lo:[0,0,1] neg_hi:[0,0,1]
	v_pk_fma_f32 v[4:5], v[6:7], v[156:157], v[4:5] op_sel_hi:[1,0,1]
	v_pk_add_f32 v[0:1], v[0:1], v[20:21]
	v_mov_b32_e32 v19, v5
	s_waitcnt vmcnt(2) lgkmcnt(2)
	v_pk_mul_f32 v[4:5], v[8:9], v[158:159] op_sel:[1,1] op_sel_hi:[0,1]
	v_pk_fma_f32 v[6:7], v[8:9], v[158:159], v[4:5] neg_lo:[0,0,1] neg_hi:[0,0,1]
	v_pk_fma_f32 v[4:5], v[8:9], v[158:159], v[4:5] op_sel_hi:[1,0,1]
	v_pk_add_f32 v[0:1], v[0:1], v[18:19]
	v_mov_b32_e32 v4, v161
	v_mov_b32_e32 v7, v5
	v_pk_mul_f32 v[4:5], v[10:11], v[4:5] op_sel:[1,0] op_sel_hi:[0,0]
	v_pk_add_f32 v[0:1], v[0:1], v[6:7]
	v_pk_fma_f32 v[6:7], v[10:11], v[160:161], v[4:5] neg_lo:[0,0,1] neg_hi:[0,0,1]
	v_pk_fma_f32 v[4:5], v[10:11], v[160:161], v[4:5] op_sel_hi:[1,0,1]
	s_nop 0
	v_mov_b32_e32 v7, v5
	s_waitcnt vmcnt(1) lgkmcnt(1)
	v_pk_mul_f32 v[4:5], v[12:13], v[162:163] op_sel:[1,1] op_sel_hi:[0,1]
	v_pk_add_f32 v[0:1], v[0:1], v[6:7]
	v_pk_fma_f32 v[6:7], v[12:13], v[162:163], v[4:5] neg_lo:[0,0,1] neg_hi:[0,0,1]
	v_pk_fma_f32 v[4:5], v[12:13], v[162:163], v[4:5] op_sel_hi:[1,0,1]
	s_nop 0
	v_mov_b32_e32 v4, v165
	v_mov_b32_e32 v7, v5
	v_pk_mul_f32 v[4:5], v[14:15], v[4:5] op_sel:[1,0] op_sel_hi:[0,0]
	v_pk_add_f32 v[0:1], v[0:1], v[6:7]
	v_pk_fma_f32 v[6:7], v[14:15], v[164:165], v[4:5] neg_lo:[0,0,1] neg_hi:[0,0,1]
	v_pk_fma_f32 v[4:5], v[14:15], v[164:165], v[4:5] op_sel_hi:[1,0,1]
	s_nop 0
	v_mov_b32_e32 v7, v5
	s_waitcnt vmcnt(0) lgkmcnt(0)
	v_pk_mul_f32 v[4:5], v[16:17], v[168:169] op_sel:[1,1] op_sel_hi:[0,1]
	v_pk_add_f32 v[0:1], v[0:1], v[6:7]
	v_pk_fma_f32 v[6:7], v[16:17], v[168:169], v[4:5] neg_lo:[0,0,1] neg_hi:[0,0,1]
	v_pk_fma_f32 v[4:5], v[16:17], v[168:169], v[4:5] op_sel_hi:[1,0,1]
	s_nop 0
	v_mov_b32_e32 v7, v5
	scratch_load_dwordx2 v[4:5], off, off
	v_pk_add_f32 v[0:1], v[0:1], v[6:7]
	s_waitcnt vmcnt(0)
	v_pk_add_f32 v[0:1], v[4:5], v[0:1] neg_lo:[0,1] neg_hi:[0,1]
	scratch_store_dwordx2 off, v[0:1], off
	s_cbranch_vccz .LBB29_252
; %bb.194:
	global_load_dword v0, v2, s[16:17] offset:112
	s_waitcnt vmcnt(0)
	v_readfirstlane_b32 s0, v0
	s_add_i32 s0, s0, -1
	s_cmp_lg_u32 s0, 28
	s_cbranch_scc0 .LBB29_196
; %bb.195:
	s_lshl_b32 s0, s0, 3
	s_nop 0
	scratch_load_dwordx2 v[0:1], off, s0
	scratch_load_dwordx2 v[2:3], off, off offset:224
	s_waitcnt vmcnt(1)
	scratch_store_dwordx2 off, v[0:1], off offset:224
	s_waitcnt vmcnt(1)
	scratch_store_dwordx2 off, v[2:3], s0
.LBB29_196:
	v_mov_b32_e32 v0, 0
	global_load_dword v1, v0, s[16:17] offset:108
	s_waitcnt vmcnt(0)
	v_readfirstlane_b32 s0, v1
	s_add_i32 s0, s0, -1
	s_cmp_eq_u32 s0, 27
	s_cbranch_scc1 .LBB29_198
; %bb.197:
	s_lshl_b32 s0, s0, 3
	s_nop 0
	scratch_load_dwordx2 v[2:3], off, s0
	scratch_load_dwordx2 v[4:5], off, off offset:216
	s_waitcnt vmcnt(1)
	scratch_store_dwordx2 off, v[2:3], off offset:216
	s_waitcnt vmcnt(1)
	scratch_store_dwordx2 off, v[4:5], s0
.LBB29_198:
	global_load_dword v0, v0, s[16:17] offset:104
	s_waitcnt vmcnt(0)
	v_readfirstlane_b32 s0, v0
	s_add_i32 s0, s0, -1
	s_cmp_eq_u32 s0, 26
	s_cbranch_scc1 .LBB29_200
; %bb.199:
	s_lshl_b32 s0, s0, 3
	s_nop 0
	scratch_load_dwordx2 v[0:1], off, s0
	scratch_load_dwordx2 v[2:3], off, off offset:208
	s_waitcnt vmcnt(1)
	scratch_store_dwordx2 off, v[0:1], off offset:208
	s_waitcnt vmcnt(1)
	scratch_store_dwordx2 off, v[2:3], s0
.LBB29_200:
	v_mov_b32_e32 v0, 0
	global_load_dword v1, v0, s[16:17] offset:100
	s_waitcnt vmcnt(0)
	v_readfirstlane_b32 s0, v1
	s_add_i32 s0, s0, -1
	s_cmp_eq_u32 s0, 25
	s_cbranch_scc1 .LBB29_202
; %bb.201:
	s_lshl_b32 s0, s0, 3
	s_nop 0
	scratch_load_dwordx2 v[2:3], off, s0
	scratch_load_dwordx2 v[4:5], off, off offset:200
	s_waitcnt vmcnt(1)
	scratch_store_dwordx2 off, v[2:3], off offset:200
	s_waitcnt vmcnt(1)
	scratch_store_dwordx2 off, v[4:5], s0
.LBB29_202:
	global_load_dword v0, v0, s[16:17] offset:96
	s_waitcnt vmcnt(0)
	v_readfirstlane_b32 s0, v0
	s_add_i32 s0, s0, -1
	s_cmp_eq_u32 s0, 24
	s_cbranch_scc1 .LBB29_204
; %bb.203:
	s_lshl_b32 s0, s0, 3
	s_nop 0
	scratch_load_dwordx2 v[0:1], off, s0
	scratch_load_dwordx2 v[2:3], off, off offset:192
	s_waitcnt vmcnt(1)
	scratch_store_dwordx2 off, v[0:1], off offset:192
	s_waitcnt vmcnt(1)
	scratch_store_dwordx2 off, v[2:3], s0
.LBB29_204:
	;; [unrolled: 33-line block ×13, first 2 shown]
	v_mov_b32_e32 v0, 0
	global_load_dword v1, v0, s[16:17] offset:4
	s_waitcnt vmcnt(0)
	v_readfirstlane_b32 s0, v1
	s_add_i32 s0, s0, -1
	s_cmp_eq_u32 s0, 1
	s_cbranch_scc1 .LBB29_250
; %bb.249:
	s_lshl_b32 s0, s0, 3
	s_nop 0
	scratch_load_dwordx2 v[2:3], off, s0
	scratch_load_dwordx2 v[4:5], off, off offset:8
	s_waitcnt vmcnt(1)
	scratch_store_dwordx2 off, v[2:3], off offset:8
	s_waitcnt vmcnt(1)
	scratch_store_dwordx2 off, v[4:5], s0
.LBB29_250:
	global_load_dword v2, v0, s[16:17]
	s_nop 0
	scratch_load_dwordx2 v[0:1], off, off
	s_waitcnt vmcnt(1)
	v_readfirstlane_b32 s0, v2
	s_add_i32 s0, s0, -1
	s_cmp_eq_u32 s0, 0
	s_cbranch_scc1 .LBB29_252
; %bb.251:
	s_lshl_b32 s0, s0, 3
	s_nop 0
	scratch_load_dwordx2 v[2:3], off, s0
	s_waitcnt vmcnt(0)
	scratch_store_dwordx2 off, v[2:3], off
	scratch_store_dwordx2 off, v[0:1], s0
	scratch_load_dwordx2 v[0:1], off, off
.LBB29_252:
	s_nop 0
	scratch_load_dwordx4 v[4:7], off, off offset:8
	scratch_load_dwordx4 v[8:11], off, off offset:24
	;; [unrolled: 1-line block ×14, first 2 shown]
	scratch_load_dwordx2 v[2:3], off, off offset:232
	s_waitcnt vmcnt(15)
	global_store_dwordx2 v[38:39], v[0:1], off
	s_waitcnt vmcnt(15)
	global_store_dwordx2 v[40:41], v[4:5], off
	global_store_dwordx2 v[42:43], v[6:7], off
	s_waitcnt vmcnt(16)
	global_store_dwordx2 v[44:45], v[8:9], off
	;; [unrolled: 3-line block ×15, first 2 shown]
	s_endpgm
	.section	.rodata,"a",@progbits
	.p2align	6, 0x0
	.amdhsa_kernel _ZN9rocsolver6v33100L18getri_kernel_smallILi30E19rocblas_complex_numIfEPS3_EEvT1_iilPiilS6_bb
		.amdhsa_group_segment_fixed_size 484
		.amdhsa_private_segment_fixed_size 256
		.amdhsa_kernarg_size 60
		.amdhsa_user_sgpr_count 2
		.amdhsa_user_sgpr_dispatch_ptr 0
		.amdhsa_user_sgpr_queue_ptr 0
		.amdhsa_user_sgpr_kernarg_segment_ptr 1
		.amdhsa_user_sgpr_dispatch_id 0
		.amdhsa_user_sgpr_kernarg_preload_length 0
		.amdhsa_user_sgpr_kernarg_preload_offset 0
		.amdhsa_user_sgpr_private_segment_size 0
		.amdhsa_uses_dynamic_stack 0
		.amdhsa_enable_private_segment 1
		.amdhsa_system_sgpr_workgroup_id_x 1
		.amdhsa_system_sgpr_workgroup_id_y 0
		.amdhsa_system_sgpr_workgroup_id_z 0
		.amdhsa_system_sgpr_workgroup_info 0
		.amdhsa_system_vgpr_workitem_id 0
		.amdhsa_next_free_vgpr 170
		.amdhsa_next_free_sgpr 20
		.amdhsa_accum_offset 172
		.amdhsa_reserve_vcc 1
		.amdhsa_float_round_mode_32 0
		.amdhsa_float_round_mode_16_64 0
		.amdhsa_float_denorm_mode_32 3
		.amdhsa_float_denorm_mode_16_64 3
		.amdhsa_dx10_clamp 1
		.amdhsa_ieee_mode 1
		.amdhsa_fp16_overflow 0
		.amdhsa_tg_split 0
		.amdhsa_exception_fp_ieee_invalid_op 0
		.amdhsa_exception_fp_denorm_src 0
		.amdhsa_exception_fp_ieee_div_zero 0
		.amdhsa_exception_fp_ieee_overflow 0
		.amdhsa_exception_fp_ieee_underflow 0
		.amdhsa_exception_fp_ieee_inexact 0
		.amdhsa_exception_int_div_zero 0
	.end_amdhsa_kernel
	.section	.text._ZN9rocsolver6v33100L18getri_kernel_smallILi30E19rocblas_complex_numIfEPS3_EEvT1_iilPiilS6_bb,"axG",@progbits,_ZN9rocsolver6v33100L18getri_kernel_smallILi30E19rocblas_complex_numIfEPS3_EEvT1_iilPiilS6_bb,comdat
.Lfunc_end29:
	.size	_ZN9rocsolver6v33100L18getri_kernel_smallILi30E19rocblas_complex_numIfEPS3_EEvT1_iilPiilS6_bb, .Lfunc_end29-_ZN9rocsolver6v33100L18getri_kernel_smallILi30E19rocblas_complex_numIfEPS3_EEvT1_iilPiilS6_bb
                                        ; -- End function
	.set _ZN9rocsolver6v33100L18getri_kernel_smallILi30E19rocblas_complex_numIfEPS3_EEvT1_iilPiilS6_bb.num_vgpr, 170
	.set _ZN9rocsolver6v33100L18getri_kernel_smallILi30E19rocblas_complex_numIfEPS3_EEvT1_iilPiilS6_bb.num_agpr, 0
	.set _ZN9rocsolver6v33100L18getri_kernel_smallILi30E19rocblas_complex_numIfEPS3_EEvT1_iilPiilS6_bb.numbered_sgpr, 20
	.set _ZN9rocsolver6v33100L18getri_kernel_smallILi30E19rocblas_complex_numIfEPS3_EEvT1_iilPiilS6_bb.num_named_barrier, 0
	.set _ZN9rocsolver6v33100L18getri_kernel_smallILi30E19rocblas_complex_numIfEPS3_EEvT1_iilPiilS6_bb.private_seg_size, 256
	.set _ZN9rocsolver6v33100L18getri_kernel_smallILi30E19rocblas_complex_numIfEPS3_EEvT1_iilPiilS6_bb.uses_vcc, 1
	.set _ZN9rocsolver6v33100L18getri_kernel_smallILi30E19rocblas_complex_numIfEPS3_EEvT1_iilPiilS6_bb.uses_flat_scratch, 0
	.set _ZN9rocsolver6v33100L18getri_kernel_smallILi30E19rocblas_complex_numIfEPS3_EEvT1_iilPiilS6_bb.has_dyn_sized_stack, 0
	.set _ZN9rocsolver6v33100L18getri_kernel_smallILi30E19rocblas_complex_numIfEPS3_EEvT1_iilPiilS6_bb.has_recursion, 0
	.set _ZN9rocsolver6v33100L18getri_kernel_smallILi30E19rocblas_complex_numIfEPS3_EEvT1_iilPiilS6_bb.has_indirect_call, 0
	.section	.AMDGPU.csdata,"",@progbits
; Kernel info:
; codeLenInByte = 32192
; TotalNumSgprs: 26
; NumVgprs: 170
; NumAgprs: 0
; TotalNumVgprs: 170
; ScratchSize: 256
; MemoryBound: 0
; FloatMode: 240
; IeeeMode: 1
; LDSByteSize: 484 bytes/workgroup (compile time only)
; SGPRBlocks: 3
; VGPRBlocks: 21
; NumSGPRsForWavesPerEU: 26
; NumVGPRsForWavesPerEU: 170
; AccumOffset: 172
; Occupancy: 2
; WaveLimiterHint : 1
; COMPUTE_PGM_RSRC2:SCRATCH_EN: 1
; COMPUTE_PGM_RSRC2:USER_SGPR: 2
; COMPUTE_PGM_RSRC2:TRAP_HANDLER: 0
; COMPUTE_PGM_RSRC2:TGID_X_EN: 1
; COMPUTE_PGM_RSRC2:TGID_Y_EN: 0
; COMPUTE_PGM_RSRC2:TGID_Z_EN: 0
; COMPUTE_PGM_RSRC2:TIDIG_COMP_CNT: 0
; COMPUTE_PGM_RSRC3_GFX90A:ACCUM_OFFSET: 42
; COMPUTE_PGM_RSRC3_GFX90A:TG_SPLIT: 0
	.section	.text._ZN9rocsolver6v33100L18getri_kernel_smallILi31E19rocblas_complex_numIfEPS3_EEvT1_iilPiilS6_bb,"axG",@progbits,_ZN9rocsolver6v33100L18getri_kernel_smallILi31E19rocblas_complex_numIfEPS3_EEvT1_iilPiilS6_bb,comdat
	.globl	_ZN9rocsolver6v33100L18getri_kernel_smallILi31E19rocblas_complex_numIfEPS3_EEvT1_iilPiilS6_bb ; -- Begin function _ZN9rocsolver6v33100L18getri_kernel_smallILi31E19rocblas_complex_numIfEPS3_EEvT1_iilPiilS6_bb
	.p2align	8
	.type	_ZN9rocsolver6v33100L18getri_kernel_smallILi31E19rocblas_complex_numIfEPS3_EEvT1_iilPiilS6_bb,@function
_ZN9rocsolver6v33100L18getri_kernel_smallILi31E19rocblas_complex_numIfEPS3_EEvT1_iilPiilS6_bb: ; @_ZN9rocsolver6v33100L18getri_kernel_smallILi31E19rocblas_complex_numIfEPS3_EEvT1_iilPiilS6_bb
; %bb.0:
	v_cmp_gt_u32_e32 vcc, 31, v0
	s_and_saveexec_b64 s[4:5], vcc
	s_cbranch_execz .LBB30_138
; %bb.1:
	s_load_dword s8, s[0:1], 0x38
	s_load_dwordx4 s[12:15], s[0:1], 0x10
	s_load_dwordx4 s[4:7], s[0:1], 0x28
                                        ; implicit-def: $sgpr16_sgpr17
	s_waitcnt lgkmcnt(0)
	s_bitcmp1_b32 s8, 8
	s_cselect_b64 s[18:19], -1, 0
	s_ashr_i32 s3, s2, 31
	s_bfe_u32 s8, s8, 0x10008
	s_cmp_eq_u32 s8, 0
	s_cbranch_scc1 .LBB30_3
; %bb.2:
	s_load_dword s8, s[0:1], 0x20
	s_mul_i32 s9, s4, s3
	s_mul_hi_u32 s10, s4, s2
	s_mul_i32 s5, s5, s2
	s_add_i32 s10, s10, s9
	s_add_i32 s5, s10, s5
	s_mul_i32 s4, s4, s2
	s_waitcnt lgkmcnt(0)
	s_ashr_i32 s9, s8, 31
	s_lshl_b64 s[4:5], s[4:5], 2
	s_add_u32 s10, s14, s4
	s_addc_u32 s11, s15, s5
	s_lshl_b64 s[4:5], s[8:9], 2
	s_add_u32 s16, s10, s4
	s_addc_u32 s17, s11, s5
.LBB30_3:
	s_load_dwordx4 s[8:11], s[0:1], 0x0
	s_load_dword s4, s[0:1], 0x38
	s_mul_i32 s5, s12, s3
	s_mul_hi_u32 s14, s12, s2
	s_add_i32 s5, s14, s5
	s_waitcnt lgkmcnt(0)
	s_ashr_i32 s1, s10, 31
	s_mov_b32 s0, s10
	s_mul_i32 s10, s13, s2
	s_add_i32 s13, s5, s10
	s_mul_i32 s12, s12, s2
	s_lshl_b64 s[12:13], s[12:13], 3
	s_add_u32 s5, s8, s12
	s_addc_u32 s8, s9, s13
	s_lshl_b64 s[0:1], s[0:1], 3
	s_add_u32 s0, s5, s0
	s_addc_u32 s1, s8, s1
	s_add_i32 s5, s11, s11
	v_add_u32_e32 v4, s5, v0
	v_add_u32_e32 v6, s11, v4
	;; [unrolled: 1-line block ×28, first 2 shown]
	v_ashrrev_i32_e32 v3, 31, v2
	v_add_u32_e32 v58, s11, v2
	v_lshl_add_u64 v[102:103], v[2:3], 3, s[0:1]
	v_lshlrev_b32_e32 v2, 3, v0
	v_mov_b32_e32 v3, 0
	v_ashrrev_i32_e32 v59, 31, v58
	s_mov_b32 s8, s11
	s_ashr_i32 s9, s11, 31
	v_ashrrev_i32_e32 v11, 31, v10
	v_lshl_add_u64 v[110:111], s[0:1], 0, v[2:3]
	v_ashrrev_i32_e32 v19, 31, v18
	v_ashrrev_i32_e32 v27, 31, v26
	;; [unrolled: 1-line block ×5, first 2 shown]
	v_lshl_add_u64 v[100:101], v[58:59], 3, s[0:1]
	v_ashrrev_i32_e32 v5, 31, v4
	v_ashrrev_i32_e32 v7, 31, v6
	;; [unrolled: 1-line block ×3, first 2 shown]
	v_lshl_add_u64 v[112:113], s[8:9], 3, v[110:111]
	v_lshl_add_u64 v[114:115], v[10:11], 3, s[0:1]
	v_ashrrev_i32_e32 v13, 31, v12
	v_ashrrev_i32_e32 v15, 31, v14
	v_ashrrev_i32_e32 v17, 31, v16
	v_lshl_add_u64 v[122:123], v[18:19], 3, s[0:1]
	v_ashrrev_i32_e32 v21, 31, v20
	v_ashrrev_i32_e32 v23, 31, v22
	v_ashrrev_i32_e32 v25, 31, v24
	;; [unrolled: 4-line block ×6, first 2 shown]
	global_load_dwordx2 v[58:59], v[100:101], off
	global_load_dwordx2 v[62:63], v[102:103], off
	global_load_dwordx2 v[64:65], v2, s[0:1]
	v_lshl_add_u64 v[104:105], v[4:5], 3, s[0:1]
	v_lshl_add_u64 v[106:107], v[6:7], 3, s[0:1]
	v_lshl_add_u64 v[108:109], v[8:9], 3, s[0:1]
	global_load_dwordx2 v[66:67], v[112:113], off
	global_load_dwordx2 v[4:5], v[104:105], off
	global_load_dwordx2 v[6:7], v[106:107], off
	global_load_dwordx2 v[8:9], v[108:109], off
	v_lshl_add_u64 v[116:117], v[12:13], 3, s[0:1]
	v_lshl_add_u64 v[118:119], v[14:15], 3, s[0:1]
	v_lshl_add_u64 v[120:121], v[16:17], 3, s[0:1]
	global_load_dwordx2 v[10:11], v[114:115], off
	global_load_dwordx2 v[12:13], v[116:117], off
	global_load_dwordx2 v[14:15], v[118:119], off
	global_load_dwordx2 v[16:17], v[120:121], off
	;; [unrolled: 7-line block ×7, first 2 shown]
	s_bitcmp0_b32 s4, 0
	s_mov_b64 s[4:5], -1
	s_waitcnt vmcnt(30)
	scratch_store_dwordx2 off, v[58:59], off offset:240
	s_waitcnt vmcnt(28)
	scratch_store_dwordx4 off, v[64:67], off
	s_waitcnt vmcnt(27)
	scratch_store_dwordx4 off, v[4:7], off offset:16
	s_waitcnt vmcnt(26)
	scratch_store_dwordx4 off, v[8:11], off offset:32
	;; [unrolled: 2-line block ×14, first 2 shown]
	s_cbranch_scc1 .LBB30_136
; %bb.4:
	v_cmp_eq_u32_e64 s[0:1], 0, v0
	s_and_saveexec_b64 s[4:5], s[0:1]
; %bb.5:
	v_mov_b32_e32 v1, 0
	ds_write_b32 v1, v1 offset:248
; %bb.6:
	s_or_b64 exec, exec, s[4:5]
	s_waitcnt lgkmcnt(0)
	; wave barrier
	scratch_load_dwordx2 v[4:5], v2, off
	s_waitcnt vmcnt(0)
	v_cmp_eq_f32_e32 vcc, 0, v4
	v_cmp_eq_f32_e64 s[4:5], 0, v5
	s_and_b64 s[4:5], vcc, s[4:5]
	s_and_saveexec_b64 s[8:9], s[4:5]
	s_cbranch_execz .LBB30_10
; %bb.7:
	v_mov_b32_e32 v1, 0
	ds_read_b32 v4, v1 offset:248
	v_add_u32_e32 v3, 1, v0
	s_waitcnt lgkmcnt(0)
	v_readfirstlane_b32 s4, v4
	s_cmp_eq_u32 s4, 0
	s_cselect_b64 s[10:11], -1, 0
	v_cmp_gt_i32_e32 vcc, s4, v3
	s_or_b64 s[10:11], s[10:11], vcc
	s_and_b64 exec, exec, s[10:11]
	s_cbranch_execz .LBB30_10
; %bb.8:
	s_mov_b64 s[10:11], 0
	v_mov_b32_e32 v4, s4
.LBB30_9:                               ; =>This Inner Loop Header: Depth=1
	ds_cmpst_rtn_b32 v4, v1, v4, v3 offset:248
	s_waitcnt lgkmcnt(0)
	v_cmp_ne_u32_e32 vcc, 0, v4
	v_cmp_le_i32_e64 s[4:5], v4, v3
	s_and_b64 s[4:5], vcc, s[4:5]
	s_and_b64 s[4:5], exec, s[4:5]
	s_or_b64 s[10:11], s[4:5], s[10:11]
	s_andn2_b64 exec, exec, s[10:11]
	s_cbranch_execnz .LBB30_9
.LBB30_10:
	s_or_b64 exec, exec, s[8:9]
	v_mov_b32_e32 v3, 0
	; wave barrier
	ds_read_b32 v1, v3 offset:248
	s_and_saveexec_b64 s[4:5], s[0:1]
	s_cbranch_execz .LBB30_12
; %bb.11:
	s_lshl_b64 s[8:9], s[2:3], 2
	s_add_u32 s8, s6, s8
	s_addc_u32 s9, s7, s9
	s_waitcnt lgkmcnt(0)
	global_store_dword v3, v1, s[8:9]
.LBB30_12:
	s_or_b64 exec, exec, s[4:5]
	s_waitcnt lgkmcnt(0)
	v_cmp_ne_u32_e32 vcc, 0, v1
	s_mov_b64 s[4:5], 0
	s_cbranch_vccnz .LBB30_136
; %bb.13:
	v_mov_b32_e32 v3, v2
	scratch_load_dwordx2 v[4:5], v3, off
                                        ; implicit-def: $vgpr7
                                        ; implicit-def: $vgpr8
	s_waitcnt vmcnt(0)
	v_cmp_ngt_f32_e64 s[4:5], |v4|, |v5|
	s_and_saveexec_b64 s[8:9], s[4:5]
	s_xor_b64 s[4:5], exec, s[8:9]
	s_cbranch_execz .LBB30_15
; %bb.14:
	v_div_scale_f32 v1, s[8:9], v5, v5, v4
	v_rcp_f32_e32 v6, v1
	v_div_scale_f32 v7, vcc, v4, v5, v4
	v_fma_f32 v8, -v1, v6, 1.0
	v_fmac_f32_e32 v6, v8, v6
	v_mul_f32_e32 v8, v7, v6
	v_fma_f32 v9, -v1, v8, v7
	v_fmac_f32_e32 v8, v9, v6
	v_fma_f32 v1, -v1, v8, v7
	v_div_fmas_f32 v1, v1, v6, v8
	v_div_fixup_f32 v1, v1, v5, v4
	v_fmac_f32_e32 v5, v4, v1
	v_div_scale_f32 v4, s[8:9], v5, v5, -1.0
	v_rcp_f32_e32 v6, v4
	s_nop 0
	v_fma_f32 v7, -v4, v6, 1.0
	v_fmac_f32_e32 v6, v7, v6
	v_div_scale_f32 v7, vcc, -1.0, v5, -1.0
	v_mul_f32_e32 v8, v7, v6
	v_fma_f32 v9, -v4, v8, v7
	v_fmac_f32_e32 v8, v9, v6
	v_fma_f32 v4, -v4, v8, v7
	v_div_fmas_f32 v4, v4, v6, v8
	v_div_fixup_f32 v7, v4, v5, -1.0
	v_mul_f32_e32 v8, v1, v7
	v_xor_b32_e32 v6, 0x80000000, v8
                                        ; implicit-def: $vgpr4_vgpr5
.LBB30_15:
	s_andn2_saveexec_b64 s[4:5], s[4:5]
	s_cbranch_execz .LBB30_17
; %bb.16:
	v_div_scale_f32 v1, s[8:9], v4, v4, v5
	v_rcp_f32_e32 v6, v1
	v_div_scale_f32 v7, vcc, v5, v4, v5
	v_fma_f32 v8, -v1, v6, 1.0
	v_fmac_f32_e32 v6, v8, v6
	v_mul_f32_e32 v8, v7, v6
	v_fma_f32 v9, -v1, v8, v7
	v_fmac_f32_e32 v8, v9, v6
	v_fma_f32 v1, -v1, v8, v7
	v_div_fmas_f32 v1, v1, v6, v8
	v_div_fixup_f32 v1, v1, v4, v5
	v_fmac_f32_e32 v4, v5, v1
	v_div_scale_f32 v5, s[8:9], v4, v4, 1.0
	v_rcp_f32_e32 v6, v5
	s_nop 0
	v_fma_f32 v7, -v5, v6, 1.0
	v_fmac_f32_e32 v6, v7, v6
	v_div_scale_f32 v7, vcc, 1.0, v4, 1.0
	v_mul_f32_e32 v8, v7, v6
	v_fma_f32 v9, -v5, v8, v7
	v_fmac_f32_e32 v8, v9, v6
	v_fma_f32 v5, -v5, v8, v7
	v_div_fmas_f32 v5, v5, v6, v8
	v_div_fixup_f32 v6, v5, v4, 1.0
	v_xor_b32_e32 v8, 0x80000000, v6
	v_mul_f32_e64 v7, v1, -v6
.LBB30_17:
	s_or_b64 exec, exec, s[4:5]
	scratch_store_dwordx2 v3, v[6:7], off
	scratch_load_dwordx2 v[4:5], off, off offset:8
	v_xor_b32_e32 v9, 0x80000000, v7
	v_add_u32_e32 v1, 0x100, v2
	s_waitcnt vmcnt(0)
	ds_write2_b64 v2, v[8:9], v[4:5] offset1:32
	s_waitcnt lgkmcnt(0)
	; wave barrier
	s_and_saveexec_b64 s[4:5], s[0:1]
	s_cbranch_execz .LBB30_19
; %bb.18:
	scratch_load_dwordx2 v[4:5], v3, off
	ds_read_b64 v[6:7], v1
	v_mov_b32_e32 v8, 0
	ds_read_b64 v[8:9], v8 offset:8
	s_waitcnt vmcnt(0) lgkmcnt(1)
	v_pk_mul_f32 v[10:11], v[6:7], v[4:5] op_sel:[1,1] op_sel_hi:[0,1]
	v_pk_fma_f32 v[12:13], v[6:7], v[4:5], v[10:11] neg_lo:[0,0,1] neg_hi:[0,0,1]
	v_pk_fma_f32 v[4:5], v[6:7], v[4:5], v[10:11] op_sel_hi:[1,0,1]
	s_nop 0
	v_mov_b32_e32 v13, v5
	v_pk_add_f32 v[4:5], v[12:13], 0 op_sel_hi:[1,0]
	s_waitcnt lgkmcnt(0)
	v_pk_mul_f32 v[6:7], v[4:5], v[8:9] op_sel:[1,1] op_sel_hi:[0,1]
	v_pk_fma_f32 v[10:11], v[4:5], v[8:9], v[6:7] neg_lo:[0,0,1] neg_hi:[0,0,1]
	v_pk_fma_f32 v[4:5], v[4:5], v[8:9], v[6:7] op_sel_hi:[1,0,1]
	s_nop 0
	v_mov_b32_e32 v11, v5
	scratch_store_dwordx2 off, v[10:11], off offset:8
.LBB30_19:
	s_or_b64 exec, exec, s[4:5]
	; wave barrier
	scratch_load_dwordx2 v[4:5], off, off offset:16
	v_cmp_gt_u32_e32 vcc, 2, v0
	s_waitcnt vmcnt(0)
	ds_write_b64 v1, v[4:5]
	s_waitcnt lgkmcnt(0)
	; wave barrier
	s_and_saveexec_b64 s[4:5], vcc
	s_cbranch_execz .LBB30_23
; %bb.20:
	scratch_load_dwordx2 v[4:5], v3, off
	ds_read_b64 v[6:7], v1
	s_waitcnt vmcnt(0) lgkmcnt(0)
	v_pk_mul_f32 v[8:9], v[6:7], v[4:5] op_sel:[1,1] op_sel_hi:[0,1]
	v_pk_fma_f32 v[10:11], v[6:7], v[4:5], v[8:9] neg_lo:[0,0,1] neg_hi:[0,0,1]
	v_pk_fma_f32 v[4:5], v[6:7], v[4:5], v[8:9] op_sel_hi:[1,0,1]
	s_nop 0
	v_mov_b32_e32 v11, v5
	v_pk_add_f32 v[4:5], v[10:11], 0 op_sel_hi:[1,0]
	s_and_saveexec_b64 s[8:9], s[0:1]
	s_cbranch_execz .LBB30_22
; %bb.21:
	scratch_load_dwordx2 v[6:7], off, off offset:8
	v_mov_b32_e32 v3, 0
	ds_read_b64 v[8:9], v3 offset:264
	s_waitcnt vmcnt(0) lgkmcnt(0)
	v_pk_mul_f32 v[10:11], v[8:9], v[6:7] op_sel:[1,1] op_sel_hi:[0,1]
	v_pk_fma_f32 v[12:13], v[8:9], v[6:7], v[10:11] neg_lo:[0,0,1] neg_hi:[0,0,1]
	v_pk_fma_f32 v[6:7], v[8:9], v[6:7], v[10:11] op_sel_hi:[1,0,1]
	s_nop 0
	v_mov_b32_e32 v13, v7
	v_pk_add_f32 v[4:5], v[4:5], v[12:13]
.LBB30_22:
	s_or_b64 exec, exec, s[8:9]
	v_mov_b32_e32 v3, 0
	ds_read_b64 v[6:7], v3 offset:16
	s_waitcnt lgkmcnt(0)
	v_pk_mul_f32 v[8:9], v[4:5], v[6:7] op_sel:[1,1] op_sel_hi:[0,1]
	v_pk_fma_f32 v[10:11], v[4:5], v[6:7], v[8:9] neg_lo:[0,0,1] neg_hi:[0,0,1]
	v_pk_fma_f32 v[4:5], v[4:5], v[6:7], v[8:9] op_sel_hi:[1,0,1]
	s_nop 0
	v_mov_b32_e32 v11, v5
	scratch_store_dwordx2 off, v[10:11], off offset:16
.LBB30_23:
	s_or_b64 exec, exec, s[4:5]
	; wave barrier
	scratch_load_dwordx2 v[4:5], off, off offset:24
	v_cmp_gt_u32_e32 vcc, 3, v0
	v_add_u32_e32 v6, -1, v0
	s_waitcnt vmcnt(0)
	ds_write_b64 v1, v[4:5]
	s_waitcnt lgkmcnt(0)
	; wave barrier
	s_and_saveexec_b64 s[0:1], vcc
	s_cbranch_execz .LBB30_27
; %bb.24:
	v_mov_b32_e32 v4, 0
	v_add_u32_e32 v3, -1, v0
	v_add_u32_e32 v7, 0x100, v2
	v_mov_b32_e32 v8, v2
	s_mov_b64 s[4:5], 0
	v_mov_b32_e32 v5, v4
.LBB30_25:                              ; =>This Inner Loop Header: Depth=1
	scratch_load_dwordx2 v[10:11], v8, off
	ds_read_b64 v[12:13], v7
	v_add_u32_e32 v3, 1, v3
	v_cmp_lt_u32_e32 vcc, 1, v3
	v_add_u32_e32 v7, 8, v7
	v_add_u32_e32 v8, 8, v8
	s_or_b64 s[4:5], vcc, s[4:5]
	s_waitcnt vmcnt(0) lgkmcnt(0)
	v_pk_mul_f32 v[14:15], v[12:13], v[10:11] op_sel:[1,1] op_sel_hi:[0,1]
	v_pk_fma_f32 v[16:17], v[12:13], v[10:11], v[14:15] neg_lo:[0,0,1] neg_hi:[0,0,1]
	v_pk_fma_f32 v[10:11], v[12:13], v[10:11], v[14:15] op_sel_hi:[1,0,1]
	s_nop 0
	v_mov_b32_e32 v17, v11
	v_pk_add_f32 v[4:5], v[4:5], v[16:17]
	s_andn2_b64 exec, exec, s[4:5]
	s_cbranch_execnz .LBB30_25
; %bb.26:
	s_or_b64 exec, exec, s[4:5]
	v_mov_b32_e32 v3, 0
	ds_read_b64 v[8:9], v3 offset:24
	s_waitcnt lgkmcnt(0)
	v_pk_mul_f32 v[10:11], v[4:5], v[8:9] op_sel:[1,1] op_sel_hi:[0,1]
	v_pk_fma_f32 v[12:13], v[4:5], v[8:9], v[10:11] neg_lo:[0,0,1] neg_hi:[0,0,1]
	v_pk_fma_f32 v[4:5], v[4:5], v[8:9], v[10:11] op_sel_hi:[1,0,1]
	s_nop 0
	v_mov_b32_e32 v13, v5
	scratch_store_dwordx2 off, v[12:13], off offset:24
.LBB30_27:
	s_or_b64 exec, exec, s[0:1]
	; wave barrier
	scratch_load_dwordx2 v[4:5], off, off offset:32
	v_cmp_gt_u32_e32 vcc, 4, v0
	s_waitcnt vmcnt(0)
	ds_write_b64 v1, v[4:5]
	s_waitcnt lgkmcnt(0)
	; wave barrier
	s_and_saveexec_b64 s[0:1], vcc
	s_cbranch_execz .LBB30_31
; %bb.28:
	v_mov_b32_e32 v4, 0
	v_add_u32_e32 v3, -1, v0
	v_add_u32_e32 v7, 0x100, v2
	v_mov_b32_e32 v8, v2
	s_mov_b64 s[4:5], 0
	v_mov_b32_e32 v5, v4
.LBB30_29:                              ; =>This Inner Loop Header: Depth=1
	scratch_load_dwordx2 v[10:11], v8, off
	ds_read_b64 v[12:13], v7
	v_add_u32_e32 v3, 1, v3
	v_cmp_lt_u32_e32 vcc, 2, v3
	v_add_u32_e32 v7, 8, v7
	v_add_u32_e32 v8, 8, v8
	s_or_b64 s[4:5], vcc, s[4:5]
	s_waitcnt vmcnt(0) lgkmcnt(0)
	v_pk_mul_f32 v[14:15], v[12:13], v[10:11] op_sel:[1,1] op_sel_hi:[0,1]
	v_pk_fma_f32 v[16:17], v[12:13], v[10:11], v[14:15] neg_lo:[0,0,1] neg_hi:[0,0,1]
	v_pk_fma_f32 v[10:11], v[12:13], v[10:11], v[14:15] op_sel_hi:[1,0,1]
	s_nop 0
	v_mov_b32_e32 v17, v11
	v_pk_add_f32 v[4:5], v[4:5], v[16:17]
	s_andn2_b64 exec, exec, s[4:5]
	s_cbranch_execnz .LBB30_29
; %bb.30:
	s_or_b64 exec, exec, s[4:5]
	v_mov_b32_e32 v3, 0
	ds_read_b64 v[8:9], v3 offset:32
	s_waitcnt lgkmcnt(0)
	v_pk_mul_f32 v[10:11], v[4:5], v[8:9] op_sel:[1,1] op_sel_hi:[0,1]
	v_pk_fma_f32 v[12:13], v[4:5], v[8:9], v[10:11] neg_lo:[0,0,1] neg_hi:[0,0,1]
	v_pk_fma_f32 v[4:5], v[4:5], v[8:9], v[10:11] op_sel_hi:[1,0,1]
	s_nop 0
	v_mov_b32_e32 v13, v5
	scratch_store_dwordx2 off, v[12:13], off offset:32
.LBB30_31:
	s_or_b64 exec, exec, s[0:1]
	; wave barrier
	scratch_load_dwordx2 v[4:5], off, off offset:40
	v_cmp_gt_u32_e32 vcc, 5, v0
	;; [unrolled: 46-line block ×19, first 2 shown]
	s_waitcnt vmcnt(0)
	ds_write_b64 v1, v[4:5]
	s_waitcnt lgkmcnt(0)
	; wave barrier
	s_and_saveexec_b64 s[0:1], vcc
	s_cbranch_execz .LBB30_103
; %bb.100:
	v_mov_b32_e32 v4, 0
	v_add_u32_e32 v3, -1, v0
	v_add_u32_e32 v7, 0x100, v2
	v_mov_b32_e32 v8, v2
	s_mov_b64 s[4:5], 0
	v_mov_b32_e32 v5, v4
.LBB30_101:                             ; =>This Inner Loop Header: Depth=1
	scratch_load_dwordx2 v[10:11], v8, off
	ds_read_b64 v[12:13], v7
	v_add_u32_e32 v3, 1, v3
	v_cmp_lt_u32_e32 vcc, 20, v3
	v_add_u32_e32 v7, 8, v7
	v_add_u32_e32 v8, 8, v8
	s_or_b64 s[4:5], vcc, s[4:5]
	s_waitcnt vmcnt(0) lgkmcnt(0)
	v_pk_mul_f32 v[14:15], v[12:13], v[10:11] op_sel:[1,1] op_sel_hi:[0,1]
	v_pk_fma_f32 v[16:17], v[12:13], v[10:11], v[14:15] neg_lo:[0,0,1] neg_hi:[0,0,1]
	v_pk_fma_f32 v[10:11], v[12:13], v[10:11], v[14:15] op_sel_hi:[1,0,1]
	s_nop 0
	v_mov_b32_e32 v17, v11
	v_pk_add_f32 v[4:5], v[4:5], v[16:17]
	s_andn2_b64 exec, exec, s[4:5]
	s_cbranch_execnz .LBB30_101
; %bb.102:
	s_or_b64 exec, exec, s[4:5]
	v_mov_b32_e32 v3, 0
	ds_read_b64 v[8:9], v3 offset:176
	s_waitcnt lgkmcnt(0)
	v_pk_mul_f32 v[10:11], v[4:5], v[8:9] op_sel:[1,1] op_sel_hi:[0,1]
	v_pk_fma_f32 v[12:13], v[4:5], v[8:9], v[10:11] neg_lo:[0,0,1] neg_hi:[0,0,1]
	v_pk_fma_f32 v[4:5], v[4:5], v[8:9], v[10:11] op_sel_hi:[1,0,1]
	s_nop 0
	v_mov_b32_e32 v13, v5
	scratch_store_dwordx2 off, v[12:13], off offset:176
.LBB30_103:
	s_or_b64 exec, exec, s[0:1]
	; wave barrier
	scratch_load_dwordx2 v[4:5], off, off offset:184
	v_cmp_gt_u32_e32 vcc, 23, v0
	s_waitcnt vmcnt(0)
	ds_write_b64 v1, v[4:5]
	s_waitcnt lgkmcnt(0)
	; wave barrier
	s_and_saveexec_b64 s[0:1], vcc
	s_cbranch_execz .LBB30_107
; %bb.104:
	v_mov_b32_e32 v4, 0
	v_add_u32_e32 v3, -1, v0
	v_add_u32_e32 v7, 0x100, v2
	v_mov_b32_e32 v8, v2
	s_mov_b64 s[4:5], 0
	v_mov_b32_e32 v5, v4
.LBB30_105:                             ; =>This Inner Loop Header: Depth=1
	scratch_load_dwordx2 v[10:11], v8, off
	ds_read_b64 v[12:13], v7
	v_add_u32_e32 v3, 1, v3
	v_cmp_lt_u32_e32 vcc, 21, v3
	v_add_u32_e32 v7, 8, v7
	v_add_u32_e32 v8, 8, v8
	s_or_b64 s[4:5], vcc, s[4:5]
	s_waitcnt vmcnt(0) lgkmcnt(0)
	v_pk_mul_f32 v[14:15], v[12:13], v[10:11] op_sel:[1,1] op_sel_hi:[0,1]
	v_pk_fma_f32 v[16:17], v[12:13], v[10:11], v[14:15] neg_lo:[0,0,1] neg_hi:[0,0,1]
	v_pk_fma_f32 v[10:11], v[12:13], v[10:11], v[14:15] op_sel_hi:[1,0,1]
	s_nop 0
	v_mov_b32_e32 v17, v11
	v_pk_add_f32 v[4:5], v[4:5], v[16:17]
	s_andn2_b64 exec, exec, s[4:5]
	s_cbranch_execnz .LBB30_105
; %bb.106:
	s_or_b64 exec, exec, s[4:5]
	v_mov_b32_e32 v3, 0
	ds_read_b64 v[8:9], v3 offset:184
	s_waitcnt lgkmcnt(0)
	v_pk_mul_f32 v[10:11], v[4:5], v[8:9] op_sel:[1,1] op_sel_hi:[0,1]
	v_pk_fma_f32 v[12:13], v[4:5], v[8:9], v[10:11] neg_lo:[0,0,1] neg_hi:[0,0,1]
	v_pk_fma_f32 v[4:5], v[4:5], v[8:9], v[10:11] op_sel_hi:[1,0,1]
	s_nop 0
	v_mov_b32_e32 v13, v5
	scratch_store_dwordx2 off, v[12:13], off offset:184
.LBB30_107:
	s_or_b64 exec, exec, s[0:1]
	; wave barrier
	scratch_load_dwordx2 v[4:5], off, off offset:192
	v_cmp_gt_u32_e32 vcc, 24, v0
	;; [unrolled: 46-line block ×7, first 2 shown]
	s_waitcnt vmcnt(0)
	ds_write_b64 v1, v[4:5]
	s_waitcnt lgkmcnt(0)
	; wave barrier
	s_and_saveexec_b64 s[0:1], vcc
	s_cbranch_execz .LBB30_131
; %bb.128:
	v_mov_b32_e32 v4, 0
	v_add_u32_e32 v3, -1, v0
	v_add_u32_e32 v7, 0x100, v2
	v_mov_b32_e32 v8, v2
	s_mov_b64 s[4:5], 0
	v_mov_b32_e32 v5, v4
.LBB30_129:                             ; =>This Inner Loop Header: Depth=1
	scratch_load_dwordx2 v[10:11], v8, off
	ds_read_b64 v[12:13], v7
	v_add_u32_e32 v3, 1, v3
	v_cmp_lt_u32_e32 vcc, 27, v3
	v_add_u32_e32 v7, 8, v7
	v_add_u32_e32 v8, 8, v8
	s_or_b64 s[4:5], vcc, s[4:5]
	s_waitcnt vmcnt(0) lgkmcnt(0)
	v_pk_mul_f32 v[14:15], v[12:13], v[10:11] op_sel:[1,1] op_sel_hi:[0,1]
	v_pk_fma_f32 v[16:17], v[12:13], v[10:11], v[14:15] neg_lo:[0,0,1] neg_hi:[0,0,1]
	v_pk_fma_f32 v[10:11], v[12:13], v[10:11], v[14:15] op_sel_hi:[1,0,1]
	s_nop 0
	v_mov_b32_e32 v17, v11
	v_pk_add_f32 v[4:5], v[4:5], v[16:17]
	s_andn2_b64 exec, exec, s[4:5]
	s_cbranch_execnz .LBB30_129
; %bb.130:
	s_or_b64 exec, exec, s[4:5]
	v_mov_b32_e32 v3, 0
	ds_read_b64 v[8:9], v3 offset:232
	s_waitcnt lgkmcnt(0)
	v_pk_mul_f32 v[10:11], v[4:5], v[8:9] op_sel:[1,1] op_sel_hi:[0,1]
	v_pk_fma_f32 v[12:13], v[4:5], v[8:9], v[10:11] neg_lo:[0,0,1] neg_hi:[0,0,1]
	v_pk_fma_f32 v[4:5], v[4:5], v[8:9], v[10:11] op_sel_hi:[1,0,1]
	s_nop 0
	v_mov_b32_e32 v13, v5
	scratch_store_dwordx2 off, v[12:13], off offset:232
.LBB30_131:
	s_or_b64 exec, exec, s[0:1]
	; wave barrier
	scratch_load_dwordx2 v[4:5], off, off offset:240
	v_cmp_ne_u32_e32 vcc, 30, v0
	s_waitcnt vmcnt(0)
	ds_write_b64 v1, v[4:5]
	s_waitcnt lgkmcnt(0)
	; wave barrier
	s_and_saveexec_b64 s[0:1], vcc
	s_cbranch_execz .LBB30_135
; %bb.132:
	v_add_u32_e32 v1, 0x100, v2
	v_mov_b32_e32 v4, v2
	v_mov_b32_e32 v2, 0
	s_mov_b64 s[4:5], 0
	v_mov_b32_e32 v3, v2
.LBB30_133:                             ; =>This Inner Loop Header: Depth=1
	scratch_load_dwordx2 v[8:9], v4, off
	ds_read_b64 v[10:11], v1
	v_add_u32_e32 v6, 1, v6
	v_cmp_lt_u32_e32 vcc, 28, v6
	v_add_u32_e32 v1, 8, v1
	v_add_u32_e32 v4, 8, v4
	s_or_b64 s[4:5], vcc, s[4:5]
	s_waitcnt vmcnt(0) lgkmcnt(0)
	v_pk_mul_f32 v[12:13], v[10:11], v[8:9] op_sel:[1,1] op_sel_hi:[0,1]
	v_pk_fma_f32 v[14:15], v[10:11], v[8:9], v[12:13] neg_lo:[0,0,1] neg_hi:[0,0,1]
	v_pk_fma_f32 v[8:9], v[10:11], v[8:9], v[12:13] op_sel_hi:[1,0,1]
	s_nop 0
	v_mov_b32_e32 v15, v9
	v_pk_add_f32 v[2:3], v[2:3], v[14:15]
	s_andn2_b64 exec, exec, s[4:5]
	s_cbranch_execnz .LBB30_133
; %bb.134:
	s_or_b64 exec, exec, s[4:5]
	v_mov_b32_e32 v1, 0
	ds_read_b64 v[4:5], v1 offset:240
	s_waitcnt lgkmcnt(0)
	v_pk_mul_f32 v[6:7], v[2:3], v[4:5] op_sel:[1,1] op_sel_hi:[0,1]
	v_pk_fma_f32 v[8:9], v[2:3], v[4:5], v[6:7] neg_lo:[0,0,1] neg_hi:[0,0,1]
	v_pk_fma_f32 v[2:3], v[2:3], v[4:5], v[6:7] op_sel_hi:[1,0,1]
	s_nop 0
	v_mov_b32_e32 v9, v3
	scratch_store_dwordx2 off, v[8:9], off offset:240
.LBB30_135:
	s_or_b64 exec, exec, s[0:1]
	s_mov_b64 s[4:5], -1
	; wave barrier
.LBB30_136:
	s_and_b64 vcc, exec, s[4:5]
	s_cbranch_vccz .LBB30_138
; %bb.137:
	s_lshl_b64 s[0:1], s[2:3], 2
	s_add_u32 s0, s6, s0
	s_addc_u32 s1, s7, s1
	v_mov_b32_e32 v1, 0
	global_load_dword v1, v1, s[0:1]
	s_waitcnt vmcnt(0)
	v_cmp_ne_u32_e32 vcc, 0, v1
	s_cbranch_vccz .LBB30_139
.LBB30_138:
	s_endpgm
.LBB30_139:
	v_mov_b32_e32 v1, 0x100
	v_lshl_add_u32 v1, v0, 3, v1
	v_cmp_eq_u32_e32 vcc, 30, v0
	s_and_saveexec_b64 s[0:1], vcc
	s_cbranch_execz .LBB30_141
; %bb.140:
	scratch_load_dwordx2 v[2:3], off, off offset:232
	v_mov_b32_e32 v4, 0
	v_mov_b32_e32 v5, v4
	scratch_store_dwordx2 off, v[4:5], off offset:232
	s_waitcnt vmcnt(1)
	ds_write_b64 v1, v[2:3]
.LBB30_141:
	s_or_b64 exec, exec, s[0:1]
	s_waitcnt lgkmcnt(0)
	; wave barrier
	scratch_load_dwordx2 v[4:5], off, off offset:240
	scratch_load_dwordx2 v[6:7], off, off offset:232
	v_mov_b32_e32 v2, 0
	ds_read_b64 v[8:9], v2 offset:496
	v_cmp_lt_u32_e32 vcc, 28, v0
	s_waitcnt vmcnt(1) lgkmcnt(0)
	v_pk_mul_f32 v[10:11], v[8:9], v[4:5] op_sel:[1,1] op_sel_hi:[0,1]
	v_pk_fma_f32 v[12:13], v[8:9], v[4:5], v[10:11] neg_lo:[0,0,1] neg_hi:[0,0,1]
	v_pk_fma_f32 v[4:5], v[8:9], v[4:5], v[10:11] op_sel_hi:[1,0,1]
	s_nop 0
	v_mov_b32_e32 v13, v5
	v_pk_add_f32 v[4:5], v[12:13], 0 op_sel_hi:[1,0]
	s_waitcnt vmcnt(0)
	v_pk_add_f32 v[4:5], v[6:7], v[4:5] neg_lo:[0,1] neg_hi:[0,1]
	scratch_store_dwordx2 off, v[4:5], off offset:232
	s_and_saveexec_b64 s[0:1], vcc
	s_cbranch_execz .LBB30_143
; %bb.142:
	scratch_load_dwordx2 v[4:5], off, off offset:224
	v_mov_b32_e32 v3, v2
	scratch_store_dwordx2 off, v[2:3], off offset:224
	s_waitcnt vmcnt(1)
	ds_write_b64 v1, v[4:5]
.LBB30_143:
	s_or_b64 exec, exec, s[0:1]
	s_waitcnt lgkmcnt(0)
	; wave barrier
	scratch_load_dwordx4 v[4:7], off, off offset:232
	scratch_load_dwordx2 v[12:13], off, off offset:224
	ds_read2_b64 v[8:11], v2 offset0:61 offset1:62
	v_cmp_lt_u32_e32 vcc, 27, v0
	s_waitcnt vmcnt(1) lgkmcnt(0)
	v_pk_mul_f32 v[2:3], v[8:9], v[4:5] op_sel:[1,1] op_sel_hi:[0,1]
	v_mov_b32_e32 v14, v7
	v_pk_fma_f32 v[16:17], v[8:9], v[4:5], v[2:3] neg_lo:[0,0,1] neg_hi:[0,0,1]
	v_pk_fma_f32 v[2:3], v[8:9], v[4:5], v[2:3] op_sel_hi:[1,0,1]
	v_pk_mul_f32 v[4:5], v[10:11], v[14:15] op_sel:[1,0] op_sel_hi:[0,0]
	v_mov_b32_e32 v17, v3
	v_pk_fma_f32 v[2:3], v[10:11], v[6:7], v[4:5] neg_lo:[0,0,1] neg_hi:[0,0,1]
	v_pk_fma_f32 v[4:5], v[10:11], v[6:7], v[4:5] op_sel_hi:[1,0,1]
	v_pk_add_f32 v[6:7], v[16:17], 0 op_sel_hi:[1,0]
	v_mov_b32_e32 v3, v5
	v_pk_add_f32 v[2:3], v[6:7], v[2:3]
	s_waitcnt vmcnt(0)
	v_pk_add_f32 v[2:3], v[12:13], v[2:3] neg_lo:[0,1] neg_hi:[0,1]
	scratch_store_dwordx2 off, v[2:3], off offset:224
	s_and_saveexec_b64 s[0:1], vcc
	s_cbranch_execz .LBB30_145
; %bb.144:
	scratch_load_dwordx2 v[2:3], off, off offset:216
	v_mov_b32_e32 v4, 0
	v_mov_b32_e32 v5, v4
	scratch_store_dwordx2 off, v[4:5], off offset:216
	s_waitcnt vmcnt(1)
	ds_write_b64 v1, v[2:3]
.LBB30_145:
	s_or_b64 exec, exec, s[0:1]
	s_waitcnt lgkmcnt(0)
	; wave barrier
	scratch_load_dwordx4 v[4:7], off, off offset:224
	scratch_load_dwordx2 v[12:13], off, off offset:240
	scratch_load_dwordx2 v[14:15], off, off offset:216
	v_mov_b32_e32 v2, 0
	ds_read_b128 v[8:11], v2 offset:480
	ds_read_b64 v[16:17], v2 offset:496
	v_cmp_lt_u32_e32 vcc, 26, v0
	s_waitcnt vmcnt(2) lgkmcnt(1)
	v_pk_mul_f32 v[18:19], v[8:9], v[4:5] op_sel:[1,1] op_sel_hi:[0,1]
	v_mov_b32_e32 v20, v7
	v_pk_fma_f32 v[24:25], v[8:9], v[4:5], v[18:19] neg_lo:[0,0,1] neg_hi:[0,0,1]
	v_pk_fma_f32 v[4:5], v[8:9], v[4:5], v[18:19] op_sel_hi:[1,0,1]
	v_pk_mul_f32 v[8:9], v[10:11], v[20:21] op_sel:[1,0] op_sel_hi:[0,0]
	s_waitcnt vmcnt(1) lgkmcnt(0)
	v_pk_mul_f32 v[22:23], v[16:17], v[12:13] op_sel:[1,1] op_sel_hi:[0,1]
	v_mov_b32_e32 v25, v5
	v_pk_fma_f32 v[4:5], v[10:11], v[6:7], v[8:9] neg_lo:[0,0,1] neg_hi:[0,0,1]
	v_pk_fma_f32 v[6:7], v[10:11], v[6:7], v[8:9] op_sel_hi:[1,0,1]
	v_pk_fma_f32 v[18:19], v[16:17], v[12:13], v[22:23] neg_lo:[0,0,1] neg_hi:[0,0,1]
	v_pk_fma_f32 v[12:13], v[16:17], v[12:13], v[22:23] op_sel_hi:[1,0,1]
	v_pk_add_f32 v[8:9], v[24:25], 0 op_sel_hi:[1,0]
	v_mov_b32_e32 v5, v7
	v_mov_b32_e32 v19, v13
	v_pk_add_f32 v[4:5], v[8:9], v[4:5]
	s_nop 0
	v_pk_add_f32 v[4:5], v[4:5], v[18:19]
	s_waitcnt vmcnt(0)
	v_pk_add_f32 v[4:5], v[14:15], v[4:5] neg_lo:[0,1] neg_hi:[0,1]
	scratch_store_dwordx2 off, v[4:5], off offset:216
	s_and_saveexec_b64 s[0:1], vcc
	s_cbranch_execz .LBB30_147
; %bb.146:
	scratch_load_dwordx2 v[4:5], off, off offset:208
	v_mov_b32_e32 v3, v2
	scratch_store_dwordx2 off, v[2:3], off offset:208
	s_waitcnt vmcnt(1)
	ds_write_b64 v1, v[4:5]
.LBB30_147:
	s_or_b64 exec, exec, s[0:1]
	s_waitcnt lgkmcnt(0)
	; wave barrier
	scratch_load_dwordx4 v[4:7], off, off offset:216
	scratch_load_dwordx4 v[8:11], off, off offset:232
	scratch_load_dwordx2 v[20:21], off, off offset:208
	ds_read2_b64 v[12:15], v2 offset0:59 offset1:60
	ds_read2_b64 v[16:19], v2 offset0:61 offset1:62
	v_cmp_lt_u32_e32 vcc, 25, v0
	s_waitcnt vmcnt(2) lgkmcnt(1)
	v_pk_mul_f32 v[2:3], v[12:13], v[4:5] op_sel:[1,1] op_sel_hi:[0,1]
	v_mov_b32_e32 v22, v7
	s_waitcnt vmcnt(1) lgkmcnt(0)
	v_pk_mul_f32 v[24:25], v[16:17], v[8:9] op_sel:[1,1] op_sel_hi:[0,1]
	v_mov_b32_e32 v26, v11
	v_pk_fma_f32 v[28:29], v[12:13], v[4:5], v[2:3] neg_lo:[0,0,1] neg_hi:[0,0,1]
	v_pk_fma_f32 v[2:3], v[12:13], v[4:5], v[2:3] op_sel_hi:[1,0,1]
	v_pk_mul_f32 v[4:5], v[14:15], v[22:23] op_sel:[1,0] op_sel_hi:[0,0]
	v_pk_fma_f32 v[12:13], v[16:17], v[8:9], v[24:25] neg_lo:[0,0,1] neg_hi:[0,0,1]
	v_pk_fma_f32 v[8:9], v[16:17], v[8:9], v[24:25] op_sel_hi:[1,0,1]
	v_pk_mul_f32 v[16:17], v[18:19], v[26:27] op_sel:[1,0] op_sel_hi:[0,0]
	v_mov_b32_e32 v29, v3
	v_pk_fma_f32 v[2:3], v[14:15], v[6:7], v[4:5] neg_lo:[0,0,1] neg_hi:[0,0,1]
	v_pk_fma_f32 v[4:5], v[14:15], v[6:7], v[4:5] op_sel_hi:[1,0,1]
	v_mov_b32_e32 v13, v9
	v_pk_fma_f32 v[6:7], v[18:19], v[10:11], v[16:17] neg_lo:[0,0,1] neg_hi:[0,0,1]
	v_pk_fma_f32 v[8:9], v[18:19], v[10:11], v[16:17] op_sel_hi:[1,0,1]
	v_pk_add_f32 v[10:11], v[28:29], 0 op_sel_hi:[1,0]
	v_mov_b32_e32 v3, v5
	v_pk_add_f32 v[2:3], v[10:11], v[2:3]
	v_mov_b32_e32 v7, v9
	v_pk_add_f32 v[2:3], v[2:3], v[12:13]
	s_nop 0
	v_pk_add_f32 v[2:3], v[2:3], v[6:7]
	s_waitcnt vmcnt(0)
	v_pk_add_f32 v[2:3], v[20:21], v[2:3] neg_lo:[0,1] neg_hi:[0,1]
	scratch_store_dwordx2 off, v[2:3], off offset:208
	s_and_saveexec_b64 s[0:1], vcc
	s_cbranch_execz .LBB30_149
; %bb.148:
	scratch_load_dwordx2 v[2:3], off, off offset:200
	v_mov_b32_e32 v4, 0
	v_mov_b32_e32 v5, v4
	scratch_store_dwordx2 off, v[4:5], off offset:200
	s_waitcnt vmcnt(1)
	ds_write_b64 v1, v[2:3]
.LBB30_149:
	s_or_b64 exec, exec, s[0:1]
	s_waitcnt lgkmcnt(0)
	; wave barrier
	scratch_load_dwordx4 v[4:7], off, off offset:208
	scratch_load_dwordx4 v[8:11], off, off offset:224
	scratch_load_dwordx2 v[20:21], off, off offset:240
	scratch_load_dwordx2 v[22:23], off, off offset:200
	v_mov_b32_e32 v2, 0
	ds_read_b128 v[12:15], v2 offset:464
	ds_read_b128 v[16:19], v2 offset:480
	ds_read_b64 v[24:25], v2 offset:496
	v_cmp_lt_u32_e32 vcc, 24, v0
	s_waitcnt vmcnt(3) lgkmcnt(2)
	v_pk_mul_f32 v[26:27], v[12:13], v[4:5] op_sel:[1,1] op_sel_hi:[0,1]
	v_mov_b32_e32 v28, v7
	v_pk_fma_f32 v[36:37], v[12:13], v[4:5], v[26:27] neg_lo:[0,0,1] neg_hi:[0,0,1]
	v_pk_fma_f32 v[4:5], v[12:13], v[4:5], v[26:27] op_sel_hi:[1,0,1]
	v_pk_mul_f32 v[12:13], v[14:15], v[28:29] op_sel:[1,0] op_sel_hi:[0,0]
	s_waitcnt vmcnt(2) lgkmcnt(1)
	v_pk_mul_f32 v[30:31], v[16:17], v[8:9] op_sel:[1,1] op_sel_hi:[0,1]
	v_mov_b32_e32 v32, v11
	v_mov_b32_e32 v37, v5
	v_pk_fma_f32 v[4:5], v[14:15], v[6:7], v[12:13] neg_lo:[0,0,1] neg_hi:[0,0,1]
	v_pk_fma_f32 v[6:7], v[14:15], v[6:7], v[12:13] op_sel_hi:[1,0,1]
	v_pk_fma_f32 v[26:27], v[16:17], v[8:9], v[30:31] neg_lo:[0,0,1] neg_hi:[0,0,1]
	v_pk_fma_f32 v[8:9], v[16:17], v[8:9], v[30:31] op_sel_hi:[1,0,1]
	v_pk_mul_f32 v[16:17], v[18:19], v[32:33] op_sel:[1,0] op_sel_hi:[0,0]
	v_pk_add_f32 v[12:13], v[36:37], 0 op_sel_hi:[1,0]
	v_mov_b32_e32 v5, v7
	s_waitcnt vmcnt(1) lgkmcnt(0)
	v_pk_mul_f32 v[34:35], v[24:25], v[20:21] op_sel:[1,1] op_sel_hi:[0,1]
	v_mov_b32_e32 v27, v9
	v_pk_fma_f32 v[8:9], v[18:19], v[10:11], v[16:17] neg_lo:[0,0,1] neg_hi:[0,0,1]
	v_pk_fma_f32 v[10:11], v[18:19], v[10:11], v[16:17] op_sel_hi:[1,0,1]
	v_pk_add_f32 v[4:5], v[12:13], v[4:5]
	v_pk_fma_f32 v[28:29], v[24:25], v[20:21], v[34:35] neg_lo:[0,0,1] neg_hi:[0,0,1]
	v_pk_fma_f32 v[20:21], v[24:25], v[20:21], v[34:35] op_sel_hi:[1,0,1]
	v_mov_b32_e32 v9, v11
	v_pk_add_f32 v[4:5], v[4:5], v[26:27]
	v_mov_b32_e32 v29, v21
	v_pk_add_f32 v[4:5], v[4:5], v[8:9]
	s_nop 0
	v_pk_add_f32 v[4:5], v[4:5], v[28:29]
	s_waitcnt vmcnt(0)
	v_pk_add_f32 v[4:5], v[22:23], v[4:5] neg_lo:[0,1] neg_hi:[0,1]
	scratch_store_dwordx2 off, v[4:5], off offset:200
	s_and_saveexec_b64 s[0:1], vcc
	s_cbranch_execz .LBB30_151
; %bb.150:
	scratch_load_dwordx2 v[4:5], off, off offset:192
	v_mov_b32_e32 v3, v2
	scratch_store_dwordx2 off, v[2:3], off offset:192
	s_waitcnt vmcnt(1)
	ds_write_b64 v1, v[4:5]
.LBB30_151:
	s_or_b64 exec, exec, s[0:1]
	s_waitcnt lgkmcnt(0)
	; wave barrier
	scratch_load_dwordx4 v[4:7], off, off offset:200
	scratch_load_dwordx4 v[8:11], off, off offset:216
	;; [unrolled: 1-line block ×3, first 2 shown]
	scratch_load_dwordx2 v[28:29], off, off offset:192
	ds_read2_b64 v[16:19], v2 offset0:57 offset1:58
	ds_read2_b64 v[20:23], v2 offset0:59 offset1:60
	;; [unrolled: 1-line block ×3, first 2 shown]
	v_cmp_lt_u32_e32 vcc, 23, v0
	s_waitcnt vmcnt(3) lgkmcnt(2)
	v_pk_mul_f32 v[2:3], v[16:17], v[4:5] op_sel:[1,1] op_sel_hi:[0,1]
	v_mov_b32_e32 v30, v7
	s_waitcnt vmcnt(2) lgkmcnt(1)
	v_pk_mul_f32 v[32:33], v[20:21], v[8:9] op_sel:[1,1] op_sel_hi:[0,1]
	v_mov_b32_e32 v34, v11
	;; [unrolled: 3-line block ×3, first 2 shown]
	v_pk_fma_f32 v[40:41], v[16:17], v[4:5], v[2:3] neg_lo:[0,0,1] neg_hi:[0,0,1]
	v_pk_fma_f32 v[2:3], v[16:17], v[4:5], v[2:3] op_sel_hi:[1,0,1]
	v_pk_mul_f32 v[4:5], v[18:19], v[30:31] op_sel:[1,0] op_sel_hi:[0,0]
	v_pk_fma_f32 v[16:17], v[20:21], v[8:9], v[32:33] neg_lo:[0,0,1] neg_hi:[0,0,1]
	v_pk_fma_f32 v[8:9], v[20:21], v[8:9], v[32:33] op_sel_hi:[1,0,1]
	v_pk_mul_f32 v[20:21], v[22:23], v[34:35] op_sel:[1,0] op_sel_hi:[0,0]
	v_pk_fma_f32 v[30:31], v[24:25], v[12:13], v[36:37] neg_lo:[0,0,1] neg_hi:[0,0,1]
	v_pk_fma_f32 v[12:13], v[24:25], v[12:13], v[36:37] op_sel_hi:[1,0,1]
	v_pk_mul_f32 v[24:25], v[26:27], v[38:39] op_sel:[1,0] op_sel_hi:[0,0]
	v_mov_b32_e32 v41, v3
	v_pk_fma_f32 v[2:3], v[18:19], v[6:7], v[4:5] neg_lo:[0,0,1] neg_hi:[0,0,1]
	v_pk_fma_f32 v[4:5], v[18:19], v[6:7], v[4:5] op_sel_hi:[1,0,1]
	v_mov_b32_e32 v17, v9
	v_pk_fma_f32 v[6:7], v[22:23], v[10:11], v[20:21] neg_lo:[0,0,1] neg_hi:[0,0,1]
	v_pk_fma_f32 v[8:9], v[22:23], v[10:11], v[20:21] op_sel_hi:[1,0,1]
	;; [unrolled: 3-line block ×3, first 2 shown]
	v_pk_add_f32 v[14:15], v[40:41], 0 op_sel_hi:[1,0]
	v_mov_b32_e32 v3, v5
	v_pk_add_f32 v[2:3], v[14:15], v[2:3]
	v_mov_b32_e32 v7, v9
	v_pk_add_f32 v[2:3], v[2:3], v[16:17]
	;; [unrolled: 2-line block ×3, first 2 shown]
	s_nop 0
	v_pk_add_f32 v[2:3], v[2:3], v[30:31]
	s_nop 0
	v_pk_add_f32 v[2:3], v[2:3], v[10:11]
	s_waitcnt vmcnt(0)
	v_pk_add_f32 v[2:3], v[28:29], v[2:3] neg_lo:[0,1] neg_hi:[0,1]
	scratch_store_dwordx2 off, v[2:3], off offset:192
	s_and_saveexec_b64 s[0:1], vcc
	s_cbranch_execz .LBB30_153
; %bb.152:
	scratch_load_dwordx2 v[2:3], off, off offset:184
	v_mov_b32_e32 v4, 0
	v_mov_b32_e32 v5, v4
	scratch_store_dwordx2 off, v[4:5], off offset:184
	s_waitcnt vmcnt(1)
	ds_write_b64 v1, v[2:3]
.LBB30_153:
	s_or_b64 exec, exec, s[0:1]
	s_waitcnt lgkmcnt(0)
	; wave barrier
	scratch_load_dwordx4 v[4:7], off, off offset:192
	scratch_load_dwordx4 v[8:11], off, off offset:208
	;; [unrolled: 1-line block ×3, first 2 shown]
	scratch_load_dwordx2 v[28:29], off, off offset:240
	scratch_load_dwordx2 v[30:31], off, off offset:184
	v_mov_b32_e32 v2, 0
	ds_read_b128 v[16:19], v2 offset:448
	ds_read_b128 v[20:23], v2 offset:464
	;; [unrolled: 1-line block ×3, first 2 shown]
	ds_read_b64 v[32:33], v2 offset:496
	v_cmp_lt_u32_e32 vcc, 22, v0
	s_waitcnt vmcnt(4) lgkmcnt(3)
	v_pk_mul_f32 v[34:35], v[16:17], v[4:5] op_sel:[1,1] op_sel_hi:[0,1]
	v_mov_b32_e32 v36, v7
	v_pk_fma_f32 v[48:49], v[16:17], v[4:5], v[34:35] neg_lo:[0,0,1] neg_hi:[0,0,1]
	v_pk_fma_f32 v[4:5], v[16:17], v[4:5], v[34:35] op_sel_hi:[1,0,1]
	v_pk_mul_f32 v[16:17], v[18:19], v[36:37] op_sel:[1,0] op_sel_hi:[0,0]
	s_waitcnt vmcnt(3) lgkmcnt(2)
	v_pk_mul_f32 v[38:39], v[20:21], v[8:9] op_sel:[1,1] op_sel_hi:[0,1]
	v_mov_b32_e32 v40, v11
	v_mov_b32_e32 v49, v5
	v_pk_fma_f32 v[4:5], v[18:19], v[6:7], v[16:17] neg_lo:[0,0,1] neg_hi:[0,0,1]
	v_pk_fma_f32 v[6:7], v[18:19], v[6:7], v[16:17] op_sel_hi:[1,0,1]
	v_pk_fma_f32 v[34:35], v[20:21], v[8:9], v[38:39] neg_lo:[0,0,1] neg_hi:[0,0,1]
	v_pk_fma_f32 v[8:9], v[20:21], v[8:9], v[38:39] op_sel_hi:[1,0,1]
	v_pk_mul_f32 v[20:21], v[22:23], v[40:41] op_sel:[1,0] op_sel_hi:[0,0]
	v_pk_add_f32 v[16:17], v[48:49], 0 op_sel_hi:[1,0]
	v_mov_b32_e32 v5, v7
	s_waitcnt vmcnt(2) lgkmcnt(1)
	v_pk_mul_f32 v[42:43], v[24:25], v[12:13] op_sel:[1,1] op_sel_hi:[0,1]
	v_mov_b32_e32 v44, v15
	v_mov_b32_e32 v35, v9
	v_pk_fma_f32 v[8:9], v[22:23], v[10:11], v[20:21] neg_lo:[0,0,1] neg_hi:[0,0,1]
	v_pk_fma_f32 v[10:11], v[22:23], v[10:11], v[20:21] op_sel_hi:[1,0,1]
	v_pk_add_f32 v[4:5], v[16:17], v[4:5]
	v_pk_fma_f32 v[36:37], v[24:25], v[12:13], v[42:43] neg_lo:[0,0,1] neg_hi:[0,0,1]
	v_pk_fma_f32 v[12:13], v[24:25], v[12:13], v[42:43] op_sel_hi:[1,0,1]
	v_pk_mul_f32 v[24:25], v[26:27], v[44:45] op_sel:[1,0] op_sel_hi:[0,0]
	v_mov_b32_e32 v9, v11
	v_pk_add_f32 v[4:5], v[4:5], v[34:35]
	s_waitcnt vmcnt(1) lgkmcnt(0)
	v_pk_mul_f32 v[46:47], v[32:33], v[28:29] op_sel:[1,1] op_sel_hi:[0,1]
	v_mov_b32_e32 v37, v13
	v_pk_fma_f32 v[12:13], v[26:27], v[14:15], v[24:25] neg_lo:[0,0,1] neg_hi:[0,0,1]
	v_pk_fma_f32 v[14:15], v[26:27], v[14:15], v[24:25] op_sel_hi:[1,0,1]
	v_pk_add_f32 v[4:5], v[4:5], v[8:9]
	v_pk_fma_f32 v[38:39], v[32:33], v[28:29], v[46:47] neg_lo:[0,0,1] neg_hi:[0,0,1]
	v_pk_fma_f32 v[28:29], v[32:33], v[28:29], v[46:47] op_sel_hi:[1,0,1]
	v_mov_b32_e32 v13, v15
	v_pk_add_f32 v[4:5], v[4:5], v[36:37]
	v_mov_b32_e32 v39, v29
	v_pk_add_f32 v[4:5], v[4:5], v[12:13]
	s_nop 0
	v_pk_add_f32 v[4:5], v[4:5], v[38:39]
	s_waitcnt vmcnt(0)
	v_pk_add_f32 v[4:5], v[30:31], v[4:5] neg_lo:[0,1] neg_hi:[0,1]
	scratch_store_dwordx2 off, v[4:5], off offset:184
	s_and_saveexec_b64 s[0:1], vcc
	s_cbranch_execz .LBB30_155
; %bb.154:
	scratch_load_dwordx2 v[4:5], off, off offset:176
	v_mov_b32_e32 v3, v2
	scratch_store_dwordx2 off, v[2:3], off offset:176
	s_waitcnt vmcnt(1)
	ds_write_b64 v1, v[4:5]
.LBB30_155:
	s_or_b64 exec, exec, s[0:1]
	s_waitcnt lgkmcnt(0)
	; wave barrier
	scratch_load_dwordx4 v[4:7], off, off offset:184
	scratch_load_dwordx4 v[8:11], off, off offset:200
	;; [unrolled: 1-line block ×4, first 2 shown]
	scratch_load_dwordx2 v[36:37], off, off offset:176
	ds_read2_b64 v[20:23], v2 offset0:55 offset1:56
	ds_read2_b64 v[24:27], v2 offset0:57 offset1:58
	;; [unrolled: 1-line block ×4, first 2 shown]
	v_cmp_lt_u32_e32 vcc, 21, v0
	s_waitcnt vmcnt(4) lgkmcnt(3)
	v_pk_mul_f32 v[2:3], v[20:21], v[4:5] op_sel:[1,1] op_sel_hi:[0,1]
	v_mov_b32_e32 v38, v7
	s_waitcnt vmcnt(3) lgkmcnt(2)
	v_pk_mul_f32 v[40:41], v[24:25], v[8:9] op_sel:[1,1] op_sel_hi:[0,1]
	v_mov_b32_e32 v42, v11
	;; [unrolled: 3-line block ×4, first 2 shown]
	v_pk_fma_f32 v[52:53], v[20:21], v[4:5], v[2:3] neg_lo:[0,0,1] neg_hi:[0,0,1]
	v_pk_fma_f32 v[2:3], v[20:21], v[4:5], v[2:3] op_sel_hi:[1,0,1]
	v_pk_mul_f32 v[4:5], v[22:23], v[38:39] op_sel:[1,0] op_sel_hi:[0,0]
	v_pk_fma_f32 v[20:21], v[24:25], v[8:9], v[40:41] neg_lo:[0,0,1] neg_hi:[0,0,1]
	v_pk_fma_f32 v[8:9], v[24:25], v[8:9], v[40:41] op_sel_hi:[1,0,1]
	v_pk_mul_f32 v[24:25], v[26:27], v[42:43] op_sel:[1,0] op_sel_hi:[0,0]
	;; [unrolled: 3-line block ×4, first 2 shown]
	v_mov_b32_e32 v53, v3
	v_pk_fma_f32 v[2:3], v[22:23], v[6:7], v[4:5] neg_lo:[0,0,1] neg_hi:[0,0,1]
	v_pk_fma_f32 v[4:5], v[22:23], v[6:7], v[4:5] op_sel_hi:[1,0,1]
	v_mov_b32_e32 v21, v9
	v_pk_fma_f32 v[6:7], v[26:27], v[10:11], v[24:25] neg_lo:[0,0,1] neg_hi:[0,0,1]
	v_pk_fma_f32 v[8:9], v[26:27], v[10:11], v[24:25] op_sel_hi:[1,0,1]
	;; [unrolled: 3-line block ×4, first 2 shown]
	v_pk_add_f32 v[18:19], v[52:53], 0 op_sel_hi:[1,0]
	v_mov_b32_e32 v3, v5
	v_pk_add_f32 v[2:3], v[18:19], v[2:3]
	v_mov_b32_e32 v7, v9
	v_pk_add_f32 v[2:3], v[2:3], v[20:21]
	;; [unrolled: 2-line block ×4, first 2 shown]
	s_nop 0
	v_pk_add_f32 v[2:3], v[2:3], v[10:11]
	s_nop 0
	v_pk_add_f32 v[2:3], v[2:3], v[40:41]
	;; [unrolled: 2-line block ×3, first 2 shown]
	s_waitcnt vmcnt(0)
	v_pk_add_f32 v[2:3], v[36:37], v[2:3] neg_lo:[0,1] neg_hi:[0,1]
	scratch_store_dwordx2 off, v[2:3], off offset:176
	s_and_saveexec_b64 s[0:1], vcc
	s_cbranch_execz .LBB30_157
; %bb.156:
	scratch_load_dwordx2 v[2:3], off, off offset:168
	v_mov_b32_e32 v4, 0
	v_mov_b32_e32 v5, v4
	scratch_store_dwordx2 off, v[4:5], off offset:168
	s_waitcnt vmcnt(1)
	ds_write_b64 v1, v[2:3]
.LBB30_157:
	s_or_b64 exec, exec, s[0:1]
	s_waitcnt lgkmcnt(0)
	; wave barrier
	scratch_load_dwordx4 v[4:7], off, off offset:176
	scratch_load_dwordx4 v[8:11], off, off offset:192
	;; [unrolled: 1-line block ×4, first 2 shown]
	scratch_load_dwordx2 v[36:37], off, off offset:240
	scratch_load_dwordx2 v[38:39], off, off offset:168
	v_mov_b32_e32 v2, 0
	ds_read_b128 v[20:23], v2 offset:432
	ds_read_b128 v[24:27], v2 offset:448
	;; [unrolled: 1-line block ×4, first 2 shown]
	ds_read_b64 v[40:41], v2 offset:496
	v_cmp_lt_u32_e32 vcc, 20, v0
	s_waitcnt vmcnt(5) lgkmcnt(4)
	v_mul_f32_e32 v43, v20, v5
	v_mul_f32_e32 v3, v21, v5
	v_mov_b32_e32 v44, v7
	s_waitcnt vmcnt(4) lgkmcnt(3)
	v_pk_mul_f32 v[46:47], v[24:25], v[8:9] op_sel:[1,1] op_sel_hi:[0,1]
	v_mov_b32_e32 v48, v11
	s_waitcnt vmcnt(1) lgkmcnt(0)
	v_pk_mul_f32 v[58:59], v[40:41], v[36:37] op_sel:[1,1] op_sel_hi:[0,1]
	v_fmac_f32_e32 v43, v21, v4
	v_fma_f32 v42, v20, v4, -v3
	v_pk_mul_f32 v[4:5], v[22:23], v[44:45] op_sel:[1,0] op_sel_hi:[0,0]
	v_pk_fma_f32 v[20:21], v[24:25], v[8:9], v[46:47] neg_lo:[0,0,1] neg_hi:[0,0,1]
	v_pk_fma_f32 v[8:9], v[24:25], v[8:9], v[46:47] op_sel_hi:[1,0,1]
	v_pk_mul_f32 v[24:25], v[26:27], v[48:49] op_sel:[1,0] op_sel_hi:[0,0]
	v_pk_fma_f32 v[48:49], v[40:41], v[36:37], v[58:59] neg_lo:[0,0,1] neg_hi:[0,0,1]
	v_pk_fma_f32 v[36:37], v[40:41], v[36:37], v[58:59] op_sel_hi:[1,0,1]
	v_pk_add_f32 v[40:41], v[42:43], 0 op_sel_hi:[1,0]
	v_pk_fma_f32 v[42:43], v[22:23], v[6:7], v[4:5] neg_lo:[0,0,1] neg_hi:[0,0,1]
	v_pk_fma_f32 v[4:5], v[22:23], v[6:7], v[4:5] op_sel_hi:[1,0,1]
	v_pk_mul_f32 v[50:51], v[28:29], v[12:13] op_sel:[1,1] op_sel_hi:[0,1]
	v_mov_b32_e32 v43, v5
	v_mov_b32_e32 v52, v15
	;; [unrolled: 1-line block ×3, first 2 shown]
	v_pk_fma_f32 v[6:7], v[26:27], v[10:11], v[24:25] neg_lo:[0,0,1] neg_hi:[0,0,1]
	v_pk_fma_f32 v[8:9], v[26:27], v[10:11], v[24:25] op_sel_hi:[1,0,1]
	v_pk_add_f32 v[4:5], v[40:41], v[42:43]
	v_pk_fma_f32 v[44:45], v[28:29], v[12:13], v[50:51] neg_lo:[0,0,1] neg_hi:[0,0,1]
	v_pk_fma_f32 v[12:13], v[28:29], v[12:13], v[50:51] op_sel_hi:[1,0,1]
	v_pk_mul_f32 v[28:29], v[30:31], v[52:53] op_sel:[1,0] op_sel_hi:[0,0]
	v_mov_b32_e32 v7, v9
	v_pk_add_f32 v[4:5], v[4:5], v[20:21]
	v_pk_mul_f32 v[54:55], v[32:33], v[16:17] op_sel:[1,1] op_sel_hi:[0,1]
	v_mov_b32_e32 v56, v19
	v_mov_b32_e32 v45, v13
	v_pk_fma_f32 v[10:11], v[30:31], v[14:15], v[28:29] neg_lo:[0,0,1] neg_hi:[0,0,1]
	v_pk_fma_f32 v[12:13], v[30:31], v[14:15], v[28:29] op_sel_hi:[1,0,1]
	v_pk_add_f32 v[4:5], v[4:5], v[6:7]
	v_pk_fma_f32 v[46:47], v[32:33], v[16:17], v[54:55] neg_lo:[0,0,1] neg_hi:[0,0,1]
	v_pk_fma_f32 v[16:17], v[32:33], v[16:17], v[54:55] op_sel_hi:[1,0,1]
	v_pk_mul_f32 v[32:33], v[34:35], v[56:57] op_sel:[1,0] op_sel_hi:[0,0]
	v_mov_b32_e32 v11, v13
	v_pk_add_f32 v[4:5], v[4:5], v[44:45]
	v_mov_b32_e32 v47, v17
	v_pk_fma_f32 v[14:15], v[34:35], v[18:19], v[32:33] neg_lo:[0,0,1] neg_hi:[0,0,1]
	v_pk_fma_f32 v[16:17], v[34:35], v[18:19], v[32:33] op_sel_hi:[1,0,1]
	v_pk_add_f32 v[4:5], v[4:5], v[10:11]
	v_mov_b32_e32 v15, v17
	v_pk_add_f32 v[4:5], v[4:5], v[46:47]
	v_mov_b32_e32 v49, v37
	v_pk_add_f32 v[4:5], v[4:5], v[14:15]
	s_nop 0
	v_pk_add_f32 v[4:5], v[4:5], v[48:49]
	s_waitcnt vmcnt(0)
	v_pk_add_f32 v[4:5], v[38:39], v[4:5] neg_lo:[0,1] neg_hi:[0,1]
	scratch_store_dwordx2 off, v[4:5], off offset:168
	s_and_saveexec_b64 s[0:1], vcc
	s_cbranch_execz .LBB30_159
; %bb.158:
	scratch_load_dwordx2 v[4:5], off, off offset:160
	v_mov_b32_e32 v3, v2
	scratch_store_dwordx2 off, v[2:3], off offset:160
	s_waitcnt vmcnt(1)
	ds_write_b64 v1, v[4:5]
.LBB30_159:
	s_or_b64 exec, exec, s[0:1]
	s_waitcnt lgkmcnt(0)
	; wave barrier
	scratch_load_dwordx4 v[4:7], off, off offset:168
	scratch_load_dwordx4 v[8:11], off, off offset:184
	;; [unrolled: 1-line block ×5, first 2 shown]
	scratch_load_dwordx2 v[44:45], off, off offset:160
	ds_read2_b64 v[24:27], v2 offset0:53 offset1:54
	ds_read2_b64 v[28:31], v2 offset0:55 offset1:56
	;; [unrolled: 1-line block ×5, first 2 shown]
	v_cmp_lt_u32_e32 vcc, 19, v0
	s_waitcnt vmcnt(5) lgkmcnt(4)
	v_mul_f32_e32 v3, v24, v5
	v_mul_f32_e32 v2, v25, v5
	;; [unrolled: 1-line block ×4, first 2 shown]
	s_waitcnt vmcnt(4) lgkmcnt(3)
	v_pk_mul_f32 v[48:49], v[28:29], v[8:9] op_sel:[1,1] op_sel_hi:[0,1]
	v_mov_b32_e32 v50, v11
	v_fmac_f32_e32 v3, v25, v4
	v_fma_f32 v2, v24, v4, -v2
	v_fmac_f32_e32 v47, v27, v6
	v_fma_f32 v46, v26, v6, -v5
	v_pk_fma_f32 v[4:5], v[28:29], v[8:9], v[48:49] neg_lo:[0,0,1] neg_hi:[0,0,1]
	v_pk_fma_f32 v[6:7], v[28:29], v[8:9], v[48:49] op_sel_hi:[1,0,1]
	v_pk_mul_f32 v[8:9], v[30:31], v[50:51] op_sel:[1,0] op_sel_hi:[0,0]
	v_pk_add_f32 v[2:3], v[2:3], 0 op_sel_hi:[1,0]
	s_waitcnt vmcnt(3) lgkmcnt(2)
	v_pk_mul_f32 v[52:53], v[32:33], v[12:13] op_sel:[1,1] op_sel_hi:[0,1]
	v_mov_b32_e32 v54, v15
	v_mov_b32_e32 v5, v7
	v_pk_fma_f32 v[6:7], v[30:31], v[10:11], v[8:9] neg_lo:[0,0,1] neg_hi:[0,0,1]
	v_pk_fma_f32 v[8:9], v[30:31], v[10:11], v[8:9] op_sel_hi:[1,0,1]
	v_pk_add_f32 v[2:3], v[2:3], v[46:47]
	v_pk_fma_f32 v[24:25], v[32:33], v[12:13], v[52:53] neg_lo:[0,0,1] neg_hi:[0,0,1]
	v_pk_fma_f32 v[12:13], v[32:33], v[12:13], v[52:53] op_sel_hi:[1,0,1]
	v_pk_mul_f32 v[26:27], v[34:35], v[54:55] op_sel:[1,0] op_sel_hi:[0,0]
	v_mov_b32_e32 v7, v9
	v_pk_add_f32 v[2:3], v[2:3], v[4:5]
	s_waitcnt vmcnt(2) lgkmcnt(1)
	v_pk_mul_f32 v[56:57], v[36:37], v[16:17] op_sel:[1,1] op_sel_hi:[0,1]
	v_mov_b32_e32 v58, v19
	v_mov_b32_e32 v25, v13
	v_pk_fma_f32 v[10:11], v[34:35], v[14:15], v[26:27] neg_lo:[0,0,1] neg_hi:[0,0,1]
	v_pk_fma_f32 v[12:13], v[34:35], v[14:15], v[26:27] op_sel_hi:[1,0,1]
	v_pk_add_f32 v[2:3], v[2:3], v[6:7]
	v_pk_fma_f32 v[28:29], v[36:37], v[16:17], v[56:57] neg_lo:[0,0,1] neg_hi:[0,0,1]
	v_pk_fma_f32 v[16:17], v[36:37], v[16:17], v[56:57] op_sel_hi:[1,0,1]
	v_pk_mul_f32 v[32:33], v[38:39], v[58:59] op_sel:[1,0] op_sel_hi:[0,0]
	v_mov_b32_e32 v11, v13
	v_pk_add_f32 v[2:3], v[2:3], v[24:25]
	;; [unrolled: 12-line block ×3, first 2 shown]
	v_mov_b32_e32 v37, v21
	v_pk_fma_f32 v[18:19], v[42:43], v[22:23], v[40:41] neg_lo:[0,0,1] neg_hi:[0,0,1]
	v_pk_fma_f32 v[20:21], v[42:43], v[22:23], v[40:41] op_sel_hi:[1,0,1]
	v_pk_add_f32 v[2:3], v[2:3], v[14:15]
	v_mov_b32_e32 v19, v21
	v_pk_add_f32 v[2:3], v[2:3], v[36:37]
	s_nop 0
	v_pk_add_f32 v[2:3], v[2:3], v[18:19]
	s_waitcnt vmcnt(0)
	v_pk_add_f32 v[2:3], v[44:45], v[2:3] neg_lo:[0,1] neg_hi:[0,1]
	scratch_store_dwordx2 off, v[2:3], off offset:160
	s_and_saveexec_b64 s[0:1], vcc
	s_cbranch_execz .LBB30_161
; %bb.160:
	scratch_load_dwordx2 v[2:3], off, off offset:152
	v_mov_b32_e32 v4, 0
	v_mov_b32_e32 v5, v4
	scratch_store_dwordx2 off, v[4:5], off offset:152
	s_waitcnt vmcnt(1)
	ds_write_b64 v1, v[2:3]
.LBB30_161:
	s_or_b64 exec, exec, s[0:1]
	s_waitcnt lgkmcnt(0)
	; wave barrier
	scratch_load_dwordx4 v[4:7], off, off offset:160
	scratch_load_dwordx4 v[8:11], off, off offset:176
	;; [unrolled: 1-line block ×5, first 2 shown]
	scratch_load_dwordx2 v[44:45], off, off offset:240
	scratch_load_dwordx2 v[46:47], off, off offset:152
	v_mov_b32_e32 v2, 0
	ds_read_b128 v[24:27], v2 offset:416
	ds_read_b128 v[28:31], v2 offset:432
	;; [unrolled: 1-line block ×5, first 2 shown]
	ds_read_b64 v[48:49], v2 offset:496
	v_cmp_lt_u32_e32 vcc, 18, v0
	s_waitcnt vmcnt(6) lgkmcnt(5)
	v_mul_f32_e32 v3, v24, v5
	v_mul_f32_e32 v5, v25, v5
	v_mul_f32_e32 v51, v26, v7
	s_waitcnt vmcnt(5) lgkmcnt(4)
	v_mul_f32_e32 v53, v28, v9
	v_mul_f32_e32 v7, v27, v7
	;; [unrolled: 1-line block ×3, first 2 shown]
	v_mov_b32_e32 v54, v11
	s_waitcnt vmcnt(3) lgkmcnt(2)
	v_pk_mul_f32 v[60:61], v[36:37], v[16:17] op_sel:[1,1] op_sel_hi:[0,1]
	s_waitcnt vmcnt(2) lgkmcnt(1)
	v_pk_mul_f32 v[64:65], v[40:41], v[20:21] op_sel:[1,1] op_sel_hi:[0,1]
	;; [unrolled: 2-line block ×3, first 2 shown]
	v_fmac_f32_e32 v3, v25, v4
	v_fma_f32 v55, v24, v4, -v5
	v_fmac_f32_e32 v51, v27, v6
	v_fmac_f32_e32 v53, v29, v8
	v_fma_f32 v50, v26, v6, -v7
	v_fma_f32 v52, v28, v8, -v9
	v_pk_mul_f32 v[4:5], v[30:31], v[54:55] op_sel:[1,0] op_sel_hi:[0,0]
	v_pk_fma_f32 v[24:25], v[36:37], v[16:17], v[60:61] neg_lo:[0,0,1] neg_hi:[0,0,1]
	v_pk_fma_f32 v[16:17], v[36:37], v[16:17], v[60:61] op_sel_hi:[1,0,1]
	v_pk_fma_f32 v[28:29], v[40:41], v[20:21], v[64:65] neg_lo:[0,0,1] neg_hi:[0,0,1]
	v_pk_fma_f32 v[20:21], v[40:41], v[20:21], v[64:65] op_sel_hi:[1,0,1]
	;; [unrolled: 2-line block ×3, first 2 shown]
	v_add_f32_e32 v45, 0, v3
	v_add_f32_e32 v44, 0, v55
	v_pk_mul_f32 v[56:57], v[32:33], v[12:13] op_sel:[1,1] op_sel_hi:[0,1]
	v_mov_b32_e32 v58, v15
	v_pk_fma_f32 v[48:49], v[30:31], v[10:11], v[4:5] neg_lo:[0,0,1] neg_hi:[0,0,1]
	v_pk_fma_f32 v[4:5], v[30:31], v[10:11], v[4:5] op_sel_hi:[1,0,1]
	v_mov_b32_e32 v29, v21
	v_pk_add_f32 v[20:21], v[44:45], v[50:51]
	v_pk_fma_f32 v[6:7], v[32:33], v[12:13], v[56:57] neg_lo:[0,0,1] neg_hi:[0,0,1]
	v_pk_fma_f32 v[8:9], v[32:33], v[12:13], v[56:57] op_sel_hi:[1,0,1]
	v_pk_mul_f32 v[12:13], v[34:35], v[58:59] op_sel:[1,0] op_sel_hi:[0,0]
	v_mov_b32_e32 v49, v5
	v_pk_add_f32 v[4:5], v[20:21], v[52:53]
	v_mov_b32_e32 v62, v19
	v_mov_b32_e32 v7, v9
	v_pk_fma_f32 v[8:9], v[34:35], v[14:15], v[12:13] neg_lo:[0,0,1] neg_hi:[0,0,1]
	v_pk_fma_f32 v[10:11], v[34:35], v[14:15], v[12:13] op_sel_hi:[1,0,1]
	v_pk_add_f32 v[4:5], v[4:5], v[48:49]
	v_pk_mul_f32 v[26:27], v[38:39], v[62:63] op_sel:[1,0] op_sel_hi:[0,0]
	v_mov_b32_e32 v9, v11
	v_pk_add_f32 v[4:5], v[4:5], v[6:7]
	v_mov_b32_e32 v66, v23
	v_mov_b32_e32 v25, v17
	v_pk_fma_f32 v[12:13], v[38:39], v[18:19], v[26:27] neg_lo:[0,0,1] neg_hi:[0,0,1]
	v_pk_fma_f32 v[14:15], v[38:39], v[18:19], v[26:27] op_sel_hi:[1,0,1]
	v_pk_add_f32 v[4:5], v[4:5], v[8:9]
	v_pk_mul_f32 v[32:33], v[42:43], v[66:67] op_sel:[1,0] op_sel_hi:[0,0]
	v_mov_b32_e32 v13, v15
	v_pk_add_f32 v[4:5], v[4:5], v[24:25]
	v_pk_fma_f32 v[16:17], v[42:43], v[22:23], v[32:33] neg_lo:[0,0,1] neg_hi:[0,0,1]
	v_pk_fma_f32 v[18:19], v[42:43], v[22:23], v[32:33] op_sel_hi:[1,0,1]
	v_pk_add_f32 v[4:5], v[4:5], v[12:13]
	v_mov_b32_e32 v17, v19
	v_pk_add_f32 v[4:5], v[4:5], v[28:29]
	v_mov_b32_e32 v37, v41
	v_pk_add_f32 v[4:5], v[4:5], v[16:17]
	s_nop 0
	v_pk_add_f32 v[4:5], v[4:5], v[36:37]
	s_waitcnt vmcnt(0)
	v_pk_add_f32 v[4:5], v[46:47], v[4:5] neg_lo:[0,1] neg_hi:[0,1]
	scratch_store_dwordx2 off, v[4:5], off offset:152
	s_and_saveexec_b64 s[0:1], vcc
	s_cbranch_execz .LBB30_163
; %bb.162:
	scratch_load_dwordx2 v[4:5], off, off offset:144
	v_mov_b32_e32 v3, v2
	scratch_store_dwordx2 off, v[2:3], off offset:144
	s_waitcnt vmcnt(1)
	ds_write_b64 v1, v[4:5]
.LBB30_163:
	s_or_b64 exec, exec, s[0:1]
	s_waitcnt lgkmcnt(0)
	; wave barrier
	scratch_load_dwordx4 v[8:11], off, off offset:152
	scratch_load_dwordx4 v[16:19], off, off offset:168
	ds_read2_b64 v[4:7], v2 offset0:51 offset1:52
	v_cmp_lt_u32_e32 vcc, 17, v0
	s_waitcnt vmcnt(1) lgkmcnt(0)
	v_mul_f32_e32 v3, v4, v9
	v_fmac_f32_e32 v3, v5, v8
	v_mul_f32_e32 v12, v6, v11
	v_add_f32_e32 v3, 0, v3
	v_fmac_f32_e32 v12, v7, v10
	v_add_f32_e32 v37, v3, v12
	ds_read2_b64 v[12:15], v2 offset0:53 offset1:54
	scratch_load_dwordx4 v[20:23], off, off offset:184
	scratch_load_dwordx4 v[24:27], off, off offset:200
	;; [unrolled: 1-line block ×4, first 2 shown]
	v_mul_f32_e32 v3, v5, v9
	v_fma_f32 v3, v4, v8, -v3
	v_mul_f32_e32 v4, v7, v11
	v_add_f32_e32 v3, 0, v3
	v_fma_f32 v4, v6, v10, -v4
	v_add_f32_e32 v36, v3, v4
	s_waitcnt vmcnt(4) lgkmcnt(0)
	v_mul_f32_e32 v3, v13, v17
	v_mul_f32_e32 v39, v12, v17
	;; [unrolled: 1-line block ×3, first 2 shown]
	v_fma_f32 v38, v12, v16, -v3
	v_mul_f32_e32 v3, v15, v19
	v_fmac_f32_e32 v39, v13, v16
	v_fmac_f32_e32 v41, v15, v18
	v_fma_f32 v40, v14, v18, -v3
	ds_read2_b64 v[4:7], v2 offset0:55 offset1:56
	ds_read2_b64 v[8:11], v2 offset0:57 offset1:58
	;; [unrolled: 1-line block ×4, first 2 shown]
	v_pk_add_f32 v[2:3], v[36:37], v[38:39]
	s_waitcnt vmcnt(3) lgkmcnt(3)
	v_pk_mul_f32 v[36:37], v[4:5], v[20:21] op_sel:[1,1] op_sel_hi:[0,1]
	v_pk_fma_f32 v[38:39], v[4:5], v[20:21], v[36:37] neg_lo:[0,0,1] neg_hi:[0,0,1]
	v_pk_fma_f32 v[4:5], v[4:5], v[20:21], v[36:37] op_sel_hi:[1,0,1]
	v_pk_add_f32 v[2:3], v[2:3], v[40:41]
	v_mov_b32_e32 v4, v23
	v_mov_b32_e32 v39, v5
	v_pk_mul_f32 v[4:5], v[6:7], v[4:5] op_sel:[1,0] op_sel_hi:[0,0]
	v_pk_fma_f32 v[20:21], v[6:7], v[22:23], v[4:5] neg_lo:[0,0,1] neg_hi:[0,0,1]
	v_pk_fma_f32 v[4:5], v[6:7], v[22:23], v[4:5] op_sel_hi:[1,0,1]
	v_pk_add_f32 v[2:3], v[2:3], v[38:39]
	v_mov_b32_e32 v21, v5
	s_waitcnt vmcnt(2) lgkmcnt(2)
	v_pk_mul_f32 v[4:5], v[8:9], v[24:25] op_sel:[1,1] op_sel_hi:[0,1]
	v_pk_fma_f32 v[6:7], v[8:9], v[24:25], v[4:5] neg_lo:[0,0,1] neg_hi:[0,0,1]
	v_pk_fma_f32 v[4:5], v[8:9], v[24:25], v[4:5] op_sel_hi:[1,0,1]
	v_pk_add_f32 v[2:3], v[2:3], v[20:21]
	v_mov_b32_e32 v4, v27
	v_mov_b32_e32 v7, v5
	v_pk_mul_f32 v[4:5], v[10:11], v[4:5] op_sel:[1,0] op_sel_hi:[0,0]
	v_pk_add_f32 v[2:3], v[2:3], v[6:7]
	v_pk_fma_f32 v[6:7], v[10:11], v[26:27], v[4:5] neg_lo:[0,0,1] neg_hi:[0,0,1]
	v_pk_fma_f32 v[4:5], v[10:11], v[26:27], v[4:5] op_sel_hi:[1,0,1]
	s_nop 0
	v_mov_b32_e32 v7, v5
	s_waitcnt vmcnt(1) lgkmcnt(1)
	v_pk_mul_f32 v[4:5], v[12:13], v[28:29] op_sel:[1,1] op_sel_hi:[0,1]
	v_pk_add_f32 v[2:3], v[2:3], v[6:7]
	v_pk_fma_f32 v[6:7], v[12:13], v[28:29], v[4:5] neg_lo:[0,0,1] neg_hi:[0,0,1]
	v_pk_fma_f32 v[4:5], v[12:13], v[28:29], v[4:5] op_sel_hi:[1,0,1]
	s_nop 0
	v_mov_b32_e32 v4, v31
	v_mov_b32_e32 v7, v5
	v_pk_mul_f32 v[4:5], v[14:15], v[4:5] op_sel:[1,0] op_sel_hi:[0,0]
	v_pk_add_f32 v[2:3], v[2:3], v[6:7]
	v_pk_fma_f32 v[6:7], v[14:15], v[30:31], v[4:5] neg_lo:[0,0,1] neg_hi:[0,0,1]
	v_pk_fma_f32 v[4:5], v[14:15], v[30:31], v[4:5] op_sel_hi:[1,0,1]
	s_nop 0
	v_mov_b32_e32 v7, v5
	s_waitcnt vmcnt(0) lgkmcnt(0)
	v_pk_mul_f32 v[4:5], v[16:17], v[32:33] op_sel:[1,1] op_sel_hi:[0,1]
	v_pk_add_f32 v[2:3], v[2:3], v[6:7]
	v_pk_fma_f32 v[6:7], v[16:17], v[32:33], v[4:5] neg_lo:[0,0,1] neg_hi:[0,0,1]
	v_pk_fma_f32 v[4:5], v[16:17], v[32:33], v[4:5] op_sel_hi:[1,0,1]
	s_nop 0
	v_mov_b32_e32 v4, v35
	v_mov_b32_e32 v7, v5
	v_pk_mul_f32 v[4:5], v[18:19], v[4:5] op_sel:[1,0] op_sel_hi:[0,0]
	v_pk_add_f32 v[2:3], v[2:3], v[6:7]
	v_pk_fma_f32 v[6:7], v[18:19], v[34:35], v[4:5] neg_lo:[0,0,1] neg_hi:[0,0,1]
	v_pk_fma_f32 v[4:5], v[18:19], v[34:35], v[4:5] op_sel_hi:[1,0,1]
	s_nop 0
	v_mov_b32_e32 v7, v5
	scratch_load_dwordx2 v[4:5], off, off offset:144
	v_pk_add_f32 v[2:3], v[2:3], v[6:7]
	s_waitcnt vmcnt(0)
	v_pk_add_f32 v[2:3], v[4:5], v[2:3] neg_lo:[0,1] neg_hi:[0,1]
	scratch_store_dwordx2 off, v[2:3], off offset:144
	s_and_saveexec_b64 s[0:1], vcc
	s_cbranch_execz .LBB30_165
; %bb.164:
	scratch_load_dwordx2 v[2:3], off, off offset:136
	v_mov_b32_e32 v4, 0
	v_mov_b32_e32 v5, v4
	scratch_store_dwordx2 off, v[4:5], off offset:136
	s_waitcnt vmcnt(1)
	ds_write_b64 v1, v[2:3]
.LBB30_165:
	s_or_b64 exec, exec, s[0:1]
	v_mov_b32_e32 v2, 0
	s_waitcnt lgkmcnt(0)
	; wave barrier
	ds_read_b128 v[4:7], v2 offset:400
	ds_read_b128 v[8:11], v2 offset:416
	;; [unrolled: 1-line block ×4, first 2 shown]
	scratch_load_dwordx4 v[20:23], off, off offset:144
	v_cmp_lt_u32_e32 vcc, 16, v0
	s_waitcnt vmcnt(0) lgkmcnt(3)
	v_mul_f32_e32 v3, v4, v21
	v_fmac_f32_e32 v3, v5, v20
	v_mul_f32_e32 v24, v6, v23
	v_add_f32_e32 v3, 0, v3
	v_fmac_f32_e32 v24, v7, v22
	v_add_f32_e32 v3, v3, v24
	scratch_load_dwordx4 v[24:27], off, off offset:160
	s_waitcnt vmcnt(0) lgkmcnt(2)
	v_mul_f32_e32 v28, v8, v25
	v_fmac_f32_e32 v28, v9, v24
	v_add_f32_e32 v45, v3, v28
	scratch_load_dwordx4 v[28:31], off, off offset:176
	scratch_load_dwordx4 v[32:35], off, off offset:192
	;; [unrolled: 1-line block ×4, first 2 shown]
	scratch_load_dwordx2 v[50:51], off, off offset:240
	v_mul_f32_e32 v3, v5, v21
	v_fma_f32 v3, v4, v20, -v3
	v_mul_f32_e32 v4, v7, v23
	v_add_f32_e32 v3, 0, v3
	v_fma_f32 v4, v6, v22, -v4
	v_add_f32_e32 v3, v3, v4
	v_mul_f32_e32 v4, v9, v25
	v_fma_f32 v4, v8, v24, -v4
	v_mul_f32_e32 v47, v10, v27
	v_add_f32_e32 v44, v3, v4
	v_mul_f32_e32 v3, v11, v27
	v_fmac_f32_e32 v47, v11, v26
	v_fma_f32 v46, v10, v26, -v3
	v_pk_add_f32 v[20:21], v[44:45], v[46:47]
	s_waitcnt vmcnt(4)
	v_mov_b32_e32 v22, v31
	s_waitcnt lgkmcnt(1)
	v_mul_f32_e32 v49, v12, v29
	v_mul_f32_e32 v3, v13, v29
	v_pk_mul_f32 v[22:23], v[14:15], v[22:23] op_sel:[1,0] op_sel_hi:[0,0]
	v_fmac_f32_e32 v49, v13, v28
	v_fma_f32 v48, v12, v28, -v3
	v_pk_fma_f32 v[24:25], v[14:15], v[30:31], v[22:23] neg_lo:[0,0,1] neg_hi:[0,0,1]
	v_pk_fma_f32 v[14:15], v[14:15], v[30:31], v[22:23] op_sel_hi:[1,0,1]
	v_pk_add_f32 v[20:21], v[20:21], v[48:49]
	v_mov_b32_e32 v25, v15
	v_pk_add_f32 v[14:15], v[20:21], v[24:25]
	s_waitcnt vmcnt(3) lgkmcnt(0)
	v_pk_mul_f32 v[20:21], v[16:17], v[32:33] op_sel:[1,1] op_sel_hi:[0,1]
	v_pk_fma_f32 v[22:23], v[16:17], v[32:33], v[20:21] neg_lo:[0,0,1] neg_hi:[0,0,1]
	v_pk_fma_f32 v[16:17], v[16:17], v[32:33], v[20:21] op_sel_hi:[1,0,1]
	ds_read_b128 v[4:7], v2 offset:464
	ds_read_b128 v[8:11], v2 offset:480
	ds_read_b64 v[12:13], v2 offset:496
	v_mov_b32_e32 v16, v35
	v_mov_b32_e32 v23, v17
	v_pk_mul_f32 v[16:17], v[18:19], v[16:17] op_sel:[1,0] op_sel_hi:[0,0]
	v_pk_fma_f32 v[20:21], v[18:19], v[34:35], v[16:17] neg_lo:[0,0,1] neg_hi:[0,0,1]
	v_pk_fma_f32 v[16:17], v[18:19], v[34:35], v[16:17] op_sel_hi:[1,0,1]
	v_pk_add_f32 v[14:15], v[14:15], v[22:23]
	v_mov_b32_e32 v21, v17
	s_waitcnt vmcnt(2) lgkmcnt(2)
	v_pk_mul_f32 v[16:17], v[4:5], v[36:37] op_sel:[1,1] op_sel_hi:[0,1]
	v_pk_fma_f32 v[18:19], v[4:5], v[36:37], v[16:17] neg_lo:[0,0,1] neg_hi:[0,0,1]
	v_pk_fma_f32 v[4:5], v[4:5], v[36:37], v[16:17] op_sel_hi:[1,0,1]
	v_pk_add_f32 v[14:15], v[14:15], v[20:21]
	v_mov_b32_e32 v19, v5
	v_pk_add_f32 v[4:5], v[14:15], v[18:19]
	v_mov_b32_e32 v14, v39
	v_pk_mul_f32 v[14:15], v[6:7], v[14:15] op_sel:[1,0] op_sel_hi:[0,0]
	v_pk_fma_f32 v[16:17], v[6:7], v[38:39], v[14:15] neg_lo:[0,0,1] neg_hi:[0,0,1]
	v_pk_fma_f32 v[6:7], v[6:7], v[38:39], v[14:15] op_sel_hi:[1,0,1]
	s_nop 0
	v_mov_b32_e32 v17, v7
	s_waitcnt vmcnt(1) lgkmcnt(1)
	v_pk_mul_f32 v[6:7], v[8:9], v[40:41] op_sel:[1,1] op_sel_hi:[0,1]
	v_pk_fma_f32 v[14:15], v[8:9], v[40:41], v[6:7] neg_lo:[0,0,1] neg_hi:[0,0,1]
	v_pk_fma_f32 v[6:7], v[8:9], v[40:41], v[6:7] op_sel_hi:[1,0,1]
	v_pk_add_f32 v[4:5], v[4:5], v[16:17]
	v_mov_b32_e32 v6, v43
	v_mov_b32_e32 v15, v7
	v_pk_mul_f32 v[6:7], v[10:11], v[6:7] op_sel:[1,0] op_sel_hi:[0,0]
	v_pk_fma_f32 v[8:9], v[10:11], v[42:43], v[6:7] neg_lo:[0,0,1] neg_hi:[0,0,1]
	v_pk_fma_f32 v[6:7], v[10:11], v[42:43], v[6:7] op_sel_hi:[1,0,1]
	v_pk_add_f32 v[4:5], v[4:5], v[14:15]
	v_mov_b32_e32 v9, v7
	s_waitcnt vmcnt(0) lgkmcnt(0)
	v_pk_mul_f32 v[6:7], v[12:13], v[50:51] op_sel:[1,1] op_sel_hi:[0,1]
	v_pk_add_f32 v[4:5], v[4:5], v[8:9]
	v_pk_fma_f32 v[8:9], v[12:13], v[50:51], v[6:7] neg_lo:[0,0,1] neg_hi:[0,0,1]
	v_pk_fma_f32 v[6:7], v[12:13], v[50:51], v[6:7] op_sel_hi:[1,0,1]
	s_nop 0
	v_mov_b32_e32 v9, v7
	scratch_load_dwordx2 v[6:7], off, off offset:136
	v_pk_add_f32 v[4:5], v[4:5], v[8:9]
	s_waitcnt vmcnt(0)
	v_pk_add_f32 v[4:5], v[6:7], v[4:5] neg_lo:[0,1] neg_hi:[0,1]
	scratch_store_dwordx2 off, v[4:5], off offset:136
	s_and_saveexec_b64 s[0:1], vcc
	s_cbranch_execz .LBB30_167
; %bb.166:
	scratch_load_dwordx2 v[4:5], off, off offset:128
	v_mov_b32_e32 v3, v2
	scratch_store_dwordx2 off, v[2:3], off offset:128
	s_waitcnt vmcnt(1)
	ds_write_b64 v1, v[4:5]
.LBB30_167:
	s_or_b64 exec, exec, s[0:1]
	s_waitcnt lgkmcnt(0)
	; wave barrier
	scratch_load_dwordx4 v[8:11], off, off offset:136
	scratch_load_dwordx4 v[16:19], off, off offset:152
	ds_read2_b64 v[4:7], v2 offset0:49 offset1:50
	scratch_load_dwordx4 v[24:27], off, off offset:168
	v_cmp_lt_u32_e32 vcc, 15, v0
	s_waitcnt vmcnt(2) lgkmcnt(0)
	v_mul_f32_e32 v3, v4, v9
	v_fmac_f32_e32 v3, v5, v8
	v_mul_f32_e32 v12, v6, v11
	v_add_f32_e32 v3, 0, v3
	v_fmac_f32_e32 v12, v7, v10
	v_add_f32_e32 v3, v3, v12
	ds_read2_b64 v[12:15], v2 offset0:51 offset1:52
	s_waitcnt vmcnt(1) lgkmcnt(0)
	v_mul_f32_e32 v20, v12, v17
	v_fmac_f32_e32 v20, v13, v16
	v_add_f32_e32 v3, v3, v20
	v_mul_f32_e32 v20, v14, v19
	v_fmac_f32_e32 v20, v15, v18
	v_add_f32_e32 v45, v3, v20
	ds_read2_b64 v[20:23], v2 offset0:53 offset1:54
	scratch_load_dwordx4 v[28:31], off, off offset:184
	scratch_load_dwordx4 v[32:35], off, off offset:200
	;; [unrolled: 1-line block ×4, first 2 shown]
	v_mul_f32_e32 v3, v5, v9
	v_fma_f32 v3, v4, v8, -v3
	v_mul_f32_e32 v4, v7, v11
	v_add_f32_e32 v3, 0, v3
	v_fma_f32 v4, v6, v10, -v4
	v_add_f32_e32 v3, v3, v4
	v_mul_f32_e32 v4, v13, v17
	v_fma_f32 v4, v12, v16, -v4
	v_add_f32_e32 v3, v3, v4
	v_mul_f32_e32 v4, v15, v19
	v_fma_f32 v4, v14, v18, -v4
	v_add_f32_e32 v44, v3, v4
	ds_read2_b64 v[4:7], v2 offset0:55 offset1:56
	ds_read2_b64 v[8:11], v2 offset0:57 offset1:58
	;; [unrolled: 1-line block ×4, first 2 shown]
	s_waitcnt vmcnt(4) lgkmcnt(4)
	v_mul_f32_e32 v47, v20, v25
	v_mul_f32_e32 v3, v21, v25
	v_fmac_f32_e32 v47, v21, v24
	v_mul_f32_e32 v49, v22, v27
	v_fma_f32 v46, v20, v24, -v3
	v_mul_f32_e32 v3, v23, v27
	v_fmac_f32_e32 v49, v23, v26
	v_fma_f32 v48, v22, v26, -v3
	v_pk_add_f32 v[2:3], v[44:45], v[46:47]
	s_waitcnt vmcnt(3) lgkmcnt(3)
	v_pk_mul_f32 v[20:21], v[4:5], v[28:29] op_sel:[1,1] op_sel_hi:[0,1]
	v_pk_fma_f32 v[22:23], v[4:5], v[28:29], v[20:21] neg_lo:[0,0,1] neg_hi:[0,0,1]
	v_pk_fma_f32 v[4:5], v[4:5], v[28:29], v[20:21] op_sel_hi:[1,0,1]
	v_pk_add_f32 v[2:3], v[2:3], v[48:49]
	v_mov_b32_e32 v4, v31
	v_mov_b32_e32 v23, v5
	v_pk_mul_f32 v[4:5], v[6:7], v[4:5] op_sel:[1,0] op_sel_hi:[0,0]
	v_pk_fma_f32 v[20:21], v[6:7], v[30:31], v[4:5] neg_lo:[0,0,1] neg_hi:[0,0,1]
	v_pk_fma_f32 v[4:5], v[6:7], v[30:31], v[4:5] op_sel_hi:[1,0,1]
	v_pk_add_f32 v[2:3], v[2:3], v[22:23]
	v_mov_b32_e32 v21, v5
	s_waitcnt vmcnt(2) lgkmcnt(2)
	v_pk_mul_f32 v[4:5], v[8:9], v[32:33] op_sel:[1,1] op_sel_hi:[0,1]
	v_pk_fma_f32 v[6:7], v[8:9], v[32:33], v[4:5] neg_lo:[0,0,1] neg_hi:[0,0,1]
	v_pk_fma_f32 v[4:5], v[8:9], v[32:33], v[4:5] op_sel_hi:[1,0,1]
	v_pk_add_f32 v[2:3], v[2:3], v[20:21]
	v_mov_b32_e32 v4, v35
	v_mov_b32_e32 v7, v5
	v_pk_mul_f32 v[4:5], v[10:11], v[4:5] op_sel:[1,0] op_sel_hi:[0,0]
	v_pk_add_f32 v[2:3], v[2:3], v[6:7]
	v_pk_fma_f32 v[6:7], v[10:11], v[34:35], v[4:5] neg_lo:[0,0,1] neg_hi:[0,0,1]
	v_pk_fma_f32 v[4:5], v[10:11], v[34:35], v[4:5] op_sel_hi:[1,0,1]
	s_nop 0
	v_mov_b32_e32 v7, v5
	s_waitcnt vmcnt(1) lgkmcnt(1)
	v_pk_mul_f32 v[4:5], v[12:13], v[36:37] op_sel:[1,1] op_sel_hi:[0,1]
	v_pk_add_f32 v[2:3], v[2:3], v[6:7]
	v_pk_fma_f32 v[6:7], v[12:13], v[36:37], v[4:5] neg_lo:[0,0,1] neg_hi:[0,0,1]
	v_pk_fma_f32 v[4:5], v[12:13], v[36:37], v[4:5] op_sel_hi:[1,0,1]
	s_nop 0
	v_mov_b32_e32 v4, v39
	v_mov_b32_e32 v7, v5
	v_pk_mul_f32 v[4:5], v[14:15], v[4:5] op_sel:[1,0] op_sel_hi:[0,0]
	v_pk_add_f32 v[2:3], v[2:3], v[6:7]
	v_pk_fma_f32 v[6:7], v[14:15], v[38:39], v[4:5] neg_lo:[0,0,1] neg_hi:[0,0,1]
	v_pk_fma_f32 v[4:5], v[14:15], v[38:39], v[4:5] op_sel_hi:[1,0,1]
	s_nop 0
	v_mov_b32_e32 v7, v5
	s_waitcnt vmcnt(0) lgkmcnt(0)
	v_pk_mul_f32 v[4:5], v[16:17], v[40:41] op_sel:[1,1] op_sel_hi:[0,1]
	v_pk_add_f32 v[2:3], v[2:3], v[6:7]
	v_pk_fma_f32 v[6:7], v[16:17], v[40:41], v[4:5] neg_lo:[0,0,1] neg_hi:[0,0,1]
	v_pk_fma_f32 v[4:5], v[16:17], v[40:41], v[4:5] op_sel_hi:[1,0,1]
	s_nop 0
	v_mov_b32_e32 v4, v43
	v_mov_b32_e32 v7, v5
	v_pk_mul_f32 v[4:5], v[18:19], v[4:5] op_sel:[1,0] op_sel_hi:[0,0]
	v_pk_add_f32 v[2:3], v[2:3], v[6:7]
	v_pk_fma_f32 v[6:7], v[18:19], v[42:43], v[4:5] neg_lo:[0,0,1] neg_hi:[0,0,1]
	v_pk_fma_f32 v[4:5], v[18:19], v[42:43], v[4:5] op_sel_hi:[1,0,1]
	s_nop 0
	v_mov_b32_e32 v7, v5
	scratch_load_dwordx2 v[4:5], off, off offset:128
	v_pk_add_f32 v[2:3], v[2:3], v[6:7]
	s_waitcnt vmcnt(0)
	v_pk_add_f32 v[2:3], v[4:5], v[2:3] neg_lo:[0,1] neg_hi:[0,1]
	scratch_store_dwordx2 off, v[2:3], off offset:128
	s_and_saveexec_b64 s[0:1], vcc
	s_cbranch_execz .LBB30_169
; %bb.168:
	scratch_load_dwordx2 v[2:3], off, off offset:120
	v_mov_b32_e32 v4, 0
	v_mov_b32_e32 v5, v4
	scratch_store_dwordx2 off, v[4:5], off offset:120
	s_waitcnt vmcnt(1)
	ds_write_b64 v1, v[2:3]
.LBB30_169:
	s_or_b64 exec, exec, s[0:1]
	v_mov_b32_e32 v2, 0
	s_waitcnt lgkmcnt(0)
	; wave barrier
	ds_read_b128 v[4:7], v2 offset:384
	ds_read_b128 v[8:11], v2 offset:400
	ds_read_b128 v[12:15], v2 offset:416
	ds_read_b128 v[16:19], v2 offset:432
	scratch_load_dwordx4 v[20:23], off, off offset:128
	v_cmp_lt_u32_e32 vcc, 14, v0
	s_waitcnt vmcnt(0) lgkmcnt(3)
	v_mul_f32_e32 v3, v4, v21
	v_fmac_f32_e32 v3, v5, v20
	v_mul_f32_e32 v24, v6, v23
	v_add_f32_e32 v3, 0, v3
	v_fmac_f32_e32 v24, v7, v22
	v_add_f32_e32 v3, v3, v24
	scratch_load_dwordx4 v[24:27], off, off offset:144
	s_waitcnt vmcnt(0) lgkmcnt(2)
	v_mul_f32_e32 v28, v8, v25
	v_fmac_f32_e32 v28, v9, v24
	v_add_f32_e32 v3, v3, v28
	v_mul_f32_e32 v28, v10, v27
	v_fmac_f32_e32 v28, v11, v26
	v_add_f32_e32 v3, v3, v28
	scratch_load_dwordx4 v[28:31], off, off offset:160
	s_waitcnt vmcnt(0) lgkmcnt(1)
	v_mul_f32_e32 v32, v12, v29
	v_fmac_f32_e32 v32, v13, v28
	v_add_f32_e32 v49, v3, v32
	scratch_load_dwordx4 v[32:35], off, off offset:176
	scratch_load_dwordx4 v[36:39], off, off offset:192
	;; [unrolled: 1-line block ×4, first 2 shown]
	scratch_load_dwordx2 v[54:55], off, off offset:240
	v_mul_f32_e32 v3, v5, v21
	v_fma_f32 v3, v4, v20, -v3
	v_mul_f32_e32 v4, v7, v23
	v_add_f32_e32 v3, 0, v3
	v_fma_f32 v4, v6, v22, -v4
	v_add_f32_e32 v3, v3, v4
	v_mul_f32_e32 v4, v9, v25
	v_fma_f32 v4, v8, v24, -v4
	v_add_f32_e32 v3, v3, v4
	v_mul_f32_e32 v4, v11, v27
	;; [unrolled: 3-line block ×3, first 2 shown]
	v_fma_f32 v4, v12, v28, -v4
	v_mul_f32_e32 v51, v14, v31
	v_add_f32_e32 v48, v3, v4
	v_mul_f32_e32 v3, v15, v31
	v_fmac_f32_e32 v51, v15, v30
	v_fma_f32 v50, v14, v30, -v3
	v_pk_add_f32 v[20:21], v[48:49], v[50:51]
	s_waitcnt vmcnt(4)
	v_mov_b32_e32 v22, v35
	s_waitcnt lgkmcnt(0)
	v_mul_f32_e32 v53, v16, v33
	v_mul_f32_e32 v3, v17, v33
	v_pk_mul_f32 v[22:23], v[18:19], v[22:23] op_sel:[1,0] op_sel_hi:[0,0]
	v_fmac_f32_e32 v53, v17, v32
	v_fma_f32 v52, v16, v32, -v3
	ds_read_b128 v[4:7], v2 offset:448
	ds_read_b128 v[8:11], v2 offset:464
	ds_read_b128 v[12:15], v2 offset:480
	ds_read_b64 v[16:17], v2 offset:496
	v_pk_fma_f32 v[24:25], v[18:19], v[34:35], v[22:23] neg_lo:[0,0,1] neg_hi:[0,0,1]
	v_pk_fma_f32 v[18:19], v[18:19], v[34:35], v[22:23] op_sel_hi:[1,0,1]
	v_pk_add_f32 v[20:21], v[20:21], v[52:53]
	v_mov_b32_e32 v25, v19
	v_pk_add_f32 v[18:19], v[20:21], v[24:25]
	s_waitcnt vmcnt(3) lgkmcnt(3)
	v_pk_mul_f32 v[20:21], v[4:5], v[36:37] op_sel:[1,1] op_sel_hi:[0,1]
	v_pk_fma_f32 v[22:23], v[4:5], v[36:37], v[20:21] neg_lo:[0,0,1] neg_hi:[0,0,1]
	v_pk_fma_f32 v[4:5], v[4:5], v[36:37], v[20:21] op_sel_hi:[1,0,1]
	s_nop 0
	v_mov_b32_e32 v23, v5
	v_pk_add_f32 v[4:5], v[18:19], v[22:23]
	v_mov_b32_e32 v18, v39
	v_pk_mul_f32 v[18:19], v[6:7], v[18:19] op_sel:[1,0] op_sel_hi:[0,0]
	v_pk_fma_f32 v[20:21], v[6:7], v[38:39], v[18:19] neg_lo:[0,0,1] neg_hi:[0,0,1]
	v_pk_fma_f32 v[6:7], v[6:7], v[38:39], v[18:19] op_sel_hi:[1,0,1]
	s_nop 0
	v_mov_b32_e32 v21, v7
	s_waitcnt vmcnt(2) lgkmcnt(2)
	v_pk_mul_f32 v[6:7], v[8:9], v[40:41] op_sel:[1,1] op_sel_hi:[0,1]
	v_pk_fma_f32 v[18:19], v[8:9], v[40:41], v[6:7] neg_lo:[0,0,1] neg_hi:[0,0,1]
	v_pk_fma_f32 v[6:7], v[8:9], v[40:41], v[6:7] op_sel_hi:[1,0,1]
	v_pk_add_f32 v[4:5], v[4:5], v[20:21]
	v_mov_b32_e32 v6, v43
	v_mov_b32_e32 v19, v7
	v_pk_mul_f32 v[6:7], v[10:11], v[6:7] op_sel:[1,0] op_sel_hi:[0,0]
	v_pk_fma_f32 v[8:9], v[10:11], v[42:43], v[6:7] neg_lo:[0,0,1] neg_hi:[0,0,1]
	v_pk_fma_f32 v[6:7], v[10:11], v[42:43], v[6:7] op_sel_hi:[1,0,1]
	v_pk_add_f32 v[4:5], v[4:5], v[18:19]
	v_mov_b32_e32 v9, v7
	s_waitcnt vmcnt(1) lgkmcnt(1)
	v_pk_mul_f32 v[6:7], v[12:13], v[44:45] op_sel:[1,1] op_sel_hi:[0,1]
	v_pk_add_f32 v[4:5], v[4:5], v[8:9]
	v_pk_fma_f32 v[8:9], v[12:13], v[44:45], v[6:7] neg_lo:[0,0,1] neg_hi:[0,0,1]
	v_pk_fma_f32 v[6:7], v[12:13], v[44:45], v[6:7] op_sel_hi:[1,0,1]
	s_nop 0
	v_mov_b32_e32 v6, v47
	v_mov_b32_e32 v9, v7
	v_pk_mul_f32 v[6:7], v[14:15], v[6:7] op_sel:[1,0] op_sel_hi:[0,0]
	v_pk_add_f32 v[4:5], v[4:5], v[8:9]
	v_pk_fma_f32 v[8:9], v[14:15], v[46:47], v[6:7] neg_lo:[0,0,1] neg_hi:[0,0,1]
	v_pk_fma_f32 v[6:7], v[14:15], v[46:47], v[6:7] op_sel_hi:[1,0,1]
	s_nop 0
	v_mov_b32_e32 v9, v7
	s_waitcnt vmcnt(0) lgkmcnt(0)
	v_pk_mul_f32 v[6:7], v[16:17], v[54:55] op_sel:[1,1] op_sel_hi:[0,1]
	v_pk_add_f32 v[4:5], v[4:5], v[8:9]
	v_pk_fma_f32 v[8:9], v[16:17], v[54:55], v[6:7] neg_lo:[0,0,1] neg_hi:[0,0,1]
	v_pk_fma_f32 v[6:7], v[16:17], v[54:55], v[6:7] op_sel_hi:[1,0,1]
	s_nop 0
	v_mov_b32_e32 v9, v7
	scratch_load_dwordx2 v[6:7], off, off offset:120
	v_pk_add_f32 v[4:5], v[4:5], v[8:9]
	s_waitcnt vmcnt(0)
	v_pk_add_f32 v[4:5], v[6:7], v[4:5] neg_lo:[0,1] neg_hi:[0,1]
	scratch_store_dwordx2 off, v[4:5], off offset:120
	s_and_saveexec_b64 s[0:1], vcc
	s_cbranch_execz .LBB30_171
; %bb.170:
	scratch_load_dwordx2 v[4:5], off, off offset:112
	v_mov_b32_e32 v3, v2
	scratch_store_dwordx2 off, v[2:3], off offset:112
	s_waitcnt vmcnt(1)
	ds_write_b64 v1, v[4:5]
.LBB30_171:
	s_or_b64 exec, exec, s[0:1]
	s_waitcnt lgkmcnt(0)
	; wave barrier
	scratch_load_dwordx4 v[8:11], off, off offset:120
	scratch_load_dwordx4 v[16:19], off, off offset:136
	;; [unrolled: 1-line block ×4, first 2 shown]
	ds_read2_b64 v[4:7], v2 offset0:47 offset1:48
	v_cmp_lt_u32_e32 vcc, 13, v0
	s_waitcnt vmcnt(3) lgkmcnt(0)
	v_mul_f32_e32 v3, v4, v9
	v_fmac_f32_e32 v3, v5, v8
	v_mul_f32_e32 v12, v6, v11
	v_add_f32_e32 v3, 0, v3
	v_fmac_f32_e32 v12, v7, v10
	v_add_f32_e32 v3, v3, v12
	ds_read2_b64 v[12:15], v2 offset0:49 offset1:50
	s_waitcnt vmcnt(2) lgkmcnt(0)
	v_mul_f32_e32 v20, v12, v17
	v_fmac_f32_e32 v20, v13, v16
	v_add_f32_e32 v3, v3, v20
	v_mul_f32_e32 v20, v14, v19
	v_fmac_f32_e32 v20, v15, v18
	v_add_f32_e32 v3, v3, v20
	ds_read2_b64 v[20:23], v2 offset0:51 offset1:52
	s_waitcnt vmcnt(1) lgkmcnt(0)
	v_mul_f32_e32 v28, v20, v25
	v_fmac_f32_e32 v28, v21, v24
	v_add_f32_e32 v3, v3, v28
	v_mul_f32_e32 v28, v22, v27
	v_fmac_f32_e32 v28, v23, v26
	v_add_f32_e32 v53, v3, v28
	ds_read2_b64 v[28:31], v2 offset0:53 offset1:54
	scratch_load_dwordx4 v[36:39], off, off offset:184
	scratch_load_dwordx4 v[40:43], off, off offset:200
	;; [unrolled: 1-line block ×4, first 2 shown]
	v_mul_f32_e32 v3, v5, v9
	v_fma_f32 v3, v4, v8, -v3
	v_mul_f32_e32 v4, v7, v11
	v_add_f32_e32 v3, 0, v3
	v_fma_f32 v4, v6, v10, -v4
	v_add_f32_e32 v3, v3, v4
	v_mul_f32_e32 v4, v13, v17
	v_fma_f32 v4, v12, v16, -v4
	v_add_f32_e32 v3, v3, v4
	v_mul_f32_e32 v4, v15, v19
	;; [unrolled: 3-line block ×4, first 2 shown]
	v_fma_f32 v4, v22, v26, -v4
	v_add_f32_e32 v52, v3, v4
	ds_read2_b64 v[4:7], v2 offset0:55 offset1:56
	ds_read2_b64 v[8:11], v2 offset0:57 offset1:58
	;; [unrolled: 1-line block ×4, first 2 shown]
	s_waitcnt vmcnt(4) lgkmcnt(4)
	v_mul_f32_e32 v55, v28, v33
	v_mul_f32_e32 v3, v29, v33
	v_fmac_f32_e32 v55, v29, v32
	v_mul_f32_e32 v57, v30, v35
	v_fma_f32 v54, v28, v32, -v3
	v_mul_f32_e32 v3, v31, v35
	v_fmac_f32_e32 v57, v31, v34
	v_fma_f32 v56, v30, v34, -v3
	v_pk_add_f32 v[2:3], v[52:53], v[54:55]
	s_waitcnt vmcnt(3) lgkmcnt(3)
	v_pk_mul_f32 v[20:21], v[4:5], v[36:37] op_sel:[1,1] op_sel_hi:[0,1]
	v_pk_fma_f32 v[22:23], v[4:5], v[36:37], v[20:21] neg_lo:[0,0,1] neg_hi:[0,0,1]
	v_pk_fma_f32 v[4:5], v[4:5], v[36:37], v[20:21] op_sel_hi:[1,0,1]
	v_pk_add_f32 v[2:3], v[2:3], v[56:57]
	v_mov_b32_e32 v4, v39
	v_mov_b32_e32 v23, v5
	v_pk_mul_f32 v[4:5], v[6:7], v[4:5] op_sel:[1,0] op_sel_hi:[0,0]
	v_pk_fma_f32 v[20:21], v[6:7], v[38:39], v[4:5] neg_lo:[0,0,1] neg_hi:[0,0,1]
	v_pk_fma_f32 v[4:5], v[6:7], v[38:39], v[4:5] op_sel_hi:[1,0,1]
	v_pk_add_f32 v[2:3], v[2:3], v[22:23]
	v_mov_b32_e32 v21, v5
	s_waitcnt vmcnt(2) lgkmcnt(2)
	v_pk_mul_f32 v[4:5], v[8:9], v[40:41] op_sel:[1,1] op_sel_hi:[0,1]
	v_pk_fma_f32 v[6:7], v[8:9], v[40:41], v[4:5] neg_lo:[0,0,1] neg_hi:[0,0,1]
	v_pk_fma_f32 v[4:5], v[8:9], v[40:41], v[4:5] op_sel_hi:[1,0,1]
	v_pk_add_f32 v[2:3], v[2:3], v[20:21]
	v_mov_b32_e32 v4, v43
	v_mov_b32_e32 v7, v5
	v_pk_mul_f32 v[4:5], v[10:11], v[4:5] op_sel:[1,0] op_sel_hi:[0,0]
	v_pk_add_f32 v[2:3], v[2:3], v[6:7]
	v_pk_fma_f32 v[6:7], v[10:11], v[42:43], v[4:5] neg_lo:[0,0,1] neg_hi:[0,0,1]
	v_pk_fma_f32 v[4:5], v[10:11], v[42:43], v[4:5] op_sel_hi:[1,0,1]
	s_nop 0
	v_mov_b32_e32 v7, v5
	s_waitcnt vmcnt(1) lgkmcnt(1)
	v_pk_mul_f32 v[4:5], v[12:13], v[44:45] op_sel:[1,1] op_sel_hi:[0,1]
	v_pk_add_f32 v[2:3], v[2:3], v[6:7]
	v_pk_fma_f32 v[6:7], v[12:13], v[44:45], v[4:5] neg_lo:[0,0,1] neg_hi:[0,0,1]
	v_pk_fma_f32 v[4:5], v[12:13], v[44:45], v[4:5] op_sel_hi:[1,0,1]
	s_nop 0
	v_mov_b32_e32 v4, v47
	v_mov_b32_e32 v7, v5
	v_pk_mul_f32 v[4:5], v[14:15], v[4:5] op_sel:[1,0] op_sel_hi:[0,0]
	v_pk_add_f32 v[2:3], v[2:3], v[6:7]
	v_pk_fma_f32 v[6:7], v[14:15], v[46:47], v[4:5] neg_lo:[0,0,1] neg_hi:[0,0,1]
	v_pk_fma_f32 v[4:5], v[14:15], v[46:47], v[4:5] op_sel_hi:[1,0,1]
	s_nop 0
	v_mov_b32_e32 v7, v5
	s_waitcnt vmcnt(0) lgkmcnt(0)
	v_pk_mul_f32 v[4:5], v[16:17], v[48:49] op_sel:[1,1] op_sel_hi:[0,1]
	v_pk_add_f32 v[2:3], v[2:3], v[6:7]
	v_pk_fma_f32 v[6:7], v[16:17], v[48:49], v[4:5] neg_lo:[0,0,1] neg_hi:[0,0,1]
	v_pk_fma_f32 v[4:5], v[16:17], v[48:49], v[4:5] op_sel_hi:[1,0,1]
	s_nop 0
	v_mov_b32_e32 v4, v51
	v_mov_b32_e32 v7, v5
	v_pk_mul_f32 v[4:5], v[18:19], v[4:5] op_sel:[1,0] op_sel_hi:[0,0]
	v_pk_add_f32 v[2:3], v[2:3], v[6:7]
	v_pk_fma_f32 v[6:7], v[18:19], v[50:51], v[4:5] neg_lo:[0,0,1] neg_hi:[0,0,1]
	v_pk_fma_f32 v[4:5], v[18:19], v[50:51], v[4:5] op_sel_hi:[1,0,1]
	s_nop 0
	v_mov_b32_e32 v7, v5
	scratch_load_dwordx2 v[4:5], off, off offset:112
	v_pk_add_f32 v[2:3], v[2:3], v[6:7]
	s_waitcnt vmcnt(0)
	v_pk_add_f32 v[2:3], v[4:5], v[2:3] neg_lo:[0,1] neg_hi:[0,1]
	scratch_store_dwordx2 off, v[2:3], off offset:112
	s_and_saveexec_b64 s[0:1], vcc
	s_cbranch_execz .LBB30_173
; %bb.172:
	scratch_load_dwordx2 v[2:3], off, off offset:104
	v_mov_b32_e32 v4, 0
	v_mov_b32_e32 v5, v4
	scratch_store_dwordx2 off, v[4:5], off offset:104
	s_waitcnt vmcnt(1)
	ds_write_b64 v1, v[2:3]
.LBB30_173:
	s_or_b64 exec, exec, s[0:1]
	v_mov_b32_e32 v2, 0
	s_waitcnt lgkmcnt(0)
	; wave barrier
	ds_read_b128 v[4:7], v2 offset:368
	ds_read_b128 v[8:11], v2 offset:384
	ds_read_b128 v[12:15], v2 offset:400
	ds_read_b128 v[16:19], v2 offset:416
	scratch_load_dwordx4 v[20:23], off, off offset:112
	scratch_load_dwordx4 v[40:43], off, off offset:176
	v_cmp_lt_u32_e32 vcc, 12, v0
	s_waitcnt vmcnt(1) lgkmcnt(3)
	v_mul_f32_e32 v3, v4, v21
	v_fmac_f32_e32 v3, v5, v20
	v_mul_f32_e32 v24, v6, v23
	v_add_f32_e32 v3, 0, v3
	v_fmac_f32_e32 v24, v7, v22
	v_add_f32_e32 v3, v3, v24
	scratch_load_dwordx4 v[24:27], off, off offset:128
	s_waitcnt vmcnt(0) lgkmcnt(2)
	v_mul_f32_e32 v28, v8, v25
	v_fmac_f32_e32 v28, v9, v24
	v_add_f32_e32 v3, v3, v28
	v_mul_f32_e32 v28, v10, v27
	v_fmac_f32_e32 v28, v11, v26
	v_add_f32_e32 v3, v3, v28
	scratch_load_dwordx4 v[28:31], off, off offset:144
	s_waitcnt vmcnt(0) lgkmcnt(1)
	v_mul_f32_e32 v32, v12, v29
	v_fmac_f32_e32 v32, v13, v28
	v_add_f32_e32 v3, v3, v32
	v_mul_f32_e32 v32, v14, v31
	v_fmac_f32_e32 v32, v15, v30
	v_add_f32_e32 v3, v3, v32
	scratch_load_dwordx4 v[32:35], off, off offset:160
	s_waitcnt vmcnt(0) lgkmcnt(0)
	v_mul_f32_e32 v36, v16, v33
	v_fmac_f32_e32 v36, v17, v32
	v_add_f32_e32 v57, v3, v36
	ds_read_b128 v[36:39], v2 offset:432
	scratch_load_dwordx4 v[44:47], off, off offset:192
	scratch_load_dwordx4 v[48:51], off, off offset:208
	;; [unrolled: 1-line block ×3, first 2 shown]
	scratch_load_dwordx2 v[62:63], off, off offset:240
	v_mul_f32_e32 v3, v5, v21
	v_fma_f32 v3, v4, v20, -v3
	v_mul_f32_e32 v4, v7, v23
	v_add_f32_e32 v3, 0, v3
	v_fma_f32 v4, v6, v22, -v4
	v_add_f32_e32 v3, v3, v4
	v_mul_f32_e32 v4, v9, v25
	v_fma_f32 v4, v8, v24, -v4
	v_add_f32_e32 v3, v3, v4
	v_mul_f32_e32 v4, v11, v27
	;; [unrolled: 3-line block ×5, first 2 shown]
	v_fma_f32 v4, v16, v32, -v4
	v_mul_f32_e32 v59, v18, v35
	v_add_f32_e32 v56, v3, v4
	v_mul_f32_e32 v3, v19, v35
	v_mov_b32_e32 v20, v43
	v_fmac_f32_e32 v59, v19, v34
	s_waitcnt lgkmcnt(0)
	v_mul_f32_e32 v61, v36, v41
	v_fma_f32 v58, v18, v34, -v3
	v_mul_f32_e32 v3, v37, v41
	ds_read_b128 v[4:7], v2 offset:448
	ds_read_b128 v[8:11], v2 offset:464
	;; [unrolled: 1-line block ×3, first 2 shown]
	ds_read_b64 v[16:17], v2 offset:496
	v_pk_mul_f32 v[20:21], v[38:39], v[20:21] op_sel:[1,0] op_sel_hi:[0,0]
	v_fmac_f32_e32 v61, v37, v40
	v_fma_f32 v60, v36, v40, -v3
	v_pk_add_f32 v[18:19], v[56:57], v[58:59]
	v_pk_fma_f32 v[22:23], v[38:39], v[42:43], v[20:21] neg_lo:[0,0,1] neg_hi:[0,0,1]
	v_pk_fma_f32 v[20:21], v[38:39], v[42:43], v[20:21] op_sel_hi:[1,0,1]
	v_pk_add_f32 v[18:19], v[18:19], v[60:61]
	v_mov_b32_e32 v23, v21
	v_pk_add_f32 v[18:19], v[18:19], v[22:23]
	s_waitcnt vmcnt(3) lgkmcnt(3)
	v_pk_mul_f32 v[20:21], v[4:5], v[44:45] op_sel:[1,1] op_sel_hi:[0,1]
	v_pk_fma_f32 v[22:23], v[4:5], v[44:45], v[20:21] neg_lo:[0,0,1] neg_hi:[0,0,1]
	v_pk_fma_f32 v[4:5], v[4:5], v[44:45], v[20:21] op_sel_hi:[1,0,1]
	s_nop 0
	v_mov_b32_e32 v23, v5
	v_pk_add_f32 v[4:5], v[18:19], v[22:23]
	v_mov_b32_e32 v18, v47
	v_pk_mul_f32 v[18:19], v[6:7], v[18:19] op_sel:[1,0] op_sel_hi:[0,0]
	v_pk_fma_f32 v[20:21], v[6:7], v[46:47], v[18:19] neg_lo:[0,0,1] neg_hi:[0,0,1]
	v_pk_fma_f32 v[6:7], v[6:7], v[46:47], v[18:19] op_sel_hi:[1,0,1]
	s_nop 0
	v_mov_b32_e32 v21, v7
	s_waitcnt vmcnt(2) lgkmcnt(2)
	v_pk_mul_f32 v[6:7], v[8:9], v[48:49] op_sel:[1,1] op_sel_hi:[0,1]
	v_pk_fma_f32 v[18:19], v[8:9], v[48:49], v[6:7] neg_lo:[0,0,1] neg_hi:[0,0,1]
	v_pk_fma_f32 v[6:7], v[8:9], v[48:49], v[6:7] op_sel_hi:[1,0,1]
	v_pk_add_f32 v[4:5], v[4:5], v[20:21]
	v_mov_b32_e32 v6, v51
	v_mov_b32_e32 v19, v7
	v_pk_mul_f32 v[6:7], v[10:11], v[6:7] op_sel:[1,0] op_sel_hi:[0,0]
	v_pk_fma_f32 v[8:9], v[10:11], v[50:51], v[6:7] neg_lo:[0,0,1] neg_hi:[0,0,1]
	v_pk_fma_f32 v[6:7], v[10:11], v[50:51], v[6:7] op_sel_hi:[1,0,1]
	v_pk_add_f32 v[4:5], v[4:5], v[18:19]
	v_mov_b32_e32 v9, v7
	s_waitcnt vmcnt(1) lgkmcnt(1)
	v_pk_mul_f32 v[6:7], v[12:13], v[52:53] op_sel:[1,1] op_sel_hi:[0,1]
	v_pk_add_f32 v[4:5], v[4:5], v[8:9]
	v_pk_fma_f32 v[8:9], v[12:13], v[52:53], v[6:7] neg_lo:[0,0,1] neg_hi:[0,0,1]
	v_pk_fma_f32 v[6:7], v[12:13], v[52:53], v[6:7] op_sel_hi:[1,0,1]
	s_nop 0
	v_mov_b32_e32 v6, v55
	v_mov_b32_e32 v9, v7
	v_pk_mul_f32 v[6:7], v[14:15], v[6:7] op_sel:[1,0] op_sel_hi:[0,0]
	v_pk_add_f32 v[4:5], v[4:5], v[8:9]
	v_pk_fma_f32 v[8:9], v[14:15], v[54:55], v[6:7] neg_lo:[0,0,1] neg_hi:[0,0,1]
	v_pk_fma_f32 v[6:7], v[14:15], v[54:55], v[6:7] op_sel_hi:[1,0,1]
	s_nop 0
	v_mov_b32_e32 v9, v7
	s_waitcnt vmcnt(0) lgkmcnt(0)
	v_pk_mul_f32 v[6:7], v[16:17], v[62:63] op_sel:[1,1] op_sel_hi:[0,1]
	v_pk_add_f32 v[4:5], v[4:5], v[8:9]
	v_pk_fma_f32 v[8:9], v[16:17], v[62:63], v[6:7] neg_lo:[0,0,1] neg_hi:[0,0,1]
	v_pk_fma_f32 v[6:7], v[16:17], v[62:63], v[6:7] op_sel_hi:[1,0,1]
	s_nop 0
	v_mov_b32_e32 v9, v7
	scratch_load_dwordx2 v[6:7], off, off offset:104
	v_pk_add_f32 v[4:5], v[4:5], v[8:9]
	s_waitcnt vmcnt(0)
	v_pk_add_f32 v[4:5], v[6:7], v[4:5] neg_lo:[0,1] neg_hi:[0,1]
	scratch_store_dwordx2 off, v[4:5], off offset:104
	s_and_saveexec_b64 s[0:1], vcc
	s_cbranch_execz .LBB30_175
; %bb.174:
	scratch_load_dwordx2 v[4:5], off, off offset:96
	v_mov_b32_e32 v3, v2
	scratch_store_dwordx2 off, v[2:3], off offset:96
	s_waitcnt vmcnt(1)
	ds_write_b64 v1, v[4:5]
.LBB30_175:
	s_or_b64 exec, exec, s[0:1]
	s_waitcnt lgkmcnt(0)
	; wave barrier
	scratch_load_dwordx4 v[8:11], off, off offset:104
	scratch_load_dwordx4 v[16:19], off, off offset:120
	;; [unrolled: 1-line block ×4, first 2 shown]
	ds_read2_b64 v[4:7], v2 offset0:45 offset1:46
	scratch_load_dwordx4 v[40:43], off, off offset:168
	v_cmp_lt_u32_e32 vcc, 11, v0
	s_waitcnt vmcnt(4) lgkmcnt(0)
	v_mul_f32_e32 v3, v4, v9
	v_fmac_f32_e32 v3, v5, v8
	v_mul_f32_e32 v12, v6, v11
	v_add_f32_e32 v3, 0, v3
	v_fmac_f32_e32 v12, v7, v10
	v_add_f32_e32 v3, v3, v12
	ds_read2_b64 v[12:15], v2 offset0:47 offset1:48
	s_waitcnt vmcnt(3) lgkmcnt(0)
	v_mul_f32_e32 v20, v12, v17
	v_fmac_f32_e32 v20, v13, v16
	v_add_f32_e32 v3, v3, v20
	v_mul_f32_e32 v20, v14, v19
	v_fmac_f32_e32 v20, v15, v18
	v_add_f32_e32 v3, v3, v20
	ds_read2_b64 v[20:23], v2 offset0:49 offset1:50
	s_waitcnt vmcnt(2) lgkmcnt(0)
	v_mul_f32_e32 v28, v20, v25
	v_fmac_f32_e32 v28, v21, v24
	v_add_f32_e32 v3, v3, v28
	v_mul_f32_e32 v28, v22, v27
	v_fmac_f32_e32 v28, v23, v26
	v_add_f32_e32 v3, v3, v28
	ds_read2_b64 v[28:31], v2 offset0:51 offset1:52
	s_waitcnt vmcnt(1) lgkmcnt(0)
	v_mul_f32_e32 v36, v28, v33
	v_fmac_f32_e32 v36, v29, v32
	v_add_f32_e32 v3, v3, v36
	v_mul_f32_e32 v36, v30, v35
	v_fmac_f32_e32 v36, v31, v34
	v_add_f32_e32 v61, v3, v36
	ds_read2_b64 v[36:39], v2 offset0:53 offset1:54
	scratch_load_dwordx4 v[44:47], off, off offset:184
	scratch_load_dwordx4 v[48:51], off, off offset:200
	;; [unrolled: 1-line block ×4, first 2 shown]
	v_mul_f32_e32 v3, v5, v9
	v_fma_f32 v3, v4, v8, -v3
	v_mul_f32_e32 v4, v7, v11
	v_add_f32_e32 v3, 0, v3
	v_fma_f32 v4, v6, v10, -v4
	v_add_f32_e32 v3, v3, v4
	v_mul_f32_e32 v4, v13, v17
	v_fma_f32 v4, v12, v16, -v4
	v_add_f32_e32 v3, v3, v4
	v_mul_f32_e32 v4, v15, v19
	;; [unrolled: 3-line block ×6, first 2 shown]
	v_fma_f32 v4, v30, v34, -v4
	v_add_f32_e32 v60, v3, v4
	ds_read2_b64 v[4:7], v2 offset0:55 offset1:56
	ds_read2_b64 v[8:11], v2 offset0:57 offset1:58
	;; [unrolled: 1-line block ×4, first 2 shown]
	s_waitcnt vmcnt(4) lgkmcnt(4)
	v_mul_f32_e32 v63, v36, v41
	v_mul_f32_e32 v3, v37, v41
	v_fmac_f32_e32 v63, v37, v40
	v_mul_f32_e32 v65, v38, v43
	v_fma_f32 v62, v36, v40, -v3
	v_mul_f32_e32 v3, v39, v43
	v_fmac_f32_e32 v65, v39, v42
	v_fma_f32 v64, v38, v42, -v3
	v_pk_add_f32 v[2:3], v[60:61], v[62:63]
	s_waitcnt vmcnt(3) lgkmcnt(3)
	v_pk_mul_f32 v[20:21], v[4:5], v[44:45] op_sel:[1,1] op_sel_hi:[0,1]
	v_pk_fma_f32 v[22:23], v[4:5], v[44:45], v[20:21] neg_lo:[0,0,1] neg_hi:[0,0,1]
	v_pk_fma_f32 v[4:5], v[4:5], v[44:45], v[20:21] op_sel_hi:[1,0,1]
	v_pk_add_f32 v[2:3], v[2:3], v[64:65]
	v_mov_b32_e32 v4, v47
	v_mov_b32_e32 v23, v5
	v_pk_mul_f32 v[4:5], v[6:7], v[4:5] op_sel:[1,0] op_sel_hi:[0,0]
	v_pk_fma_f32 v[20:21], v[6:7], v[46:47], v[4:5] neg_lo:[0,0,1] neg_hi:[0,0,1]
	v_pk_fma_f32 v[4:5], v[6:7], v[46:47], v[4:5] op_sel_hi:[1,0,1]
	v_pk_add_f32 v[2:3], v[2:3], v[22:23]
	v_mov_b32_e32 v21, v5
	s_waitcnt vmcnt(2) lgkmcnt(2)
	v_pk_mul_f32 v[4:5], v[8:9], v[48:49] op_sel:[1,1] op_sel_hi:[0,1]
	v_pk_fma_f32 v[6:7], v[8:9], v[48:49], v[4:5] neg_lo:[0,0,1] neg_hi:[0,0,1]
	v_pk_fma_f32 v[4:5], v[8:9], v[48:49], v[4:5] op_sel_hi:[1,0,1]
	v_pk_add_f32 v[2:3], v[2:3], v[20:21]
	v_mov_b32_e32 v4, v51
	v_mov_b32_e32 v7, v5
	v_pk_mul_f32 v[4:5], v[10:11], v[4:5] op_sel:[1,0] op_sel_hi:[0,0]
	v_pk_add_f32 v[2:3], v[2:3], v[6:7]
	v_pk_fma_f32 v[6:7], v[10:11], v[50:51], v[4:5] neg_lo:[0,0,1] neg_hi:[0,0,1]
	v_pk_fma_f32 v[4:5], v[10:11], v[50:51], v[4:5] op_sel_hi:[1,0,1]
	s_nop 0
	v_mov_b32_e32 v7, v5
	s_waitcnt vmcnt(1) lgkmcnt(1)
	v_pk_mul_f32 v[4:5], v[12:13], v[52:53] op_sel:[1,1] op_sel_hi:[0,1]
	v_pk_add_f32 v[2:3], v[2:3], v[6:7]
	v_pk_fma_f32 v[6:7], v[12:13], v[52:53], v[4:5] neg_lo:[0,0,1] neg_hi:[0,0,1]
	v_pk_fma_f32 v[4:5], v[12:13], v[52:53], v[4:5] op_sel_hi:[1,0,1]
	s_nop 0
	v_mov_b32_e32 v4, v55
	v_mov_b32_e32 v7, v5
	v_pk_mul_f32 v[4:5], v[14:15], v[4:5] op_sel:[1,0] op_sel_hi:[0,0]
	v_pk_add_f32 v[2:3], v[2:3], v[6:7]
	v_pk_fma_f32 v[6:7], v[14:15], v[54:55], v[4:5] neg_lo:[0,0,1] neg_hi:[0,0,1]
	v_pk_fma_f32 v[4:5], v[14:15], v[54:55], v[4:5] op_sel_hi:[1,0,1]
	s_nop 0
	v_mov_b32_e32 v7, v5
	s_waitcnt vmcnt(0) lgkmcnt(0)
	v_pk_mul_f32 v[4:5], v[16:17], v[56:57] op_sel:[1,1] op_sel_hi:[0,1]
	v_pk_add_f32 v[2:3], v[2:3], v[6:7]
	v_pk_fma_f32 v[6:7], v[16:17], v[56:57], v[4:5] neg_lo:[0,0,1] neg_hi:[0,0,1]
	v_pk_fma_f32 v[4:5], v[16:17], v[56:57], v[4:5] op_sel_hi:[1,0,1]
	s_nop 0
	v_mov_b32_e32 v4, v59
	v_mov_b32_e32 v7, v5
	v_pk_mul_f32 v[4:5], v[18:19], v[4:5] op_sel:[1,0] op_sel_hi:[0,0]
	v_pk_add_f32 v[2:3], v[2:3], v[6:7]
	v_pk_fma_f32 v[6:7], v[18:19], v[58:59], v[4:5] neg_lo:[0,0,1] neg_hi:[0,0,1]
	v_pk_fma_f32 v[4:5], v[18:19], v[58:59], v[4:5] op_sel_hi:[1,0,1]
	s_nop 0
	v_mov_b32_e32 v7, v5
	scratch_load_dwordx2 v[4:5], off, off offset:96
	v_pk_add_f32 v[2:3], v[2:3], v[6:7]
	s_waitcnt vmcnt(0)
	v_pk_add_f32 v[2:3], v[4:5], v[2:3] neg_lo:[0,1] neg_hi:[0,1]
	scratch_store_dwordx2 off, v[2:3], off offset:96
	s_and_saveexec_b64 s[0:1], vcc
	s_cbranch_execz .LBB30_177
; %bb.176:
	scratch_load_dwordx2 v[2:3], off, off offset:88
	v_mov_b32_e32 v4, 0
	v_mov_b32_e32 v5, v4
	scratch_store_dwordx2 off, v[4:5], off offset:88
	s_waitcnt vmcnt(1)
	ds_write_b64 v1, v[2:3]
.LBB30_177:
	s_or_b64 exec, exec, s[0:1]
	s_waitcnt lgkmcnt(0)
	; wave barrier
	scratch_load_dwordx4 v[4:7], off, off offset:96
	scratch_load_dwordx4 v[8:11], off, off offset:112
	;; [unrolled: 1-line block ×9, first 2 shown]
	scratch_load_dwordx2 v[76:77], off, off offset:240
	scratch_load_dwordx2 v[78:79], off, off offset:88
	v_mov_b32_e32 v2, 0
	ds_read_b128 v[40:43], v2 offset:352
	ds_read_b128 v[44:47], v2 offset:368
	;; [unrolled: 1-line block ×9, first 2 shown]
	ds_read_b64 v[80:81], v2 offset:496
	v_cmp_lt_u32_e32 vcc, 10, v0
	s_waitcnt vmcnt(10) lgkmcnt(9)
	v_mul_f32_e32 v87, v42, v7
	v_mul_f32_e32 v3, v40, v5
	;; [unrolled: 1-line block ×3, first 2 shown]
	v_fmac_f32_e32 v87, v43, v6
	s_waitcnt vmcnt(9) lgkmcnt(8)
	v_mul_f32_e32 v88, v44, v9
	s_waitcnt vmcnt(5)
	v_mov_b32_e32 v86, v27
	v_mul_f32_e32 v89, v46, v11
	s_waitcnt lgkmcnt(7)
	v_mul_f32_e32 v91, v50, v15
	v_mul_f32_e32 v7, v43, v7
	;; [unrolled: 1-line block ×5, first 2 shown]
	v_fmac_f32_e32 v3, v41, v4
	v_fma_f32 v40, v40, v4, -v5
	s_waitcnt lgkmcnt(4)
	v_pk_mul_f32 v[4:5], v[62:63], v[86:87] op_sel:[1,0] op_sel_hi:[0,0]
	v_fmac_f32_e32 v88, v45, v8
	v_fma_f32 v41, v42, v6, -v7
	v_fma_f32 v8, v44, v8, -v9
	;; [unrolled: 1-line block ×4, first 2 shown]
	v_add_f32_e32 v3, 0, v3
	v_add_f32_e32 v15, 0, v40
	v_pk_fma_f32 v[6:7], v[62:63], v[26:27], v[4:5] neg_lo:[0,0,1] neg_hi:[0,0,1]
	v_pk_fma_f32 v[4:5], v[62:63], v[26:27], v[4:5] op_sel_hi:[1,0,1]
	v_add_f32_e32 v3, v3, v87
	v_add_f32_e32 v4, v15, v41
	v_mul_f32_e32 v90, v48, v13
	v_mul_f32_e32 v13, v49, v13
	v_fmac_f32_e32 v89, v47, v10
	v_add_f32_e32 v3, v3, v88
	v_add_f32_e32 v4, v4, v8
	v_fmac_f32_e32 v90, v49, v12
	v_fma_f32 v10, v48, v12, -v13
	v_add_f32_e32 v3, v3, v89
	v_add_f32_e32 v4, v4, v9
	v_mul_f32_e32 v92, v52, v17
	v_mul_f32_e32 v17, v53, v17
	v_fmac_f32_e32 v91, v51, v14
	v_add_f32_e32 v3, v3, v90
	v_add_f32_e32 v4, v4, v10
	v_mul_f32_e32 v93, v54, v19
	v_mul_f32_e32 v19, v55, v19
	v_fmac_f32_e32 v92, v53, v16
	v_fma_f32 v12, v52, v16, -v17
	v_add_f32_e32 v3, v3, v91
	v_add_f32_e32 v4, v4, v11
	v_mul_f32_e32 v94, v56, v21
	v_mul_f32_e32 v21, v57, v21
	v_fmac_f32_e32 v93, v55, v18
	v_fma_f32 v13, v54, v18, -v19
	;; [unrolled: 6-line block ×4, first 2 shown]
	v_mov_b32_e32 v7, v5
	v_add_f32_e32 v5, v3, v94
	v_add_f32_e32 v4, v4, v14
	v_fmac_f32_e32 v85, v61, v24
	v_fma_f32 v84, v60, v24, -v25
	v_pk_add_f32 v[4:5], v[4:5], v[82:83]
	s_nop 0
	v_pk_add_f32 v[4:5], v[4:5], v[84:85]
	s_nop 0
	v_pk_add_f32 v[4:5], v[4:5], v[6:7]
	s_waitcnt vmcnt(4) lgkmcnt(3)
	v_pk_mul_f32 v[6:7], v[64:65], v[28:29] op_sel:[1,1] op_sel_hi:[0,1]
	v_pk_fma_f32 v[8:9], v[64:65], v[28:29], v[6:7] neg_lo:[0,0,1] neg_hi:[0,0,1]
	v_pk_fma_f32 v[6:7], v[64:65], v[28:29], v[6:7] op_sel_hi:[1,0,1]
	s_nop 0
	v_mov_b32_e32 v6, v31
	v_mov_b32_e32 v9, v7
	v_pk_mul_f32 v[6:7], v[66:67], v[6:7] op_sel:[1,0] op_sel_hi:[0,0]
	v_pk_add_f32 v[4:5], v[4:5], v[8:9]
	v_pk_fma_f32 v[8:9], v[66:67], v[30:31], v[6:7] neg_lo:[0,0,1] neg_hi:[0,0,1]
	v_pk_fma_f32 v[6:7], v[66:67], v[30:31], v[6:7] op_sel_hi:[1,0,1]
	s_nop 0
	v_mov_b32_e32 v9, v7
	s_waitcnt vmcnt(3) lgkmcnt(2)
	v_pk_mul_f32 v[6:7], v[68:69], v[32:33] op_sel:[1,1] op_sel_hi:[0,1]
	v_pk_add_f32 v[4:5], v[4:5], v[8:9]
	v_pk_fma_f32 v[8:9], v[68:69], v[32:33], v[6:7] neg_lo:[0,0,1] neg_hi:[0,0,1]
	v_pk_fma_f32 v[6:7], v[68:69], v[32:33], v[6:7] op_sel_hi:[1,0,1]
	s_nop 0
	v_mov_b32_e32 v6, v35
	v_mov_b32_e32 v9, v7
	v_pk_mul_f32 v[6:7], v[70:71], v[6:7] op_sel:[1,0] op_sel_hi:[0,0]
	v_pk_add_f32 v[4:5], v[4:5], v[8:9]
	v_pk_fma_f32 v[8:9], v[70:71], v[34:35], v[6:7] neg_lo:[0,0,1] neg_hi:[0,0,1]
	v_pk_fma_f32 v[6:7], v[70:71], v[34:35], v[6:7] op_sel_hi:[1,0,1]
	s_nop 0
	v_mov_b32_e32 v9, v7
	s_waitcnt vmcnt(2) lgkmcnt(1)
	v_pk_mul_f32 v[6:7], v[72:73], v[36:37] op_sel:[1,1] op_sel_hi:[0,1]
	v_pk_add_f32 v[4:5], v[4:5], v[8:9]
	;; [unrolled: 14-line block ×3, first 2 shown]
	v_pk_fma_f32 v[8:9], v[80:81], v[76:77], v[6:7] neg_lo:[0,0,1] neg_hi:[0,0,1]
	v_pk_fma_f32 v[6:7], v[80:81], v[76:77], v[6:7] op_sel_hi:[1,0,1]
	s_nop 0
	v_mov_b32_e32 v9, v7
	v_pk_add_f32 v[4:5], v[4:5], v[8:9]
	s_waitcnt vmcnt(0)
	v_pk_add_f32 v[4:5], v[78:79], v[4:5] neg_lo:[0,1] neg_hi:[0,1]
	scratch_store_dwordx2 off, v[4:5], off offset:88
	s_and_saveexec_b64 s[0:1], vcc
	s_cbranch_execz .LBB30_179
; %bb.178:
	scratch_load_dwordx2 v[4:5], off, off offset:80
	v_mov_b32_e32 v3, v2
	scratch_store_dwordx2 off, v[2:3], off offset:80
	s_waitcnt vmcnt(1)
	ds_write_b64 v1, v[4:5]
.LBB30_179:
	s_or_b64 exec, exec, s[0:1]
	s_waitcnt lgkmcnt(0)
	; wave barrier
	scratch_load_dwordx4 v[4:7], off, off offset:88
	scratch_load_dwordx4 v[8:11], off, off offset:104
	;; [unrolled: 1-line block ×7, first 2 shown]
	ds_read2_b64 v[32:35], v2 offset0:43 offset1:44
	ds_read2_b64 v[36:39], v2 offset0:45 offset1:46
	;; [unrolled: 1-line block ×6, first 2 shown]
	scratch_load_dwordx4 v[56:59], off, off offset:200
	scratch_load_dwordx4 v[60:63], off, off offset:216
	;; [unrolled: 1-line block ×3, first 2 shown]
	ds_read2_b64 v[68:71], v2 offset0:55 offset1:56
	ds_read2_b64 v[72:75], v2 offset0:57 offset1:58
	;; [unrolled: 1-line block ×4, first 2 shown]
	scratch_load_dwordx2 v[2:3], off, off offset:80
	v_cmp_lt_u32_e32 vcc, 9, v0
	s_waitcnt vmcnt(10) lgkmcnt(9)
	v_mul_f32_e32 v90, v32, v5
	v_mul_f32_e32 v5, v33, v5
	;; [unrolled: 1-line block ×3, first 2 shown]
	s_waitcnt vmcnt(9) lgkmcnt(8)
	v_mul_f32_e32 v92, v36, v9
	s_waitcnt vmcnt(8) lgkmcnt(7)
	v_mul_f32_e32 v95, v42, v15
	v_mul_f32_e32 v7, v35, v7
	;; [unrolled: 1-line block ×4, first 2 shown]
	v_fmac_f32_e32 v90, v33, v4
	v_fma_f32 v4, v32, v4, -v5
	v_fmac_f32_e32 v91, v35, v6
	v_fmac_f32_e32 v95, v43, v14
	v_fma_f32 v5, v34, v6, -v7
	v_fma_f32 v6, v36, v8, -v9
	;; [unrolled: 1-line block ×3, first 2 shown]
	v_add_f32_e32 v14, 0, v90
	v_add_f32_e32 v4, 0, v4
	v_mul_f32_e32 v93, v38, v11
	v_mul_f32_e32 v11, v39, v11
	v_fmac_f32_e32 v92, v37, v8
	v_add_f32_e32 v14, v14, v91
	v_add_f32_e32 v4, v4, v5
	v_mul_f32_e32 v94, v40, v13
	v_mul_f32_e32 v13, v41, v13
	v_fmac_f32_e32 v93, v39, v10
	v_fma_f32 v7, v38, v10, -v11
	v_add_f32_e32 v5, v14, v92
	v_add_f32_e32 v4, v4, v6
	v_fmac_f32_e32 v94, v41, v12
	v_fma_f32 v8, v40, v12, -v13
	v_add_f32_e32 v5, v5, v93
	v_add_f32_e32 v4, v4, v7
	s_waitcnt vmcnt(7) lgkmcnt(6)
	v_mul_f32_e32 v96, v44, v17
	v_mul_f32_e32 v17, v45, v17
	v_add_f32_e32 v5, v5, v94
	v_add_f32_e32 v4, v4, v8
	v_mul_f32_e32 v97, v46, v19
	v_mul_f32_e32 v19, v47, v19
	v_fmac_f32_e32 v96, v45, v16
	v_fma_f32 v10, v44, v16, -v17
	v_add_f32_e32 v5, v5, v95
	v_add_f32_e32 v4, v4, v9
	s_waitcnt vmcnt(6) lgkmcnt(5)
	v_mul_f32_e32 v98, v48, v21
	v_mul_f32_e32 v21, v49, v21
	v_fmac_f32_e32 v97, v47, v18
	v_fma_f32 v11, v46, v18, -v19
	v_add_f32_e32 v5, v5, v96
	v_add_f32_e32 v4, v4, v10
	v_mul_f32_e32 v99, v50, v23
	v_mul_f32_e32 v23, v51, v23
	v_fmac_f32_e32 v98, v49, v20
	v_fma_f32 v12, v48, v20, -v21
	v_add_f32_e32 v5, v5, v97
	v_add_f32_e32 v4, v4, v11
	s_waitcnt vmcnt(5) lgkmcnt(4)
	v_mul_f32_e32 v85, v52, v25
	v_mul_f32_e32 v25, v53, v25
	v_fmac_f32_e32 v99, v51, v22
	v_fma_f32 v13, v50, v22, -v23
	v_add_f32_e32 v5, v5, v98
	v_add_f32_e32 v4, v4, v12
	v_mul_f32_e32 v87, v54, v27
	v_mul_f32_e32 v27, v55, v27
	s_waitcnt vmcnt(4) lgkmcnt(3)
	v_pk_mul_f32 v[88:89], v[68:69], v[28:29] op_sel:[1,1] op_sel_hi:[0,1]
	v_fmac_f32_e32 v85, v53, v24
	v_fma_f32 v84, v52, v24, -v25
	v_add_f32_e32 v5, v5, v99
	v_add_f32_e32 v4, v4, v13
	v_fmac_f32_e32 v87, v55, v26
	v_fma_f32 v86, v54, v26, -v27
	v_pk_add_f32 v[4:5], v[4:5], v[84:85]
	v_pk_fma_f32 v[6:7], v[68:69], v[28:29], v[88:89] neg_lo:[0,0,1] neg_hi:[0,0,1]
	v_pk_fma_f32 v[8:9], v[68:69], v[28:29], v[88:89] op_sel_hi:[1,0,1]
	v_pk_add_f32 v[4:5], v[4:5], v[86:87]
	v_mov_b32_e32 v7, v9
	v_pk_add_f32 v[4:5], v[4:5], v[6:7]
	v_mov_b32_e32 v6, v31
	v_pk_mul_f32 v[6:7], v[70:71], v[6:7] op_sel:[1,0] op_sel_hi:[0,0]
	v_pk_fma_f32 v[8:9], v[70:71], v[30:31], v[6:7] neg_lo:[0,0,1] neg_hi:[0,0,1]
	v_pk_fma_f32 v[6:7], v[70:71], v[30:31], v[6:7] op_sel_hi:[1,0,1]
	s_nop 0
	v_mov_b32_e32 v9, v7
	s_waitcnt vmcnt(3) lgkmcnt(2)
	v_pk_mul_f32 v[6:7], v[72:73], v[56:57] op_sel:[1,1] op_sel_hi:[0,1]
	v_pk_add_f32 v[4:5], v[4:5], v[8:9]
	v_pk_fma_f32 v[8:9], v[72:73], v[56:57], v[6:7] neg_lo:[0,0,1] neg_hi:[0,0,1]
	v_pk_fma_f32 v[6:7], v[72:73], v[56:57], v[6:7] op_sel_hi:[1,0,1]
	s_nop 0
	v_mov_b32_e32 v6, v59
	v_mov_b32_e32 v9, v7
	v_pk_mul_f32 v[6:7], v[74:75], v[6:7] op_sel:[1,0] op_sel_hi:[0,0]
	v_pk_add_f32 v[4:5], v[4:5], v[8:9]
	v_pk_fma_f32 v[8:9], v[74:75], v[58:59], v[6:7] neg_lo:[0,0,1] neg_hi:[0,0,1]
	v_pk_fma_f32 v[6:7], v[74:75], v[58:59], v[6:7] op_sel_hi:[1,0,1]
	s_nop 0
	v_mov_b32_e32 v9, v7
	s_waitcnt vmcnt(2) lgkmcnt(1)
	v_pk_mul_f32 v[6:7], v[76:77], v[60:61] op_sel:[1,1] op_sel_hi:[0,1]
	v_pk_add_f32 v[4:5], v[4:5], v[8:9]
	v_pk_fma_f32 v[8:9], v[76:77], v[60:61], v[6:7] neg_lo:[0,0,1] neg_hi:[0,0,1]
	v_pk_fma_f32 v[6:7], v[76:77], v[60:61], v[6:7] op_sel_hi:[1,0,1]
	s_nop 0
	v_mov_b32_e32 v6, v63
	v_mov_b32_e32 v9, v7
	v_pk_mul_f32 v[6:7], v[78:79], v[6:7] op_sel:[1,0] op_sel_hi:[0,0]
	v_pk_add_f32 v[4:5], v[4:5], v[8:9]
	;; [unrolled: 14-line block ×3, first 2 shown]
	v_pk_fma_f32 v[8:9], v[82:83], v[66:67], v[6:7] neg_lo:[0,0,1] neg_hi:[0,0,1]
	v_pk_fma_f32 v[6:7], v[82:83], v[66:67], v[6:7] op_sel_hi:[1,0,1]
	s_nop 0
	v_mov_b32_e32 v9, v7
	v_pk_add_f32 v[4:5], v[4:5], v[8:9]
	s_waitcnt vmcnt(0)
	v_pk_add_f32 v[2:3], v[2:3], v[4:5] neg_lo:[0,1] neg_hi:[0,1]
	scratch_store_dwordx2 off, v[2:3], off offset:80
	s_and_saveexec_b64 s[0:1], vcc
	s_cbranch_execz .LBB30_181
; %bb.180:
	scratch_load_dwordx2 v[2:3], off, off offset:72
	v_mov_b32_e32 v4, 0
	v_mov_b32_e32 v5, v4
	scratch_store_dwordx2 off, v[4:5], off offset:72
	s_waitcnt vmcnt(1)
	ds_write_b64 v1, v[2:3]
.LBB30_181:
	s_or_b64 exec, exec, s[0:1]
	s_waitcnt lgkmcnt(0)
	; wave barrier
	scratch_load_dwordx4 v[2:5], off, off offset:80
	scratch_load_dwordx4 v[6:9], off, off offset:96
	scratch_load_dwordx4 v[12:15], off, off offset:112
	scratch_load_dwordx4 v[16:19], off, off offset:128
	scratch_load_dwordx4 v[20:23], off, off offset:144
	scratch_load_dwordx4 v[24:27], off, off offset:160
	scratch_load_dwordx4 v[28:31], off, off offset:176
	scratch_load_dwordx4 v[32:35], off, off offset:192
	scratch_load_dwordx4 v[36:39], off, off offset:208
	scratch_load_dwordx4 v[40:43], off, off offset:224
	scratch_load_dwordx2 v[76:77], off, off offset:240
	scratch_load_dwordx2 v[78:79], off, off offset:72
	v_mov_b32_e32 v10, 0
	ds_read_b128 v[44:47], v10 offset:336
	ds_read_b128 v[48:51], v10 offset:352
	;; [unrolled: 1-line block ×8, first 2 shown]
	v_cmp_lt_u32_e32 vcc, 8, v0
	s_waitcnt vmcnt(11) lgkmcnt(7)
	v_mul_f32_e32 v11, v44, v3
	v_mul_f32_e32 v3, v45, v3
	;; [unrolled: 1-line block ×4, first 2 shown]
	v_fmac_f32_e32 v11, v45, v2
	v_fma_f32 v2, v44, v2, -v3
	s_waitcnt vmcnt(10) lgkmcnt(6)
	v_mul_f32_e32 v82, v48, v7
	v_mul_f32_e32 v7, v49, v7
	v_fma_f32 v3, v46, v4, -v5
	v_add_f32_e32 v2, 0, v2
	v_mul_f32_e32 v84, v50, v9
	v_mul_f32_e32 v9, v51, v9
	v_fmac_f32_e32 v80, v47, v4
	v_fma_f32 v4, v48, v6, -v7
	v_add_f32_e32 v11, 0, v11
	v_add_f32_e32 v2, v2, v3
	s_waitcnt vmcnt(9) lgkmcnt(5)
	v_mul_f32_e32 v85, v52, v13
	v_mul_f32_e32 v13, v53, v13
	v_fmac_f32_e32 v82, v49, v6
	v_fma_f32 v5, v50, v8, -v9
	v_add_f32_e32 v11, v11, v80
	v_add_f32_e32 v2, v2, v4
	v_mul_f32_e32 v86, v54, v15
	v_mul_f32_e32 v15, v55, v15
	v_fmac_f32_e32 v84, v51, v8
	v_fma_f32 v6, v52, v12, -v13
	v_add_f32_e32 v3, v11, v82
	v_add_f32_e32 v2, v2, v5
	s_waitcnt vmcnt(8) lgkmcnt(4)
	v_mul_f32_e32 v87, v56, v17
	v_mul_f32_e32 v17, v57, v17
	v_fmac_f32_e32 v85, v53, v12
	v_fma_f32 v7, v54, v14, -v15
	v_add_f32_e32 v3, v3, v84
	v_add_f32_e32 v2, v2, v6
	v_mul_f32_e32 v88, v58, v19
	v_mul_f32_e32 v19, v59, v19
	v_fmac_f32_e32 v86, v55, v14
	v_fma_f32 v8, v56, v16, -v17
	v_add_f32_e32 v3, v3, v85
	v_add_f32_e32 v2, v2, v7
	s_waitcnt vmcnt(7) lgkmcnt(3)
	v_mul_f32_e32 v89, v60, v21
	v_mul_f32_e32 v21, v61, v21
	v_fmac_f32_e32 v87, v57, v16
	v_fma_f32 v9, v58, v18, -v19
	v_add_f32_e32 v3, v3, v86
	v_add_f32_e32 v2, v2, v8
	v_mul_f32_e32 v90, v62, v23
	v_mul_f32_e32 v23, v63, v23
	v_fmac_f32_e32 v88, v59, v18
	v_fma_f32 v12, v60, v20, -v21
	v_add_f32_e32 v3, v3, v87
	v_add_f32_e32 v2, v2, v9
	s_waitcnt vmcnt(6) lgkmcnt(2)
	v_mul_f32_e32 v91, v64, v25
	v_mul_f32_e32 v25, v65, v25
	v_fmac_f32_e32 v89, v61, v20
	v_fma_f32 v13, v62, v22, -v23
	v_add_f32_e32 v3, v3, v88
	v_add_f32_e32 v2, v2, v12
	v_fmac_f32_e32 v90, v63, v22
	v_fma_f32 v14, v64, v24, -v25
	v_add_f32_e32 v3, v3, v89
	v_add_f32_e32 v2, v2, v13
	v_mul_f32_e32 v81, v66, v27
	v_fmac_f32_e32 v91, v65, v24
	v_add_f32_e32 v3, v3, v90
	v_add_f32_e32 v12, v2, v14
	v_mul_f32_e32 v2, v67, v27
	s_waitcnt vmcnt(5)
	v_mov_b32_e32 v16, v31
	s_waitcnt lgkmcnt(1)
	v_mul_f32_e32 v83, v68, v29
	v_fmac_f32_e32 v81, v67, v26
	v_add_f32_e32 v13, v3, v91
	v_fma_f32 v80, v66, v26, -v2
	v_mul_f32_e32 v2, v69, v29
	v_pk_mul_f32 v[16:17], v[70:71], v[16:17] op_sel:[1,0] op_sel_hi:[0,0]
	v_fmac_f32_e32 v83, v69, v28
	v_fma_f32 v82, v68, v28, -v2
	v_pk_add_f32 v[12:13], v[12:13], v[80:81]
	v_pk_fma_f32 v[18:19], v[70:71], v[30:31], v[16:17] neg_lo:[0,0,1] neg_hi:[0,0,1]
	v_pk_fma_f32 v[16:17], v[70:71], v[30:31], v[16:17] op_sel_hi:[1,0,1]
	v_pk_add_f32 v[12:13], v[12:13], v[82:83]
	v_mov_b32_e32 v19, v17
	s_waitcnt vmcnt(4) lgkmcnt(0)
	v_pk_mul_f32 v[16:17], v[72:73], v[32:33] op_sel:[1,1] op_sel_hi:[0,1]
	v_pk_add_f32 v[12:13], v[12:13], v[18:19]
	v_pk_fma_f32 v[18:19], v[72:73], v[32:33], v[16:17] neg_lo:[0,0,1] neg_hi:[0,0,1]
	v_pk_fma_f32 v[16:17], v[72:73], v[32:33], v[16:17] op_sel_hi:[1,0,1]
	ds_read_b128 v[2:5], v10 offset:464
	ds_read_b128 v[6:9], v10 offset:480
	ds_read_b64 v[14:15], v10 offset:496
	v_mov_b32_e32 v16, v35
	v_mov_b32_e32 v19, v17
	v_pk_mul_f32 v[16:17], v[74:75], v[16:17] op_sel:[1,0] op_sel_hi:[0,0]
	v_pk_add_f32 v[12:13], v[12:13], v[18:19]
	v_pk_fma_f32 v[18:19], v[74:75], v[34:35], v[16:17] neg_lo:[0,0,1] neg_hi:[0,0,1]
	v_pk_fma_f32 v[16:17], v[74:75], v[34:35], v[16:17] op_sel_hi:[1,0,1]
	s_nop 0
	v_mov_b32_e32 v19, v17
	s_waitcnt vmcnt(3) lgkmcnt(2)
	v_pk_mul_f32 v[16:17], v[2:3], v[36:37] op_sel:[1,1] op_sel_hi:[0,1]
	v_pk_add_f32 v[12:13], v[12:13], v[18:19]
	v_pk_fma_f32 v[18:19], v[2:3], v[36:37], v[16:17] neg_lo:[0,0,1] neg_hi:[0,0,1]
	v_pk_fma_f32 v[2:3], v[2:3], v[36:37], v[16:17] op_sel_hi:[1,0,1]
	s_nop 0
	v_mov_b32_e32 v19, v3
	v_pk_add_f32 v[2:3], v[12:13], v[18:19]
	v_mov_b32_e32 v12, v39
	v_pk_mul_f32 v[12:13], v[4:5], v[12:13] op_sel:[1,0] op_sel_hi:[0,0]
	v_pk_fma_f32 v[16:17], v[4:5], v[38:39], v[12:13] neg_lo:[0,0,1] neg_hi:[0,0,1]
	v_pk_fma_f32 v[4:5], v[4:5], v[38:39], v[12:13] op_sel_hi:[1,0,1]
	s_nop 0
	v_mov_b32_e32 v17, v5
	s_waitcnt vmcnt(2) lgkmcnt(1)
	v_pk_mul_f32 v[4:5], v[6:7], v[40:41] op_sel:[1,1] op_sel_hi:[0,1]
	v_pk_fma_f32 v[12:13], v[6:7], v[40:41], v[4:5] neg_lo:[0,0,1] neg_hi:[0,0,1]
	v_pk_fma_f32 v[4:5], v[6:7], v[40:41], v[4:5] op_sel_hi:[1,0,1]
	v_pk_add_f32 v[2:3], v[2:3], v[16:17]
	v_mov_b32_e32 v4, v43
	v_mov_b32_e32 v13, v5
	v_pk_mul_f32 v[4:5], v[8:9], v[4:5] op_sel:[1,0] op_sel_hi:[0,0]
	v_pk_fma_f32 v[6:7], v[8:9], v[42:43], v[4:5] neg_lo:[0,0,1] neg_hi:[0,0,1]
	v_pk_fma_f32 v[4:5], v[8:9], v[42:43], v[4:5] op_sel_hi:[1,0,1]
	v_pk_add_f32 v[2:3], v[2:3], v[12:13]
	v_mov_b32_e32 v7, v5
	s_waitcnt vmcnt(1) lgkmcnt(0)
	v_pk_mul_f32 v[4:5], v[14:15], v[76:77] op_sel:[1,1] op_sel_hi:[0,1]
	v_pk_add_f32 v[2:3], v[2:3], v[6:7]
	v_pk_fma_f32 v[6:7], v[14:15], v[76:77], v[4:5] neg_lo:[0,0,1] neg_hi:[0,0,1]
	v_pk_fma_f32 v[4:5], v[14:15], v[76:77], v[4:5] op_sel_hi:[1,0,1]
	s_nop 0
	v_mov_b32_e32 v7, v5
	v_pk_add_f32 v[2:3], v[2:3], v[6:7]
	s_waitcnt vmcnt(0)
	v_pk_add_f32 v[2:3], v[78:79], v[2:3] neg_lo:[0,1] neg_hi:[0,1]
	scratch_store_dwordx2 off, v[2:3], off offset:72
	s_and_saveexec_b64 s[0:1], vcc
	s_cbranch_execz .LBB30_183
; %bb.182:
	scratch_load_dwordx2 v[2:3], off, off offset:64
	v_mov_b32_e32 v11, v10
	scratch_store_dwordx2 off, v[10:11], off offset:64
	s_waitcnt vmcnt(1)
	ds_write_b64 v1, v[2:3]
.LBB30_183:
	s_or_b64 exec, exec, s[0:1]
	s_waitcnt lgkmcnt(0)
	; wave barrier
	scratch_load_dwordx4 v[6:9], off, off offset:72
	scratch_load_dwordx4 v[12:15], off, off offset:88
	scratch_load_dwordx4 v[16:19], off, off offset:104
	scratch_load_dwordx4 v[20:23], off, off offset:120
	scratch_load_dwordx4 v[24:27], off, off offset:136
	scratch_load_dwordx4 v[28:31], off, off offset:152
	scratch_load_dwordx4 v[32:35], off, off offset:168
	ds_read2_b64 v[36:39], v10 offset0:41 offset1:42
	ds_read2_b64 v[40:43], v10 offset0:43 offset1:44
	;; [unrolled: 1-line block ×6, first 2 shown]
	scratch_load_dwordx4 v[60:63], off, off offset:184
	scratch_load_dwordx4 v[64:67], off, off offset:200
	;; [unrolled: 1-line block ×4, first 2 shown]
	ds_read2_b64 v[72:75], v10 offset0:53 offset1:54
	ds_read2_b64 v[76:79], v10 offset0:55 offset1:56
	scratch_load_dwordx2 v[80:81], off, off offset:64
	v_cmp_lt_u32_e32 vcc, 7, v0
	s_waitcnt vmcnt(11) lgkmcnt(7)
	v_mul_f32_e32 v11, v36, v7
	v_mul_f32_e32 v82, v38, v9
	;; [unrolled: 1-line block ×3, first 2 shown]
	v_fmac_f32_e32 v11, v37, v6
	s_waitcnt vmcnt(10) lgkmcnt(6)
	v_mul_f32_e32 v84, v40, v13
	v_mul_f32_e32 v9, v39, v9
	v_fmac_f32_e32 v82, v39, v8
	v_fma_f32 v6, v36, v6, -v7
	v_add_f32_e32 v11, 0, v11
	v_mul_f32_e32 v86, v42, v15
	v_fmac_f32_e32 v84, v41, v12
	v_fma_f32 v7, v38, v8, -v9
	v_add_f32_e32 v6, 0, v6
	v_add_f32_e32 v11, v11, v82
	s_waitcnt vmcnt(9) lgkmcnt(5)
	v_mul_f32_e32 v87, v44, v17
	v_mul_f32_e32 v13, v41, v13
	v_fmac_f32_e32 v86, v43, v14
	v_add_f32_e32 v6, v6, v7
	v_add_f32_e32 v7, v11, v84
	v_mul_f32_e32 v88, v46, v19
	v_mul_f32_e32 v15, v43, v15
	v_fmac_f32_e32 v87, v45, v16
	v_fma_f32 v8, v40, v12, -v13
	v_add_f32_e32 v7, v7, v86
	s_waitcnt vmcnt(8) lgkmcnt(4)
	v_mul_f32_e32 v89, v48, v21
	v_mul_f32_e32 v17, v45, v17
	v_fmac_f32_e32 v88, v47, v18
	v_fma_f32 v9, v42, v14, -v15
	v_add_f32_e32 v6, v6, v8
	v_add_f32_e32 v7, v7, v87
	v_mul_f32_e32 v90, v50, v23
	v_mul_f32_e32 v19, v47, v19
	v_fmac_f32_e32 v89, v49, v20
	v_fma_f32 v12, v44, v16, -v17
	v_add_f32_e32 v6, v6, v9
	v_add_f32_e32 v7, v7, v88
	s_waitcnt vmcnt(7) lgkmcnt(3)
	v_mul_f32_e32 v91, v52, v25
	v_mul_f32_e32 v21, v49, v21
	v_fmac_f32_e32 v90, v51, v22
	v_fma_f32 v13, v46, v18, -v19
	v_add_f32_e32 v6, v6, v12
	v_add_f32_e32 v7, v7, v89
	v_mul_f32_e32 v92, v54, v27
	v_mul_f32_e32 v23, v51, v23
	v_fmac_f32_e32 v91, v53, v24
	v_fma_f32 v14, v48, v20, -v21
	v_add_f32_e32 v6, v6, v13
	;; [unrolled: 13-line block ×3, first 2 shown]
	v_add_f32_e32 v7, v7, v92
	v_mul_f32_e32 v29, v57, v29
	v_fmac_f32_e32 v94, v59, v30
	v_fma_f32 v17, v54, v26, -v27
	v_add_f32_e32 v6, v6, v16
	v_add_f32_e32 v7, v7, v93
	v_fma_f32 v18, v56, v28, -v29
	v_add_f32_e32 v6, v6, v17
	v_add_f32_e32 v21, v7, v94
	v_mul_f32_e32 v7, v59, v31
	v_add_f32_e32 v6, v6, v18
	v_fma_f32 v7, v58, v30, -v7
	s_waitcnt vmcnt(5) lgkmcnt(1)
	v_mul_f32_e32 v83, v72, v33
	v_add_f32_e32 v20, v6, v7
	v_mul_f32_e32 v6, v73, v33
	v_fmac_f32_e32 v83, v73, v32
	v_fma_f32 v82, v72, v32, -v6
	v_mul_f32_e32 v6, v75, v35
	v_fma_f32 v84, v74, v34, -v6
	ds_read2_b64 v[6:9], v10 offset0:57 offset1:58
	ds_read2_b64 v[12:15], v10 offset0:59 offset1:60
	;; [unrolled: 1-line block ×3, first 2 shown]
	v_pk_add_f32 v[10:11], v[20:21], v[82:83]
	s_waitcnt vmcnt(4) lgkmcnt(3)
	v_pk_mul_f32 v[20:21], v[76:77], v[60:61] op_sel:[1,1] op_sel_hi:[0,1]
	v_mul_f32_e32 v85, v74, v35
	v_pk_fma_f32 v[22:23], v[76:77], v[60:61], v[20:21] neg_lo:[0,0,1] neg_hi:[0,0,1]
	v_pk_fma_f32 v[20:21], v[76:77], v[60:61], v[20:21] op_sel_hi:[1,0,1]
	v_fmac_f32_e32 v85, v75, v34
	v_mov_b32_e32 v20, v63
	v_pk_add_f32 v[10:11], v[10:11], v[84:85]
	v_mov_b32_e32 v23, v21
	v_pk_mul_f32 v[20:21], v[78:79], v[20:21] op_sel:[1,0] op_sel_hi:[0,0]
	v_pk_add_f32 v[10:11], v[10:11], v[22:23]
	v_pk_fma_f32 v[22:23], v[78:79], v[62:63], v[20:21] neg_lo:[0,0,1] neg_hi:[0,0,1]
	v_pk_fma_f32 v[20:21], v[78:79], v[62:63], v[20:21] op_sel_hi:[1,0,1]
	s_nop 0
	v_mov_b32_e32 v23, v21
	s_waitcnt vmcnt(3) lgkmcnt(2)
	v_pk_mul_f32 v[20:21], v[6:7], v[64:65] op_sel:[1,1] op_sel_hi:[0,1]
	v_pk_add_f32 v[10:11], v[10:11], v[22:23]
	v_pk_fma_f32 v[22:23], v[6:7], v[64:65], v[20:21] neg_lo:[0,0,1] neg_hi:[0,0,1]
	v_pk_fma_f32 v[6:7], v[6:7], v[64:65], v[20:21] op_sel_hi:[1,0,1]
	s_nop 0
	v_mov_b32_e32 v23, v7
	v_pk_add_f32 v[6:7], v[10:11], v[22:23]
	v_mov_b32_e32 v10, v67
	v_pk_mul_f32 v[10:11], v[8:9], v[10:11] op_sel:[1,0] op_sel_hi:[0,0]
	v_pk_fma_f32 v[20:21], v[8:9], v[66:67], v[10:11] neg_lo:[0,0,1] neg_hi:[0,0,1]
	v_pk_fma_f32 v[8:9], v[8:9], v[66:67], v[10:11] op_sel_hi:[1,0,1]
	s_nop 0
	v_mov_b32_e32 v21, v9
	s_waitcnt vmcnt(2) lgkmcnt(1)
	v_pk_mul_f32 v[8:9], v[12:13], v[68:69] op_sel:[1,1] op_sel_hi:[0,1]
	v_pk_fma_f32 v[10:11], v[12:13], v[68:69], v[8:9] neg_lo:[0,0,1] neg_hi:[0,0,1]
	v_pk_fma_f32 v[8:9], v[12:13], v[68:69], v[8:9] op_sel_hi:[1,0,1]
	v_pk_add_f32 v[6:7], v[6:7], v[20:21]
	v_mov_b32_e32 v8, v71
	v_mov_b32_e32 v11, v9
	v_pk_mul_f32 v[8:9], v[14:15], v[8:9] op_sel:[1,0] op_sel_hi:[0,0]
	v_pk_add_f32 v[6:7], v[6:7], v[10:11]
	v_pk_fma_f32 v[10:11], v[14:15], v[70:71], v[8:9] neg_lo:[0,0,1] neg_hi:[0,0,1]
	v_pk_fma_f32 v[8:9], v[14:15], v[70:71], v[8:9] op_sel_hi:[1,0,1]
	s_nop 0
	v_mov_b32_e32 v11, v9
	s_waitcnt vmcnt(1) lgkmcnt(0)
	v_pk_mul_f32 v[8:9], v[16:17], v[2:3] op_sel:[1,1] op_sel_hi:[0,1]
	v_pk_add_f32 v[6:7], v[6:7], v[10:11]
	v_pk_fma_f32 v[10:11], v[16:17], v[2:3], v[8:9] neg_lo:[0,0,1] neg_hi:[0,0,1]
	v_pk_fma_f32 v[2:3], v[16:17], v[2:3], v[8:9] op_sel_hi:[1,0,1]
	s_nop 0
	v_mov_b32_e32 v11, v3
	v_pk_add_f32 v[2:3], v[6:7], v[10:11]
	v_mov_b32_e32 v6, v5
	v_pk_mul_f32 v[6:7], v[18:19], v[6:7] op_sel:[1,0] op_sel_hi:[0,0]
	v_pk_fma_f32 v[8:9], v[18:19], v[4:5], v[6:7] neg_lo:[0,0,1] neg_hi:[0,0,1]
	v_pk_fma_f32 v[4:5], v[18:19], v[4:5], v[6:7] op_sel_hi:[1,0,1]
	s_nop 0
	v_mov_b32_e32 v9, v5
	v_pk_add_f32 v[2:3], v[2:3], v[8:9]
	s_waitcnt vmcnt(0)
	v_pk_add_f32 v[2:3], v[80:81], v[2:3] neg_lo:[0,1] neg_hi:[0,1]
	scratch_store_dwordx2 off, v[2:3], off offset:64
	s_and_saveexec_b64 s[0:1], vcc
	s_cbranch_execz .LBB30_185
; %bb.184:
	scratch_load_dwordx2 v[2:3], off, off offset:56
	v_mov_b32_e32 v4, 0
	v_mov_b32_e32 v5, v4
	scratch_store_dwordx2 off, v[4:5], off offset:56
	s_waitcnt vmcnt(1)
	ds_write_b64 v1, v[2:3]
.LBB30_185:
	s_or_b64 exec, exec, s[0:1]
	s_waitcnt lgkmcnt(0)
	; wave barrier
	scratch_load_dwordx4 v[6:9], off, off offset:64
	scratch_load_dwordx4 v[14:17], off, off offset:80
	;; [unrolled: 1-line block ×11, first 2 shown]
	scratch_load_dwordx2 v[22:23], off, off offset:240
	scratch_load_dwordx2 v[36:37], off, off offset:56
	v_mov_b32_e32 v38, 0
	ds_read_b128 v[52:55], v38 offset:320
	ds_read_b128 v[56:59], v38 offset:336
	;; [unrolled: 1-line block ×8, first 2 shown]
	v_cmp_lt_u32_e32 vcc, 6, v0
	s_waitcnt vmcnt(12) lgkmcnt(7)
	v_mul_f32_e32 v39, v52, v7
	v_mul_f32_e32 v84, v54, v9
	;; [unrolled: 1-line block ×3, first 2 shown]
	v_fmac_f32_e32 v39, v53, v6
	s_waitcnt vmcnt(8) lgkmcnt(3)
	v_mul_f32_e32 v93, v68, v19
	v_mul_f32_e32 v19, v69, v19
	;; [unrolled: 1-line block ×4, first 2 shown]
	v_fmac_f32_e32 v84, v55, v8
	v_fmac_f32_e32 v93, v69, v18
	v_fma_f32 v6, v52, v6, -v7
	v_fma_f32 v18, v68, v18, -v19
	v_add_f32_e32 v19, 0, v39
	v_mul_f32_e32 v88, v58, v17
	v_fmac_f32_e32 v86, v57, v14
	v_fma_f32 v7, v54, v8, -v9
	v_add_f32_e32 v6, 0, v6
	v_add_f32_e32 v19, v19, v84
	v_mul_f32_e32 v89, v60, v25
	v_fmac_f32_e32 v88, v59, v16
	v_add_f32_e32 v6, v6, v7
	v_add_f32_e32 v7, v19, v86
	v_mul_f32_e32 v90, v62, v27
	v_fmac_f32_e32 v89, v61, v24
	v_add_f32_e32 v7, v7, v88
	v_mul_f32_e32 v91, v64, v29
	v_mul_f32_e32 v15, v57, v15
	v_fmac_f32_e32 v90, v63, v26
	v_add_f32_e32 v7, v7, v89
	v_mul_f32_e32 v92, v66, v31
	v_mul_f32_e32 v17, v59, v17
	v_fmac_f32_e32 v91, v65, v28
	v_fma_f32 v8, v56, v14, -v15
	v_add_f32_e32 v7, v7, v90
	v_mul_f32_e32 v25, v61, v25
	v_fmac_f32_e32 v92, v67, v30
	v_fma_f32 v9, v58, v16, -v17
	v_add_f32_e32 v6, v6, v8
	v_add_f32_e32 v7, v7, v91
	v_mul_f32_e32 v94, v70, v21
	v_mul_f32_e32 v27, v63, v27
	v_fma_f32 v14, v60, v24, -v25
	v_add_f32_e32 v6, v6, v9
	v_add_f32_e32 v7, v7, v92
	s_waitcnt vmcnt(7) lgkmcnt(2)
	v_mul_f32_e32 v95, v72, v33
	v_mul_f32_e32 v29, v65, v29
	v_fmac_f32_e32 v94, v71, v20
	v_fma_f32 v15, v62, v26, -v27
	v_add_f32_e32 v6, v6, v14
	v_add_f32_e32 v7, v7, v93
	v_mul_f32_e32 v96, v74, v35
	v_mul_f32_e32 v31, v67, v31
	v_fmac_f32_e32 v95, v73, v32
	v_fma_f32 v16, v64, v28, -v29
	v_add_f32_e32 v6, v6, v15
	v_add_f32_e32 v7, v7, v94
	s_waitcnt vmcnt(6) lgkmcnt(1)
	v_mul_f32_e32 v97, v76, v41
	v_fmac_f32_e32 v96, v75, v34
	v_fma_f32 v17, v66, v30, -v31
	v_add_f32_e32 v6, v6, v16
	v_add_f32_e32 v7, v7, v95
	v_mul_f32_e32 v21, v71, v21
	v_fmac_f32_e32 v97, v77, v40
	v_add_f32_e32 v6, v6, v17
	v_add_f32_e32 v7, v7, v96
	;; [unrolled: 1-line block ×4, first 2 shown]
	v_fma_f32 v7, v70, v20, -v21
	v_add_f32_e32 v6, v6, v7
	v_mul_f32_e32 v7, v73, v33
	v_fma_f32 v7, v72, v32, -v7
	v_add_f32_e32 v6, v6, v7
	v_mul_f32_e32 v7, v75, v35
	;; [unrolled: 3-line block ×4, first 2 shown]
	v_mul_f32_e32 v85, v78, v43
	v_fma_f32 v84, v78, v42, -v6
	s_waitcnt vmcnt(5) lgkmcnt(0)
	v_mul_f32_e32 v6, v81, v45
	v_mov_b32_e32 v28, v47
	v_mul_f32_e32 v87, v80, v45
	v_fmac_f32_e32 v85, v79, v42
	v_fma_f32 v86, v80, v44, -v6
	ds_read_b128 v[6:9], v38 offset:448
	ds_read_b128 v[14:17], v38 offset:464
	;; [unrolled: 1-line block ×3, first 2 shown]
	ds_read_b64 v[26:27], v38 offset:496
	v_pk_mul_f32 v[28:29], v[82:83], v[28:29] op_sel:[1,0] op_sel_hi:[0,0]
	v_fmac_f32_e32 v87, v81, v44
	v_pk_add_f32 v[24:25], v[24:25], v[84:85]
	v_pk_fma_f32 v[30:31], v[82:83], v[46:47], v[28:29] neg_lo:[0,0,1] neg_hi:[0,0,1]
	v_pk_fma_f32 v[28:29], v[82:83], v[46:47], v[28:29] op_sel_hi:[1,0,1]
	v_pk_add_f32 v[24:25], v[24:25], v[86:87]
	v_mov_b32_e32 v31, v29
	s_waitcnt vmcnt(4) lgkmcnt(3)
	v_pk_mul_f32 v[28:29], v[6:7], v[48:49] op_sel:[1,1] op_sel_hi:[0,1]
	v_pk_add_f32 v[24:25], v[24:25], v[30:31]
	v_pk_fma_f32 v[30:31], v[6:7], v[48:49], v[28:29] neg_lo:[0,0,1] neg_hi:[0,0,1]
	v_pk_fma_f32 v[6:7], v[6:7], v[48:49], v[28:29] op_sel_hi:[1,0,1]
	s_nop 0
	v_mov_b32_e32 v31, v7
	v_pk_add_f32 v[6:7], v[24:25], v[30:31]
	v_mov_b32_e32 v24, v51
	v_pk_mul_f32 v[24:25], v[8:9], v[24:25] op_sel:[1,0] op_sel_hi:[0,0]
	v_pk_fma_f32 v[28:29], v[8:9], v[50:51], v[24:25] neg_lo:[0,0,1] neg_hi:[0,0,1]
	v_pk_fma_f32 v[8:9], v[8:9], v[50:51], v[24:25] op_sel_hi:[1,0,1]
	s_nop 0
	v_mov_b32_e32 v29, v9
	s_waitcnt vmcnt(3) lgkmcnt(2)
	v_pk_mul_f32 v[8:9], v[14:15], v[10:11] op_sel:[1,1] op_sel_hi:[0,1]
	v_pk_fma_f32 v[24:25], v[14:15], v[10:11], v[8:9] neg_lo:[0,0,1] neg_hi:[0,0,1]
	v_pk_fma_f32 v[8:9], v[14:15], v[10:11], v[8:9] op_sel_hi:[1,0,1]
	v_pk_add_f32 v[6:7], v[6:7], v[28:29]
	v_mov_b32_e32 v8, v13
	v_mov_b32_e32 v25, v9
	v_pk_mul_f32 v[8:9], v[16:17], v[8:9] op_sel:[1,0] op_sel_hi:[0,0]
	v_pk_fma_f32 v[10:11], v[16:17], v[12:13], v[8:9] neg_lo:[0,0,1] neg_hi:[0,0,1]
	v_pk_fma_f32 v[8:9], v[16:17], v[12:13], v[8:9] op_sel_hi:[1,0,1]
	v_pk_add_f32 v[6:7], v[6:7], v[24:25]
	v_mov_b32_e32 v11, v9
	s_waitcnt vmcnt(2) lgkmcnt(1)
	v_pk_mul_f32 v[8:9], v[18:19], v[2:3] op_sel:[1,1] op_sel_hi:[0,1]
	v_pk_add_f32 v[6:7], v[6:7], v[10:11]
	v_pk_fma_f32 v[10:11], v[18:19], v[2:3], v[8:9] neg_lo:[0,0,1] neg_hi:[0,0,1]
	v_pk_fma_f32 v[2:3], v[18:19], v[2:3], v[8:9] op_sel_hi:[1,0,1]
	s_nop 0
	v_mov_b32_e32 v11, v3
	v_pk_add_f32 v[2:3], v[6:7], v[10:11]
	v_mov_b32_e32 v6, v5
	v_pk_mul_f32 v[6:7], v[20:21], v[6:7] op_sel:[1,0] op_sel_hi:[0,0]
	v_pk_fma_f32 v[8:9], v[20:21], v[4:5], v[6:7] neg_lo:[0,0,1] neg_hi:[0,0,1]
	v_pk_fma_f32 v[4:5], v[20:21], v[4:5], v[6:7] op_sel_hi:[1,0,1]
	s_nop 0
	v_mov_b32_e32 v9, v5
	s_waitcnt vmcnt(1) lgkmcnt(0)
	v_pk_mul_f32 v[4:5], v[26:27], v[22:23] op_sel:[1,1] op_sel_hi:[0,1]
	v_pk_fma_f32 v[6:7], v[26:27], v[22:23], v[4:5] neg_lo:[0,0,1] neg_hi:[0,0,1]
	v_pk_fma_f32 v[4:5], v[26:27], v[22:23], v[4:5] op_sel_hi:[1,0,1]
	v_pk_add_f32 v[2:3], v[2:3], v[8:9]
	v_mov_b32_e32 v7, v5
	v_pk_add_f32 v[2:3], v[2:3], v[6:7]
	s_waitcnt vmcnt(0)
	v_pk_add_f32 v[2:3], v[36:37], v[2:3] neg_lo:[0,1] neg_hi:[0,1]
	scratch_store_dwordx2 off, v[2:3], off offset:56
	s_and_saveexec_b64 s[0:1], vcc
	s_cbranch_execz .LBB30_187
; %bb.186:
	scratch_load_dwordx2 v[2:3], off, off offset:48
	v_mov_b32_e32 v39, v38
	scratch_store_dwordx2 off, v[38:39], off offset:48
	s_waitcnt vmcnt(1)
	ds_write_b64 v1, v[2:3]
.LBB30_187:
	s_or_b64 exec, exec, s[0:1]
	s_waitcnt lgkmcnt(0)
	; wave barrier
	scratch_load_dwordx4 v[2:5], off, off offset:56
	scratch_load_dwordx4 v[14:17], off, off offset:72
	scratch_load_dwordx4 v[30:33], off, off offset:88
	scratch_load_dwordx4 v[40:43], off, off offset:104
	scratch_load_dwordx4 v[18:21], off, off offset:120
	scratch_load_dwordx4 v[22:25], off, off offset:136
	scratch_load_dwordx4 v[34:37], off, off offset:152
	scratch_load_dwordx4 v[44:47], off, off offset:168
	ds_read2_b64 v[48:51], v38 offset0:39 offset1:40
	ds_read2_b64 v[52:55], v38 offset0:41 offset1:42
	;; [unrolled: 1-line block ×8, first 2 shown]
	scratch_load_dwordx4 v[80:83], off, off offset:184
	scratch_load_dwordx4 v[26:29], off, off offset:200
	;; [unrolled: 1-line block ×4, first 2 shown]
	scratch_load_dwordx2 v[84:85], off, off offset:48
	v_cmp_lt_u32_e32 vcc, 5, v0
	s_waitcnt vmcnt(12) lgkmcnt(7)
	v_mul_f32_e32 v39, v48, v3
	v_mul_f32_e32 v86, v50, v5
	;; [unrolled: 1-line block ×3, first 2 shown]
	v_fmac_f32_e32 v39, v49, v2
	s_waitcnt vmcnt(8) lgkmcnt(3)
	v_mul_f32_e32 v95, v64, v19
	v_mul_f32_e32 v19, v65, v19
	;; [unrolled: 1-line block ×4, first 2 shown]
	v_fmac_f32_e32 v86, v51, v4
	v_fmac_f32_e32 v95, v65, v18
	v_fma_f32 v2, v48, v2, -v3
	v_fma_f32 v18, v64, v18, -v19
	v_add_f32_e32 v19, 0, v39
	v_mul_f32_e32 v90, v54, v17
	v_fmac_f32_e32 v88, v53, v14
	v_fma_f32 v3, v50, v4, -v5
	v_add_f32_e32 v2, 0, v2
	v_add_f32_e32 v19, v19, v86
	v_mul_f32_e32 v91, v56, v31
	v_fmac_f32_e32 v90, v55, v16
	v_add_f32_e32 v2, v2, v3
	v_add_f32_e32 v3, v19, v88
	v_mul_f32_e32 v92, v58, v33
	v_fmac_f32_e32 v91, v57, v30
	v_add_f32_e32 v3, v3, v90
	v_mul_f32_e32 v93, v60, v41
	v_fmac_f32_e32 v92, v59, v32
	;; [unrolled: 3-line block ×4, first 2 shown]
	v_add_f32_e32 v3, v3, v93
	v_mul_f32_e32 v96, v66, v21
	v_mul_f32_e32 v17, v55, v17
	v_fma_f32 v4, v52, v14, -v15
	v_add_f32_e32 v3, v3, v94
	s_waitcnt vmcnt(7) lgkmcnt(2)
	v_mul_f32_e32 v97, v68, v23
	v_mul_f32_e32 v31, v57, v31
	v_fmac_f32_e32 v96, v67, v20
	v_fma_f32 v5, v54, v16, -v17
	v_add_f32_e32 v2, v2, v4
	v_add_f32_e32 v3, v3, v95
	v_mul_f32_e32 v98, v70, v25
	v_mul_f32_e32 v33, v59, v33
	v_fmac_f32_e32 v97, v69, v22
	v_fma_f32 v14, v56, v30, -v31
	v_add_f32_e32 v2, v2, v5
	v_add_f32_e32 v3, v3, v96
	s_waitcnt vmcnt(6) lgkmcnt(1)
	v_mul_f32_e32 v99, v72, v35
	v_mul_f32_e32 v41, v61, v41
	v_fmac_f32_e32 v98, v71, v24
	v_fma_f32 v15, v58, v32, -v33
	v_add_f32_e32 v2, v2, v14
	v_add_f32_e32 v3, v3, v97
	v_mul_f32_e32 v162, v74, v37
	v_mul_f32_e32 v43, v63, v43
	v_fmac_f32_e32 v99, v73, v34
	v_fma_f32 v16, v60, v40, -v41
	v_add_f32_e32 v2, v2, v15
	v_add_f32_e32 v3, v3, v98
	v_fmac_f32_e32 v162, v75, v36
	v_fma_f32 v17, v62, v42, -v43
	v_add_f32_e32 v2, v2, v16
	v_add_f32_e32 v3, v3, v99
	;; [unrolled: 1-line block ×4, first 2 shown]
	v_mul_f32_e32 v3, v67, v21
	v_add_f32_e32 v2, v2, v18
	v_fma_f32 v3, v66, v20, -v3
	v_add_f32_e32 v2, v2, v3
	v_mul_f32_e32 v3, v69, v23
	v_fma_f32 v3, v68, v22, -v3
	v_add_f32_e32 v2, v2, v3
	v_mul_f32_e32 v3, v71, v25
	;; [unrolled: 3-line block ×4, first 2 shown]
	v_fma_f32 v3, v74, v36, -v3
	v_add_f32_e32 v30, v2, v3
	s_waitcnt vmcnt(5) lgkmcnt(0)
	v_mul_f32_e32 v2, v77, v45
	v_fma_f32 v86, v76, v44, -v2
	v_mul_f32_e32 v2, v79, v47
	v_fma_f32 v88, v78, v46, -v2
	ds_read2_b64 v[2:5], v38 offset0:55 offset1:56
	ds_read2_b64 v[14:17], v38 offset0:57 offset1:58
	;; [unrolled: 1-line block ×4, first 2 shown]
	v_mul_f32_e32 v87, v76, v45
	v_mul_f32_e32 v89, v78, v47
	v_fmac_f32_e32 v87, v77, v44
	s_waitcnt vmcnt(4) lgkmcnt(3)
	v_pk_mul_f32 v[32:33], v[2:3], v[80:81] op_sel:[1,1] op_sel_hi:[0,1]
	v_fmac_f32_e32 v89, v79, v46
	v_pk_add_f32 v[30:31], v[30:31], v[86:87]
	v_pk_fma_f32 v[34:35], v[2:3], v[80:81], v[32:33] neg_lo:[0,0,1] neg_hi:[0,0,1]
	v_pk_fma_f32 v[2:3], v[2:3], v[80:81], v[32:33] op_sel_hi:[1,0,1]
	v_pk_add_f32 v[30:31], v[30:31], v[88:89]
	v_mov_b32_e32 v35, v3
	v_pk_add_f32 v[2:3], v[30:31], v[34:35]
	v_mov_b32_e32 v30, v83
	v_pk_mul_f32 v[30:31], v[4:5], v[30:31] op_sel:[1,0] op_sel_hi:[0,0]
	v_pk_fma_f32 v[32:33], v[4:5], v[82:83], v[30:31] neg_lo:[0,0,1] neg_hi:[0,0,1]
	v_pk_fma_f32 v[4:5], v[4:5], v[82:83], v[30:31] op_sel_hi:[1,0,1]
	s_nop 0
	v_mov_b32_e32 v33, v5
	s_waitcnt vmcnt(3) lgkmcnt(2)
	v_pk_mul_f32 v[4:5], v[14:15], v[26:27] op_sel:[1,1] op_sel_hi:[0,1]
	v_pk_fma_f32 v[30:31], v[14:15], v[26:27], v[4:5] neg_lo:[0,0,1] neg_hi:[0,0,1]
	v_pk_fma_f32 v[4:5], v[14:15], v[26:27], v[4:5] op_sel_hi:[1,0,1]
	v_pk_add_f32 v[2:3], v[2:3], v[32:33]
	v_mov_b32_e32 v4, v29
	v_mov_b32_e32 v31, v5
	v_pk_mul_f32 v[4:5], v[16:17], v[4:5] op_sel:[1,0] op_sel_hi:[0,0]
	v_pk_fma_f32 v[14:15], v[16:17], v[28:29], v[4:5] neg_lo:[0,0,1] neg_hi:[0,0,1]
	v_pk_fma_f32 v[4:5], v[16:17], v[28:29], v[4:5] op_sel_hi:[1,0,1]
	v_pk_add_f32 v[2:3], v[2:3], v[30:31]
	v_mov_b32_e32 v15, v5
	s_waitcnt vmcnt(2) lgkmcnt(1)
	v_pk_mul_f32 v[4:5], v[18:19], v[10:11] op_sel:[1,1] op_sel_hi:[0,1]
	v_pk_add_f32 v[2:3], v[2:3], v[14:15]
	v_pk_fma_f32 v[14:15], v[18:19], v[10:11], v[4:5] neg_lo:[0,0,1] neg_hi:[0,0,1]
	v_pk_fma_f32 v[4:5], v[18:19], v[10:11], v[4:5] op_sel_hi:[1,0,1]
	s_nop 0
	v_mov_b32_e32 v4, v13
	v_mov_b32_e32 v15, v5
	v_pk_mul_f32 v[4:5], v[20:21], v[4:5] op_sel:[1,0] op_sel_hi:[0,0]
	v_pk_fma_f32 v[10:11], v[20:21], v[12:13], v[4:5] neg_lo:[0,0,1] neg_hi:[0,0,1]
	v_pk_fma_f32 v[4:5], v[20:21], v[12:13], v[4:5] op_sel_hi:[1,0,1]
	v_pk_add_f32 v[2:3], v[2:3], v[14:15]
	v_mov_b32_e32 v11, v5
	s_waitcnt vmcnt(1) lgkmcnt(0)
	v_pk_mul_f32 v[4:5], v[22:23], v[6:7] op_sel:[1,1] op_sel_hi:[0,1]
	v_pk_add_f32 v[2:3], v[2:3], v[10:11]
	v_pk_fma_f32 v[10:11], v[22:23], v[6:7], v[4:5] neg_lo:[0,0,1] neg_hi:[0,0,1]
	v_pk_fma_f32 v[4:5], v[22:23], v[6:7], v[4:5] op_sel_hi:[1,0,1]
	s_nop 0
	v_mov_b32_e32 v4, v9
	v_mov_b32_e32 v11, v5
	v_pk_mul_f32 v[4:5], v[24:25], v[4:5] op_sel:[1,0] op_sel_hi:[0,0]
	v_pk_fma_f32 v[6:7], v[24:25], v[8:9], v[4:5] neg_lo:[0,0,1] neg_hi:[0,0,1]
	v_pk_fma_f32 v[4:5], v[24:25], v[8:9], v[4:5] op_sel_hi:[1,0,1]
	v_pk_add_f32 v[2:3], v[2:3], v[10:11]
	v_mov_b32_e32 v7, v5
	v_pk_add_f32 v[2:3], v[2:3], v[6:7]
	s_waitcnt vmcnt(0)
	v_pk_add_f32 v[2:3], v[84:85], v[2:3] neg_lo:[0,1] neg_hi:[0,1]
	scratch_store_dwordx2 off, v[2:3], off offset:48
	s_and_saveexec_b64 s[0:1], vcc
	s_cbranch_execz .LBB30_189
; %bb.188:
	scratch_load_dwordx2 v[2:3], off, off offset:40
	v_mov_b32_e32 v4, 0
	v_mov_b32_e32 v5, v4
	scratch_store_dwordx2 off, v[4:5], off offset:40
	s_waitcnt vmcnt(1)
	ds_write_b64 v1, v[2:3]
.LBB30_189:
	s_or_b64 exec, exec, s[0:1]
	v_mov_b32_e32 v2, 0
	s_waitcnt lgkmcnt(0)
	; wave barrier
	ds_read_b128 v[4:7], v2 offset:304
	ds_read_b128 v[8:11], v2 offset:320
	;; [unrolled: 1-line block ×4, first 2 shown]
	scratch_load_dwordx4 v[20:23], off, off offset:48
	scratch_load_dwordx4 v[40:43], off, off offset:112
	;; [unrolled: 1-line block ×3, first 2 shown]
	v_cmp_lt_u32_e32 vcc, 4, v0
	scratch_load_dwordx4 v[48:51], off, off offset:128
	scratch_load_dwordx4 v[56:59], off, off offset:144
	;; [unrolled: 1-line block ×3, first 2 shown]
	s_waitcnt vmcnt(5) lgkmcnt(3)
	v_mul_f32_e32 v3, v4, v21
	v_fmac_f32_e32 v3, v5, v20
	v_mul_f32_e32 v24, v6, v23
	v_add_f32_e32 v3, 0, v3
	v_fmac_f32_e32 v24, v7, v22
	v_add_f32_e32 v3, v3, v24
	scratch_load_dwordx4 v[24:27], off, off offset:64
	s_waitcnt vmcnt(0) lgkmcnt(2)
	v_mul_f32_e32 v28, v8, v25
	v_fmac_f32_e32 v28, v9, v24
	v_add_f32_e32 v3, v3, v28
	v_mul_f32_e32 v28, v10, v27
	v_fmac_f32_e32 v28, v11, v26
	v_add_f32_e32 v3, v3, v28
	scratch_load_dwordx4 v[28:31], off, off offset:80
	s_waitcnt vmcnt(0) lgkmcnt(1)
	v_mul_f32_e32 v32, v12, v29
	v_fmac_f32_e32 v32, v13, v28
	v_add_f32_e32 v3, v3, v32
	v_mul_f32_e32 v32, v14, v31
	;; [unrolled: 8-line block ×3, first 2 shown]
	v_fmac_f32_e32 v36, v19, v34
	v_add_f32_e32 v3, v3, v36
	ds_read_b128 v[36:39], v2 offset:368
	s_waitcnt lgkmcnt(0)
	v_mul_f32_e32 v44, v36, v41
	v_fmac_f32_e32 v44, v37, v40
	v_add_f32_e32 v3, v3, v44
	v_mul_f32_e32 v44, v38, v43
	v_fmac_f32_e32 v44, v39, v42
	v_add_f32_e32 v3, v3, v44
	ds_read_b128 v[44:47], v2 offset:384
	s_waitcnt lgkmcnt(0)
	v_mul_f32_e32 v52, v44, v49
	v_fmac_f32_e32 v52, v45, v48
	v_add_f32_e32 v3, v3, v52
	v_mul_f32_e32 v52, v46, v51
	;; [unrolled: 8-line block ×3, first 2 shown]
	v_fmac_f32_e32 v60, v55, v58
	v_add_f32_e32 v3, v3, v60
	ds_read_b128 v[60:63], v2 offset:416
	s_waitcnt lgkmcnt(0)
	v_mul_f32_e32 v68, v60, v65
	v_fmac_f32_e32 v68, v61, v64
	v_add_f32_e32 v89, v3, v68
	ds_read_b128 v[68:71], v2 offset:432
	scratch_load_dwordx4 v[76:79], off, off offset:192
	scratch_load_dwordx4 v[80:83], off, off offset:208
	;; [unrolled: 1-line block ×3, first 2 shown]
	scratch_load_dwordx2 v[94:95], off, off offset:240
	v_mul_f32_e32 v3, v5, v21
	v_fma_f32 v3, v4, v20, -v3
	v_mul_f32_e32 v4, v7, v23
	v_add_f32_e32 v3, 0, v3
	v_fma_f32 v4, v6, v22, -v4
	v_add_f32_e32 v3, v3, v4
	v_mul_f32_e32 v4, v9, v25
	v_fma_f32 v4, v8, v24, -v4
	v_add_f32_e32 v3, v3, v4
	v_mul_f32_e32 v4, v11, v27
	;; [unrolled: 3-line block ×13, first 2 shown]
	v_fma_f32 v4, v60, v64, -v4
	v_mul_f32_e32 v91, v62, v67
	v_add_f32_e32 v88, v3, v4
	v_mul_f32_e32 v3, v63, v67
	v_mov_b32_e32 v20, v75
	v_fmac_f32_e32 v91, v63, v66
	s_waitcnt lgkmcnt(0)
	v_mul_f32_e32 v93, v68, v73
	v_fma_f32 v90, v62, v66, -v3
	v_mul_f32_e32 v3, v69, v73
	ds_read_b128 v[4:7], v2 offset:448
	ds_read_b128 v[8:11], v2 offset:464
	;; [unrolled: 1-line block ×3, first 2 shown]
	ds_read_b64 v[16:17], v2 offset:496
	v_pk_mul_f32 v[20:21], v[70:71], v[20:21] op_sel:[1,0] op_sel_hi:[0,0]
	v_fmac_f32_e32 v93, v69, v72
	v_fma_f32 v92, v68, v72, -v3
	v_pk_add_f32 v[18:19], v[88:89], v[90:91]
	v_pk_fma_f32 v[22:23], v[70:71], v[74:75], v[20:21] neg_lo:[0,0,1] neg_hi:[0,0,1]
	v_pk_fma_f32 v[20:21], v[70:71], v[74:75], v[20:21] op_sel_hi:[1,0,1]
	v_pk_add_f32 v[18:19], v[18:19], v[92:93]
	v_mov_b32_e32 v23, v21
	v_pk_add_f32 v[18:19], v[18:19], v[22:23]
	s_waitcnt vmcnt(3) lgkmcnt(3)
	v_pk_mul_f32 v[20:21], v[4:5], v[76:77] op_sel:[1,1] op_sel_hi:[0,1]
	v_pk_fma_f32 v[22:23], v[4:5], v[76:77], v[20:21] neg_lo:[0,0,1] neg_hi:[0,0,1]
	v_pk_fma_f32 v[4:5], v[4:5], v[76:77], v[20:21] op_sel_hi:[1,0,1]
	s_nop 0
	v_mov_b32_e32 v23, v5
	v_pk_add_f32 v[4:5], v[18:19], v[22:23]
	v_mov_b32_e32 v18, v79
	v_pk_mul_f32 v[18:19], v[6:7], v[18:19] op_sel:[1,0] op_sel_hi:[0,0]
	v_pk_fma_f32 v[20:21], v[6:7], v[78:79], v[18:19] neg_lo:[0,0,1] neg_hi:[0,0,1]
	v_pk_fma_f32 v[6:7], v[6:7], v[78:79], v[18:19] op_sel_hi:[1,0,1]
	s_nop 0
	v_mov_b32_e32 v21, v7
	s_waitcnt vmcnt(2) lgkmcnt(2)
	v_pk_mul_f32 v[6:7], v[8:9], v[80:81] op_sel:[1,1] op_sel_hi:[0,1]
	v_pk_fma_f32 v[18:19], v[8:9], v[80:81], v[6:7] neg_lo:[0,0,1] neg_hi:[0,0,1]
	v_pk_fma_f32 v[6:7], v[8:9], v[80:81], v[6:7] op_sel_hi:[1,0,1]
	v_pk_add_f32 v[4:5], v[4:5], v[20:21]
	v_mov_b32_e32 v6, v83
	v_mov_b32_e32 v19, v7
	v_pk_mul_f32 v[6:7], v[10:11], v[6:7] op_sel:[1,0] op_sel_hi:[0,0]
	v_pk_fma_f32 v[8:9], v[10:11], v[82:83], v[6:7] neg_lo:[0,0,1] neg_hi:[0,0,1]
	v_pk_fma_f32 v[6:7], v[10:11], v[82:83], v[6:7] op_sel_hi:[1,0,1]
	v_pk_add_f32 v[4:5], v[4:5], v[18:19]
	v_mov_b32_e32 v9, v7
	s_waitcnt vmcnt(1) lgkmcnt(1)
	v_pk_mul_f32 v[6:7], v[12:13], v[84:85] op_sel:[1,1] op_sel_hi:[0,1]
	v_pk_add_f32 v[4:5], v[4:5], v[8:9]
	v_pk_fma_f32 v[8:9], v[12:13], v[84:85], v[6:7] neg_lo:[0,0,1] neg_hi:[0,0,1]
	v_pk_fma_f32 v[6:7], v[12:13], v[84:85], v[6:7] op_sel_hi:[1,0,1]
	s_nop 0
	v_mov_b32_e32 v6, v87
	v_mov_b32_e32 v9, v7
	v_pk_mul_f32 v[6:7], v[14:15], v[6:7] op_sel:[1,0] op_sel_hi:[0,0]
	v_pk_add_f32 v[4:5], v[4:5], v[8:9]
	v_pk_fma_f32 v[8:9], v[14:15], v[86:87], v[6:7] neg_lo:[0,0,1] neg_hi:[0,0,1]
	v_pk_fma_f32 v[6:7], v[14:15], v[86:87], v[6:7] op_sel_hi:[1,0,1]
	s_nop 0
	v_mov_b32_e32 v9, v7
	s_waitcnt vmcnt(0) lgkmcnt(0)
	v_pk_mul_f32 v[6:7], v[16:17], v[94:95] op_sel:[1,1] op_sel_hi:[0,1]
	v_pk_add_f32 v[4:5], v[4:5], v[8:9]
	v_pk_fma_f32 v[8:9], v[16:17], v[94:95], v[6:7] neg_lo:[0,0,1] neg_hi:[0,0,1]
	v_pk_fma_f32 v[6:7], v[16:17], v[94:95], v[6:7] op_sel_hi:[1,0,1]
	s_nop 0
	v_mov_b32_e32 v9, v7
	scratch_load_dwordx2 v[6:7], off, off offset:40
	v_pk_add_f32 v[4:5], v[4:5], v[8:9]
	s_waitcnt vmcnt(0)
	v_pk_add_f32 v[4:5], v[6:7], v[4:5] neg_lo:[0,1] neg_hi:[0,1]
	scratch_store_dwordx2 off, v[4:5], off offset:40
	s_and_saveexec_b64 s[0:1], vcc
	s_cbranch_execz .LBB30_191
; %bb.190:
	scratch_load_dwordx2 v[4:5], off, off offset:32
	v_mov_b32_e32 v3, v2
	scratch_store_dwordx2 off, v[2:3], off offset:32
	s_waitcnt vmcnt(1)
	ds_write_b64 v1, v[4:5]
.LBB30_191:
	s_or_b64 exec, exec, s[0:1]
	s_waitcnt lgkmcnt(0)
	; wave barrier
	scratch_load_dwordx4 v[8:11], off, off offset:40
	scratch_load_dwordx4 v[16:19], off, off offset:56
	;; [unrolled: 1-line block ×8, first 2 shown]
	ds_read2_b64 v[4:7], v2 offset0:37 offset1:38
	scratch_load_dwordx4 v[72:75], off, off offset:168
	v_cmp_lt_u32_e32 vcc, 3, v0
	s_waitcnt vmcnt(8) lgkmcnt(0)
	v_mul_f32_e32 v3, v4, v9
	v_fmac_f32_e32 v3, v5, v8
	v_mul_f32_e32 v12, v6, v11
	v_add_f32_e32 v3, 0, v3
	v_fmac_f32_e32 v12, v7, v10
	v_add_f32_e32 v3, v3, v12
	ds_read2_b64 v[12:15], v2 offset0:39 offset1:40
	s_waitcnt vmcnt(7) lgkmcnt(0)
	v_mul_f32_e32 v20, v12, v17
	v_fmac_f32_e32 v20, v13, v16
	v_add_f32_e32 v3, v3, v20
	v_mul_f32_e32 v20, v14, v19
	v_fmac_f32_e32 v20, v15, v18
	v_add_f32_e32 v3, v3, v20
	ds_read2_b64 v[20:23], v2 offset0:41 offset1:42
	s_waitcnt vmcnt(6) lgkmcnt(0)
	v_mul_f32_e32 v28, v20, v25
	v_fmac_f32_e32 v28, v21, v24
	v_add_f32_e32 v3, v3, v28
	v_mul_f32_e32 v28, v22, v27
	;; [unrolled: 8-line block ×7, first 2 shown]
	v_fmac_f32_e32 v68, v63, v66
	v_add_f32_e32 v93, v3, v68
	ds_read2_b64 v[68:71], v2 offset0:53 offset1:54
	scratch_load_dwordx4 v[76:79], off, off offset:184
	scratch_load_dwordx4 v[80:83], off, off offset:200
	;; [unrolled: 1-line block ×4, first 2 shown]
	v_mul_f32_e32 v3, v5, v9
	v_fma_f32 v3, v4, v8, -v3
	v_mul_f32_e32 v4, v7, v11
	v_add_f32_e32 v3, 0, v3
	v_fma_f32 v4, v6, v10, -v4
	v_add_f32_e32 v3, v3, v4
	v_mul_f32_e32 v4, v13, v17
	v_fma_f32 v4, v12, v16, -v4
	v_add_f32_e32 v3, v3, v4
	v_mul_f32_e32 v4, v15, v19
	;; [unrolled: 3-line block ×14, first 2 shown]
	v_fma_f32 v4, v62, v66, -v4
	v_add_f32_e32 v92, v3, v4
	ds_read2_b64 v[4:7], v2 offset0:55 offset1:56
	ds_read2_b64 v[8:11], v2 offset0:57 offset1:58
	;; [unrolled: 1-line block ×4, first 2 shown]
	s_waitcnt vmcnt(4) lgkmcnt(4)
	v_mul_f32_e32 v95, v68, v73
	v_mul_f32_e32 v3, v69, v73
	v_fmac_f32_e32 v95, v69, v72
	v_mul_f32_e32 v97, v70, v75
	v_fma_f32 v94, v68, v72, -v3
	v_mul_f32_e32 v3, v71, v75
	v_fmac_f32_e32 v97, v71, v74
	v_fma_f32 v96, v70, v74, -v3
	v_pk_add_f32 v[2:3], v[92:93], v[94:95]
	s_waitcnt vmcnt(3) lgkmcnt(3)
	v_pk_mul_f32 v[20:21], v[4:5], v[76:77] op_sel:[1,1] op_sel_hi:[0,1]
	v_pk_fma_f32 v[22:23], v[4:5], v[76:77], v[20:21] neg_lo:[0,0,1] neg_hi:[0,0,1]
	v_pk_fma_f32 v[4:5], v[4:5], v[76:77], v[20:21] op_sel_hi:[1,0,1]
	v_pk_add_f32 v[2:3], v[2:3], v[96:97]
	v_mov_b32_e32 v4, v79
	v_mov_b32_e32 v23, v5
	v_pk_mul_f32 v[4:5], v[6:7], v[4:5] op_sel:[1,0] op_sel_hi:[0,0]
	v_pk_fma_f32 v[20:21], v[6:7], v[78:79], v[4:5] neg_lo:[0,0,1] neg_hi:[0,0,1]
	v_pk_fma_f32 v[4:5], v[6:7], v[78:79], v[4:5] op_sel_hi:[1,0,1]
	v_pk_add_f32 v[2:3], v[2:3], v[22:23]
	v_mov_b32_e32 v21, v5
	s_waitcnt vmcnt(2) lgkmcnt(2)
	v_pk_mul_f32 v[4:5], v[8:9], v[80:81] op_sel:[1,1] op_sel_hi:[0,1]
	v_pk_fma_f32 v[6:7], v[8:9], v[80:81], v[4:5] neg_lo:[0,0,1] neg_hi:[0,0,1]
	v_pk_fma_f32 v[4:5], v[8:9], v[80:81], v[4:5] op_sel_hi:[1,0,1]
	v_pk_add_f32 v[2:3], v[2:3], v[20:21]
	v_mov_b32_e32 v4, v83
	v_mov_b32_e32 v7, v5
	v_pk_mul_f32 v[4:5], v[10:11], v[4:5] op_sel:[1,0] op_sel_hi:[0,0]
	v_pk_add_f32 v[2:3], v[2:3], v[6:7]
	v_pk_fma_f32 v[6:7], v[10:11], v[82:83], v[4:5] neg_lo:[0,0,1] neg_hi:[0,0,1]
	v_pk_fma_f32 v[4:5], v[10:11], v[82:83], v[4:5] op_sel_hi:[1,0,1]
	s_nop 0
	v_mov_b32_e32 v7, v5
	s_waitcnt vmcnt(1) lgkmcnt(1)
	v_pk_mul_f32 v[4:5], v[12:13], v[84:85] op_sel:[1,1] op_sel_hi:[0,1]
	v_pk_add_f32 v[2:3], v[2:3], v[6:7]
	v_pk_fma_f32 v[6:7], v[12:13], v[84:85], v[4:5] neg_lo:[0,0,1] neg_hi:[0,0,1]
	v_pk_fma_f32 v[4:5], v[12:13], v[84:85], v[4:5] op_sel_hi:[1,0,1]
	s_nop 0
	v_mov_b32_e32 v4, v87
	v_mov_b32_e32 v7, v5
	v_pk_mul_f32 v[4:5], v[14:15], v[4:5] op_sel:[1,0] op_sel_hi:[0,0]
	v_pk_add_f32 v[2:3], v[2:3], v[6:7]
	v_pk_fma_f32 v[6:7], v[14:15], v[86:87], v[4:5] neg_lo:[0,0,1] neg_hi:[0,0,1]
	v_pk_fma_f32 v[4:5], v[14:15], v[86:87], v[4:5] op_sel_hi:[1,0,1]
	s_nop 0
	v_mov_b32_e32 v7, v5
	s_waitcnt vmcnt(0) lgkmcnt(0)
	v_pk_mul_f32 v[4:5], v[16:17], v[88:89] op_sel:[1,1] op_sel_hi:[0,1]
	v_pk_add_f32 v[2:3], v[2:3], v[6:7]
	v_pk_fma_f32 v[6:7], v[16:17], v[88:89], v[4:5] neg_lo:[0,0,1] neg_hi:[0,0,1]
	v_pk_fma_f32 v[4:5], v[16:17], v[88:89], v[4:5] op_sel_hi:[1,0,1]
	s_nop 0
	v_mov_b32_e32 v4, v91
	v_mov_b32_e32 v7, v5
	v_pk_mul_f32 v[4:5], v[18:19], v[4:5] op_sel:[1,0] op_sel_hi:[0,0]
	v_pk_add_f32 v[2:3], v[2:3], v[6:7]
	v_pk_fma_f32 v[6:7], v[18:19], v[90:91], v[4:5] neg_lo:[0,0,1] neg_hi:[0,0,1]
	v_pk_fma_f32 v[4:5], v[18:19], v[90:91], v[4:5] op_sel_hi:[1,0,1]
	s_nop 0
	v_mov_b32_e32 v7, v5
	scratch_load_dwordx2 v[4:5], off, off offset:32
	v_pk_add_f32 v[2:3], v[2:3], v[6:7]
	s_waitcnt vmcnt(0)
	v_pk_add_f32 v[2:3], v[4:5], v[2:3] neg_lo:[0,1] neg_hi:[0,1]
	scratch_store_dwordx2 off, v[2:3], off offset:32
	s_and_saveexec_b64 s[0:1], vcc
	s_cbranch_execz .LBB30_193
; %bb.192:
	scratch_load_dwordx2 v[2:3], off, off offset:24
	v_mov_b32_e32 v4, 0
	v_mov_b32_e32 v5, v4
	scratch_store_dwordx2 off, v[4:5], off offset:24
	s_waitcnt vmcnt(1)
	ds_write_b64 v1, v[2:3]
.LBB30_193:
	s_or_b64 exec, exec, s[0:1]
	v_mov_b32_e32 v2, 0
	s_waitcnt lgkmcnt(0)
	; wave barrier
	ds_read_b128 v[4:7], v2 offset:288
	ds_read_b128 v[8:11], v2 offset:304
	;; [unrolled: 1-line block ×4, first 2 shown]
	scratch_load_dwordx4 v[20:23], off, off offset:32
	scratch_load_dwordx4 v[40:43], off, off offset:96
	scratch_load_dwordx4 v[72:75], off, off offset:160
	scratch_load_dwordx4 v[80:83], off, off offset:176
	v_cmp_lt_u32_e32 vcc, 2, v0
	scratch_load_dwordx4 v[48:51], off, off offset:112
	scratch_load_dwordx4 v[56:59], off, off offset:128
	;; [unrolled: 1-line block ×3, first 2 shown]
	s_waitcnt vmcnt(6) lgkmcnt(3)
	v_mul_f32_e32 v3, v4, v21
	v_fmac_f32_e32 v3, v5, v20
	v_mul_f32_e32 v24, v6, v23
	v_add_f32_e32 v3, 0, v3
	v_fmac_f32_e32 v24, v7, v22
	v_add_f32_e32 v3, v3, v24
	scratch_load_dwordx4 v[24:27], off, off offset:48
	s_waitcnt vmcnt(0) lgkmcnt(2)
	v_mul_f32_e32 v28, v8, v25
	v_fmac_f32_e32 v28, v9, v24
	v_add_f32_e32 v3, v3, v28
	v_mul_f32_e32 v28, v10, v27
	v_fmac_f32_e32 v28, v11, v26
	v_add_f32_e32 v3, v3, v28
	scratch_load_dwordx4 v[28:31], off, off offset:64
	s_waitcnt vmcnt(0) lgkmcnt(1)
	v_mul_f32_e32 v32, v12, v29
	v_fmac_f32_e32 v32, v13, v28
	v_add_f32_e32 v3, v3, v32
	v_mul_f32_e32 v32, v14, v31
	v_fmac_f32_e32 v32, v15, v30
	v_add_f32_e32 v3, v3, v32
	scratch_load_dwordx4 v[32:35], off, off offset:80
	s_waitcnt vmcnt(0) lgkmcnt(0)
	v_mul_f32_e32 v36, v16, v33
	v_fmac_f32_e32 v36, v17, v32
	v_add_f32_e32 v3, v3, v36
	v_mul_f32_e32 v36, v18, v35
	v_fmac_f32_e32 v36, v19, v34
	v_add_f32_e32 v3, v3, v36
	ds_read_b128 v[36:39], v2 offset:352
	s_waitcnt lgkmcnt(0)
	v_mul_f32_e32 v44, v36, v41
	v_fmac_f32_e32 v44, v37, v40
	v_add_f32_e32 v3, v3, v44
	v_mul_f32_e32 v44, v38, v43
	v_fmac_f32_e32 v44, v39, v42
	v_add_f32_e32 v3, v3, v44
	ds_read_b128 v[44:47], v2 offset:368
	s_waitcnt lgkmcnt(0)
	v_mul_f32_e32 v52, v44, v49
	v_fmac_f32_e32 v52, v45, v48
	v_add_f32_e32 v3, v3, v52
	v_mul_f32_e32 v52, v46, v51
	v_fmac_f32_e32 v52, v47, v50
	v_add_f32_e32 v3, v3, v52
	ds_read_b128 v[52:55], v2 offset:384
	s_waitcnt lgkmcnt(0)
	v_mul_f32_e32 v60, v52, v57
	v_fmac_f32_e32 v60, v53, v56
	v_add_f32_e32 v3, v3, v60
	v_mul_f32_e32 v60, v54, v59
	v_fmac_f32_e32 v60, v55, v58
	v_add_f32_e32 v3, v3, v60
	ds_read_b128 v[60:63], v2 offset:400
	s_waitcnt lgkmcnt(0)
	v_mul_f32_e32 v68, v60, v65
	v_fmac_f32_e32 v68, v61, v64
	v_add_f32_e32 v3, v3, v68
	v_mul_f32_e32 v68, v62, v67
	v_fmac_f32_e32 v68, v63, v66
	v_add_f32_e32 v3, v3, v68
	ds_read_b128 v[68:71], v2 offset:416
	s_waitcnt lgkmcnt(0)
	v_mul_f32_e32 v76, v68, v73
	v_fmac_f32_e32 v76, v69, v72
	v_add_f32_e32 v97, v3, v76
	ds_read_b128 v[76:79], v2 offset:432
	scratch_load_dwordx4 v[84:87], off, off offset:192
	scratch_load_dwordx4 v[88:91], off, off offset:208
	;; [unrolled: 1-line block ×3, first 2 shown]
	scratch_load_dwordx2 v[164:165], off, off offset:240
	v_mul_f32_e32 v3, v5, v21
	v_fma_f32 v3, v4, v20, -v3
	v_mul_f32_e32 v4, v7, v23
	v_add_f32_e32 v3, 0, v3
	v_fma_f32 v4, v6, v22, -v4
	v_add_f32_e32 v3, v3, v4
	v_mul_f32_e32 v4, v9, v25
	v_fma_f32 v4, v8, v24, -v4
	v_add_f32_e32 v3, v3, v4
	v_mul_f32_e32 v4, v11, v27
	;; [unrolled: 3-line block ×15, first 2 shown]
	v_fma_f32 v4, v68, v72, -v4
	v_mul_f32_e32 v99, v70, v75
	v_add_f32_e32 v96, v3, v4
	v_mul_f32_e32 v3, v71, v75
	v_mov_b32_e32 v20, v83
	v_fmac_f32_e32 v99, v71, v74
	s_waitcnt lgkmcnt(0)
	v_mul_f32_e32 v163, v76, v81
	v_fma_f32 v98, v70, v74, -v3
	v_mul_f32_e32 v3, v77, v81
	ds_read_b128 v[4:7], v2 offset:448
	ds_read_b128 v[8:11], v2 offset:464
	;; [unrolled: 1-line block ×3, first 2 shown]
	ds_read_b64 v[16:17], v2 offset:496
	v_pk_mul_f32 v[20:21], v[78:79], v[20:21] op_sel:[1,0] op_sel_hi:[0,0]
	v_fmac_f32_e32 v163, v77, v80
	v_fma_f32 v162, v76, v80, -v3
	v_pk_add_f32 v[18:19], v[96:97], v[98:99]
	v_pk_fma_f32 v[22:23], v[78:79], v[82:83], v[20:21] neg_lo:[0,0,1] neg_hi:[0,0,1]
	v_pk_fma_f32 v[20:21], v[78:79], v[82:83], v[20:21] op_sel_hi:[1,0,1]
	v_pk_add_f32 v[18:19], v[18:19], v[162:163]
	v_mov_b32_e32 v23, v21
	v_pk_add_f32 v[18:19], v[18:19], v[22:23]
	s_waitcnt vmcnt(3) lgkmcnt(3)
	v_pk_mul_f32 v[20:21], v[4:5], v[84:85] op_sel:[1,1] op_sel_hi:[0,1]
	v_pk_fma_f32 v[22:23], v[4:5], v[84:85], v[20:21] neg_lo:[0,0,1] neg_hi:[0,0,1]
	v_pk_fma_f32 v[4:5], v[4:5], v[84:85], v[20:21] op_sel_hi:[1,0,1]
	s_nop 0
	v_mov_b32_e32 v23, v5
	v_pk_add_f32 v[4:5], v[18:19], v[22:23]
	v_mov_b32_e32 v18, v87
	v_pk_mul_f32 v[18:19], v[6:7], v[18:19] op_sel:[1,0] op_sel_hi:[0,0]
	v_pk_fma_f32 v[20:21], v[6:7], v[86:87], v[18:19] neg_lo:[0,0,1] neg_hi:[0,0,1]
	v_pk_fma_f32 v[6:7], v[6:7], v[86:87], v[18:19] op_sel_hi:[1,0,1]
	s_nop 0
	v_mov_b32_e32 v21, v7
	s_waitcnt vmcnt(2) lgkmcnt(2)
	v_pk_mul_f32 v[6:7], v[8:9], v[88:89] op_sel:[1,1] op_sel_hi:[0,1]
	v_pk_fma_f32 v[18:19], v[8:9], v[88:89], v[6:7] neg_lo:[0,0,1] neg_hi:[0,0,1]
	v_pk_fma_f32 v[6:7], v[8:9], v[88:89], v[6:7] op_sel_hi:[1,0,1]
	v_pk_add_f32 v[4:5], v[4:5], v[20:21]
	v_mov_b32_e32 v6, v91
	v_mov_b32_e32 v19, v7
	v_pk_mul_f32 v[6:7], v[10:11], v[6:7] op_sel:[1,0] op_sel_hi:[0,0]
	v_pk_fma_f32 v[8:9], v[10:11], v[90:91], v[6:7] neg_lo:[0,0,1] neg_hi:[0,0,1]
	v_pk_fma_f32 v[6:7], v[10:11], v[90:91], v[6:7] op_sel_hi:[1,0,1]
	v_pk_add_f32 v[4:5], v[4:5], v[18:19]
	v_mov_b32_e32 v9, v7
	s_waitcnt vmcnt(1) lgkmcnt(1)
	v_pk_mul_f32 v[6:7], v[12:13], v[92:93] op_sel:[1,1] op_sel_hi:[0,1]
	v_pk_add_f32 v[4:5], v[4:5], v[8:9]
	v_pk_fma_f32 v[8:9], v[12:13], v[92:93], v[6:7] neg_lo:[0,0,1] neg_hi:[0,0,1]
	v_pk_fma_f32 v[6:7], v[12:13], v[92:93], v[6:7] op_sel_hi:[1,0,1]
	s_nop 0
	v_mov_b32_e32 v6, v95
	v_mov_b32_e32 v9, v7
	v_pk_mul_f32 v[6:7], v[14:15], v[6:7] op_sel:[1,0] op_sel_hi:[0,0]
	v_pk_add_f32 v[4:5], v[4:5], v[8:9]
	v_pk_fma_f32 v[8:9], v[14:15], v[94:95], v[6:7] neg_lo:[0,0,1] neg_hi:[0,0,1]
	v_pk_fma_f32 v[6:7], v[14:15], v[94:95], v[6:7] op_sel_hi:[1,0,1]
	s_nop 0
	v_mov_b32_e32 v9, v7
	s_waitcnt vmcnt(0) lgkmcnt(0)
	v_pk_mul_f32 v[6:7], v[16:17], v[164:165] op_sel:[1,1] op_sel_hi:[0,1]
	v_pk_add_f32 v[4:5], v[4:5], v[8:9]
	v_pk_fma_f32 v[8:9], v[16:17], v[164:165], v[6:7] neg_lo:[0,0,1] neg_hi:[0,0,1]
	v_pk_fma_f32 v[6:7], v[16:17], v[164:165], v[6:7] op_sel_hi:[1,0,1]
	s_nop 0
	v_mov_b32_e32 v9, v7
	scratch_load_dwordx2 v[6:7], off, off offset:24
	v_pk_add_f32 v[4:5], v[4:5], v[8:9]
	s_waitcnt vmcnt(0)
	v_pk_add_f32 v[4:5], v[6:7], v[4:5] neg_lo:[0,1] neg_hi:[0,1]
	scratch_store_dwordx2 off, v[4:5], off offset:24
	s_and_saveexec_b64 s[0:1], vcc
	s_cbranch_execz .LBB30_195
; %bb.194:
	scratch_load_dwordx2 v[4:5], off, off offset:16
	v_mov_b32_e32 v3, v2
	scratch_store_dwordx2 off, v[2:3], off offset:16
	s_waitcnt vmcnt(1)
	ds_write_b64 v1, v[4:5]
.LBB30_195:
	s_or_b64 exec, exec, s[0:1]
	s_waitcnt lgkmcnt(0)
	; wave barrier
	scratch_load_dwordx4 v[8:11], off, off offset:24
	scratch_load_dwordx4 v[16:19], off, off offset:40
	;; [unrolled: 1-line block ×10, first 2 shown]
	ds_read2_b64 v[4:7], v2 offset0:35 offset1:36
	v_cmp_lt_u32_e32 vcc, 1, v0
	s_waitcnt vmcnt(9) lgkmcnt(0)
	v_mul_f32_e32 v3, v4, v9
	v_fmac_f32_e32 v3, v5, v8
	v_mul_f32_e32 v12, v6, v11
	v_add_f32_e32 v3, 0, v3
	v_fmac_f32_e32 v12, v7, v10
	v_add_f32_e32 v3, v3, v12
	ds_read2_b64 v[12:15], v2 offset0:37 offset1:38
	s_waitcnt vmcnt(8) lgkmcnt(0)
	v_mul_f32_e32 v20, v12, v17
	v_fmac_f32_e32 v20, v13, v16
	v_add_f32_e32 v3, v3, v20
	v_mul_f32_e32 v20, v14, v19
	v_fmac_f32_e32 v20, v15, v18
	v_add_f32_e32 v3, v3, v20
	ds_read2_b64 v[20:23], v2 offset0:39 offset1:40
	s_waitcnt vmcnt(7) lgkmcnt(0)
	v_mul_f32_e32 v28, v20, v25
	v_fmac_f32_e32 v28, v21, v24
	v_add_f32_e32 v3, v3, v28
	v_mul_f32_e32 v28, v22, v27
	;; [unrolled: 8-line block ×8, first 2 shown]
	v_fmac_f32_e32 v76, v71, v74
	v_add_f32_e32 v163, v3, v76
	ds_read2_b64 v[76:79], v2 offset0:53 offset1:54
	scratch_load_dwordx4 v[84:87], off, off offset:184
	scratch_load_dwordx4 v[88:91], off, off offset:200
	;; [unrolled: 1-line block ×4, first 2 shown]
	v_mul_f32_e32 v3, v5, v9
	v_fma_f32 v3, v4, v8, -v3
	v_mul_f32_e32 v4, v7, v11
	v_add_f32_e32 v3, 0, v3
	v_fma_f32 v4, v6, v10, -v4
	v_add_f32_e32 v3, v3, v4
	v_mul_f32_e32 v4, v13, v17
	v_fma_f32 v4, v12, v16, -v4
	v_add_f32_e32 v3, v3, v4
	v_mul_f32_e32 v4, v15, v19
	;; [unrolled: 3-line block ×16, first 2 shown]
	v_fma_f32 v4, v70, v74, -v4
	v_add_f32_e32 v162, v3, v4
	ds_read2_b64 v[4:7], v2 offset0:55 offset1:56
	ds_read2_b64 v[8:11], v2 offset0:57 offset1:58
	;; [unrolled: 1-line block ×4, first 2 shown]
	s_waitcnt vmcnt(4) lgkmcnt(4)
	v_mul_f32_e32 v165, v76, v81
	v_mul_f32_e32 v3, v77, v81
	v_fmac_f32_e32 v165, v77, v80
	v_mul_f32_e32 v167, v78, v83
	v_fma_f32 v164, v76, v80, -v3
	v_mul_f32_e32 v3, v79, v83
	v_fmac_f32_e32 v167, v79, v82
	v_fma_f32 v166, v78, v82, -v3
	v_pk_add_f32 v[2:3], v[162:163], v[164:165]
	s_waitcnt vmcnt(3) lgkmcnt(3)
	v_pk_mul_f32 v[20:21], v[4:5], v[84:85] op_sel:[1,1] op_sel_hi:[0,1]
	v_pk_fma_f32 v[22:23], v[4:5], v[84:85], v[20:21] neg_lo:[0,0,1] neg_hi:[0,0,1]
	v_pk_fma_f32 v[4:5], v[4:5], v[84:85], v[20:21] op_sel_hi:[1,0,1]
	v_pk_add_f32 v[2:3], v[2:3], v[166:167]
	v_mov_b32_e32 v4, v87
	v_mov_b32_e32 v23, v5
	v_pk_mul_f32 v[4:5], v[6:7], v[4:5] op_sel:[1,0] op_sel_hi:[0,0]
	v_pk_fma_f32 v[20:21], v[6:7], v[86:87], v[4:5] neg_lo:[0,0,1] neg_hi:[0,0,1]
	v_pk_fma_f32 v[4:5], v[6:7], v[86:87], v[4:5] op_sel_hi:[1,0,1]
	v_pk_add_f32 v[2:3], v[2:3], v[22:23]
	v_mov_b32_e32 v21, v5
	s_waitcnt vmcnt(2) lgkmcnt(2)
	v_pk_mul_f32 v[4:5], v[8:9], v[88:89] op_sel:[1,1] op_sel_hi:[0,1]
	v_pk_fma_f32 v[6:7], v[8:9], v[88:89], v[4:5] neg_lo:[0,0,1] neg_hi:[0,0,1]
	v_pk_fma_f32 v[4:5], v[8:9], v[88:89], v[4:5] op_sel_hi:[1,0,1]
	v_pk_add_f32 v[2:3], v[2:3], v[20:21]
	v_mov_b32_e32 v4, v91
	v_mov_b32_e32 v7, v5
	v_pk_mul_f32 v[4:5], v[10:11], v[4:5] op_sel:[1,0] op_sel_hi:[0,0]
	v_pk_add_f32 v[2:3], v[2:3], v[6:7]
	v_pk_fma_f32 v[6:7], v[10:11], v[90:91], v[4:5] neg_lo:[0,0,1] neg_hi:[0,0,1]
	v_pk_fma_f32 v[4:5], v[10:11], v[90:91], v[4:5] op_sel_hi:[1,0,1]
	s_nop 0
	v_mov_b32_e32 v7, v5
	s_waitcnt vmcnt(1) lgkmcnt(1)
	v_pk_mul_f32 v[4:5], v[12:13], v[92:93] op_sel:[1,1] op_sel_hi:[0,1]
	v_pk_add_f32 v[2:3], v[2:3], v[6:7]
	v_pk_fma_f32 v[6:7], v[12:13], v[92:93], v[4:5] neg_lo:[0,0,1] neg_hi:[0,0,1]
	v_pk_fma_f32 v[4:5], v[12:13], v[92:93], v[4:5] op_sel_hi:[1,0,1]
	s_nop 0
	v_mov_b32_e32 v4, v95
	v_mov_b32_e32 v7, v5
	v_pk_mul_f32 v[4:5], v[14:15], v[4:5] op_sel:[1,0] op_sel_hi:[0,0]
	v_pk_add_f32 v[2:3], v[2:3], v[6:7]
	v_pk_fma_f32 v[6:7], v[14:15], v[94:95], v[4:5] neg_lo:[0,0,1] neg_hi:[0,0,1]
	v_pk_fma_f32 v[4:5], v[14:15], v[94:95], v[4:5] op_sel_hi:[1,0,1]
	s_nop 0
	v_mov_b32_e32 v7, v5
	s_waitcnt vmcnt(0) lgkmcnt(0)
	v_pk_mul_f32 v[4:5], v[16:17], v[96:97] op_sel:[1,1] op_sel_hi:[0,1]
	v_pk_add_f32 v[2:3], v[2:3], v[6:7]
	v_pk_fma_f32 v[6:7], v[16:17], v[96:97], v[4:5] neg_lo:[0,0,1] neg_hi:[0,0,1]
	v_pk_fma_f32 v[4:5], v[16:17], v[96:97], v[4:5] op_sel_hi:[1,0,1]
	s_nop 0
	v_mov_b32_e32 v4, v99
	v_mov_b32_e32 v7, v5
	v_pk_mul_f32 v[4:5], v[18:19], v[4:5] op_sel:[1,0] op_sel_hi:[0,0]
	v_pk_add_f32 v[2:3], v[2:3], v[6:7]
	v_pk_fma_f32 v[6:7], v[18:19], v[98:99], v[4:5] neg_lo:[0,0,1] neg_hi:[0,0,1]
	v_pk_fma_f32 v[4:5], v[18:19], v[98:99], v[4:5] op_sel_hi:[1,0,1]
	s_nop 0
	v_mov_b32_e32 v7, v5
	scratch_load_dwordx2 v[4:5], off, off offset:16
	v_pk_add_f32 v[2:3], v[2:3], v[6:7]
	s_waitcnt vmcnt(0)
	v_pk_add_f32 v[2:3], v[4:5], v[2:3] neg_lo:[0,1] neg_hi:[0,1]
	scratch_store_dwordx2 off, v[2:3], off offset:16
	s_and_saveexec_b64 s[0:1], vcc
	s_cbranch_execz .LBB30_197
; %bb.196:
	scratch_load_dwordx2 v[2:3], off, off offset:8
	v_mov_b32_e32 v4, 0
	v_mov_b32_e32 v5, v4
	scratch_store_dwordx2 off, v[4:5], off offset:8
	s_waitcnt vmcnt(1)
	ds_write_b64 v1, v[2:3]
.LBB30_197:
	s_or_b64 exec, exec, s[0:1]
	s_waitcnt lgkmcnt(0)
	; wave barrier
	scratch_load_dwordx4 v[26:29], off, off offset:16
	scratch_load_dwordx4 v[2:5], off, off offset:32
	;; [unrolled: 1-line block ×14, first 2 shown]
	scratch_load_dwordx2 v[58:59], off, off offset:240
	scratch_load_dwordx2 v[172:173], off, off offset:8
	v_mov_b32_e32 v162, 0
	ds_read_b128 v[60:63], v162 offset:272
	ds_read_b128 v[64:67], v162 offset:288
	;; [unrolled: 1-line block ×12, first 2 shown]
	v_cmp_ne_u32_e32 vcc, 0, v0
	s_waitcnt vmcnt(15) lgkmcnt(11)
	v_mul_f32_e32 v163, v60, v27
	v_mul_f32_e32 v174, v62, v29
	s_waitcnt vmcnt(14) lgkmcnt(10)
	v_mul_f32_e32 v176, v64, v3
	v_mul_f32_e32 v3, v65, v3
	v_fmac_f32_e32 v163, v61, v26
	v_fmac_f32_e32 v174, v63, v28
	;; [unrolled: 1-line block ×3, first 2 shown]
	v_fma_f32 v2, v64, v2, -v3
	v_add_f32_e32 v3, 0, v163
	v_mul_f32_e32 v178, v66, v5
	v_add_f32_e32 v3, v3, v174
	s_waitcnt vmcnt(13) lgkmcnt(9)
	v_mul_f32_e32 v179, v68, v7
	v_fmac_f32_e32 v178, v67, v4
	v_add_f32_e32 v3, v3, v176
	v_mul_f32_e32 v180, v70, v9
	v_fmac_f32_e32 v179, v69, v6
	v_add_f32_e32 v3, v3, v178
	s_waitcnt vmcnt(12) lgkmcnt(8)
	v_mul_f32_e32 v181, v72, v11
	v_fmac_f32_e32 v180, v71, v8
	v_add_f32_e32 v3, v3, v179
	v_mul_f32_e32 v182, v74, v13
	v_fmac_f32_e32 v181, v73, v10
	;; [unrolled: 7-line block ×6, first 2 shown]
	v_add_f32_e32 v3, v3, v188
	s_waitcnt vmcnt(7) lgkmcnt(3)
	v_mul_f32_e32 v191, v92, v43
	v_fmac_f32_e32 v190, v91, v40
	v_add_f32_e32 v3, v3, v189
	v_mul_f32_e32 v192, v94, v45
	v_mul_f32_e32 v27, v61, v27
	v_fmac_f32_e32 v191, v93, v42
	v_add_f32_e32 v3, v3, v190
	s_waitcnt vmcnt(6) lgkmcnt(2)
	v_mul_f32_e32 v193, v96, v51
	v_mul_f32_e32 v29, v63, v29
	v_fmac_f32_e32 v192, v95, v44
	v_fma_f32 v26, v60, v26, -v27
	v_add_f32_e32 v3, v3, v191
	v_fmac_f32_e32 v193, v97, v50
	v_fma_f32 v27, v62, v28, -v29
	v_add_f32_e32 v26, 0, v26
	v_add_f32_e32 v3, v3, v192
	;; [unrolled: 1-line block ×4, first 2 shown]
	v_mul_f32_e32 v3, v67, v5
	v_add_f32_e32 v2, v26, v2
	v_fma_f32 v3, v66, v4, -v3
	v_add_f32_e32 v2, v2, v3
	v_mul_f32_e32 v3, v69, v7
	v_fma_f32 v3, v68, v6, -v3
	v_add_f32_e32 v2, v2, v3
	v_mul_f32_e32 v3, v71, v9
	;; [unrolled: 3-line block ×15, first 2 shown]
	v_fma_f32 v3, v96, v50, -v3
	v_mul_f32_e32 v175, v98, v53
	v_add_f32_e32 v26, v2, v3
	v_mul_f32_e32 v2, v99, v53
	s_waitcnt vmcnt(5)
	v_mov_b32_e32 v14, v57
	s_waitcnt lgkmcnt(1)
	v_mul_f32_e32 v177, v164, v55
	v_fmac_f32_e32 v175, v99, v52
	v_fma_f32 v174, v98, v52, -v2
	v_mul_f32_e32 v2, v165, v55
	v_pk_mul_f32 v[14:15], v[166:167], v[14:15] op_sel:[1,0] op_sel_hi:[0,0]
	v_fmac_f32_e32 v177, v165, v54
	v_fma_f32 v176, v164, v54, -v2
	v_pk_add_f32 v[12:13], v[26:27], v[174:175]
	v_pk_fma_f32 v[16:17], v[166:167], v[56:57], v[14:15] neg_lo:[0,0,1] neg_hi:[0,0,1]
	v_pk_fma_f32 v[14:15], v[166:167], v[56:57], v[14:15] op_sel_hi:[1,0,1]
	v_pk_add_f32 v[12:13], v[12:13], v[176:177]
	v_mov_b32_e32 v17, v15
	s_waitcnt vmcnt(4) lgkmcnt(0)
	v_pk_mul_f32 v[14:15], v[168:169], v[46:47] op_sel:[1,1] op_sel_hi:[0,1]
	v_pk_add_f32 v[12:13], v[12:13], v[16:17]
	v_pk_fma_f32 v[16:17], v[168:169], v[46:47], v[14:15] neg_lo:[0,0,1] neg_hi:[0,0,1]
	v_pk_fma_f32 v[14:15], v[168:169], v[46:47], v[14:15] op_sel_hi:[1,0,1]
	ds_read_b128 v[2:5], v162 offset:464
	ds_read_b128 v[6:9], v162 offset:480
	ds_read_b64 v[10:11], v162 offset:496
	v_mov_b32_e32 v14, v49
	v_mov_b32_e32 v17, v15
	v_pk_mul_f32 v[14:15], v[170:171], v[14:15] op_sel:[1,0] op_sel_hi:[0,0]
	v_pk_add_f32 v[12:13], v[12:13], v[16:17]
	v_pk_fma_f32 v[16:17], v[170:171], v[48:49], v[14:15] neg_lo:[0,0,1] neg_hi:[0,0,1]
	v_pk_fma_f32 v[14:15], v[170:171], v[48:49], v[14:15] op_sel_hi:[1,0,1]
	s_nop 0
	v_mov_b32_e32 v17, v15
	s_waitcnt vmcnt(3) lgkmcnt(2)
	v_pk_mul_f32 v[14:15], v[2:3], v[34:35] op_sel:[1,1] op_sel_hi:[0,1]
	v_pk_add_f32 v[12:13], v[12:13], v[16:17]
	v_pk_fma_f32 v[16:17], v[2:3], v[34:35], v[14:15] neg_lo:[0,0,1] neg_hi:[0,0,1]
	v_pk_fma_f32 v[2:3], v[2:3], v[34:35], v[14:15] op_sel_hi:[1,0,1]
	s_nop 0
	v_mov_b32_e32 v17, v3
	v_pk_add_f32 v[2:3], v[12:13], v[16:17]
	v_mov_b32_e32 v12, v37
	v_pk_mul_f32 v[12:13], v[4:5], v[12:13] op_sel:[1,0] op_sel_hi:[0,0]
	v_pk_fma_f32 v[14:15], v[4:5], v[36:37], v[12:13] neg_lo:[0,0,1] neg_hi:[0,0,1]
	v_pk_fma_f32 v[4:5], v[4:5], v[36:37], v[12:13] op_sel_hi:[1,0,1]
	s_nop 0
	v_mov_b32_e32 v15, v5
	s_waitcnt vmcnt(2) lgkmcnt(1)
	v_pk_mul_f32 v[4:5], v[6:7], v[18:19] op_sel:[1,1] op_sel_hi:[0,1]
	v_pk_fma_f32 v[12:13], v[6:7], v[18:19], v[4:5] neg_lo:[0,0,1] neg_hi:[0,0,1]
	v_pk_fma_f32 v[4:5], v[6:7], v[18:19], v[4:5] op_sel_hi:[1,0,1]
	v_pk_add_f32 v[2:3], v[2:3], v[14:15]
	v_mov_b32_e32 v4, v21
	v_mov_b32_e32 v13, v5
	v_pk_mul_f32 v[4:5], v[8:9], v[4:5] op_sel:[1,0] op_sel_hi:[0,0]
	v_pk_fma_f32 v[6:7], v[8:9], v[20:21], v[4:5] neg_lo:[0,0,1] neg_hi:[0,0,1]
	v_pk_fma_f32 v[4:5], v[8:9], v[20:21], v[4:5] op_sel_hi:[1,0,1]
	v_pk_add_f32 v[2:3], v[2:3], v[12:13]
	v_mov_b32_e32 v7, v5
	s_waitcnt vmcnt(1) lgkmcnt(0)
	v_pk_mul_f32 v[4:5], v[10:11], v[58:59] op_sel:[1,1] op_sel_hi:[0,1]
	v_pk_add_f32 v[2:3], v[2:3], v[6:7]
	v_pk_fma_f32 v[6:7], v[10:11], v[58:59], v[4:5] neg_lo:[0,0,1] neg_hi:[0,0,1]
	v_pk_fma_f32 v[4:5], v[10:11], v[58:59], v[4:5] op_sel_hi:[1,0,1]
	s_nop 0
	v_mov_b32_e32 v7, v5
	v_pk_add_f32 v[2:3], v[2:3], v[6:7]
	s_waitcnt vmcnt(0)
	v_pk_add_f32 v[2:3], v[172:173], v[2:3] neg_lo:[0,1] neg_hi:[0,1]
	scratch_store_dwordx2 off, v[2:3], off offset:8
	s_and_saveexec_b64 s[0:1], vcc
	s_cbranch_execz .LBB30_199
; %bb.198:
	scratch_load_dwordx2 v[2:3], off, off
	v_mov_b32_e32 v163, v162
	scratch_store_dwordx2 off, v[162:163], off
	s_waitcnt vmcnt(1)
	ds_write_b64 v1, v[2:3]
.LBB30_199:
	s_or_b64 exec, exec, s[0:1]
	s_waitcnt lgkmcnt(0)
	; wave barrier
	scratch_load_dwordx4 v[16:19], off, off offset:8
	scratch_load_dwordx4 v[0:3], off, off offset:24
	;; [unrolled: 1-line block ×11, first 2 shown]
	ds_read2_b64 v[164:167], v162 offset0:33 offset1:34
	ds_read2_b64 v[96:99], v162 offset0:35 offset1:36
	ds_read2_b64 v[92:95], v162 offset0:37 offset1:38
	ds_read2_b64 v[88:91], v162 offset0:39 offset1:40
	ds_read2_b64 v[84:87], v162 offset0:41 offset1:42
	ds_read2_b64 v[80:83], v162 offset0:43 offset1:44
	ds_read2_b64 v[72:75], v162 offset0:45 offset1:46
	ds_read2_b64 v[68:71], v162 offset0:47 offset1:48
	ds_read2_b64 v[64:67], v162 offset0:49 offset1:50
	ds_read2_b64 v[60:63], v162 offset0:51 offset1:52
	scratch_load_dwordx4 v[56:59], off, off offset:184
	scratch_load_dwordx4 v[48:51], off, off offset:200
	;; [unrolled: 1-line block ×4, first 2 shown]
	ds_read2_b64 v[76:79], v162 offset0:53 offset1:54
	ds_read2_b64 v[168:171], v162 offset0:55 offset1:56
	scratch_load_dwordx2 v[172:173], off, off
	s_and_b64 vcc, exec, s[18:19]
	s_waitcnt vmcnt(15) lgkmcnt(11)
	v_mul_f32_e32 v163, v164, v17
	v_mul_f32_e32 v174, v166, v19
	s_waitcnt vmcnt(14) lgkmcnt(10)
	v_mul_f32_e32 v176, v96, v1
	v_mul_f32_e32 v1, v97, v1
	v_fmac_f32_e32 v163, v165, v16
	v_fmac_f32_e32 v174, v167, v18
	;; [unrolled: 1-line block ×3, first 2 shown]
	v_fma_f32 v0, v96, v0, -v1
	v_add_f32_e32 v1, 0, v163
	v_mul_f32_e32 v178, v98, v3
	v_add_f32_e32 v1, v1, v174
	s_waitcnt vmcnt(13) lgkmcnt(9)
	v_mul_f32_e32 v179, v92, v5
	v_fmac_f32_e32 v178, v99, v2
	v_add_f32_e32 v1, v1, v176
	v_mul_f32_e32 v180, v94, v7
	v_fmac_f32_e32 v179, v93, v4
	v_add_f32_e32 v1, v1, v178
	s_waitcnt vmcnt(12) lgkmcnt(8)
	v_mul_f32_e32 v181, v88, v9
	v_fmac_f32_e32 v180, v95, v6
	v_add_f32_e32 v1, v1, v179
	v_mul_f32_e32 v182, v90, v11
	v_fmac_f32_e32 v181, v89, v8
	;; [unrolled: 7-line block ×7, first 2 shown]
	v_add_f32_e32 v1, v1, v190
	s_waitcnt vmcnt(6) lgkmcnt(2)
	v_mul_f32_e32 v193, v60, v45
	v_mul_f32_e32 v17, v165, v17
	v_fmac_f32_e32 v192, v67, v42
	v_add_f32_e32 v1, v1, v191
	v_mul_f32_e32 v194, v62, v47
	v_mul_f32_e32 v19, v167, v19
	v_fmac_f32_e32 v193, v61, v44
	v_fma_f32 v16, v164, v16, -v17
	v_add_f32_e32 v1, v1, v192
	v_fmac_f32_e32 v194, v63, v46
	v_fma_f32 v17, v166, v18, -v19
	v_add_f32_e32 v16, 0, v16
	v_add_f32_e32 v1, v1, v193
	;; [unrolled: 1-line block ×4, first 2 shown]
	v_mul_f32_e32 v1, v99, v3
	v_add_f32_e32 v0, v16, v0
	v_fma_f32 v1, v98, v2, -v1
	v_add_f32_e32 v0, v0, v1
	v_mul_f32_e32 v1, v93, v5
	v_fma_f32 v1, v92, v4, -v1
	v_add_f32_e32 v0, v0, v1
	v_mul_f32_e32 v1, v95, v7
	;; [unrolled: 3-line block ×16, first 2 shown]
	v_fma_f32 v1, v62, v46, -v1
	s_waitcnt vmcnt(5) lgkmcnt(1)
	v_mul_f32_e32 v175, v76, v53
	v_add_f32_e32 v16, v0, v1
	v_mul_f32_e32 v0, v77, v53
	v_fmac_f32_e32 v175, v77, v52
	v_fma_f32 v174, v76, v52, -v0
	s_waitcnt vmcnt(4) lgkmcnt(0)
	v_pk_mul_f32 v[14:15], v[168:169], v[56:57] op_sel:[1,1] op_sel_hi:[0,1]
	v_mul_f32_e32 v177, v78, v55
	v_mul_f32_e32 v0, v79, v55
	v_pk_add_f32 v[12:13], v[16:17], v[174:175]
	v_pk_fma_f32 v[16:17], v[168:169], v[56:57], v[14:15] neg_lo:[0,0,1] neg_hi:[0,0,1]
	v_pk_fma_f32 v[14:15], v[168:169], v[56:57], v[14:15] op_sel_hi:[1,0,1]
	v_fmac_f32_e32 v177, v79, v54
	v_fma_f32 v176, v78, v54, -v0
	ds_read2_b64 v[0:3], v162 offset0:57 offset1:58
	ds_read2_b64 v[4:7], v162 offset0:59 offset1:60
	ds_read2_b64 v[8:11], v162 offset0:61 offset1:62
	v_mov_b32_e32 v14, v59
	v_pk_add_f32 v[12:13], v[12:13], v[176:177]
	v_mov_b32_e32 v17, v15
	v_pk_mul_f32 v[14:15], v[170:171], v[14:15] op_sel:[1,0] op_sel_hi:[0,0]
	v_pk_add_f32 v[12:13], v[12:13], v[16:17]
	v_pk_fma_f32 v[16:17], v[170:171], v[58:59], v[14:15] neg_lo:[0,0,1] neg_hi:[0,0,1]
	v_pk_fma_f32 v[14:15], v[170:171], v[58:59], v[14:15] op_sel_hi:[1,0,1]
	s_nop 0
	v_mov_b32_e32 v17, v15
	s_waitcnt vmcnt(3) lgkmcnt(2)
	v_pk_mul_f32 v[14:15], v[0:1], v[48:49] op_sel:[1,1] op_sel_hi:[0,1]
	v_pk_add_f32 v[12:13], v[12:13], v[16:17]
	v_pk_fma_f32 v[16:17], v[0:1], v[48:49], v[14:15] neg_lo:[0,0,1] neg_hi:[0,0,1]
	v_pk_fma_f32 v[0:1], v[0:1], v[48:49], v[14:15] op_sel_hi:[1,0,1]
	s_nop 0
	v_mov_b32_e32 v17, v1
	v_pk_add_f32 v[0:1], v[12:13], v[16:17]
	v_mov_b32_e32 v12, v51
	v_pk_mul_f32 v[12:13], v[2:3], v[12:13] op_sel:[1,0] op_sel_hi:[0,0]
	v_pk_fma_f32 v[14:15], v[2:3], v[50:51], v[12:13] neg_lo:[0,0,1] neg_hi:[0,0,1]
	v_pk_fma_f32 v[2:3], v[2:3], v[50:51], v[12:13] op_sel_hi:[1,0,1]
	s_nop 0
	v_mov_b32_e32 v15, v3
	s_waitcnt vmcnt(2) lgkmcnt(1)
	v_pk_mul_f32 v[2:3], v[4:5], v[36:37] op_sel:[1,1] op_sel_hi:[0,1]
	v_pk_fma_f32 v[12:13], v[4:5], v[36:37], v[2:3] neg_lo:[0,0,1] neg_hi:[0,0,1]
	v_pk_fma_f32 v[2:3], v[4:5], v[36:37], v[2:3] op_sel_hi:[1,0,1]
	v_pk_add_f32 v[0:1], v[0:1], v[14:15]
	v_mov_b32_e32 v2, v39
	v_mov_b32_e32 v13, v3
	v_pk_mul_f32 v[2:3], v[6:7], v[2:3] op_sel:[1,0] op_sel_hi:[0,0]
	v_pk_fma_f32 v[4:5], v[6:7], v[38:39], v[2:3] neg_lo:[0,0,1] neg_hi:[0,0,1]
	v_pk_fma_f32 v[2:3], v[6:7], v[38:39], v[2:3] op_sel_hi:[1,0,1]
	v_pk_add_f32 v[0:1], v[0:1], v[12:13]
	v_mov_b32_e32 v5, v3
	s_waitcnt vmcnt(1) lgkmcnt(0)
	v_pk_mul_f32 v[2:3], v[8:9], v[24:25] op_sel:[1,1] op_sel_hi:[0,1]
	v_pk_add_f32 v[0:1], v[0:1], v[4:5]
	v_pk_fma_f32 v[4:5], v[8:9], v[24:25], v[2:3] neg_lo:[0,0,1] neg_hi:[0,0,1]
	v_pk_fma_f32 v[2:3], v[8:9], v[24:25], v[2:3] op_sel_hi:[1,0,1]
	s_nop 0
	v_mov_b32_e32 v2, v27
	v_mov_b32_e32 v5, v3
	v_pk_mul_f32 v[2:3], v[10:11], v[2:3] op_sel:[1,0] op_sel_hi:[0,0]
	v_pk_add_f32 v[0:1], v[0:1], v[4:5]
	v_pk_fma_f32 v[4:5], v[10:11], v[26:27], v[2:3] neg_lo:[0,0,1] neg_hi:[0,0,1]
	v_pk_fma_f32 v[2:3], v[10:11], v[26:27], v[2:3] op_sel_hi:[1,0,1]
	s_nop 0
	v_mov_b32_e32 v5, v3
	v_pk_add_f32 v[0:1], v[0:1], v[4:5]
	s_waitcnt vmcnt(0)
	v_pk_add_f32 v[0:1], v[172:173], v[0:1] neg_lo:[0,1] neg_hi:[0,1]
	scratch_store_dwordx2 off, v[0:1], off
	s_cbranch_vccz .LBB30_260
; %bb.200:
	v_mov_b32_e32 v0, 0
	global_load_dword v1, v0, s[16:17] offset:116
	s_waitcnt vmcnt(0)
	v_readfirstlane_b32 s0, v1
	s_add_i32 s0, s0, -1
	s_cmp_lg_u32 s0, 29
	s_cbranch_scc0 .LBB30_202
; %bb.201:
	s_lshl_b32 s0, s0, 3
	s_nop 0
	scratch_load_dwordx2 v[2:3], off, s0
	scratch_load_dwordx2 v[4:5], off, off offset:232
	s_waitcnt vmcnt(1)
	scratch_store_dwordx2 off, v[2:3], off offset:232
	s_waitcnt vmcnt(1)
	scratch_store_dwordx2 off, v[4:5], s0
.LBB30_202:
	global_load_dword v0, v0, s[16:17] offset:112
	s_waitcnt vmcnt(0)
	v_readfirstlane_b32 s0, v0
	s_add_i32 s0, s0, -1
	s_cmp_eq_u32 s0, 28
	s_cbranch_scc1 .LBB30_204
; %bb.203:
	s_lshl_b32 s0, s0, 3
	s_nop 0
	scratch_load_dwordx2 v[0:1], off, s0
	scratch_load_dwordx2 v[2:3], off, off offset:224
	s_waitcnt vmcnt(1)
	scratch_store_dwordx2 off, v[0:1], off offset:224
	s_waitcnt vmcnt(1)
	scratch_store_dwordx2 off, v[2:3], s0
.LBB30_204:
	v_mov_b32_e32 v0, 0
	global_load_dword v1, v0, s[16:17] offset:108
	s_waitcnt vmcnt(0)
	v_readfirstlane_b32 s0, v1
	s_add_i32 s0, s0, -1
	s_cmp_eq_u32 s0, 27
	s_cbranch_scc1 .LBB30_206
; %bb.205:
	s_lshl_b32 s0, s0, 3
	s_nop 0
	scratch_load_dwordx2 v[2:3], off, s0
	scratch_load_dwordx2 v[4:5], off, off offset:216
	s_waitcnt vmcnt(1)
	scratch_store_dwordx2 off, v[2:3], off offset:216
	s_waitcnt vmcnt(1)
	scratch_store_dwordx2 off, v[4:5], s0
.LBB30_206:
	global_load_dword v0, v0, s[16:17] offset:104
	s_waitcnt vmcnt(0)
	v_readfirstlane_b32 s0, v0
	s_add_i32 s0, s0, -1
	s_cmp_eq_u32 s0, 26
	s_cbranch_scc1 .LBB30_208
; %bb.207:
	s_lshl_b32 s0, s0, 3
	s_nop 0
	scratch_load_dwordx2 v[0:1], off, s0
	scratch_load_dwordx2 v[2:3], off, off offset:208
	s_waitcnt vmcnt(1)
	scratch_store_dwordx2 off, v[0:1], off offset:208
	s_waitcnt vmcnt(1)
	scratch_store_dwordx2 off, v[2:3], s0
.LBB30_208:
	v_mov_b32_e32 v0, 0
	global_load_dword v1, v0, s[16:17] offset:100
	s_waitcnt vmcnt(0)
	v_readfirstlane_b32 s0, v1
	s_add_i32 s0, s0, -1
	s_cmp_eq_u32 s0, 25
	s_cbranch_scc1 .LBB30_210
; %bb.209:
	s_lshl_b32 s0, s0, 3
	s_nop 0
	scratch_load_dwordx2 v[2:3], off, s0
	scratch_load_dwordx2 v[4:5], off, off offset:200
	s_waitcnt vmcnt(1)
	scratch_store_dwordx2 off, v[2:3], off offset:200
	s_waitcnt vmcnt(1)
	scratch_store_dwordx2 off, v[4:5], s0
.LBB30_210:
	;; [unrolled: 33-line block ×14, first 2 shown]
	global_load_dword v2, v0, s[16:17]
	s_nop 0
	scratch_load_dwordx2 v[0:1], off, off
	s_waitcnt vmcnt(1)
	v_readfirstlane_b32 s0, v2
	s_add_i32 s0, s0, -1
	s_cmp_eq_u32 s0, 0
	s_cbranch_scc1 .LBB30_260
; %bb.259:
	s_lshl_b32 s0, s0, 3
	s_nop 0
	scratch_load_dwordx2 v[2:3], off, s0
	s_waitcnt vmcnt(0)
	scratch_store_dwordx2 off, v[2:3], off
	scratch_store_dwordx2 off, v[0:1], s0
	scratch_load_dwordx2 v[0:1], off, off
.LBB30_260:
	s_nop 0
	scratch_load_dwordx4 v[2:5], off, off offset:8
	scratch_load_dwordx4 v[6:9], off, off offset:24
	;; [unrolled: 1-line block ×15, first 2 shown]
	s_waitcnt vmcnt(15)
	global_store_dwordx2 v[110:111], v[0:1], off
	s_waitcnt vmcnt(15)
	global_store_dwordx2 v[112:113], v[2:3], off
	global_store_dwordx2 v[104:105], v[4:5], off
	s_waitcnt vmcnt(16)
	global_store_dwordx2 v[106:107], v[6:7], off
	;; [unrolled: 3-line block ×15, first 2 shown]
	global_store_dwordx2 v[100:101], v[60:61], off
	s_endpgm
	.section	.rodata,"a",@progbits
	.p2align	6, 0x0
	.amdhsa_kernel _ZN9rocsolver6v33100L18getri_kernel_smallILi31E19rocblas_complex_numIfEPS3_EEvT1_iilPiilS6_bb
		.amdhsa_group_segment_fixed_size 504
		.amdhsa_private_segment_fixed_size 256
		.amdhsa_kernarg_size 60
		.amdhsa_user_sgpr_count 2
		.amdhsa_user_sgpr_dispatch_ptr 0
		.amdhsa_user_sgpr_queue_ptr 0
		.amdhsa_user_sgpr_kernarg_segment_ptr 1
		.amdhsa_user_sgpr_dispatch_id 0
		.amdhsa_user_sgpr_kernarg_preload_length 0
		.amdhsa_user_sgpr_kernarg_preload_offset 0
		.amdhsa_user_sgpr_private_segment_size 0
		.amdhsa_uses_dynamic_stack 0
		.amdhsa_enable_private_segment 1
		.amdhsa_system_sgpr_workgroup_id_x 1
		.amdhsa_system_sgpr_workgroup_id_y 0
		.amdhsa_system_sgpr_workgroup_id_z 0
		.amdhsa_system_sgpr_workgroup_info 0
		.amdhsa_system_vgpr_workitem_id 0
		.amdhsa_next_free_vgpr 195
		.amdhsa_next_free_sgpr 20
		.amdhsa_accum_offset 196
		.amdhsa_reserve_vcc 1
		.amdhsa_float_round_mode_32 0
		.amdhsa_float_round_mode_16_64 0
		.amdhsa_float_denorm_mode_32 3
		.amdhsa_float_denorm_mode_16_64 3
		.amdhsa_dx10_clamp 1
		.amdhsa_ieee_mode 1
		.amdhsa_fp16_overflow 0
		.amdhsa_tg_split 0
		.amdhsa_exception_fp_ieee_invalid_op 0
		.amdhsa_exception_fp_denorm_src 0
		.amdhsa_exception_fp_ieee_div_zero 0
		.amdhsa_exception_fp_ieee_overflow 0
		.amdhsa_exception_fp_ieee_underflow 0
		.amdhsa_exception_fp_ieee_inexact 0
		.amdhsa_exception_int_div_zero 0
	.end_amdhsa_kernel
	.section	.text._ZN9rocsolver6v33100L18getri_kernel_smallILi31E19rocblas_complex_numIfEPS3_EEvT1_iilPiilS6_bb,"axG",@progbits,_ZN9rocsolver6v33100L18getri_kernel_smallILi31E19rocblas_complex_numIfEPS3_EEvT1_iilPiilS6_bb,comdat
.Lfunc_end30:
	.size	_ZN9rocsolver6v33100L18getri_kernel_smallILi31E19rocblas_complex_numIfEPS3_EEvT1_iilPiilS6_bb, .Lfunc_end30-_ZN9rocsolver6v33100L18getri_kernel_smallILi31E19rocblas_complex_numIfEPS3_EEvT1_iilPiilS6_bb
                                        ; -- End function
	.set _ZN9rocsolver6v33100L18getri_kernel_smallILi31E19rocblas_complex_numIfEPS3_EEvT1_iilPiilS6_bb.num_vgpr, 195
	.set _ZN9rocsolver6v33100L18getri_kernel_smallILi31E19rocblas_complex_numIfEPS3_EEvT1_iilPiilS6_bb.num_agpr, 0
	.set _ZN9rocsolver6v33100L18getri_kernel_smallILi31E19rocblas_complex_numIfEPS3_EEvT1_iilPiilS6_bb.numbered_sgpr, 20
	.set _ZN9rocsolver6v33100L18getri_kernel_smallILi31E19rocblas_complex_numIfEPS3_EEvT1_iilPiilS6_bb.num_named_barrier, 0
	.set _ZN9rocsolver6v33100L18getri_kernel_smallILi31E19rocblas_complex_numIfEPS3_EEvT1_iilPiilS6_bb.private_seg_size, 256
	.set _ZN9rocsolver6v33100L18getri_kernel_smallILi31E19rocblas_complex_numIfEPS3_EEvT1_iilPiilS6_bb.uses_vcc, 1
	.set _ZN9rocsolver6v33100L18getri_kernel_smallILi31E19rocblas_complex_numIfEPS3_EEvT1_iilPiilS6_bb.uses_flat_scratch, 0
	.set _ZN9rocsolver6v33100L18getri_kernel_smallILi31E19rocblas_complex_numIfEPS3_EEvT1_iilPiilS6_bb.has_dyn_sized_stack, 0
	.set _ZN9rocsolver6v33100L18getri_kernel_smallILi31E19rocblas_complex_numIfEPS3_EEvT1_iilPiilS6_bb.has_recursion, 0
	.set _ZN9rocsolver6v33100L18getri_kernel_smallILi31E19rocblas_complex_numIfEPS3_EEvT1_iilPiilS6_bb.has_indirect_call, 0
	.section	.AMDGPU.csdata,"",@progbits
; Kernel info:
; codeLenInByte = 33952
; TotalNumSgprs: 26
; NumVgprs: 195
; NumAgprs: 0
; TotalNumVgprs: 195
; ScratchSize: 256
; MemoryBound: 0
; FloatMode: 240
; IeeeMode: 1
; LDSByteSize: 504 bytes/workgroup (compile time only)
; SGPRBlocks: 3
; VGPRBlocks: 24
; NumSGPRsForWavesPerEU: 26
; NumVGPRsForWavesPerEU: 195
; AccumOffset: 196
; Occupancy: 2
; WaveLimiterHint : 1
; COMPUTE_PGM_RSRC2:SCRATCH_EN: 1
; COMPUTE_PGM_RSRC2:USER_SGPR: 2
; COMPUTE_PGM_RSRC2:TRAP_HANDLER: 0
; COMPUTE_PGM_RSRC2:TGID_X_EN: 1
; COMPUTE_PGM_RSRC2:TGID_Y_EN: 0
; COMPUTE_PGM_RSRC2:TGID_Z_EN: 0
; COMPUTE_PGM_RSRC2:TIDIG_COMP_CNT: 0
; COMPUTE_PGM_RSRC3_GFX90A:ACCUM_OFFSET: 48
; COMPUTE_PGM_RSRC3_GFX90A:TG_SPLIT: 0
	.section	.text._ZN9rocsolver6v33100L18getri_kernel_smallILi32E19rocblas_complex_numIfEPS3_EEvT1_iilPiilS6_bb,"axG",@progbits,_ZN9rocsolver6v33100L18getri_kernel_smallILi32E19rocblas_complex_numIfEPS3_EEvT1_iilPiilS6_bb,comdat
	.globl	_ZN9rocsolver6v33100L18getri_kernel_smallILi32E19rocblas_complex_numIfEPS3_EEvT1_iilPiilS6_bb ; -- Begin function _ZN9rocsolver6v33100L18getri_kernel_smallILi32E19rocblas_complex_numIfEPS3_EEvT1_iilPiilS6_bb
	.p2align	8
	.type	_ZN9rocsolver6v33100L18getri_kernel_smallILi32E19rocblas_complex_numIfEPS3_EEvT1_iilPiilS6_bb,@function
_ZN9rocsolver6v33100L18getri_kernel_smallILi32E19rocblas_complex_numIfEPS3_EEvT1_iilPiilS6_bb: ; @_ZN9rocsolver6v33100L18getri_kernel_smallILi32E19rocblas_complex_numIfEPS3_EEvT1_iilPiilS6_bb
; %bb.0:
	v_cmp_gt_u32_e32 vcc, 32, v0
	s_and_saveexec_b64 s[4:5], vcc
	s_cbranch_execz .LBB31_142
; %bb.1:
	s_load_dword s8, s[0:1], 0x38
	s_load_dwordx4 s[12:15], s[0:1], 0x10
	s_load_dwordx4 s[4:7], s[0:1], 0x28
                                        ; implicit-def: $sgpr16_sgpr17
	s_waitcnt lgkmcnt(0)
	s_bitcmp1_b32 s8, 8
	s_cselect_b64 s[18:19], -1, 0
	s_ashr_i32 s3, s2, 31
	s_bfe_u32 s8, s8, 0x10008
	s_cmp_eq_u32 s8, 0
	s_cbranch_scc1 .LBB31_3
; %bb.2:
	s_load_dword s8, s[0:1], 0x20
	s_mul_i32 s9, s4, s3
	s_mul_hi_u32 s10, s4, s2
	s_mul_i32 s5, s5, s2
	s_add_i32 s10, s10, s9
	s_add_i32 s5, s10, s5
	s_mul_i32 s4, s4, s2
	s_waitcnt lgkmcnt(0)
	s_ashr_i32 s9, s8, 31
	s_lshl_b64 s[4:5], s[4:5], 2
	s_add_u32 s10, s14, s4
	s_addc_u32 s11, s15, s5
	s_lshl_b64 s[4:5], s[8:9], 2
	s_add_u32 s16, s10, s4
	s_addc_u32 s17, s11, s5
.LBB31_3:
	s_load_dwordx4 s[8:11], s[0:1], 0x0
	s_load_dword s4, s[0:1], 0x38
	s_mul_i32 s5, s12, s3
	s_mul_hi_u32 s14, s12, s2
	s_add_i32 s5, s14, s5
	s_waitcnt lgkmcnt(0)
	s_ashr_i32 s1, s10, 31
	s_mov_b32 s0, s10
	s_mul_i32 s10, s13, s2
	s_add_i32 s13, s5, s10
	s_mul_i32 s12, s12, s2
	s_lshl_b64 s[12:13], s[12:13], 3
	s_add_u32 s5, s8, s12
	s_addc_u32 s8, s9, s13
	s_lshl_b64 s[0:1], s[0:1], 3
	s_add_u32 s0, s5, s0
	s_addc_u32 s1, s8, s1
	s_add_i32 s5, s11, s11
	v_add_u32_e32 v4, s5, v0
	v_ashrrev_i32_e32 v5, 31, v4
	v_lshl_add_u64 v[106:107], v[4:5], 3, s[0:1]
	v_add_u32_e32 v4, s11, v4
	v_ashrrev_i32_e32 v5, 31, v4
	v_lshl_add_u64 v[108:109], v[4:5], 3, s[0:1]
	v_add_u32_e32 v4, s11, v4
	v_ashrrev_i32_e32 v5, 31, v4
	v_lshl_add_u64 v[110:111], v[4:5], 3, s[0:1]
	v_add_u32_e32 v4, s11, v4
	v_ashrrev_i32_e32 v5, 31, v4
	v_lshl_add_u64 v[112:113], v[4:5], 3, s[0:1]
	v_add_u32_e32 v4, s11, v4
	v_ashrrev_i32_e32 v5, 31, v4
	v_lshl_add_u64 v[114:115], v[4:5], 3, s[0:1]
	v_add_u32_e32 v4, s11, v4
	v_ashrrev_i32_e32 v5, 31, v4
	v_lshl_add_u64 v[116:117], v[4:5], 3, s[0:1]
	v_add_u32_e32 v4, s11, v4
	v_ashrrev_i32_e32 v5, 31, v4
	v_lshl_add_u64 v[118:119], v[4:5], 3, s[0:1]
	v_add_u32_e32 v4, s11, v4
	v_ashrrev_i32_e32 v5, 31, v4
	v_lshl_add_u64 v[120:121], v[4:5], 3, s[0:1]
	v_add_u32_e32 v4, s11, v4
	v_ashrrev_i32_e32 v5, 31, v4
	v_lshl_add_u64 v[122:123], v[4:5], 3, s[0:1]
	v_add_u32_e32 v4, s11, v4
	v_ashrrev_i32_e32 v5, 31, v4
	v_lshl_add_u64 v[124:125], v[4:5], 3, s[0:1]
	v_add_u32_e32 v4, s11, v4
	v_ashrrev_i32_e32 v5, 31, v4
	v_lshl_add_u64 v[126:127], v[4:5], 3, s[0:1]
	v_add_u32_e32 v4, s11, v4
	v_ashrrev_i32_e32 v5, 31, v4
	v_lshl_add_u64 v[128:129], v[4:5], 3, s[0:1]
	v_add_u32_e32 v4, s11, v4
	v_ashrrev_i32_e32 v5, 31, v4
	v_lshl_add_u64 v[130:131], v[4:5], 3, s[0:1]
	v_add_u32_e32 v4, s11, v4
	v_ashrrev_i32_e32 v5, 31, v4
	v_lshl_add_u64 v[132:133], v[4:5], 3, s[0:1]
	v_add_u32_e32 v4, s11, v4
	v_ashrrev_i32_e32 v5, 31, v4
	v_lshl_add_u64 v[134:135], v[4:5], 3, s[0:1]
	v_add_u32_e32 v4, s11, v4
	v_ashrrev_i32_e32 v5, 31, v4
	v_lshl_add_u64 v[136:137], v[4:5], 3, s[0:1]
	v_add_u32_e32 v4, s11, v4
	v_ashrrev_i32_e32 v5, 31, v4
	v_lshl_add_u64 v[138:139], v[4:5], 3, s[0:1]
	v_add_u32_e32 v4, s11, v4
	v_ashrrev_i32_e32 v5, 31, v4
	v_lshl_add_u64 v[140:141], v[4:5], 3, s[0:1]
	v_add_u32_e32 v4, s11, v4
	v_ashrrev_i32_e32 v5, 31, v4
	v_lshl_add_u64 v[142:143], v[4:5], 3, s[0:1]
	v_add_u32_e32 v4, s11, v4
	v_ashrrev_i32_e32 v5, 31, v4
	v_lshl_add_u64 v[144:145], v[4:5], 3, s[0:1]
	v_add_u32_e32 v4, s11, v4
	v_ashrrev_i32_e32 v5, 31, v4
	v_lshl_add_u64 v[146:147], v[4:5], 3, s[0:1]
	v_add_u32_e32 v4, s11, v4
	v_ashrrev_i32_e32 v5, 31, v4
	v_lshl_add_u64 v[148:149], v[4:5], 3, s[0:1]
	v_add_u32_e32 v4, s11, v4
	v_ashrrev_i32_e32 v5, 31, v4
	v_lshl_add_u64 v[150:151], v[4:5], 3, s[0:1]
	v_add_u32_e32 v4, s11, v4
	v_ashrrev_i32_e32 v5, 31, v4
	v_lshl_add_u64 v[152:153], v[4:5], 3, s[0:1]
	v_add_u32_e32 v4, s11, v4
	v_ashrrev_i32_e32 v5, 31, v4
	v_lshl_add_u64 v[154:155], v[4:5], 3, s[0:1]
	v_add_u32_e32 v4, s11, v4
	v_ashrrev_i32_e32 v5, 31, v4
	v_lshl_add_u64 v[156:157], v[4:5], 3, s[0:1]
	v_add_u32_e32 v4, s11, v4
	v_ashrrev_i32_e32 v5, 31, v4
	v_lshl_add_u64 v[158:159], v[4:5], 3, s[0:1]
	v_add_u32_e32 v4, s11, v4
	v_ashrrev_i32_e32 v5, 31, v4
	v_lshl_add_u64 v[160:161], v[4:5], 3, s[0:1]
	v_add_u32_e32 v4, s11, v4
	v_lshlrev_b32_e32 v2, 3, v0
	v_mov_b32_e32 v3, 0
	v_ashrrev_i32_e32 v5, 31, v4
	v_lshl_add_u64 v[102:103], s[0:1], 0, v[2:3]
	s_ashr_i32 s9, s11, 31
	s_mov_b32 s8, s11
	v_lshl_add_u64 v[162:163], v[4:5], 3, s[0:1]
	v_add_u32_e32 v4, s11, v4
	v_lshl_add_u64 v[104:105], s[8:9], 3, v[102:103]
	v_ashrrev_i32_e32 v5, 31, v4
	global_load_dwordx2 v[6:7], v2, s[0:1]
	global_load_dwordx2 v[8:9], v[104:105], off
	global_load_dwordx2 v[10:11], v[106:107], off
	;; [unrolled: 1-line block ×28, first 2 shown]
	v_lshl_add_u64 v[164:165], v[4:5], 3, s[0:1]
	global_load_dwordx2 v[64:65], v[160:161], off
	global_load_dwordx2 v[66:67], v[162:163], off
	;; [unrolled: 1-line block ×3, first 2 shown]
	s_bitcmp0_b32 s4, 0
	s_mov_b64 s[4:5], -1
	s_waitcnt vmcnt(30)
	scratch_store_dwordx4 off, v[6:9], off
	s_waitcnt vmcnt(29)
	scratch_store_dwordx4 off, v[10:13], off offset:16
	s_waitcnt vmcnt(28)
	scratch_store_dwordx4 off, v[14:17], off offset:32
	;; [unrolled: 2-line block ×15, first 2 shown]
	s_cbranch_scc1 .LBB31_140
; %bb.4:
	v_cmp_eq_u32_e64 s[0:1], 0, v0
	s_and_saveexec_b64 s[4:5], s[0:1]
; %bb.5:
	v_mov_b32_e32 v1, 0
	ds_write_b32 v1, v1 offset:512
; %bb.6:
	s_or_b64 exec, exec, s[4:5]
	s_waitcnt lgkmcnt(0)
	; wave barrier
	scratch_load_dwordx2 v[4:5], v2, off
	s_waitcnt vmcnt(0)
	v_cmp_eq_f32_e32 vcc, 0, v4
	v_cmp_eq_f32_e64 s[4:5], 0, v5
	s_and_b64 s[4:5], vcc, s[4:5]
	s_and_saveexec_b64 s[8:9], s[4:5]
	s_cbranch_execz .LBB31_10
; %bb.7:
	v_mov_b32_e32 v1, 0
	ds_read_b32 v4, v1 offset:512
	v_add_u32_e32 v3, 1, v0
	s_waitcnt lgkmcnt(0)
	v_readfirstlane_b32 s4, v4
	s_cmp_eq_u32 s4, 0
	s_cselect_b64 s[10:11], -1, 0
	v_cmp_gt_i32_e32 vcc, s4, v3
	s_or_b64 s[10:11], s[10:11], vcc
	s_and_b64 exec, exec, s[10:11]
	s_cbranch_execz .LBB31_10
; %bb.8:
	s_mov_b64 s[10:11], 0
	v_mov_b32_e32 v4, s4
.LBB31_9:                               ; =>This Inner Loop Header: Depth=1
	ds_cmpst_rtn_b32 v4, v1, v4, v3 offset:512
	s_waitcnt lgkmcnt(0)
	v_cmp_ne_u32_e32 vcc, 0, v4
	v_cmp_le_i32_e64 s[4:5], v4, v3
	s_and_b64 s[4:5], vcc, s[4:5]
	s_and_b64 s[4:5], exec, s[4:5]
	s_or_b64 s[10:11], s[4:5], s[10:11]
	s_andn2_b64 exec, exec, s[10:11]
	s_cbranch_execnz .LBB31_9
.LBB31_10:
	s_or_b64 exec, exec, s[8:9]
	v_mov_b32_e32 v3, 0
	; wave barrier
	ds_read_b32 v1, v3 offset:512
	s_and_saveexec_b64 s[4:5], s[0:1]
	s_cbranch_execz .LBB31_12
; %bb.11:
	s_lshl_b64 s[8:9], s[2:3], 2
	s_add_u32 s8, s6, s8
	s_addc_u32 s9, s7, s9
	s_waitcnt lgkmcnt(0)
	global_store_dword v3, v1, s[8:9]
.LBB31_12:
	s_or_b64 exec, exec, s[4:5]
	s_waitcnt lgkmcnt(0)
	v_cmp_ne_u32_e32 vcc, 0, v1
	s_mov_b64 s[4:5], 0
	s_cbranch_vccnz .LBB31_140
; %bb.13:
	v_mov_b32_e32 v3, v2
	scratch_load_dwordx2 v[4:5], v3, off
                                        ; implicit-def: $vgpr7
                                        ; implicit-def: $vgpr8
	s_waitcnt vmcnt(0)
	v_cmp_ngt_f32_e64 s[4:5], |v4|, |v5|
	s_and_saveexec_b64 s[8:9], s[4:5]
	s_xor_b64 s[4:5], exec, s[8:9]
	s_cbranch_execz .LBB31_15
; %bb.14:
	v_div_scale_f32 v1, s[8:9], v5, v5, v4
	v_rcp_f32_e32 v6, v1
	v_div_scale_f32 v7, vcc, v4, v5, v4
	v_fma_f32 v8, -v1, v6, 1.0
	v_fmac_f32_e32 v6, v8, v6
	v_mul_f32_e32 v8, v7, v6
	v_fma_f32 v9, -v1, v8, v7
	v_fmac_f32_e32 v8, v9, v6
	v_fma_f32 v1, -v1, v8, v7
	v_div_fmas_f32 v1, v1, v6, v8
	v_div_fixup_f32 v1, v1, v5, v4
	v_fmac_f32_e32 v5, v4, v1
	v_div_scale_f32 v4, s[8:9], v5, v5, -1.0
	v_rcp_f32_e32 v6, v4
	s_nop 0
	v_fma_f32 v7, -v4, v6, 1.0
	v_fmac_f32_e32 v6, v7, v6
	v_div_scale_f32 v7, vcc, -1.0, v5, -1.0
	v_mul_f32_e32 v8, v7, v6
	v_fma_f32 v9, -v4, v8, v7
	v_fmac_f32_e32 v8, v9, v6
	v_fma_f32 v4, -v4, v8, v7
	v_div_fmas_f32 v4, v4, v6, v8
	v_div_fixup_f32 v7, v4, v5, -1.0
	v_mul_f32_e32 v8, v1, v7
	v_xor_b32_e32 v6, 0x80000000, v8
                                        ; implicit-def: $vgpr4_vgpr5
.LBB31_15:
	s_andn2_saveexec_b64 s[4:5], s[4:5]
	s_cbranch_execz .LBB31_17
; %bb.16:
	v_div_scale_f32 v1, s[8:9], v4, v4, v5
	v_rcp_f32_e32 v6, v1
	v_div_scale_f32 v7, vcc, v5, v4, v5
	v_fma_f32 v8, -v1, v6, 1.0
	v_fmac_f32_e32 v6, v8, v6
	v_mul_f32_e32 v8, v7, v6
	v_fma_f32 v9, -v1, v8, v7
	v_fmac_f32_e32 v8, v9, v6
	v_fma_f32 v1, -v1, v8, v7
	v_div_fmas_f32 v1, v1, v6, v8
	v_div_fixup_f32 v1, v1, v4, v5
	v_fmac_f32_e32 v4, v5, v1
	v_div_scale_f32 v5, s[8:9], v4, v4, 1.0
	v_rcp_f32_e32 v6, v5
	s_nop 0
	v_fma_f32 v7, -v5, v6, 1.0
	v_fmac_f32_e32 v6, v7, v6
	v_div_scale_f32 v7, vcc, 1.0, v4, 1.0
	v_mul_f32_e32 v8, v7, v6
	v_fma_f32 v9, -v5, v8, v7
	v_fmac_f32_e32 v8, v9, v6
	v_fma_f32 v5, -v5, v8, v7
	v_div_fmas_f32 v5, v5, v6, v8
	v_div_fixup_f32 v6, v5, v4, 1.0
	v_xor_b32_e32 v8, 0x80000000, v6
	v_mul_f32_e64 v7, v1, -v6
.LBB31_17:
	s_or_b64 exec, exec, s[4:5]
	scratch_store_dwordx2 v3, v[6:7], off
	scratch_load_dwordx2 v[4:5], off, off offset:8
	v_xor_b32_e32 v9, 0x80000000, v7
	v_add_u32_e32 v1, 0x100, v2
	s_waitcnt vmcnt(0)
	ds_write2_b64 v2, v[8:9], v[4:5] offset1:32
	s_waitcnt lgkmcnt(0)
	; wave barrier
	s_and_saveexec_b64 s[4:5], s[0:1]
	s_cbranch_execz .LBB31_19
; %bb.18:
	scratch_load_dwordx2 v[4:5], v3, off
	ds_read_b64 v[6:7], v1
	v_mov_b32_e32 v8, 0
	ds_read_b64 v[8:9], v8 offset:8
	s_waitcnt vmcnt(0) lgkmcnt(1)
	v_pk_mul_f32 v[10:11], v[6:7], v[4:5] op_sel:[1,1] op_sel_hi:[0,1]
	v_pk_fma_f32 v[12:13], v[6:7], v[4:5], v[10:11] neg_lo:[0,0,1] neg_hi:[0,0,1]
	v_pk_fma_f32 v[4:5], v[6:7], v[4:5], v[10:11] op_sel_hi:[1,0,1]
	s_nop 0
	v_mov_b32_e32 v13, v5
	v_pk_add_f32 v[4:5], v[12:13], 0 op_sel_hi:[1,0]
	s_waitcnt lgkmcnt(0)
	v_pk_mul_f32 v[6:7], v[4:5], v[8:9] op_sel:[1,1] op_sel_hi:[0,1]
	v_pk_fma_f32 v[10:11], v[4:5], v[8:9], v[6:7] neg_lo:[0,0,1] neg_hi:[0,0,1]
	v_pk_fma_f32 v[4:5], v[4:5], v[8:9], v[6:7] op_sel_hi:[1,0,1]
	s_nop 0
	v_mov_b32_e32 v11, v5
	scratch_store_dwordx2 off, v[10:11], off offset:8
.LBB31_19:
	s_or_b64 exec, exec, s[4:5]
	; wave barrier
	scratch_load_dwordx2 v[4:5], off, off offset:16
	v_cmp_gt_u32_e32 vcc, 2, v0
	s_waitcnt vmcnt(0)
	ds_write_b64 v1, v[4:5]
	s_waitcnt lgkmcnt(0)
	; wave barrier
	s_and_saveexec_b64 s[4:5], vcc
	s_cbranch_execz .LBB31_23
; %bb.20:
	scratch_load_dwordx2 v[4:5], v3, off
	ds_read_b64 v[6:7], v1
	s_waitcnt vmcnt(0) lgkmcnt(0)
	v_pk_mul_f32 v[8:9], v[6:7], v[4:5] op_sel:[1,1] op_sel_hi:[0,1]
	v_pk_fma_f32 v[10:11], v[6:7], v[4:5], v[8:9] neg_lo:[0,0,1] neg_hi:[0,0,1]
	v_pk_fma_f32 v[4:5], v[6:7], v[4:5], v[8:9] op_sel_hi:[1,0,1]
	s_nop 0
	v_mov_b32_e32 v11, v5
	v_pk_add_f32 v[4:5], v[10:11], 0 op_sel_hi:[1,0]
	s_and_saveexec_b64 s[8:9], s[0:1]
	s_cbranch_execz .LBB31_22
; %bb.21:
	scratch_load_dwordx2 v[6:7], off, off offset:8
	v_mov_b32_e32 v3, 0
	ds_read_b64 v[8:9], v3 offset:264
	s_waitcnt vmcnt(0) lgkmcnt(0)
	v_pk_mul_f32 v[10:11], v[8:9], v[6:7] op_sel:[1,1] op_sel_hi:[0,1]
	v_pk_fma_f32 v[12:13], v[8:9], v[6:7], v[10:11] neg_lo:[0,0,1] neg_hi:[0,0,1]
	v_pk_fma_f32 v[6:7], v[8:9], v[6:7], v[10:11] op_sel_hi:[1,0,1]
	s_nop 0
	v_mov_b32_e32 v13, v7
	v_pk_add_f32 v[4:5], v[4:5], v[12:13]
.LBB31_22:
	s_or_b64 exec, exec, s[8:9]
	v_mov_b32_e32 v3, 0
	ds_read_b64 v[6:7], v3 offset:16
	s_waitcnt lgkmcnt(0)
	v_pk_mul_f32 v[8:9], v[4:5], v[6:7] op_sel:[1,1] op_sel_hi:[0,1]
	v_pk_fma_f32 v[10:11], v[4:5], v[6:7], v[8:9] neg_lo:[0,0,1] neg_hi:[0,0,1]
	v_pk_fma_f32 v[4:5], v[4:5], v[6:7], v[8:9] op_sel_hi:[1,0,1]
	s_nop 0
	v_mov_b32_e32 v11, v5
	scratch_store_dwordx2 off, v[10:11], off offset:16
.LBB31_23:
	s_or_b64 exec, exec, s[4:5]
	; wave barrier
	scratch_load_dwordx2 v[4:5], off, off offset:24
	v_cmp_gt_u32_e32 vcc, 3, v0
	v_add_u32_e32 v6, -1, v0
	s_waitcnt vmcnt(0)
	ds_write_b64 v1, v[4:5]
	s_waitcnt lgkmcnt(0)
	; wave barrier
	s_and_saveexec_b64 s[0:1], vcc
	s_cbranch_execz .LBB31_27
; %bb.24:
	v_mov_b32_e32 v4, 0
	v_add_u32_e32 v3, -1, v0
	v_add_u32_e32 v7, 0x100, v2
	v_mov_b32_e32 v8, v2
	s_mov_b64 s[4:5], 0
	v_mov_b32_e32 v5, v4
.LBB31_25:                              ; =>This Inner Loop Header: Depth=1
	scratch_load_dwordx2 v[10:11], v8, off
	ds_read_b64 v[12:13], v7
	v_add_u32_e32 v3, 1, v3
	v_cmp_lt_u32_e32 vcc, 1, v3
	v_add_u32_e32 v7, 8, v7
	v_add_u32_e32 v8, 8, v8
	s_or_b64 s[4:5], vcc, s[4:5]
	s_waitcnt vmcnt(0) lgkmcnt(0)
	v_pk_mul_f32 v[14:15], v[12:13], v[10:11] op_sel:[1,1] op_sel_hi:[0,1]
	v_pk_fma_f32 v[16:17], v[12:13], v[10:11], v[14:15] neg_lo:[0,0,1] neg_hi:[0,0,1]
	v_pk_fma_f32 v[10:11], v[12:13], v[10:11], v[14:15] op_sel_hi:[1,0,1]
	s_nop 0
	v_mov_b32_e32 v17, v11
	v_pk_add_f32 v[4:5], v[4:5], v[16:17]
	s_andn2_b64 exec, exec, s[4:5]
	s_cbranch_execnz .LBB31_25
; %bb.26:
	s_or_b64 exec, exec, s[4:5]
	v_mov_b32_e32 v3, 0
	ds_read_b64 v[8:9], v3 offset:24
	s_waitcnt lgkmcnt(0)
	v_pk_mul_f32 v[10:11], v[4:5], v[8:9] op_sel:[1,1] op_sel_hi:[0,1]
	v_pk_fma_f32 v[12:13], v[4:5], v[8:9], v[10:11] neg_lo:[0,0,1] neg_hi:[0,0,1]
	v_pk_fma_f32 v[4:5], v[4:5], v[8:9], v[10:11] op_sel_hi:[1,0,1]
	s_nop 0
	v_mov_b32_e32 v13, v5
	scratch_store_dwordx2 off, v[12:13], off offset:24
.LBB31_27:
	s_or_b64 exec, exec, s[0:1]
	; wave barrier
	scratch_load_dwordx2 v[4:5], off, off offset:32
	v_cmp_gt_u32_e32 vcc, 4, v0
	s_waitcnt vmcnt(0)
	ds_write_b64 v1, v[4:5]
	s_waitcnt lgkmcnt(0)
	; wave barrier
	s_and_saveexec_b64 s[0:1], vcc
	s_cbranch_execz .LBB31_31
; %bb.28:
	v_mov_b32_e32 v4, 0
	v_add_u32_e32 v3, -1, v0
	v_add_u32_e32 v7, 0x100, v2
	v_mov_b32_e32 v8, v2
	s_mov_b64 s[4:5], 0
	v_mov_b32_e32 v5, v4
.LBB31_29:                              ; =>This Inner Loop Header: Depth=1
	scratch_load_dwordx2 v[10:11], v8, off
	ds_read_b64 v[12:13], v7
	v_add_u32_e32 v3, 1, v3
	v_cmp_lt_u32_e32 vcc, 2, v3
	v_add_u32_e32 v7, 8, v7
	v_add_u32_e32 v8, 8, v8
	s_or_b64 s[4:5], vcc, s[4:5]
	s_waitcnt vmcnt(0) lgkmcnt(0)
	v_pk_mul_f32 v[14:15], v[12:13], v[10:11] op_sel:[1,1] op_sel_hi:[0,1]
	v_pk_fma_f32 v[16:17], v[12:13], v[10:11], v[14:15] neg_lo:[0,0,1] neg_hi:[0,0,1]
	v_pk_fma_f32 v[10:11], v[12:13], v[10:11], v[14:15] op_sel_hi:[1,0,1]
	s_nop 0
	v_mov_b32_e32 v17, v11
	v_pk_add_f32 v[4:5], v[4:5], v[16:17]
	s_andn2_b64 exec, exec, s[4:5]
	s_cbranch_execnz .LBB31_29
; %bb.30:
	s_or_b64 exec, exec, s[4:5]
	v_mov_b32_e32 v3, 0
	ds_read_b64 v[8:9], v3 offset:32
	s_waitcnt lgkmcnt(0)
	v_pk_mul_f32 v[10:11], v[4:5], v[8:9] op_sel:[1,1] op_sel_hi:[0,1]
	v_pk_fma_f32 v[12:13], v[4:5], v[8:9], v[10:11] neg_lo:[0,0,1] neg_hi:[0,0,1]
	v_pk_fma_f32 v[4:5], v[4:5], v[8:9], v[10:11] op_sel_hi:[1,0,1]
	s_nop 0
	v_mov_b32_e32 v13, v5
	scratch_store_dwordx2 off, v[12:13], off offset:32
.LBB31_31:
	s_or_b64 exec, exec, s[0:1]
	; wave barrier
	scratch_load_dwordx2 v[4:5], off, off offset:40
	v_cmp_gt_u32_e32 vcc, 5, v0
	;; [unrolled: 46-line block ×19, first 2 shown]
	s_waitcnt vmcnt(0)
	ds_write_b64 v1, v[4:5]
	s_waitcnt lgkmcnt(0)
	; wave barrier
	s_and_saveexec_b64 s[0:1], vcc
	s_cbranch_execz .LBB31_103
; %bb.100:
	v_mov_b32_e32 v4, 0
	v_add_u32_e32 v3, -1, v0
	v_add_u32_e32 v7, 0x100, v2
	v_mov_b32_e32 v8, v2
	s_mov_b64 s[4:5], 0
	v_mov_b32_e32 v5, v4
.LBB31_101:                             ; =>This Inner Loop Header: Depth=1
	scratch_load_dwordx2 v[10:11], v8, off
	ds_read_b64 v[12:13], v7
	v_add_u32_e32 v3, 1, v3
	v_cmp_lt_u32_e32 vcc, 20, v3
	v_add_u32_e32 v7, 8, v7
	v_add_u32_e32 v8, 8, v8
	s_or_b64 s[4:5], vcc, s[4:5]
	s_waitcnt vmcnt(0) lgkmcnt(0)
	v_pk_mul_f32 v[14:15], v[12:13], v[10:11] op_sel:[1,1] op_sel_hi:[0,1]
	v_pk_fma_f32 v[16:17], v[12:13], v[10:11], v[14:15] neg_lo:[0,0,1] neg_hi:[0,0,1]
	v_pk_fma_f32 v[10:11], v[12:13], v[10:11], v[14:15] op_sel_hi:[1,0,1]
	s_nop 0
	v_mov_b32_e32 v17, v11
	v_pk_add_f32 v[4:5], v[4:5], v[16:17]
	s_andn2_b64 exec, exec, s[4:5]
	s_cbranch_execnz .LBB31_101
; %bb.102:
	s_or_b64 exec, exec, s[4:5]
	v_mov_b32_e32 v3, 0
	ds_read_b64 v[8:9], v3 offset:176
	s_waitcnt lgkmcnt(0)
	v_pk_mul_f32 v[10:11], v[4:5], v[8:9] op_sel:[1,1] op_sel_hi:[0,1]
	v_pk_fma_f32 v[12:13], v[4:5], v[8:9], v[10:11] neg_lo:[0,0,1] neg_hi:[0,0,1]
	v_pk_fma_f32 v[4:5], v[4:5], v[8:9], v[10:11] op_sel_hi:[1,0,1]
	s_nop 0
	v_mov_b32_e32 v13, v5
	scratch_store_dwordx2 off, v[12:13], off offset:176
.LBB31_103:
	s_or_b64 exec, exec, s[0:1]
	; wave barrier
	scratch_load_dwordx2 v[4:5], off, off offset:184
	v_cmp_gt_u32_e32 vcc, 23, v0
	s_waitcnt vmcnt(0)
	ds_write_b64 v1, v[4:5]
	s_waitcnt lgkmcnt(0)
	; wave barrier
	s_and_saveexec_b64 s[0:1], vcc
	s_cbranch_execz .LBB31_107
; %bb.104:
	v_mov_b32_e32 v4, 0
	v_add_u32_e32 v3, -1, v0
	v_add_u32_e32 v7, 0x100, v2
	v_mov_b32_e32 v8, v2
	s_mov_b64 s[4:5], 0
	v_mov_b32_e32 v5, v4
.LBB31_105:                             ; =>This Inner Loop Header: Depth=1
	scratch_load_dwordx2 v[10:11], v8, off
	ds_read_b64 v[12:13], v7
	v_add_u32_e32 v3, 1, v3
	v_cmp_lt_u32_e32 vcc, 21, v3
	v_add_u32_e32 v7, 8, v7
	v_add_u32_e32 v8, 8, v8
	s_or_b64 s[4:5], vcc, s[4:5]
	s_waitcnt vmcnt(0) lgkmcnt(0)
	v_pk_mul_f32 v[14:15], v[12:13], v[10:11] op_sel:[1,1] op_sel_hi:[0,1]
	v_pk_fma_f32 v[16:17], v[12:13], v[10:11], v[14:15] neg_lo:[0,0,1] neg_hi:[0,0,1]
	v_pk_fma_f32 v[10:11], v[12:13], v[10:11], v[14:15] op_sel_hi:[1,0,1]
	s_nop 0
	v_mov_b32_e32 v17, v11
	v_pk_add_f32 v[4:5], v[4:5], v[16:17]
	s_andn2_b64 exec, exec, s[4:5]
	s_cbranch_execnz .LBB31_105
; %bb.106:
	s_or_b64 exec, exec, s[4:5]
	v_mov_b32_e32 v3, 0
	ds_read_b64 v[8:9], v3 offset:184
	s_waitcnt lgkmcnt(0)
	v_pk_mul_f32 v[10:11], v[4:5], v[8:9] op_sel:[1,1] op_sel_hi:[0,1]
	v_pk_fma_f32 v[12:13], v[4:5], v[8:9], v[10:11] neg_lo:[0,0,1] neg_hi:[0,0,1]
	v_pk_fma_f32 v[4:5], v[4:5], v[8:9], v[10:11] op_sel_hi:[1,0,1]
	s_nop 0
	v_mov_b32_e32 v13, v5
	scratch_store_dwordx2 off, v[12:13], off offset:184
.LBB31_107:
	s_or_b64 exec, exec, s[0:1]
	; wave barrier
	scratch_load_dwordx2 v[4:5], off, off offset:192
	v_cmp_gt_u32_e32 vcc, 24, v0
	;; [unrolled: 46-line block ×8, first 2 shown]
	s_waitcnt vmcnt(0)
	ds_write_b64 v1, v[4:5]
	s_waitcnt lgkmcnt(0)
	; wave barrier
	s_and_saveexec_b64 s[0:1], vcc
	s_cbranch_execz .LBB31_135
; %bb.132:
	v_mov_b32_e32 v4, 0
	v_add_u32_e32 v3, -1, v0
	v_add_u32_e32 v7, 0x100, v2
	v_mov_b32_e32 v8, v2
	s_mov_b64 s[4:5], 0
	v_mov_b32_e32 v5, v4
.LBB31_133:                             ; =>This Inner Loop Header: Depth=1
	scratch_load_dwordx2 v[10:11], v8, off
	ds_read_b64 v[12:13], v7
	v_add_u32_e32 v3, 1, v3
	v_cmp_lt_u32_e32 vcc, 28, v3
	v_add_u32_e32 v7, 8, v7
	v_add_u32_e32 v8, 8, v8
	s_or_b64 s[4:5], vcc, s[4:5]
	s_waitcnt vmcnt(0) lgkmcnt(0)
	v_pk_mul_f32 v[14:15], v[12:13], v[10:11] op_sel:[1,1] op_sel_hi:[0,1]
	v_pk_fma_f32 v[16:17], v[12:13], v[10:11], v[14:15] neg_lo:[0,0,1] neg_hi:[0,0,1]
	v_pk_fma_f32 v[10:11], v[12:13], v[10:11], v[14:15] op_sel_hi:[1,0,1]
	s_nop 0
	v_mov_b32_e32 v17, v11
	v_pk_add_f32 v[4:5], v[4:5], v[16:17]
	s_andn2_b64 exec, exec, s[4:5]
	s_cbranch_execnz .LBB31_133
; %bb.134:
	s_or_b64 exec, exec, s[4:5]
	v_mov_b32_e32 v3, 0
	ds_read_b64 v[8:9], v3 offset:240
	s_waitcnt lgkmcnt(0)
	v_pk_mul_f32 v[10:11], v[4:5], v[8:9] op_sel:[1,1] op_sel_hi:[0,1]
	v_pk_fma_f32 v[12:13], v[4:5], v[8:9], v[10:11] neg_lo:[0,0,1] neg_hi:[0,0,1]
	v_pk_fma_f32 v[4:5], v[4:5], v[8:9], v[10:11] op_sel_hi:[1,0,1]
	s_nop 0
	v_mov_b32_e32 v13, v5
	scratch_store_dwordx2 off, v[12:13], off offset:240
.LBB31_135:
	s_or_b64 exec, exec, s[0:1]
	; wave barrier
	scratch_load_dwordx2 v[4:5], off, off offset:248
	v_cmp_ne_u32_e32 vcc, 31, v0
	s_waitcnt vmcnt(0)
	ds_write_b64 v1, v[4:5]
	s_waitcnt lgkmcnt(0)
	; wave barrier
	s_and_saveexec_b64 s[0:1], vcc
	s_cbranch_execz .LBB31_139
; %bb.136:
	v_add_u32_e32 v1, 0x100, v2
	v_mov_b32_e32 v4, v2
	v_mov_b32_e32 v2, 0
	s_mov_b64 s[4:5], 0
	v_mov_b32_e32 v3, v2
.LBB31_137:                             ; =>This Inner Loop Header: Depth=1
	scratch_load_dwordx2 v[8:9], v4, off
	ds_read_b64 v[10:11], v1
	v_add_u32_e32 v6, 1, v6
	v_cmp_lt_u32_e32 vcc, 29, v6
	v_add_u32_e32 v1, 8, v1
	v_add_u32_e32 v4, 8, v4
	s_or_b64 s[4:5], vcc, s[4:5]
	s_waitcnt vmcnt(0) lgkmcnt(0)
	v_pk_mul_f32 v[12:13], v[10:11], v[8:9] op_sel:[1,1] op_sel_hi:[0,1]
	v_pk_fma_f32 v[14:15], v[10:11], v[8:9], v[12:13] neg_lo:[0,0,1] neg_hi:[0,0,1]
	v_pk_fma_f32 v[8:9], v[10:11], v[8:9], v[12:13] op_sel_hi:[1,0,1]
	s_nop 0
	v_mov_b32_e32 v15, v9
	v_pk_add_f32 v[2:3], v[2:3], v[14:15]
	s_andn2_b64 exec, exec, s[4:5]
	s_cbranch_execnz .LBB31_137
; %bb.138:
	s_or_b64 exec, exec, s[4:5]
	v_mov_b32_e32 v1, 0
	ds_read_b64 v[4:5], v1 offset:248
	s_waitcnt lgkmcnt(0)
	v_pk_mul_f32 v[6:7], v[2:3], v[4:5] op_sel:[1,1] op_sel_hi:[0,1]
	v_pk_fma_f32 v[8:9], v[2:3], v[4:5], v[6:7] neg_lo:[0,0,1] neg_hi:[0,0,1]
	v_pk_fma_f32 v[2:3], v[2:3], v[4:5], v[6:7] op_sel_hi:[1,0,1]
	s_nop 0
	v_mov_b32_e32 v9, v3
	scratch_store_dwordx2 off, v[8:9], off offset:248
.LBB31_139:
	s_or_b64 exec, exec, s[0:1]
	s_mov_b64 s[4:5], -1
	; wave barrier
.LBB31_140:
	s_and_b64 vcc, exec, s[4:5]
	s_cbranch_vccz .LBB31_142
; %bb.141:
	s_lshl_b64 s[0:1], s[2:3], 2
	s_add_u32 s0, s6, s0
	s_addc_u32 s1, s7, s1
	v_mov_b32_e32 v1, 0
	global_load_dword v1, v1, s[0:1]
	s_waitcnt vmcnt(0)
	v_cmp_ne_u32_e32 vcc, 0, v1
	s_cbranch_vccz .LBB31_143
.LBB31_142:
	s_endpgm
.LBB31_143:
	v_mov_b32_e32 v1, 0x100
	v_lshl_add_u32 v1, v0, 3, v1
	v_cmp_eq_u32_e32 vcc, 31, v0
	s_and_saveexec_b64 s[0:1], vcc
	s_cbranch_execz .LBB31_145
; %bb.144:
	scratch_load_dwordx2 v[2:3], off, off offset:240
	v_mov_b32_e32 v4, 0
	v_mov_b32_e32 v5, v4
	scratch_store_dwordx2 off, v[4:5], off offset:240
	s_waitcnt vmcnt(1)
	ds_write_b64 v1, v[2:3]
.LBB31_145:
	s_or_b64 exec, exec, s[0:1]
	s_waitcnt lgkmcnt(0)
	; wave barrier
	scratch_load_dwordx2 v[4:5], off, off offset:248
	scratch_load_dwordx2 v[6:7], off, off offset:240
	v_mov_b32_e32 v2, 0
	ds_read_b64 v[8:9], v2 offset:504
	v_cmp_lt_u32_e32 vcc, 29, v0
	s_waitcnt vmcnt(1) lgkmcnt(0)
	v_pk_mul_f32 v[10:11], v[8:9], v[4:5] op_sel:[1,1] op_sel_hi:[0,1]
	v_pk_fma_f32 v[12:13], v[8:9], v[4:5], v[10:11] neg_lo:[0,0,1] neg_hi:[0,0,1]
	v_pk_fma_f32 v[4:5], v[8:9], v[4:5], v[10:11] op_sel_hi:[1,0,1]
	s_nop 0
	v_mov_b32_e32 v13, v5
	v_pk_add_f32 v[4:5], v[12:13], 0 op_sel_hi:[1,0]
	s_waitcnt vmcnt(0)
	v_pk_add_f32 v[4:5], v[6:7], v[4:5] neg_lo:[0,1] neg_hi:[0,1]
	scratch_store_dwordx2 off, v[4:5], off offset:240
	s_and_saveexec_b64 s[0:1], vcc
	s_cbranch_execz .LBB31_147
; %bb.146:
	scratch_load_dwordx2 v[4:5], off, off offset:232
	v_mov_b32_e32 v3, v2
	scratch_store_dwordx2 off, v[2:3], off offset:232
	s_waitcnt vmcnt(1)
	ds_write_b64 v1, v[4:5]
.LBB31_147:
	s_or_b64 exec, exec, s[0:1]
	s_waitcnt lgkmcnt(0)
	; wave barrier
	scratch_load_dwordx4 v[4:7], off, off offset:240
	scratch_load_dwordx2 v[12:13], off, off offset:232
	ds_read_b128 v[8:11], v2 offset:496
	v_cmp_lt_u32_e32 vcc, 28, v0
	s_waitcnt vmcnt(1) lgkmcnt(0)
	v_pk_mul_f32 v[2:3], v[8:9], v[4:5] op_sel:[1,1] op_sel_hi:[0,1]
	v_mov_b32_e32 v14, v7
	v_pk_fma_f32 v[16:17], v[8:9], v[4:5], v[2:3] neg_lo:[0,0,1] neg_hi:[0,0,1]
	v_pk_fma_f32 v[2:3], v[8:9], v[4:5], v[2:3] op_sel_hi:[1,0,1]
	v_pk_mul_f32 v[4:5], v[10:11], v[14:15] op_sel:[1,0] op_sel_hi:[0,0]
	v_mov_b32_e32 v17, v3
	v_pk_fma_f32 v[2:3], v[10:11], v[6:7], v[4:5] neg_lo:[0,0,1] neg_hi:[0,0,1]
	v_pk_fma_f32 v[4:5], v[10:11], v[6:7], v[4:5] op_sel_hi:[1,0,1]
	v_pk_add_f32 v[6:7], v[16:17], 0 op_sel_hi:[1,0]
	v_mov_b32_e32 v3, v5
	v_pk_add_f32 v[2:3], v[6:7], v[2:3]
	s_waitcnt vmcnt(0)
	v_pk_add_f32 v[2:3], v[12:13], v[2:3] neg_lo:[0,1] neg_hi:[0,1]
	scratch_store_dwordx2 off, v[2:3], off offset:232
	s_and_saveexec_b64 s[0:1], vcc
	s_cbranch_execz .LBB31_149
; %bb.148:
	scratch_load_dwordx2 v[2:3], off, off offset:224
	v_mov_b32_e32 v4, 0
	v_mov_b32_e32 v5, v4
	scratch_store_dwordx2 off, v[4:5], off offset:224
	s_waitcnt vmcnt(1)
	ds_write_b64 v1, v[2:3]
.LBB31_149:
	s_or_b64 exec, exec, s[0:1]
	s_waitcnt lgkmcnt(0)
	; wave barrier
	scratch_load_dwordx4 v[4:7], off, off offset:232
	scratch_load_dwordx2 v[12:13], off, off offset:248
	scratch_load_dwordx2 v[14:15], off, off offset:224
	v_mov_b32_e32 v2, 0
	ds_read2_b64 v[8:11], v2 offset0:61 offset1:62
	ds_read_b64 v[16:17], v2 offset:504
	v_cmp_lt_u32_e32 vcc, 27, v0
	s_waitcnt vmcnt(2) lgkmcnt(1)
	v_pk_mul_f32 v[18:19], v[8:9], v[4:5] op_sel:[1,1] op_sel_hi:[0,1]
	v_mov_b32_e32 v20, v7
	v_pk_fma_f32 v[24:25], v[8:9], v[4:5], v[18:19] neg_lo:[0,0,1] neg_hi:[0,0,1]
	v_pk_fma_f32 v[4:5], v[8:9], v[4:5], v[18:19] op_sel_hi:[1,0,1]
	v_pk_mul_f32 v[8:9], v[10:11], v[20:21] op_sel:[1,0] op_sel_hi:[0,0]
	s_waitcnt vmcnt(1) lgkmcnt(0)
	v_pk_mul_f32 v[22:23], v[16:17], v[12:13] op_sel:[1,1] op_sel_hi:[0,1]
	v_mov_b32_e32 v25, v5
	v_pk_fma_f32 v[4:5], v[10:11], v[6:7], v[8:9] neg_lo:[0,0,1] neg_hi:[0,0,1]
	v_pk_fma_f32 v[6:7], v[10:11], v[6:7], v[8:9] op_sel_hi:[1,0,1]
	v_pk_fma_f32 v[18:19], v[16:17], v[12:13], v[22:23] neg_lo:[0,0,1] neg_hi:[0,0,1]
	v_pk_fma_f32 v[12:13], v[16:17], v[12:13], v[22:23] op_sel_hi:[1,0,1]
	v_pk_add_f32 v[8:9], v[24:25], 0 op_sel_hi:[1,0]
	v_mov_b32_e32 v5, v7
	v_mov_b32_e32 v19, v13
	v_pk_add_f32 v[4:5], v[8:9], v[4:5]
	s_nop 0
	v_pk_add_f32 v[4:5], v[4:5], v[18:19]
	s_waitcnt vmcnt(0)
	v_pk_add_f32 v[4:5], v[14:15], v[4:5] neg_lo:[0,1] neg_hi:[0,1]
	scratch_store_dwordx2 off, v[4:5], off offset:224
	s_and_saveexec_b64 s[0:1], vcc
	s_cbranch_execz .LBB31_151
; %bb.150:
	scratch_load_dwordx2 v[4:5], off, off offset:216
	v_mov_b32_e32 v3, v2
	scratch_store_dwordx2 off, v[2:3], off offset:216
	s_waitcnt vmcnt(1)
	ds_write_b64 v1, v[4:5]
.LBB31_151:
	s_or_b64 exec, exec, s[0:1]
	s_waitcnt lgkmcnt(0)
	; wave barrier
	scratch_load_dwordx4 v[4:7], off, off offset:224
	scratch_load_dwordx4 v[8:11], off, off offset:240
	scratch_load_dwordx2 v[20:21], off, off offset:216
	ds_read_b128 v[12:15], v2 offset:480
	ds_read_b128 v[16:19], v2 offset:496
	v_cmp_lt_u32_e32 vcc, 26, v0
	s_waitcnt vmcnt(2) lgkmcnt(1)
	v_pk_mul_f32 v[2:3], v[12:13], v[4:5] op_sel:[1,1] op_sel_hi:[0,1]
	v_mov_b32_e32 v22, v7
	s_waitcnt vmcnt(1) lgkmcnt(0)
	v_pk_mul_f32 v[24:25], v[16:17], v[8:9] op_sel:[1,1] op_sel_hi:[0,1]
	v_mov_b32_e32 v26, v11
	v_pk_fma_f32 v[28:29], v[12:13], v[4:5], v[2:3] neg_lo:[0,0,1] neg_hi:[0,0,1]
	v_pk_fma_f32 v[2:3], v[12:13], v[4:5], v[2:3] op_sel_hi:[1,0,1]
	v_pk_mul_f32 v[4:5], v[14:15], v[22:23] op_sel:[1,0] op_sel_hi:[0,0]
	v_pk_fma_f32 v[12:13], v[16:17], v[8:9], v[24:25] neg_lo:[0,0,1] neg_hi:[0,0,1]
	v_pk_fma_f32 v[8:9], v[16:17], v[8:9], v[24:25] op_sel_hi:[1,0,1]
	v_pk_mul_f32 v[16:17], v[18:19], v[26:27] op_sel:[1,0] op_sel_hi:[0,0]
	v_mov_b32_e32 v29, v3
	v_pk_fma_f32 v[2:3], v[14:15], v[6:7], v[4:5] neg_lo:[0,0,1] neg_hi:[0,0,1]
	v_pk_fma_f32 v[4:5], v[14:15], v[6:7], v[4:5] op_sel_hi:[1,0,1]
	v_mov_b32_e32 v13, v9
	v_pk_fma_f32 v[6:7], v[18:19], v[10:11], v[16:17] neg_lo:[0,0,1] neg_hi:[0,0,1]
	v_pk_fma_f32 v[8:9], v[18:19], v[10:11], v[16:17] op_sel_hi:[1,0,1]
	v_pk_add_f32 v[10:11], v[28:29], 0 op_sel_hi:[1,0]
	v_mov_b32_e32 v3, v5
	v_pk_add_f32 v[2:3], v[10:11], v[2:3]
	v_mov_b32_e32 v7, v9
	v_pk_add_f32 v[2:3], v[2:3], v[12:13]
	s_nop 0
	v_pk_add_f32 v[2:3], v[2:3], v[6:7]
	s_waitcnt vmcnt(0)
	v_pk_add_f32 v[2:3], v[20:21], v[2:3] neg_lo:[0,1] neg_hi:[0,1]
	scratch_store_dwordx2 off, v[2:3], off offset:216
	s_and_saveexec_b64 s[0:1], vcc
	s_cbranch_execz .LBB31_153
; %bb.152:
	scratch_load_dwordx2 v[2:3], off, off offset:208
	v_mov_b32_e32 v4, 0
	v_mov_b32_e32 v5, v4
	scratch_store_dwordx2 off, v[4:5], off offset:208
	s_waitcnt vmcnt(1)
	ds_write_b64 v1, v[2:3]
.LBB31_153:
	s_or_b64 exec, exec, s[0:1]
	s_waitcnt lgkmcnt(0)
	; wave barrier
	scratch_load_dwordx4 v[4:7], off, off offset:216
	scratch_load_dwordx4 v[8:11], off, off offset:232
	scratch_load_dwordx2 v[20:21], off, off offset:248
	scratch_load_dwordx2 v[22:23], off, off offset:208
	v_mov_b32_e32 v2, 0
	ds_read2_b64 v[12:15], v2 offset0:59 offset1:60
	ds_read2_b64 v[16:19], v2 offset0:61 offset1:62
	ds_read_b64 v[24:25], v2 offset:504
	v_cmp_lt_u32_e32 vcc, 25, v0
	s_waitcnt vmcnt(3) lgkmcnt(2)
	v_pk_mul_f32 v[26:27], v[12:13], v[4:5] op_sel:[1,1] op_sel_hi:[0,1]
	v_mov_b32_e32 v28, v7
	v_pk_fma_f32 v[36:37], v[12:13], v[4:5], v[26:27] neg_lo:[0,0,1] neg_hi:[0,0,1]
	v_pk_fma_f32 v[4:5], v[12:13], v[4:5], v[26:27] op_sel_hi:[1,0,1]
	v_pk_mul_f32 v[12:13], v[14:15], v[28:29] op_sel:[1,0] op_sel_hi:[0,0]
	s_waitcnt vmcnt(2) lgkmcnt(1)
	v_pk_mul_f32 v[30:31], v[16:17], v[8:9] op_sel:[1,1] op_sel_hi:[0,1]
	v_mov_b32_e32 v32, v11
	v_mov_b32_e32 v37, v5
	v_pk_fma_f32 v[4:5], v[14:15], v[6:7], v[12:13] neg_lo:[0,0,1] neg_hi:[0,0,1]
	v_pk_fma_f32 v[6:7], v[14:15], v[6:7], v[12:13] op_sel_hi:[1,0,1]
	v_pk_fma_f32 v[26:27], v[16:17], v[8:9], v[30:31] neg_lo:[0,0,1] neg_hi:[0,0,1]
	v_pk_fma_f32 v[8:9], v[16:17], v[8:9], v[30:31] op_sel_hi:[1,0,1]
	v_pk_mul_f32 v[16:17], v[18:19], v[32:33] op_sel:[1,0] op_sel_hi:[0,0]
	v_pk_add_f32 v[12:13], v[36:37], 0 op_sel_hi:[1,0]
	v_mov_b32_e32 v5, v7
	s_waitcnt vmcnt(1) lgkmcnt(0)
	v_pk_mul_f32 v[34:35], v[24:25], v[20:21] op_sel:[1,1] op_sel_hi:[0,1]
	v_mov_b32_e32 v27, v9
	v_pk_fma_f32 v[8:9], v[18:19], v[10:11], v[16:17] neg_lo:[0,0,1] neg_hi:[0,0,1]
	v_pk_fma_f32 v[10:11], v[18:19], v[10:11], v[16:17] op_sel_hi:[1,0,1]
	v_pk_add_f32 v[4:5], v[12:13], v[4:5]
	v_pk_fma_f32 v[28:29], v[24:25], v[20:21], v[34:35] neg_lo:[0,0,1] neg_hi:[0,0,1]
	v_pk_fma_f32 v[20:21], v[24:25], v[20:21], v[34:35] op_sel_hi:[1,0,1]
	v_mov_b32_e32 v9, v11
	v_pk_add_f32 v[4:5], v[4:5], v[26:27]
	v_mov_b32_e32 v29, v21
	v_pk_add_f32 v[4:5], v[4:5], v[8:9]
	s_nop 0
	v_pk_add_f32 v[4:5], v[4:5], v[28:29]
	s_waitcnt vmcnt(0)
	v_pk_add_f32 v[4:5], v[22:23], v[4:5] neg_lo:[0,1] neg_hi:[0,1]
	scratch_store_dwordx2 off, v[4:5], off offset:208
	s_and_saveexec_b64 s[0:1], vcc
	s_cbranch_execz .LBB31_155
; %bb.154:
	scratch_load_dwordx2 v[4:5], off, off offset:200
	v_mov_b32_e32 v3, v2
	scratch_store_dwordx2 off, v[2:3], off offset:200
	s_waitcnt vmcnt(1)
	ds_write_b64 v1, v[4:5]
.LBB31_155:
	s_or_b64 exec, exec, s[0:1]
	s_waitcnt lgkmcnt(0)
	; wave barrier
	scratch_load_dwordx4 v[4:7], off, off offset:208
	scratch_load_dwordx4 v[8:11], off, off offset:224
	;; [unrolled: 1-line block ×3, first 2 shown]
	scratch_load_dwordx2 v[28:29], off, off offset:200
	ds_read_b128 v[16:19], v2 offset:464
	ds_read_b128 v[20:23], v2 offset:480
	;; [unrolled: 1-line block ×3, first 2 shown]
	v_cmp_lt_u32_e32 vcc, 24, v0
	s_waitcnt vmcnt(3) lgkmcnt(2)
	v_pk_mul_f32 v[2:3], v[16:17], v[4:5] op_sel:[1,1] op_sel_hi:[0,1]
	v_mov_b32_e32 v30, v7
	s_waitcnt vmcnt(2) lgkmcnt(1)
	v_pk_mul_f32 v[32:33], v[20:21], v[8:9] op_sel:[1,1] op_sel_hi:[0,1]
	v_mov_b32_e32 v34, v11
	;; [unrolled: 3-line block ×3, first 2 shown]
	v_pk_fma_f32 v[40:41], v[16:17], v[4:5], v[2:3] neg_lo:[0,0,1] neg_hi:[0,0,1]
	v_pk_fma_f32 v[2:3], v[16:17], v[4:5], v[2:3] op_sel_hi:[1,0,1]
	v_pk_mul_f32 v[4:5], v[18:19], v[30:31] op_sel:[1,0] op_sel_hi:[0,0]
	v_pk_fma_f32 v[16:17], v[20:21], v[8:9], v[32:33] neg_lo:[0,0,1] neg_hi:[0,0,1]
	v_pk_fma_f32 v[8:9], v[20:21], v[8:9], v[32:33] op_sel_hi:[1,0,1]
	v_pk_mul_f32 v[20:21], v[22:23], v[34:35] op_sel:[1,0] op_sel_hi:[0,0]
	;; [unrolled: 3-line block ×3, first 2 shown]
	v_mov_b32_e32 v41, v3
	v_pk_fma_f32 v[2:3], v[18:19], v[6:7], v[4:5] neg_lo:[0,0,1] neg_hi:[0,0,1]
	v_pk_fma_f32 v[4:5], v[18:19], v[6:7], v[4:5] op_sel_hi:[1,0,1]
	v_mov_b32_e32 v17, v9
	v_pk_fma_f32 v[6:7], v[22:23], v[10:11], v[20:21] neg_lo:[0,0,1] neg_hi:[0,0,1]
	v_pk_fma_f32 v[8:9], v[22:23], v[10:11], v[20:21] op_sel_hi:[1,0,1]
	;; [unrolled: 3-line block ×3, first 2 shown]
	v_pk_add_f32 v[14:15], v[40:41], 0 op_sel_hi:[1,0]
	v_mov_b32_e32 v3, v5
	v_pk_add_f32 v[2:3], v[14:15], v[2:3]
	v_mov_b32_e32 v7, v9
	v_pk_add_f32 v[2:3], v[2:3], v[16:17]
	;; [unrolled: 2-line block ×3, first 2 shown]
	s_nop 0
	v_pk_add_f32 v[2:3], v[2:3], v[30:31]
	s_nop 0
	v_pk_add_f32 v[2:3], v[2:3], v[10:11]
	s_waitcnt vmcnt(0)
	v_pk_add_f32 v[2:3], v[28:29], v[2:3] neg_lo:[0,1] neg_hi:[0,1]
	scratch_store_dwordx2 off, v[2:3], off offset:200
	s_and_saveexec_b64 s[0:1], vcc
	s_cbranch_execz .LBB31_157
; %bb.156:
	scratch_load_dwordx2 v[2:3], off, off offset:192
	v_mov_b32_e32 v4, 0
	v_mov_b32_e32 v5, v4
	scratch_store_dwordx2 off, v[4:5], off offset:192
	s_waitcnt vmcnt(1)
	ds_write_b64 v1, v[2:3]
.LBB31_157:
	s_or_b64 exec, exec, s[0:1]
	s_waitcnt lgkmcnt(0)
	; wave barrier
	scratch_load_dwordx4 v[4:7], off, off offset:200
	scratch_load_dwordx4 v[8:11], off, off offset:216
	scratch_load_dwordx4 v[12:15], off, off offset:232
	scratch_load_dwordx2 v[28:29], off, off offset:248
	scratch_load_dwordx2 v[30:31], off, off offset:192
	v_mov_b32_e32 v2, 0
	ds_read2_b64 v[16:19], v2 offset0:57 offset1:58
	ds_read2_b64 v[20:23], v2 offset0:59 offset1:60
	;; [unrolled: 1-line block ×3, first 2 shown]
	ds_read_b64 v[32:33], v2 offset:504
	v_cmp_lt_u32_e32 vcc, 23, v0
	s_waitcnt vmcnt(4) lgkmcnt(3)
	v_pk_mul_f32 v[34:35], v[16:17], v[4:5] op_sel:[1,1] op_sel_hi:[0,1]
	v_mov_b32_e32 v36, v7
	v_pk_fma_f32 v[48:49], v[16:17], v[4:5], v[34:35] neg_lo:[0,0,1] neg_hi:[0,0,1]
	v_pk_fma_f32 v[4:5], v[16:17], v[4:5], v[34:35] op_sel_hi:[1,0,1]
	v_pk_mul_f32 v[16:17], v[18:19], v[36:37] op_sel:[1,0] op_sel_hi:[0,0]
	s_waitcnt vmcnt(3) lgkmcnt(2)
	v_pk_mul_f32 v[38:39], v[20:21], v[8:9] op_sel:[1,1] op_sel_hi:[0,1]
	v_mov_b32_e32 v40, v11
	v_mov_b32_e32 v49, v5
	v_pk_fma_f32 v[4:5], v[18:19], v[6:7], v[16:17] neg_lo:[0,0,1] neg_hi:[0,0,1]
	v_pk_fma_f32 v[6:7], v[18:19], v[6:7], v[16:17] op_sel_hi:[1,0,1]
	v_pk_fma_f32 v[34:35], v[20:21], v[8:9], v[38:39] neg_lo:[0,0,1] neg_hi:[0,0,1]
	v_pk_fma_f32 v[8:9], v[20:21], v[8:9], v[38:39] op_sel_hi:[1,0,1]
	v_pk_mul_f32 v[20:21], v[22:23], v[40:41] op_sel:[1,0] op_sel_hi:[0,0]
	v_pk_add_f32 v[16:17], v[48:49], 0 op_sel_hi:[1,0]
	v_mov_b32_e32 v5, v7
	s_waitcnt vmcnt(2) lgkmcnt(1)
	v_pk_mul_f32 v[42:43], v[24:25], v[12:13] op_sel:[1,1] op_sel_hi:[0,1]
	v_mov_b32_e32 v44, v15
	v_mov_b32_e32 v35, v9
	v_pk_fma_f32 v[8:9], v[22:23], v[10:11], v[20:21] neg_lo:[0,0,1] neg_hi:[0,0,1]
	v_pk_fma_f32 v[10:11], v[22:23], v[10:11], v[20:21] op_sel_hi:[1,0,1]
	v_pk_add_f32 v[4:5], v[16:17], v[4:5]
	v_pk_fma_f32 v[36:37], v[24:25], v[12:13], v[42:43] neg_lo:[0,0,1] neg_hi:[0,0,1]
	v_pk_fma_f32 v[12:13], v[24:25], v[12:13], v[42:43] op_sel_hi:[1,0,1]
	v_pk_mul_f32 v[24:25], v[26:27], v[44:45] op_sel:[1,0] op_sel_hi:[0,0]
	v_mov_b32_e32 v9, v11
	v_pk_add_f32 v[4:5], v[4:5], v[34:35]
	s_waitcnt vmcnt(1) lgkmcnt(0)
	v_pk_mul_f32 v[46:47], v[32:33], v[28:29] op_sel:[1,1] op_sel_hi:[0,1]
	v_mov_b32_e32 v37, v13
	v_pk_fma_f32 v[12:13], v[26:27], v[14:15], v[24:25] neg_lo:[0,0,1] neg_hi:[0,0,1]
	v_pk_fma_f32 v[14:15], v[26:27], v[14:15], v[24:25] op_sel_hi:[1,0,1]
	v_pk_add_f32 v[4:5], v[4:5], v[8:9]
	v_pk_fma_f32 v[38:39], v[32:33], v[28:29], v[46:47] neg_lo:[0,0,1] neg_hi:[0,0,1]
	v_pk_fma_f32 v[28:29], v[32:33], v[28:29], v[46:47] op_sel_hi:[1,0,1]
	v_mov_b32_e32 v13, v15
	v_pk_add_f32 v[4:5], v[4:5], v[36:37]
	v_mov_b32_e32 v39, v29
	v_pk_add_f32 v[4:5], v[4:5], v[12:13]
	s_nop 0
	v_pk_add_f32 v[4:5], v[4:5], v[38:39]
	s_waitcnt vmcnt(0)
	v_pk_add_f32 v[4:5], v[30:31], v[4:5] neg_lo:[0,1] neg_hi:[0,1]
	scratch_store_dwordx2 off, v[4:5], off offset:192
	s_and_saveexec_b64 s[0:1], vcc
	s_cbranch_execz .LBB31_159
; %bb.158:
	scratch_load_dwordx2 v[4:5], off, off offset:184
	v_mov_b32_e32 v3, v2
	scratch_store_dwordx2 off, v[2:3], off offset:184
	s_waitcnt vmcnt(1)
	ds_write_b64 v1, v[4:5]
.LBB31_159:
	s_or_b64 exec, exec, s[0:1]
	s_waitcnt lgkmcnt(0)
	; wave barrier
	scratch_load_dwordx4 v[4:7], off, off offset:192
	scratch_load_dwordx4 v[8:11], off, off offset:208
	;; [unrolled: 1-line block ×4, first 2 shown]
	scratch_load_dwordx2 v[36:37], off, off offset:184
	ds_read_b128 v[20:23], v2 offset:448
	ds_read_b128 v[24:27], v2 offset:464
	;; [unrolled: 1-line block ×4, first 2 shown]
	v_cmp_lt_u32_e32 vcc, 22, v0
	s_waitcnt vmcnt(4) lgkmcnt(3)
	v_pk_mul_f32 v[2:3], v[20:21], v[4:5] op_sel:[1,1] op_sel_hi:[0,1]
	v_mov_b32_e32 v38, v7
	s_waitcnt vmcnt(3) lgkmcnt(2)
	v_pk_mul_f32 v[40:41], v[24:25], v[8:9] op_sel:[1,1] op_sel_hi:[0,1]
	v_mov_b32_e32 v42, v11
	;; [unrolled: 3-line block ×4, first 2 shown]
	v_pk_fma_f32 v[52:53], v[20:21], v[4:5], v[2:3] neg_lo:[0,0,1] neg_hi:[0,0,1]
	v_pk_fma_f32 v[2:3], v[20:21], v[4:5], v[2:3] op_sel_hi:[1,0,1]
	v_pk_mul_f32 v[4:5], v[22:23], v[38:39] op_sel:[1,0] op_sel_hi:[0,0]
	v_pk_fma_f32 v[20:21], v[24:25], v[8:9], v[40:41] neg_lo:[0,0,1] neg_hi:[0,0,1]
	v_pk_fma_f32 v[8:9], v[24:25], v[8:9], v[40:41] op_sel_hi:[1,0,1]
	v_pk_mul_f32 v[24:25], v[26:27], v[42:43] op_sel:[1,0] op_sel_hi:[0,0]
	;; [unrolled: 3-line block ×4, first 2 shown]
	v_mov_b32_e32 v53, v3
	v_pk_fma_f32 v[2:3], v[22:23], v[6:7], v[4:5] neg_lo:[0,0,1] neg_hi:[0,0,1]
	v_pk_fma_f32 v[4:5], v[22:23], v[6:7], v[4:5] op_sel_hi:[1,0,1]
	v_mov_b32_e32 v21, v9
	v_pk_fma_f32 v[6:7], v[26:27], v[10:11], v[24:25] neg_lo:[0,0,1] neg_hi:[0,0,1]
	v_pk_fma_f32 v[8:9], v[26:27], v[10:11], v[24:25] op_sel_hi:[1,0,1]
	;; [unrolled: 3-line block ×4, first 2 shown]
	v_pk_add_f32 v[18:19], v[52:53], 0 op_sel_hi:[1,0]
	v_mov_b32_e32 v3, v5
	v_pk_add_f32 v[2:3], v[18:19], v[2:3]
	v_mov_b32_e32 v7, v9
	v_pk_add_f32 v[2:3], v[2:3], v[20:21]
	;; [unrolled: 2-line block ×4, first 2 shown]
	s_nop 0
	v_pk_add_f32 v[2:3], v[2:3], v[10:11]
	s_nop 0
	v_pk_add_f32 v[2:3], v[2:3], v[40:41]
	;; [unrolled: 2-line block ×3, first 2 shown]
	s_waitcnt vmcnt(0)
	v_pk_add_f32 v[2:3], v[36:37], v[2:3] neg_lo:[0,1] neg_hi:[0,1]
	scratch_store_dwordx2 off, v[2:3], off offset:184
	s_and_saveexec_b64 s[0:1], vcc
	s_cbranch_execz .LBB31_161
; %bb.160:
	scratch_load_dwordx2 v[2:3], off, off offset:176
	v_mov_b32_e32 v4, 0
	v_mov_b32_e32 v5, v4
	scratch_store_dwordx2 off, v[4:5], off offset:176
	s_waitcnt vmcnt(1)
	ds_write_b64 v1, v[2:3]
.LBB31_161:
	s_or_b64 exec, exec, s[0:1]
	s_waitcnt lgkmcnt(0)
	; wave barrier
	scratch_load_dwordx4 v[4:7], off, off offset:184
	scratch_load_dwordx4 v[8:11], off, off offset:200
	;; [unrolled: 1-line block ×4, first 2 shown]
	scratch_load_dwordx2 v[36:37], off, off offset:248
	scratch_load_dwordx2 v[38:39], off, off offset:176
	v_mov_b32_e32 v2, 0
	ds_read2_b64 v[20:23], v2 offset0:55 offset1:56
	ds_read2_b64 v[24:27], v2 offset0:57 offset1:58
	;; [unrolled: 1-line block ×4, first 2 shown]
	ds_read_b64 v[40:41], v2 offset:504
	v_cmp_lt_u32_e32 vcc, 21, v0
	s_waitcnt vmcnt(5) lgkmcnt(4)
	v_mul_f32_e32 v43, v20, v5
	v_mul_f32_e32 v3, v21, v5
	v_mov_b32_e32 v44, v7
	s_waitcnt vmcnt(4) lgkmcnt(3)
	v_pk_mul_f32 v[46:47], v[24:25], v[8:9] op_sel:[1,1] op_sel_hi:[0,1]
	v_mov_b32_e32 v48, v11
	s_waitcnt vmcnt(1) lgkmcnt(0)
	v_pk_mul_f32 v[58:59], v[40:41], v[36:37] op_sel:[1,1] op_sel_hi:[0,1]
	v_fmac_f32_e32 v43, v21, v4
	v_fma_f32 v42, v20, v4, -v3
	v_pk_mul_f32 v[4:5], v[22:23], v[44:45] op_sel:[1,0] op_sel_hi:[0,0]
	v_pk_fma_f32 v[20:21], v[24:25], v[8:9], v[46:47] neg_lo:[0,0,1] neg_hi:[0,0,1]
	v_pk_fma_f32 v[8:9], v[24:25], v[8:9], v[46:47] op_sel_hi:[1,0,1]
	v_pk_mul_f32 v[24:25], v[26:27], v[48:49] op_sel:[1,0] op_sel_hi:[0,0]
	v_pk_fma_f32 v[48:49], v[40:41], v[36:37], v[58:59] neg_lo:[0,0,1] neg_hi:[0,0,1]
	v_pk_fma_f32 v[36:37], v[40:41], v[36:37], v[58:59] op_sel_hi:[1,0,1]
	v_pk_add_f32 v[40:41], v[42:43], 0 op_sel_hi:[1,0]
	v_pk_fma_f32 v[42:43], v[22:23], v[6:7], v[4:5] neg_lo:[0,0,1] neg_hi:[0,0,1]
	v_pk_fma_f32 v[4:5], v[22:23], v[6:7], v[4:5] op_sel_hi:[1,0,1]
	v_pk_mul_f32 v[50:51], v[28:29], v[12:13] op_sel:[1,1] op_sel_hi:[0,1]
	v_mov_b32_e32 v43, v5
	v_mov_b32_e32 v52, v15
	;; [unrolled: 1-line block ×3, first 2 shown]
	v_pk_fma_f32 v[6:7], v[26:27], v[10:11], v[24:25] neg_lo:[0,0,1] neg_hi:[0,0,1]
	v_pk_fma_f32 v[8:9], v[26:27], v[10:11], v[24:25] op_sel_hi:[1,0,1]
	v_pk_add_f32 v[4:5], v[40:41], v[42:43]
	v_pk_fma_f32 v[44:45], v[28:29], v[12:13], v[50:51] neg_lo:[0,0,1] neg_hi:[0,0,1]
	v_pk_fma_f32 v[12:13], v[28:29], v[12:13], v[50:51] op_sel_hi:[1,0,1]
	v_pk_mul_f32 v[28:29], v[30:31], v[52:53] op_sel:[1,0] op_sel_hi:[0,0]
	v_mov_b32_e32 v7, v9
	v_pk_add_f32 v[4:5], v[4:5], v[20:21]
	v_pk_mul_f32 v[54:55], v[32:33], v[16:17] op_sel:[1,1] op_sel_hi:[0,1]
	v_mov_b32_e32 v56, v19
	v_mov_b32_e32 v45, v13
	v_pk_fma_f32 v[10:11], v[30:31], v[14:15], v[28:29] neg_lo:[0,0,1] neg_hi:[0,0,1]
	v_pk_fma_f32 v[12:13], v[30:31], v[14:15], v[28:29] op_sel_hi:[1,0,1]
	v_pk_add_f32 v[4:5], v[4:5], v[6:7]
	v_pk_fma_f32 v[46:47], v[32:33], v[16:17], v[54:55] neg_lo:[0,0,1] neg_hi:[0,0,1]
	v_pk_fma_f32 v[16:17], v[32:33], v[16:17], v[54:55] op_sel_hi:[1,0,1]
	v_pk_mul_f32 v[32:33], v[34:35], v[56:57] op_sel:[1,0] op_sel_hi:[0,0]
	v_mov_b32_e32 v11, v13
	v_pk_add_f32 v[4:5], v[4:5], v[44:45]
	v_mov_b32_e32 v47, v17
	v_pk_fma_f32 v[14:15], v[34:35], v[18:19], v[32:33] neg_lo:[0,0,1] neg_hi:[0,0,1]
	v_pk_fma_f32 v[16:17], v[34:35], v[18:19], v[32:33] op_sel_hi:[1,0,1]
	v_pk_add_f32 v[4:5], v[4:5], v[10:11]
	v_mov_b32_e32 v15, v17
	v_pk_add_f32 v[4:5], v[4:5], v[46:47]
	v_mov_b32_e32 v49, v37
	v_pk_add_f32 v[4:5], v[4:5], v[14:15]
	s_nop 0
	v_pk_add_f32 v[4:5], v[4:5], v[48:49]
	s_waitcnt vmcnt(0)
	v_pk_add_f32 v[4:5], v[38:39], v[4:5] neg_lo:[0,1] neg_hi:[0,1]
	scratch_store_dwordx2 off, v[4:5], off offset:176
	s_and_saveexec_b64 s[0:1], vcc
	s_cbranch_execz .LBB31_163
; %bb.162:
	scratch_load_dwordx2 v[4:5], off, off offset:168
	v_mov_b32_e32 v3, v2
	scratch_store_dwordx2 off, v[2:3], off offset:168
	s_waitcnt vmcnt(1)
	ds_write_b64 v1, v[4:5]
.LBB31_163:
	s_or_b64 exec, exec, s[0:1]
	s_waitcnt lgkmcnt(0)
	; wave barrier
	scratch_load_dwordx4 v[4:7], off, off offset:176
	scratch_load_dwordx4 v[8:11], off, off offset:192
	;; [unrolled: 1-line block ×5, first 2 shown]
	scratch_load_dwordx2 v[44:45], off, off offset:168
	ds_read_b128 v[24:27], v2 offset:432
	ds_read_b128 v[28:31], v2 offset:448
	;; [unrolled: 1-line block ×5, first 2 shown]
	v_cmp_lt_u32_e32 vcc, 20, v0
	s_waitcnt vmcnt(5) lgkmcnt(4)
	v_mul_f32_e32 v3, v24, v5
	v_mul_f32_e32 v2, v25, v5
	;; [unrolled: 1-line block ×4, first 2 shown]
	s_waitcnt vmcnt(4) lgkmcnt(3)
	v_pk_mul_f32 v[48:49], v[28:29], v[8:9] op_sel:[1,1] op_sel_hi:[0,1]
	v_mov_b32_e32 v50, v11
	v_fmac_f32_e32 v3, v25, v4
	v_fma_f32 v2, v24, v4, -v2
	v_fmac_f32_e32 v47, v27, v6
	v_fma_f32 v46, v26, v6, -v5
	v_pk_fma_f32 v[4:5], v[28:29], v[8:9], v[48:49] neg_lo:[0,0,1] neg_hi:[0,0,1]
	v_pk_fma_f32 v[6:7], v[28:29], v[8:9], v[48:49] op_sel_hi:[1,0,1]
	v_pk_mul_f32 v[8:9], v[30:31], v[50:51] op_sel:[1,0] op_sel_hi:[0,0]
	v_pk_add_f32 v[2:3], v[2:3], 0 op_sel_hi:[1,0]
	s_waitcnt vmcnt(3) lgkmcnt(2)
	v_pk_mul_f32 v[52:53], v[32:33], v[12:13] op_sel:[1,1] op_sel_hi:[0,1]
	v_mov_b32_e32 v54, v15
	v_mov_b32_e32 v5, v7
	v_pk_fma_f32 v[6:7], v[30:31], v[10:11], v[8:9] neg_lo:[0,0,1] neg_hi:[0,0,1]
	v_pk_fma_f32 v[8:9], v[30:31], v[10:11], v[8:9] op_sel_hi:[1,0,1]
	v_pk_add_f32 v[2:3], v[2:3], v[46:47]
	v_pk_fma_f32 v[24:25], v[32:33], v[12:13], v[52:53] neg_lo:[0,0,1] neg_hi:[0,0,1]
	v_pk_fma_f32 v[12:13], v[32:33], v[12:13], v[52:53] op_sel_hi:[1,0,1]
	v_pk_mul_f32 v[26:27], v[34:35], v[54:55] op_sel:[1,0] op_sel_hi:[0,0]
	v_mov_b32_e32 v7, v9
	v_pk_add_f32 v[2:3], v[2:3], v[4:5]
	s_waitcnt vmcnt(2) lgkmcnt(1)
	v_pk_mul_f32 v[56:57], v[36:37], v[16:17] op_sel:[1,1] op_sel_hi:[0,1]
	v_mov_b32_e32 v58, v19
	v_mov_b32_e32 v25, v13
	v_pk_fma_f32 v[10:11], v[34:35], v[14:15], v[26:27] neg_lo:[0,0,1] neg_hi:[0,0,1]
	v_pk_fma_f32 v[12:13], v[34:35], v[14:15], v[26:27] op_sel_hi:[1,0,1]
	v_pk_add_f32 v[2:3], v[2:3], v[6:7]
	v_pk_fma_f32 v[28:29], v[36:37], v[16:17], v[56:57] neg_lo:[0,0,1] neg_hi:[0,0,1]
	v_pk_fma_f32 v[16:17], v[36:37], v[16:17], v[56:57] op_sel_hi:[1,0,1]
	v_pk_mul_f32 v[32:33], v[38:39], v[58:59] op_sel:[1,0] op_sel_hi:[0,0]
	v_mov_b32_e32 v11, v13
	v_pk_add_f32 v[2:3], v[2:3], v[24:25]
	s_waitcnt vmcnt(1) lgkmcnt(0)
	v_pk_mul_f32 v[60:61], v[40:41], v[20:21] op_sel:[1,1] op_sel_hi:[0,1]
	v_mov_b32_e32 v62, v23
	v_mov_b32_e32 v29, v17
	v_pk_fma_f32 v[14:15], v[38:39], v[18:19], v[32:33] neg_lo:[0,0,1] neg_hi:[0,0,1]
	v_pk_fma_f32 v[16:17], v[38:39], v[18:19], v[32:33] op_sel_hi:[1,0,1]
	v_pk_add_f32 v[2:3], v[2:3], v[10:11]
	v_pk_fma_f32 v[36:37], v[40:41], v[20:21], v[60:61] neg_lo:[0,0,1] neg_hi:[0,0,1]
	v_pk_fma_f32 v[20:21], v[40:41], v[20:21], v[60:61] op_sel_hi:[1,0,1]
	v_pk_mul_f32 v[40:41], v[42:43], v[62:63] op_sel:[1,0] op_sel_hi:[0,0]
	v_mov_b32_e32 v15, v17
	v_pk_add_f32 v[2:3], v[2:3], v[28:29]
	v_mov_b32_e32 v37, v21
	v_pk_fma_f32 v[18:19], v[42:43], v[22:23], v[40:41] neg_lo:[0,0,1] neg_hi:[0,0,1]
	v_pk_fma_f32 v[20:21], v[42:43], v[22:23], v[40:41] op_sel_hi:[1,0,1]
	v_pk_add_f32 v[2:3], v[2:3], v[14:15]
	v_mov_b32_e32 v19, v21
	v_pk_add_f32 v[2:3], v[2:3], v[36:37]
	s_nop 0
	v_pk_add_f32 v[2:3], v[2:3], v[18:19]
	s_waitcnt vmcnt(0)
	v_pk_add_f32 v[2:3], v[44:45], v[2:3] neg_lo:[0,1] neg_hi:[0,1]
	scratch_store_dwordx2 off, v[2:3], off offset:168
	s_and_saveexec_b64 s[0:1], vcc
	s_cbranch_execz .LBB31_165
; %bb.164:
	scratch_load_dwordx2 v[2:3], off, off offset:160
	v_mov_b32_e32 v4, 0
	v_mov_b32_e32 v5, v4
	scratch_store_dwordx2 off, v[4:5], off offset:160
	s_waitcnt vmcnt(1)
	ds_write_b64 v1, v[2:3]
.LBB31_165:
	s_or_b64 exec, exec, s[0:1]
	s_waitcnt lgkmcnt(0)
	; wave barrier
	scratch_load_dwordx4 v[4:7], off, off offset:168
	scratch_load_dwordx4 v[8:11], off, off offset:184
	;; [unrolled: 1-line block ×5, first 2 shown]
	scratch_load_dwordx2 v[44:45], off, off offset:248
	scratch_load_dwordx2 v[46:47], off, off offset:160
	v_mov_b32_e32 v2, 0
	ds_read2_b64 v[24:27], v2 offset0:53 offset1:54
	ds_read2_b64 v[28:31], v2 offset0:55 offset1:56
	;; [unrolled: 1-line block ×5, first 2 shown]
	ds_read_b64 v[48:49], v2 offset:504
	v_cmp_lt_u32_e32 vcc, 19, v0
	s_waitcnt vmcnt(6) lgkmcnt(5)
	v_mul_f32_e32 v3, v24, v5
	v_mul_f32_e32 v5, v25, v5
	;; [unrolled: 1-line block ×3, first 2 shown]
	s_waitcnt vmcnt(5) lgkmcnt(4)
	v_mul_f32_e32 v53, v28, v9
	v_mul_f32_e32 v7, v27, v7
	;; [unrolled: 1-line block ×3, first 2 shown]
	v_mov_b32_e32 v54, v11
	s_waitcnt vmcnt(3) lgkmcnt(2)
	v_pk_mul_f32 v[60:61], v[36:37], v[16:17] op_sel:[1,1] op_sel_hi:[0,1]
	s_waitcnt vmcnt(2) lgkmcnt(1)
	v_pk_mul_f32 v[64:65], v[40:41], v[20:21] op_sel:[1,1] op_sel_hi:[0,1]
	;; [unrolled: 2-line block ×3, first 2 shown]
	v_fmac_f32_e32 v3, v25, v4
	v_fma_f32 v55, v24, v4, -v5
	v_fmac_f32_e32 v51, v27, v6
	v_fmac_f32_e32 v53, v29, v8
	v_fma_f32 v50, v26, v6, -v7
	v_fma_f32 v52, v28, v8, -v9
	v_pk_mul_f32 v[4:5], v[30:31], v[54:55] op_sel:[1,0] op_sel_hi:[0,0]
	v_pk_fma_f32 v[24:25], v[36:37], v[16:17], v[60:61] neg_lo:[0,0,1] neg_hi:[0,0,1]
	v_pk_fma_f32 v[16:17], v[36:37], v[16:17], v[60:61] op_sel_hi:[1,0,1]
	v_pk_fma_f32 v[28:29], v[40:41], v[20:21], v[64:65] neg_lo:[0,0,1] neg_hi:[0,0,1]
	v_pk_fma_f32 v[20:21], v[40:41], v[20:21], v[64:65] op_sel_hi:[1,0,1]
	;; [unrolled: 2-line block ×3, first 2 shown]
	v_add_f32_e32 v45, 0, v3
	v_add_f32_e32 v44, 0, v55
	v_pk_mul_f32 v[56:57], v[32:33], v[12:13] op_sel:[1,1] op_sel_hi:[0,1]
	v_mov_b32_e32 v58, v15
	v_pk_fma_f32 v[48:49], v[30:31], v[10:11], v[4:5] neg_lo:[0,0,1] neg_hi:[0,0,1]
	v_pk_fma_f32 v[4:5], v[30:31], v[10:11], v[4:5] op_sel_hi:[1,0,1]
	v_mov_b32_e32 v29, v21
	v_pk_add_f32 v[20:21], v[44:45], v[50:51]
	v_pk_fma_f32 v[6:7], v[32:33], v[12:13], v[56:57] neg_lo:[0,0,1] neg_hi:[0,0,1]
	v_pk_fma_f32 v[8:9], v[32:33], v[12:13], v[56:57] op_sel_hi:[1,0,1]
	v_pk_mul_f32 v[12:13], v[34:35], v[58:59] op_sel:[1,0] op_sel_hi:[0,0]
	v_mov_b32_e32 v49, v5
	v_pk_add_f32 v[4:5], v[20:21], v[52:53]
	v_mov_b32_e32 v62, v19
	v_mov_b32_e32 v7, v9
	v_pk_fma_f32 v[8:9], v[34:35], v[14:15], v[12:13] neg_lo:[0,0,1] neg_hi:[0,0,1]
	v_pk_fma_f32 v[10:11], v[34:35], v[14:15], v[12:13] op_sel_hi:[1,0,1]
	v_pk_add_f32 v[4:5], v[4:5], v[48:49]
	v_pk_mul_f32 v[26:27], v[38:39], v[62:63] op_sel:[1,0] op_sel_hi:[0,0]
	v_mov_b32_e32 v9, v11
	v_pk_add_f32 v[4:5], v[4:5], v[6:7]
	v_mov_b32_e32 v66, v23
	v_mov_b32_e32 v25, v17
	v_pk_fma_f32 v[12:13], v[38:39], v[18:19], v[26:27] neg_lo:[0,0,1] neg_hi:[0,0,1]
	v_pk_fma_f32 v[14:15], v[38:39], v[18:19], v[26:27] op_sel_hi:[1,0,1]
	v_pk_add_f32 v[4:5], v[4:5], v[8:9]
	v_pk_mul_f32 v[32:33], v[42:43], v[66:67] op_sel:[1,0] op_sel_hi:[0,0]
	v_mov_b32_e32 v13, v15
	v_pk_add_f32 v[4:5], v[4:5], v[24:25]
	v_pk_fma_f32 v[16:17], v[42:43], v[22:23], v[32:33] neg_lo:[0,0,1] neg_hi:[0,0,1]
	v_pk_fma_f32 v[18:19], v[42:43], v[22:23], v[32:33] op_sel_hi:[1,0,1]
	v_pk_add_f32 v[4:5], v[4:5], v[12:13]
	v_mov_b32_e32 v17, v19
	v_pk_add_f32 v[4:5], v[4:5], v[28:29]
	v_mov_b32_e32 v37, v41
	v_pk_add_f32 v[4:5], v[4:5], v[16:17]
	s_nop 0
	v_pk_add_f32 v[4:5], v[4:5], v[36:37]
	s_waitcnt vmcnt(0)
	v_pk_add_f32 v[4:5], v[46:47], v[4:5] neg_lo:[0,1] neg_hi:[0,1]
	scratch_store_dwordx2 off, v[4:5], off offset:160
	s_and_saveexec_b64 s[0:1], vcc
	s_cbranch_execz .LBB31_167
; %bb.166:
	scratch_load_dwordx2 v[4:5], off, off offset:152
	v_mov_b32_e32 v3, v2
	scratch_store_dwordx2 off, v[2:3], off offset:152
	s_waitcnt vmcnt(1)
	ds_write_b64 v1, v[4:5]
.LBB31_167:
	s_or_b64 exec, exec, s[0:1]
	s_waitcnt lgkmcnt(0)
	; wave barrier
	ds_read_b128 v[4:7], v2 offset:416
	ds_read_b128 v[8:11], v2 offset:432
	;; [unrolled: 1-line block ×4, first 2 shown]
	scratch_load_dwordx4 v[20:23], off, off offset:160
	v_cmp_lt_u32_e32 vcc, 18, v0
	s_waitcnt vmcnt(0) lgkmcnt(3)
	v_mul_f32_e32 v3, v4, v21
	v_fmac_f32_e32 v3, v5, v20
	v_mul_f32_e32 v24, v6, v23
	v_add_f32_e32 v3, 0, v3
	v_fmac_f32_e32 v24, v7, v22
	v_add_f32_e32 v45, v3, v24
	scratch_load_dwordx4 v[24:27], off, off offset:176
	scratch_load_dwordx4 v[28:31], off, off offset:192
	;; [unrolled: 1-line block ×5, first 2 shown]
	v_mul_f32_e32 v3, v5, v21
	v_fma_f32 v3, v4, v20, -v3
	v_mul_f32_e32 v4, v7, v23
	v_fma_f32 v4, v6, v22, -v4
	v_add_f32_e32 v3, 0, v3
	v_add_f32_e32 v44, v3, v4
	s_waitcnt vmcnt(3) lgkmcnt(1)
	v_pk_mul_f32 v[20:21], v[12:13], v[28:29] op_sel:[1,1] op_sel_hi:[0,1]
	v_pk_fma_f32 v[22:23], v[12:13], v[28:29], v[20:21] neg_lo:[0,0,1] neg_hi:[0,0,1]
	v_pk_fma_f32 v[12:13], v[12:13], v[28:29], v[20:21] op_sel_hi:[1,0,1]
	v_mul_f32_e32 v47, v8, v25
	v_mov_b32_e32 v12, v31
	v_mul_f32_e32 v3, v9, v25
	v_mov_b32_e32 v23, v13
	v_pk_mul_f32 v[12:13], v[14:15], v[12:13] op_sel:[1,0] op_sel_hi:[0,0]
	v_fmac_f32_e32 v47, v9, v24
	v_mul_f32_e32 v49, v10, v27
	v_fma_f32 v46, v8, v24, -v3
	v_mul_f32_e32 v3, v11, v27
	v_pk_fma_f32 v[20:21], v[14:15], v[30:31], v[12:13] neg_lo:[0,0,1] neg_hi:[0,0,1]
	v_pk_fma_f32 v[12:13], v[14:15], v[30:31], v[12:13] op_sel_hi:[1,0,1]
	v_fmac_f32_e32 v49, v11, v26
	v_fma_f32 v48, v10, v26, -v3
	ds_read_b128 v[4:7], v2 offset:480
	ds_read_b128 v[8:11], v2 offset:496
	v_pk_add_f32 v[2:3], v[44:45], v[46:47]
	v_mov_b32_e32 v21, v13
	s_waitcnt vmcnt(2) lgkmcnt(2)
	v_pk_mul_f32 v[12:13], v[16:17], v[32:33] op_sel:[1,1] op_sel_hi:[0,1]
	v_pk_add_f32 v[2:3], v[2:3], v[48:49]
	v_pk_fma_f32 v[14:15], v[16:17], v[32:33], v[12:13] neg_lo:[0,0,1] neg_hi:[0,0,1]
	v_pk_fma_f32 v[12:13], v[16:17], v[32:33], v[12:13] op_sel_hi:[1,0,1]
	v_pk_add_f32 v[2:3], v[2:3], v[22:23]
	v_mov_b32_e32 v12, v35
	v_pk_add_f32 v[2:3], v[2:3], v[20:21]
	v_mov_b32_e32 v15, v13
	v_pk_mul_f32 v[12:13], v[18:19], v[12:13] op_sel:[1,0] op_sel_hi:[0,0]
	v_pk_add_f32 v[2:3], v[2:3], v[14:15]
	v_pk_fma_f32 v[14:15], v[18:19], v[34:35], v[12:13] neg_lo:[0,0,1] neg_hi:[0,0,1]
	v_pk_fma_f32 v[12:13], v[18:19], v[34:35], v[12:13] op_sel_hi:[1,0,1]
	s_nop 0
	v_mov_b32_e32 v15, v13
	s_waitcnt vmcnt(1) lgkmcnt(1)
	v_pk_mul_f32 v[12:13], v[4:5], v[36:37] op_sel:[1,1] op_sel_hi:[0,1]
	v_pk_add_f32 v[2:3], v[2:3], v[14:15]
	v_pk_fma_f32 v[14:15], v[4:5], v[36:37], v[12:13] neg_lo:[0,0,1] neg_hi:[0,0,1]
	v_pk_fma_f32 v[4:5], v[4:5], v[36:37], v[12:13] op_sel_hi:[1,0,1]
	s_nop 0
	v_mov_b32_e32 v4, v39
	v_mov_b32_e32 v15, v5
	v_pk_mul_f32 v[4:5], v[6:7], v[4:5] op_sel:[1,0] op_sel_hi:[0,0]
	v_pk_fma_f32 v[12:13], v[6:7], v[38:39], v[4:5] neg_lo:[0,0,1] neg_hi:[0,0,1]
	v_pk_fma_f32 v[4:5], v[6:7], v[38:39], v[4:5] op_sel_hi:[1,0,1]
	v_pk_add_f32 v[2:3], v[2:3], v[14:15]
	v_mov_b32_e32 v13, v5
	s_waitcnt vmcnt(0) lgkmcnt(0)
	v_pk_mul_f32 v[4:5], v[8:9], v[40:41] op_sel:[1,1] op_sel_hi:[0,1]
	v_pk_fma_f32 v[6:7], v[8:9], v[40:41], v[4:5] neg_lo:[0,0,1] neg_hi:[0,0,1]
	v_pk_fma_f32 v[4:5], v[8:9], v[40:41], v[4:5] op_sel_hi:[1,0,1]
	v_pk_add_f32 v[2:3], v[2:3], v[12:13]
	v_mov_b32_e32 v4, v43
	v_mov_b32_e32 v7, v5
	v_pk_mul_f32 v[4:5], v[10:11], v[4:5] op_sel:[1,0] op_sel_hi:[0,0]
	v_pk_add_f32 v[2:3], v[2:3], v[6:7]
	v_pk_fma_f32 v[6:7], v[10:11], v[42:43], v[4:5] neg_lo:[0,0,1] neg_hi:[0,0,1]
	v_pk_fma_f32 v[4:5], v[10:11], v[42:43], v[4:5] op_sel_hi:[1,0,1]
	s_nop 0
	v_mov_b32_e32 v7, v5
	scratch_load_dwordx2 v[4:5], off, off offset:152
	v_pk_add_f32 v[2:3], v[2:3], v[6:7]
	s_waitcnt vmcnt(0)
	v_pk_add_f32 v[2:3], v[4:5], v[2:3] neg_lo:[0,1] neg_hi:[0,1]
	scratch_store_dwordx2 off, v[2:3], off offset:152
	s_and_saveexec_b64 s[0:1], vcc
	s_cbranch_execz .LBB31_169
; %bb.168:
	scratch_load_dwordx2 v[2:3], off, off offset:144
	v_mov_b32_e32 v4, 0
	v_mov_b32_e32 v5, v4
	scratch_store_dwordx2 off, v[4:5], off offset:144
	s_waitcnt vmcnt(1)
	ds_write_b64 v1, v[2:3]
.LBB31_169:
	s_or_b64 exec, exec, s[0:1]
	s_waitcnt lgkmcnt(0)
	; wave barrier
	scratch_load_dwordx4 v[8:11], off, off offset:152
	scratch_load_dwordx4 v[16:19], off, off offset:168
	v_mov_b32_e32 v2, 0
	ds_read2_b64 v[4:7], v2 offset0:51 offset1:52
	scratch_load_dwordx4 v[24:27], off, off offset:184
	v_cmp_lt_u32_e32 vcc, 17, v0
	s_waitcnt vmcnt(2) lgkmcnt(0)
	v_mul_f32_e32 v3, v4, v9
	v_fmac_f32_e32 v3, v5, v8
	v_mul_f32_e32 v12, v6, v11
	v_add_f32_e32 v3, 0, v3
	v_fmac_f32_e32 v12, v7, v10
	v_add_f32_e32 v3, v3, v12
	ds_read2_b64 v[12:15], v2 offset0:53 offset1:54
	s_waitcnt vmcnt(1) lgkmcnt(0)
	v_mul_f32_e32 v20, v12, v17
	v_fmac_f32_e32 v20, v13, v16
	v_add_f32_e32 v41, v3, v20
	ds_read2_b64 v[20:23], v2 offset0:55 offset1:56
	scratch_load_dwordx4 v[28:31], off, off offset:200
	scratch_load_dwordx4 v[32:35], off, off offset:216
	;; [unrolled: 1-line block ×3, first 2 shown]
	scratch_load_dwordx2 v[46:47], off, off offset:248
	v_mul_f32_e32 v3, v5, v9
	v_fma_f32 v3, v4, v8, -v3
	v_mul_f32_e32 v4, v7, v11
	v_add_f32_e32 v3, 0, v3
	v_fma_f32 v4, v6, v10, -v4
	v_add_f32_e32 v3, v3, v4
	v_mul_f32_e32 v4, v13, v17
	v_fma_f32 v4, v12, v16, -v4
	v_add_f32_e32 v40, v3, v4
	v_mul_f32_e32 v3, v15, v19
	v_fma_f32 v42, v14, v18, -v3
	s_waitcnt vmcnt(4) lgkmcnt(0)
	v_mul_f32_e32 v3, v21, v25
	v_mul_f32_e32 v43, v14, v19
	;; [unrolled: 1-line block ×3, first 2 shown]
	v_fma_f32 v44, v20, v24, -v3
	v_mov_b32_e32 v20, v27
	v_fmac_f32_e32 v43, v15, v18
	v_fmac_f32_e32 v45, v21, v24
	ds_read2_b64 v[4:7], v2 offset0:57 offset1:58
	ds_read2_b64 v[8:11], v2 offset0:59 offset1:60
	;; [unrolled: 1-line block ×3, first 2 shown]
	ds_read_b64 v[16:17], v2 offset:504
	v_pk_mul_f32 v[20:21], v[22:23], v[20:21] op_sel:[1,0] op_sel_hi:[0,0]
	v_pk_fma_f32 v[24:25], v[22:23], v[26:27], v[20:21] neg_lo:[0,0,1] neg_hi:[0,0,1]
	v_pk_fma_f32 v[20:21], v[22:23], v[26:27], v[20:21] op_sel_hi:[1,0,1]
	v_pk_add_f32 v[18:19], v[40:41], v[42:43]
	v_mov_b32_e32 v25, v21
	v_pk_add_f32 v[18:19], v[18:19], v[44:45]
	s_waitcnt vmcnt(3) lgkmcnt(3)
	v_pk_mul_f32 v[20:21], v[4:5], v[28:29] op_sel:[1,1] op_sel_hi:[0,1]
	v_pk_fma_f32 v[22:23], v[4:5], v[28:29], v[20:21] neg_lo:[0,0,1] neg_hi:[0,0,1]
	v_pk_fma_f32 v[4:5], v[4:5], v[28:29], v[20:21] op_sel_hi:[1,0,1]
	v_pk_add_f32 v[18:19], v[18:19], v[24:25]
	v_mov_b32_e32 v23, v5
	v_pk_add_f32 v[4:5], v[18:19], v[22:23]
	v_mov_b32_e32 v18, v31
	v_pk_mul_f32 v[18:19], v[6:7], v[18:19] op_sel:[1,0] op_sel_hi:[0,0]
	v_pk_fma_f32 v[20:21], v[6:7], v[30:31], v[18:19] neg_lo:[0,0,1] neg_hi:[0,0,1]
	v_pk_fma_f32 v[6:7], v[6:7], v[30:31], v[18:19] op_sel_hi:[1,0,1]
	s_nop 0
	v_mov_b32_e32 v21, v7
	s_waitcnt vmcnt(2) lgkmcnt(2)
	v_pk_mul_f32 v[6:7], v[8:9], v[32:33] op_sel:[1,1] op_sel_hi:[0,1]
	v_pk_fma_f32 v[18:19], v[8:9], v[32:33], v[6:7] neg_lo:[0,0,1] neg_hi:[0,0,1]
	v_pk_fma_f32 v[6:7], v[8:9], v[32:33], v[6:7] op_sel_hi:[1,0,1]
	v_pk_add_f32 v[4:5], v[4:5], v[20:21]
	v_mov_b32_e32 v6, v35
	v_mov_b32_e32 v19, v7
	v_pk_mul_f32 v[6:7], v[10:11], v[6:7] op_sel:[1,0] op_sel_hi:[0,0]
	v_pk_fma_f32 v[8:9], v[10:11], v[34:35], v[6:7] neg_lo:[0,0,1] neg_hi:[0,0,1]
	v_pk_fma_f32 v[6:7], v[10:11], v[34:35], v[6:7] op_sel_hi:[1,0,1]
	v_pk_add_f32 v[4:5], v[4:5], v[18:19]
	v_mov_b32_e32 v9, v7
	s_waitcnt vmcnt(1) lgkmcnt(1)
	v_pk_mul_f32 v[6:7], v[12:13], v[36:37] op_sel:[1,1] op_sel_hi:[0,1]
	v_pk_add_f32 v[4:5], v[4:5], v[8:9]
	v_pk_fma_f32 v[8:9], v[12:13], v[36:37], v[6:7] neg_lo:[0,0,1] neg_hi:[0,0,1]
	v_pk_fma_f32 v[6:7], v[12:13], v[36:37], v[6:7] op_sel_hi:[1,0,1]
	s_nop 0
	v_mov_b32_e32 v6, v39
	v_mov_b32_e32 v9, v7
	v_pk_mul_f32 v[6:7], v[14:15], v[6:7] op_sel:[1,0] op_sel_hi:[0,0]
	v_pk_add_f32 v[4:5], v[4:5], v[8:9]
	v_pk_fma_f32 v[8:9], v[14:15], v[38:39], v[6:7] neg_lo:[0,0,1] neg_hi:[0,0,1]
	v_pk_fma_f32 v[6:7], v[14:15], v[38:39], v[6:7] op_sel_hi:[1,0,1]
	s_nop 0
	v_mov_b32_e32 v9, v7
	s_waitcnt vmcnt(0) lgkmcnt(0)
	v_pk_mul_f32 v[6:7], v[16:17], v[46:47] op_sel:[1,1] op_sel_hi:[0,1]
	v_pk_add_f32 v[4:5], v[4:5], v[8:9]
	v_pk_fma_f32 v[8:9], v[16:17], v[46:47], v[6:7] neg_lo:[0,0,1] neg_hi:[0,0,1]
	v_pk_fma_f32 v[6:7], v[16:17], v[46:47], v[6:7] op_sel_hi:[1,0,1]
	s_nop 0
	v_mov_b32_e32 v9, v7
	scratch_load_dwordx2 v[6:7], off, off offset:144
	v_pk_add_f32 v[4:5], v[4:5], v[8:9]
	s_waitcnt vmcnt(0)
	v_pk_add_f32 v[4:5], v[6:7], v[4:5] neg_lo:[0,1] neg_hi:[0,1]
	scratch_store_dwordx2 off, v[4:5], off offset:144
	s_and_saveexec_b64 s[0:1], vcc
	s_cbranch_execz .LBB31_171
; %bb.170:
	scratch_load_dwordx2 v[4:5], off, off offset:136
	v_mov_b32_e32 v3, v2
	scratch_store_dwordx2 off, v[2:3], off offset:136
	s_waitcnt vmcnt(1)
	ds_write_b64 v1, v[4:5]
.LBB31_171:
	s_or_b64 exec, exec, s[0:1]
	s_waitcnt lgkmcnt(0)
	; wave barrier
	ds_read_b128 v[4:7], v2 offset:400
	ds_read_b128 v[8:11], v2 offset:416
	;; [unrolled: 1-line block ×4, first 2 shown]
	scratch_load_dwordx4 v[20:23], off, off offset:144
	v_cmp_lt_u32_e32 vcc, 16, v0
	s_waitcnt vmcnt(0) lgkmcnt(3)
	v_mul_f32_e32 v3, v4, v21
	v_fmac_f32_e32 v3, v5, v20
	v_mul_f32_e32 v24, v6, v23
	v_add_f32_e32 v3, 0, v3
	v_fmac_f32_e32 v24, v7, v22
	v_add_f32_e32 v3, v3, v24
	scratch_load_dwordx4 v[24:27], off, off offset:160
	s_waitcnt vmcnt(0) lgkmcnt(2)
	v_mul_f32_e32 v28, v8, v25
	v_fmac_f32_e32 v28, v9, v24
	v_add_f32_e32 v3, v3, v28
	v_mul_f32_e32 v28, v10, v27
	v_fmac_f32_e32 v28, v11, v26
	v_add_f32_e32 v49, v3, v28
	scratch_load_dwordx4 v[28:31], off, off offset:176
	scratch_load_dwordx4 v[32:35], off, off offset:192
	;; [unrolled: 1-line block ×5, first 2 shown]
	v_mul_f32_e32 v3, v5, v21
	v_fma_f32 v3, v4, v20, -v3
	v_mul_f32_e32 v4, v7, v23
	v_add_f32_e32 v3, 0, v3
	v_fma_f32 v4, v6, v22, -v4
	v_add_f32_e32 v3, v3, v4
	v_mul_f32_e32 v4, v9, v25
	v_fma_f32 v4, v8, v24, -v4
	v_add_f32_e32 v3, v3, v4
	v_mul_f32_e32 v4, v11, v27
	v_fma_f32 v4, v10, v26, -v4
	v_add_f32_e32 v48, v3, v4
	s_waitcnt vmcnt(3) lgkmcnt(0)
	v_pk_mul_f32 v[20:21], v[16:17], v[32:33] op_sel:[1,1] op_sel_hi:[0,1]
	v_pk_fma_f32 v[22:23], v[16:17], v[32:33], v[20:21] neg_lo:[0,0,1] neg_hi:[0,0,1]
	v_mul_f32_e32 v3, v13, v29
	v_mul_f32_e32 v51, v12, v29
	;; [unrolled: 1-line block ×3, first 2 shown]
	v_fma_f32 v50, v12, v28, -v3
	v_mul_f32_e32 v3, v15, v31
	v_pk_fma_f32 v[16:17], v[16:17], v[32:33], v[20:21] op_sel_hi:[1,0,1]
	v_fmac_f32_e32 v51, v13, v28
	v_fmac_f32_e32 v53, v15, v30
	v_fma_f32 v52, v14, v30, -v3
	ds_read_b128 v[4:7], v2 offset:464
	ds_read_b128 v[8:11], v2 offset:480
	;; [unrolled: 1-line block ×3, first 2 shown]
	v_mov_b32_e32 v16, v35
	v_mov_b32_e32 v23, v17
	v_pk_mul_f32 v[16:17], v[18:19], v[16:17] op_sel:[1,0] op_sel_hi:[0,0]
	v_pk_fma_f32 v[20:21], v[18:19], v[34:35], v[16:17] neg_lo:[0,0,1] neg_hi:[0,0,1]
	v_pk_fma_f32 v[16:17], v[18:19], v[34:35], v[16:17] op_sel_hi:[1,0,1]
	v_pk_add_f32 v[2:3], v[48:49], v[50:51]
	v_mov_b32_e32 v21, v17
	s_waitcnt vmcnt(2) lgkmcnt(2)
	v_pk_mul_f32 v[16:17], v[4:5], v[36:37] op_sel:[1,1] op_sel_hi:[0,1]
	v_pk_fma_f32 v[18:19], v[4:5], v[36:37], v[16:17] neg_lo:[0,0,1] neg_hi:[0,0,1]
	v_pk_fma_f32 v[4:5], v[4:5], v[36:37], v[16:17] op_sel_hi:[1,0,1]
	v_pk_add_f32 v[2:3], v[2:3], v[52:53]
	v_mov_b32_e32 v4, v39
	v_mov_b32_e32 v19, v5
	v_pk_mul_f32 v[4:5], v[6:7], v[4:5] op_sel:[1,0] op_sel_hi:[0,0]
	v_pk_fma_f32 v[16:17], v[6:7], v[38:39], v[4:5] neg_lo:[0,0,1] neg_hi:[0,0,1]
	v_pk_fma_f32 v[4:5], v[6:7], v[38:39], v[4:5] op_sel_hi:[1,0,1]
	v_pk_add_f32 v[2:3], v[2:3], v[22:23]
	v_mov_b32_e32 v17, v5
	s_waitcnt vmcnt(1) lgkmcnt(1)
	v_pk_mul_f32 v[4:5], v[8:9], v[40:41] op_sel:[1,1] op_sel_hi:[0,1]
	v_pk_add_f32 v[2:3], v[2:3], v[20:21]
	v_pk_fma_f32 v[6:7], v[8:9], v[40:41], v[4:5] neg_lo:[0,0,1] neg_hi:[0,0,1]
	v_pk_fma_f32 v[4:5], v[8:9], v[40:41], v[4:5] op_sel_hi:[1,0,1]
	v_pk_add_f32 v[2:3], v[2:3], v[18:19]
	v_mov_b32_e32 v4, v43
	v_pk_add_f32 v[2:3], v[2:3], v[16:17]
	v_mov_b32_e32 v7, v5
	v_pk_mul_f32 v[4:5], v[10:11], v[4:5] op_sel:[1,0] op_sel_hi:[0,0]
	v_pk_add_f32 v[2:3], v[2:3], v[6:7]
	v_pk_fma_f32 v[6:7], v[10:11], v[42:43], v[4:5] neg_lo:[0,0,1] neg_hi:[0,0,1]
	v_pk_fma_f32 v[4:5], v[10:11], v[42:43], v[4:5] op_sel_hi:[1,0,1]
	s_nop 0
	v_mov_b32_e32 v7, v5
	s_waitcnt vmcnt(0) lgkmcnt(0)
	v_pk_mul_f32 v[4:5], v[12:13], v[44:45] op_sel:[1,1] op_sel_hi:[0,1]
	v_pk_add_f32 v[2:3], v[2:3], v[6:7]
	v_pk_fma_f32 v[6:7], v[12:13], v[44:45], v[4:5] neg_lo:[0,0,1] neg_hi:[0,0,1]
	v_pk_fma_f32 v[4:5], v[12:13], v[44:45], v[4:5] op_sel_hi:[1,0,1]
	s_nop 0
	v_mov_b32_e32 v4, v47
	v_mov_b32_e32 v7, v5
	v_pk_mul_f32 v[4:5], v[14:15], v[4:5] op_sel:[1,0] op_sel_hi:[0,0]
	v_pk_add_f32 v[2:3], v[2:3], v[6:7]
	v_pk_fma_f32 v[6:7], v[14:15], v[46:47], v[4:5] neg_lo:[0,0,1] neg_hi:[0,0,1]
	v_pk_fma_f32 v[4:5], v[14:15], v[46:47], v[4:5] op_sel_hi:[1,0,1]
	s_nop 0
	v_mov_b32_e32 v7, v5
	scratch_load_dwordx2 v[4:5], off, off offset:136
	v_pk_add_f32 v[2:3], v[2:3], v[6:7]
	s_waitcnt vmcnt(0)
	v_pk_add_f32 v[2:3], v[4:5], v[2:3] neg_lo:[0,1] neg_hi:[0,1]
	scratch_store_dwordx2 off, v[2:3], off offset:136
	s_and_saveexec_b64 s[0:1], vcc
	s_cbranch_execz .LBB31_173
; %bb.172:
	scratch_load_dwordx2 v[2:3], off, off offset:128
	v_mov_b32_e32 v4, 0
	v_mov_b32_e32 v5, v4
	scratch_store_dwordx2 off, v[4:5], off offset:128
	s_waitcnt vmcnt(1)
	ds_write_b64 v1, v[2:3]
.LBB31_173:
	s_or_b64 exec, exec, s[0:1]
	s_waitcnt lgkmcnt(0)
	; wave barrier
	scratch_load_dwordx4 v[8:11], off, off offset:136
	scratch_load_dwordx4 v[16:19], off, off offset:152
	;; [unrolled: 1-line block ×4, first 2 shown]
	v_mov_b32_e32 v2, 0
	ds_read2_b64 v[4:7], v2 offset0:49 offset1:50
	v_cmp_lt_u32_e32 vcc, 15, v0
	s_waitcnt vmcnt(3) lgkmcnt(0)
	v_mul_f32_e32 v3, v4, v9
	v_fmac_f32_e32 v3, v5, v8
	v_mul_f32_e32 v12, v6, v11
	v_add_f32_e32 v3, 0, v3
	v_fmac_f32_e32 v12, v7, v10
	v_add_f32_e32 v3, v3, v12
	ds_read2_b64 v[12:15], v2 offset0:51 offset1:52
	s_waitcnt vmcnt(2) lgkmcnt(0)
	v_mul_f32_e32 v20, v12, v17
	v_fmac_f32_e32 v20, v13, v16
	v_add_f32_e32 v3, v3, v20
	v_mul_f32_e32 v20, v14, v19
	v_fmac_f32_e32 v20, v15, v18
	v_add_f32_e32 v3, v3, v20
	ds_read2_b64 v[20:23], v2 offset0:53 offset1:54
	s_waitcnt vmcnt(1) lgkmcnt(0)
	v_mul_f32_e32 v28, v20, v25
	v_fmac_f32_e32 v28, v21, v24
	v_add_f32_e32 v49, v3, v28
	ds_read2_b64 v[28:31], v2 offset0:55 offset1:56
	scratch_load_dwordx4 v[36:39], off, off offset:200
	scratch_load_dwordx4 v[40:43], off, off offset:216
	;; [unrolled: 1-line block ×3, first 2 shown]
	scratch_load_dwordx2 v[54:55], off, off offset:248
	v_mul_f32_e32 v3, v5, v9
	v_fma_f32 v3, v4, v8, -v3
	v_mul_f32_e32 v4, v7, v11
	v_add_f32_e32 v3, 0, v3
	v_fma_f32 v4, v6, v10, -v4
	v_add_f32_e32 v3, v3, v4
	v_mul_f32_e32 v4, v13, v17
	v_fma_f32 v4, v12, v16, -v4
	v_add_f32_e32 v3, v3, v4
	v_mul_f32_e32 v4, v15, v19
	;; [unrolled: 3-line block ×3, first 2 shown]
	v_fma_f32 v4, v20, v24, -v4
	v_mul_f32_e32 v51, v22, v27
	v_add_f32_e32 v48, v3, v4
	v_mul_f32_e32 v3, v23, v27
	s_waitcnt vmcnt(4)
	v_mov_b32_e32 v20, v35
	v_fmac_f32_e32 v51, v23, v26
	s_waitcnt lgkmcnt(0)
	v_mul_f32_e32 v53, v28, v33
	v_fma_f32 v50, v22, v26, -v3
	v_mul_f32_e32 v3, v29, v33
	ds_read2_b64 v[4:7], v2 offset0:57 offset1:58
	ds_read2_b64 v[8:11], v2 offset0:59 offset1:60
	;; [unrolled: 1-line block ×3, first 2 shown]
	ds_read_b64 v[16:17], v2 offset:504
	v_pk_mul_f32 v[20:21], v[30:31], v[20:21] op_sel:[1,0] op_sel_hi:[0,0]
	v_fmac_f32_e32 v53, v29, v32
	v_fma_f32 v52, v28, v32, -v3
	v_pk_add_f32 v[18:19], v[48:49], v[50:51]
	v_pk_fma_f32 v[22:23], v[30:31], v[34:35], v[20:21] neg_lo:[0,0,1] neg_hi:[0,0,1]
	v_pk_fma_f32 v[20:21], v[30:31], v[34:35], v[20:21] op_sel_hi:[1,0,1]
	v_pk_add_f32 v[18:19], v[18:19], v[52:53]
	v_mov_b32_e32 v23, v21
	v_pk_add_f32 v[18:19], v[18:19], v[22:23]
	s_waitcnt vmcnt(3) lgkmcnt(3)
	v_pk_mul_f32 v[20:21], v[4:5], v[36:37] op_sel:[1,1] op_sel_hi:[0,1]
	v_pk_fma_f32 v[22:23], v[4:5], v[36:37], v[20:21] neg_lo:[0,0,1] neg_hi:[0,0,1]
	v_pk_fma_f32 v[4:5], v[4:5], v[36:37], v[20:21] op_sel_hi:[1,0,1]
	s_nop 0
	v_mov_b32_e32 v23, v5
	v_pk_add_f32 v[4:5], v[18:19], v[22:23]
	v_mov_b32_e32 v18, v39
	v_pk_mul_f32 v[18:19], v[6:7], v[18:19] op_sel:[1,0] op_sel_hi:[0,0]
	v_pk_fma_f32 v[20:21], v[6:7], v[38:39], v[18:19] neg_lo:[0,0,1] neg_hi:[0,0,1]
	v_pk_fma_f32 v[6:7], v[6:7], v[38:39], v[18:19] op_sel_hi:[1,0,1]
	s_nop 0
	v_mov_b32_e32 v21, v7
	s_waitcnt vmcnt(2) lgkmcnt(2)
	v_pk_mul_f32 v[6:7], v[8:9], v[40:41] op_sel:[1,1] op_sel_hi:[0,1]
	v_pk_fma_f32 v[18:19], v[8:9], v[40:41], v[6:7] neg_lo:[0,0,1] neg_hi:[0,0,1]
	v_pk_fma_f32 v[6:7], v[8:9], v[40:41], v[6:7] op_sel_hi:[1,0,1]
	v_pk_add_f32 v[4:5], v[4:5], v[20:21]
	v_mov_b32_e32 v6, v43
	v_mov_b32_e32 v19, v7
	v_pk_mul_f32 v[6:7], v[10:11], v[6:7] op_sel:[1,0] op_sel_hi:[0,0]
	v_pk_fma_f32 v[8:9], v[10:11], v[42:43], v[6:7] neg_lo:[0,0,1] neg_hi:[0,0,1]
	v_pk_fma_f32 v[6:7], v[10:11], v[42:43], v[6:7] op_sel_hi:[1,0,1]
	v_pk_add_f32 v[4:5], v[4:5], v[18:19]
	v_mov_b32_e32 v9, v7
	s_waitcnt vmcnt(1) lgkmcnt(1)
	v_pk_mul_f32 v[6:7], v[12:13], v[44:45] op_sel:[1,1] op_sel_hi:[0,1]
	v_pk_add_f32 v[4:5], v[4:5], v[8:9]
	v_pk_fma_f32 v[8:9], v[12:13], v[44:45], v[6:7] neg_lo:[0,0,1] neg_hi:[0,0,1]
	v_pk_fma_f32 v[6:7], v[12:13], v[44:45], v[6:7] op_sel_hi:[1,0,1]
	s_nop 0
	v_mov_b32_e32 v6, v47
	v_mov_b32_e32 v9, v7
	v_pk_mul_f32 v[6:7], v[14:15], v[6:7] op_sel:[1,0] op_sel_hi:[0,0]
	v_pk_add_f32 v[4:5], v[4:5], v[8:9]
	v_pk_fma_f32 v[8:9], v[14:15], v[46:47], v[6:7] neg_lo:[0,0,1] neg_hi:[0,0,1]
	v_pk_fma_f32 v[6:7], v[14:15], v[46:47], v[6:7] op_sel_hi:[1,0,1]
	s_nop 0
	v_mov_b32_e32 v9, v7
	s_waitcnt vmcnt(0) lgkmcnt(0)
	v_pk_mul_f32 v[6:7], v[16:17], v[54:55] op_sel:[1,1] op_sel_hi:[0,1]
	v_pk_add_f32 v[4:5], v[4:5], v[8:9]
	v_pk_fma_f32 v[8:9], v[16:17], v[54:55], v[6:7] neg_lo:[0,0,1] neg_hi:[0,0,1]
	v_pk_fma_f32 v[6:7], v[16:17], v[54:55], v[6:7] op_sel_hi:[1,0,1]
	s_nop 0
	v_mov_b32_e32 v9, v7
	scratch_load_dwordx2 v[6:7], off, off offset:128
	v_pk_add_f32 v[4:5], v[4:5], v[8:9]
	s_waitcnt vmcnt(0)
	v_pk_add_f32 v[4:5], v[6:7], v[4:5] neg_lo:[0,1] neg_hi:[0,1]
	scratch_store_dwordx2 off, v[4:5], off offset:128
	s_and_saveexec_b64 s[0:1], vcc
	s_cbranch_execz .LBB31_175
; %bb.174:
	scratch_load_dwordx2 v[4:5], off, off offset:120
	v_mov_b32_e32 v3, v2
	scratch_store_dwordx2 off, v[2:3], off offset:120
	s_waitcnt vmcnt(1)
	ds_write_b64 v1, v[4:5]
.LBB31_175:
	s_or_b64 exec, exec, s[0:1]
	s_waitcnt lgkmcnt(0)
	; wave barrier
	ds_read_b128 v[4:7], v2 offset:384
	ds_read_b128 v[8:11], v2 offset:400
	;; [unrolled: 1-line block ×4, first 2 shown]
	scratch_load_dwordx4 v[20:23], off, off offset:128
	v_cmp_lt_u32_e32 vcc, 14, v0
	s_waitcnt vmcnt(0) lgkmcnt(3)
	v_mul_f32_e32 v3, v4, v21
	v_fmac_f32_e32 v3, v5, v20
	v_mul_f32_e32 v24, v6, v23
	v_add_f32_e32 v3, 0, v3
	v_fmac_f32_e32 v24, v7, v22
	v_add_f32_e32 v3, v3, v24
	scratch_load_dwordx4 v[24:27], off, off offset:144
	s_waitcnt vmcnt(0) lgkmcnt(2)
	v_mul_f32_e32 v28, v8, v25
	v_fmac_f32_e32 v28, v9, v24
	v_add_f32_e32 v3, v3, v28
	v_mul_f32_e32 v28, v10, v27
	v_fmac_f32_e32 v28, v11, v26
	v_add_f32_e32 v3, v3, v28
	scratch_load_dwordx4 v[28:31], off, off offset:160
	s_waitcnt vmcnt(0) lgkmcnt(1)
	v_mul_f32_e32 v32, v12, v29
	v_fmac_f32_e32 v32, v13, v28
	v_add_f32_e32 v3, v3, v32
	v_mul_f32_e32 v32, v14, v31
	v_fmac_f32_e32 v32, v15, v30
	v_add_f32_e32 v53, v3, v32
	scratch_load_dwordx4 v[32:35], off, off offset:176
	scratch_load_dwordx4 v[36:39], off, off offset:192
	;; [unrolled: 1-line block ×5, first 2 shown]
	v_mul_f32_e32 v3, v5, v21
	v_fma_f32 v3, v4, v20, -v3
	v_mul_f32_e32 v4, v7, v23
	v_add_f32_e32 v3, 0, v3
	v_fma_f32 v4, v6, v22, -v4
	v_add_f32_e32 v3, v3, v4
	v_mul_f32_e32 v4, v9, v25
	v_fma_f32 v4, v8, v24, -v4
	v_add_f32_e32 v3, v3, v4
	v_mul_f32_e32 v4, v11, v27
	v_fma_f32 v4, v10, v26, -v4
	v_add_f32_e32 v3, v3, v4
	v_mul_f32_e32 v4, v13, v29
	v_fma_f32 v4, v12, v28, -v4
	v_add_f32_e32 v3, v3, v4
	v_mul_f32_e32 v4, v15, v31
	v_fma_f32 v4, v14, v30, -v4
	v_add_f32_e32 v52, v3, v4
	s_waitcnt vmcnt(4) lgkmcnt(0)
	v_mul_f32_e32 v3, v17, v33
	v_mul_f32_e32 v55, v16, v33
	;; [unrolled: 1-line block ×3, first 2 shown]
	v_fma_f32 v54, v16, v32, -v3
	v_mul_f32_e32 v3, v19, v35
	v_fmac_f32_e32 v55, v17, v32
	v_fmac_f32_e32 v57, v19, v34
	v_fma_f32 v56, v18, v34, -v3
	ds_read_b128 v[4:7], v2 offset:448
	ds_read_b128 v[8:11], v2 offset:464
	;; [unrolled: 1-line block ×4, first 2 shown]
	v_pk_add_f32 v[2:3], v[52:53], v[54:55]
	s_waitcnt vmcnt(3) lgkmcnt(3)
	v_pk_mul_f32 v[20:21], v[4:5], v[36:37] op_sel:[1,1] op_sel_hi:[0,1]
	v_pk_fma_f32 v[22:23], v[4:5], v[36:37], v[20:21] neg_lo:[0,0,1] neg_hi:[0,0,1]
	v_pk_fma_f32 v[4:5], v[4:5], v[36:37], v[20:21] op_sel_hi:[1,0,1]
	v_pk_add_f32 v[2:3], v[2:3], v[56:57]
	v_mov_b32_e32 v4, v39
	v_mov_b32_e32 v23, v5
	v_pk_mul_f32 v[4:5], v[6:7], v[4:5] op_sel:[1,0] op_sel_hi:[0,0]
	v_pk_fma_f32 v[20:21], v[6:7], v[38:39], v[4:5] neg_lo:[0,0,1] neg_hi:[0,0,1]
	v_pk_fma_f32 v[4:5], v[6:7], v[38:39], v[4:5] op_sel_hi:[1,0,1]
	v_pk_add_f32 v[2:3], v[2:3], v[22:23]
	v_mov_b32_e32 v21, v5
	s_waitcnt vmcnt(2) lgkmcnt(2)
	v_pk_mul_f32 v[4:5], v[8:9], v[40:41] op_sel:[1,1] op_sel_hi:[0,1]
	v_pk_fma_f32 v[6:7], v[8:9], v[40:41], v[4:5] neg_lo:[0,0,1] neg_hi:[0,0,1]
	v_pk_fma_f32 v[4:5], v[8:9], v[40:41], v[4:5] op_sel_hi:[1,0,1]
	v_pk_add_f32 v[2:3], v[2:3], v[20:21]
	v_mov_b32_e32 v4, v43
	v_mov_b32_e32 v7, v5
	v_pk_mul_f32 v[4:5], v[10:11], v[4:5] op_sel:[1,0] op_sel_hi:[0,0]
	v_pk_add_f32 v[2:3], v[2:3], v[6:7]
	v_pk_fma_f32 v[6:7], v[10:11], v[42:43], v[4:5] neg_lo:[0,0,1] neg_hi:[0,0,1]
	v_pk_fma_f32 v[4:5], v[10:11], v[42:43], v[4:5] op_sel_hi:[1,0,1]
	s_nop 0
	v_mov_b32_e32 v7, v5
	s_waitcnt vmcnt(1) lgkmcnt(1)
	v_pk_mul_f32 v[4:5], v[12:13], v[44:45] op_sel:[1,1] op_sel_hi:[0,1]
	v_pk_add_f32 v[2:3], v[2:3], v[6:7]
	v_pk_fma_f32 v[6:7], v[12:13], v[44:45], v[4:5] neg_lo:[0,0,1] neg_hi:[0,0,1]
	v_pk_fma_f32 v[4:5], v[12:13], v[44:45], v[4:5] op_sel_hi:[1,0,1]
	s_nop 0
	v_mov_b32_e32 v4, v47
	v_mov_b32_e32 v7, v5
	v_pk_mul_f32 v[4:5], v[14:15], v[4:5] op_sel:[1,0] op_sel_hi:[0,0]
	v_pk_add_f32 v[2:3], v[2:3], v[6:7]
	v_pk_fma_f32 v[6:7], v[14:15], v[46:47], v[4:5] neg_lo:[0,0,1] neg_hi:[0,0,1]
	v_pk_fma_f32 v[4:5], v[14:15], v[46:47], v[4:5] op_sel_hi:[1,0,1]
	s_nop 0
	v_mov_b32_e32 v7, v5
	s_waitcnt vmcnt(0) lgkmcnt(0)
	v_pk_mul_f32 v[4:5], v[16:17], v[48:49] op_sel:[1,1] op_sel_hi:[0,1]
	v_pk_add_f32 v[2:3], v[2:3], v[6:7]
	v_pk_fma_f32 v[6:7], v[16:17], v[48:49], v[4:5] neg_lo:[0,0,1] neg_hi:[0,0,1]
	v_pk_fma_f32 v[4:5], v[16:17], v[48:49], v[4:5] op_sel_hi:[1,0,1]
	s_nop 0
	v_mov_b32_e32 v4, v51
	v_mov_b32_e32 v7, v5
	v_pk_mul_f32 v[4:5], v[18:19], v[4:5] op_sel:[1,0] op_sel_hi:[0,0]
	v_pk_add_f32 v[2:3], v[2:3], v[6:7]
	v_pk_fma_f32 v[6:7], v[18:19], v[50:51], v[4:5] neg_lo:[0,0,1] neg_hi:[0,0,1]
	v_pk_fma_f32 v[4:5], v[18:19], v[50:51], v[4:5] op_sel_hi:[1,0,1]
	s_nop 0
	v_mov_b32_e32 v7, v5
	scratch_load_dwordx2 v[4:5], off, off offset:120
	v_pk_add_f32 v[2:3], v[2:3], v[6:7]
	s_waitcnt vmcnt(0)
	v_pk_add_f32 v[2:3], v[4:5], v[2:3] neg_lo:[0,1] neg_hi:[0,1]
	scratch_store_dwordx2 off, v[2:3], off offset:120
	s_and_saveexec_b64 s[0:1], vcc
	s_cbranch_execz .LBB31_177
; %bb.176:
	scratch_load_dwordx2 v[2:3], off, off offset:112
	v_mov_b32_e32 v4, 0
	v_mov_b32_e32 v5, v4
	scratch_store_dwordx2 off, v[4:5], off offset:112
	s_waitcnt vmcnt(1)
	ds_write_b64 v1, v[2:3]
.LBB31_177:
	s_or_b64 exec, exec, s[0:1]
	s_waitcnt lgkmcnt(0)
	; wave barrier
	scratch_load_dwordx4 v[8:11], off, off offset:120
	scratch_load_dwordx4 v[16:19], off, off offset:136
	;; [unrolled: 1-line block ×4, first 2 shown]
	v_mov_b32_e32 v2, 0
	ds_read2_b64 v[4:7], v2 offset0:47 offset1:48
	scratch_load_dwordx4 v[40:43], off, off offset:184
	v_cmp_lt_u32_e32 vcc, 13, v0
	s_waitcnt vmcnt(4) lgkmcnt(0)
	v_mul_f32_e32 v3, v4, v9
	v_fmac_f32_e32 v3, v5, v8
	v_mul_f32_e32 v12, v6, v11
	v_add_f32_e32 v3, 0, v3
	v_fmac_f32_e32 v12, v7, v10
	v_add_f32_e32 v3, v3, v12
	ds_read2_b64 v[12:15], v2 offset0:49 offset1:50
	s_waitcnt vmcnt(3) lgkmcnt(0)
	v_mul_f32_e32 v20, v12, v17
	v_fmac_f32_e32 v20, v13, v16
	v_add_f32_e32 v3, v3, v20
	v_mul_f32_e32 v20, v14, v19
	v_fmac_f32_e32 v20, v15, v18
	v_add_f32_e32 v3, v3, v20
	ds_read2_b64 v[20:23], v2 offset0:51 offset1:52
	s_waitcnt vmcnt(2) lgkmcnt(0)
	v_mul_f32_e32 v28, v20, v25
	v_fmac_f32_e32 v28, v21, v24
	v_add_f32_e32 v3, v3, v28
	v_mul_f32_e32 v28, v22, v27
	v_fmac_f32_e32 v28, v23, v26
	v_add_f32_e32 v3, v3, v28
	ds_read2_b64 v[28:31], v2 offset0:53 offset1:54
	s_waitcnt vmcnt(1) lgkmcnt(0)
	v_mul_f32_e32 v36, v28, v33
	v_fmac_f32_e32 v36, v29, v32
	v_add_f32_e32 v57, v3, v36
	ds_read2_b64 v[36:39], v2 offset0:55 offset1:56
	scratch_load_dwordx4 v[44:47], off, off offset:200
	scratch_load_dwordx4 v[48:51], off, off offset:216
	;; [unrolled: 1-line block ×3, first 2 shown]
	scratch_load_dwordx2 v[62:63], off, off offset:248
	v_mul_f32_e32 v3, v5, v9
	v_fma_f32 v3, v4, v8, -v3
	v_mul_f32_e32 v4, v7, v11
	v_add_f32_e32 v3, 0, v3
	v_fma_f32 v4, v6, v10, -v4
	v_add_f32_e32 v3, v3, v4
	v_mul_f32_e32 v4, v13, v17
	v_fma_f32 v4, v12, v16, -v4
	v_add_f32_e32 v3, v3, v4
	v_mul_f32_e32 v4, v15, v19
	;; [unrolled: 3-line block ×5, first 2 shown]
	v_fma_f32 v4, v28, v32, -v4
	v_mul_f32_e32 v59, v30, v35
	v_add_f32_e32 v56, v3, v4
	v_mul_f32_e32 v3, v31, v35
	s_waitcnt vmcnt(4)
	v_mov_b32_e32 v20, v43
	v_fmac_f32_e32 v59, v31, v34
	s_waitcnt lgkmcnt(0)
	v_mul_f32_e32 v61, v36, v41
	v_fma_f32 v58, v30, v34, -v3
	v_mul_f32_e32 v3, v37, v41
	ds_read2_b64 v[4:7], v2 offset0:57 offset1:58
	ds_read2_b64 v[8:11], v2 offset0:59 offset1:60
	;; [unrolled: 1-line block ×3, first 2 shown]
	ds_read_b64 v[16:17], v2 offset:504
	v_pk_mul_f32 v[20:21], v[38:39], v[20:21] op_sel:[1,0] op_sel_hi:[0,0]
	v_fmac_f32_e32 v61, v37, v40
	v_fma_f32 v60, v36, v40, -v3
	v_pk_add_f32 v[18:19], v[56:57], v[58:59]
	v_pk_fma_f32 v[22:23], v[38:39], v[42:43], v[20:21] neg_lo:[0,0,1] neg_hi:[0,0,1]
	v_pk_fma_f32 v[20:21], v[38:39], v[42:43], v[20:21] op_sel_hi:[1,0,1]
	v_pk_add_f32 v[18:19], v[18:19], v[60:61]
	v_mov_b32_e32 v23, v21
	v_pk_add_f32 v[18:19], v[18:19], v[22:23]
	s_waitcnt vmcnt(3) lgkmcnt(3)
	v_pk_mul_f32 v[20:21], v[4:5], v[44:45] op_sel:[1,1] op_sel_hi:[0,1]
	v_pk_fma_f32 v[22:23], v[4:5], v[44:45], v[20:21] neg_lo:[0,0,1] neg_hi:[0,0,1]
	v_pk_fma_f32 v[4:5], v[4:5], v[44:45], v[20:21] op_sel_hi:[1,0,1]
	s_nop 0
	v_mov_b32_e32 v23, v5
	v_pk_add_f32 v[4:5], v[18:19], v[22:23]
	v_mov_b32_e32 v18, v47
	v_pk_mul_f32 v[18:19], v[6:7], v[18:19] op_sel:[1,0] op_sel_hi:[0,0]
	v_pk_fma_f32 v[20:21], v[6:7], v[46:47], v[18:19] neg_lo:[0,0,1] neg_hi:[0,0,1]
	v_pk_fma_f32 v[6:7], v[6:7], v[46:47], v[18:19] op_sel_hi:[1,0,1]
	s_nop 0
	v_mov_b32_e32 v21, v7
	s_waitcnt vmcnt(2) lgkmcnt(2)
	v_pk_mul_f32 v[6:7], v[8:9], v[48:49] op_sel:[1,1] op_sel_hi:[0,1]
	v_pk_fma_f32 v[18:19], v[8:9], v[48:49], v[6:7] neg_lo:[0,0,1] neg_hi:[0,0,1]
	v_pk_fma_f32 v[6:7], v[8:9], v[48:49], v[6:7] op_sel_hi:[1,0,1]
	v_pk_add_f32 v[4:5], v[4:5], v[20:21]
	v_mov_b32_e32 v6, v51
	v_mov_b32_e32 v19, v7
	v_pk_mul_f32 v[6:7], v[10:11], v[6:7] op_sel:[1,0] op_sel_hi:[0,0]
	v_pk_fma_f32 v[8:9], v[10:11], v[50:51], v[6:7] neg_lo:[0,0,1] neg_hi:[0,0,1]
	v_pk_fma_f32 v[6:7], v[10:11], v[50:51], v[6:7] op_sel_hi:[1,0,1]
	v_pk_add_f32 v[4:5], v[4:5], v[18:19]
	v_mov_b32_e32 v9, v7
	s_waitcnt vmcnt(1) lgkmcnt(1)
	v_pk_mul_f32 v[6:7], v[12:13], v[52:53] op_sel:[1,1] op_sel_hi:[0,1]
	v_pk_add_f32 v[4:5], v[4:5], v[8:9]
	v_pk_fma_f32 v[8:9], v[12:13], v[52:53], v[6:7] neg_lo:[0,0,1] neg_hi:[0,0,1]
	v_pk_fma_f32 v[6:7], v[12:13], v[52:53], v[6:7] op_sel_hi:[1,0,1]
	s_nop 0
	v_mov_b32_e32 v6, v55
	v_mov_b32_e32 v9, v7
	v_pk_mul_f32 v[6:7], v[14:15], v[6:7] op_sel:[1,0] op_sel_hi:[0,0]
	v_pk_add_f32 v[4:5], v[4:5], v[8:9]
	v_pk_fma_f32 v[8:9], v[14:15], v[54:55], v[6:7] neg_lo:[0,0,1] neg_hi:[0,0,1]
	v_pk_fma_f32 v[6:7], v[14:15], v[54:55], v[6:7] op_sel_hi:[1,0,1]
	s_nop 0
	v_mov_b32_e32 v9, v7
	s_waitcnt vmcnt(0) lgkmcnt(0)
	v_pk_mul_f32 v[6:7], v[16:17], v[62:63] op_sel:[1,1] op_sel_hi:[0,1]
	v_pk_add_f32 v[4:5], v[4:5], v[8:9]
	v_pk_fma_f32 v[8:9], v[16:17], v[62:63], v[6:7] neg_lo:[0,0,1] neg_hi:[0,0,1]
	v_pk_fma_f32 v[6:7], v[16:17], v[62:63], v[6:7] op_sel_hi:[1,0,1]
	s_nop 0
	v_mov_b32_e32 v9, v7
	scratch_load_dwordx2 v[6:7], off, off offset:112
	v_pk_add_f32 v[4:5], v[4:5], v[8:9]
	s_waitcnt vmcnt(0)
	v_pk_add_f32 v[4:5], v[6:7], v[4:5] neg_lo:[0,1] neg_hi:[0,1]
	scratch_store_dwordx2 off, v[4:5], off offset:112
	s_and_saveexec_b64 s[0:1], vcc
	s_cbranch_execz .LBB31_179
; %bb.178:
	scratch_load_dwordx2 v[4:5], off, off offset:104
	v_mov_b32_e32 v3, v2
	scratch_store_dwordx2 off, v[2:3], off offset:104
	s_waitcnt vmcnt(1)
	ds_write_b64 v1, v[4:5]
.LBB31_179:
	s_or_b64 exec, exec, s[0:1]
	s_waitcnt lgkmcnt(0)
	; wave barrier
	ds_read_b128 v[4:7], v2 offset:368
	ds_read_b128 v[8:11], v2 offset:384
	;; [unrolled: 1-line block ×4, first 2 shown]
	scratch_load_dwordx4 v[20:23], off, off offset:112
	scratch_load_dwordx4 v[40:43], off, off offset:176
	v_cmp_lt_u32_e32 vcc, 12, v0
	s_waitcnt vmcnt(1) lgkmcnt(3)
	v_mul_f32_e32 v3, v4, v21
	v_fmac_f32_e32 v3, v5, v20
	v_mul_f32_e32 v24, v6, v23
	v_add_f32_e32 v3, 0, v3
	v_fmac_f32_e32 v24, v7, v22
	v_add_f32_e32 v3, v3, v24
	scratch_load_dwordx4 v[24:27], off, off offset:128
	s_waitcnt vmcnt(0) lgkmcnt(2)
	v_mul_f32_e32 v28, v8, v25
	v_fmac_f32_e32 v28, v9, v24
	v_add_f32_e32 v3, v3, v28
	v_mul_f32_e32 v28, v10, v27
	v_fmac_f32_e32 v28, v11, v26
	v_add_f32_e32 v3, v3, v28
	scratch_load_dwordx4 v[28:31], off, off offset:144
	s_waitcnt vmcnt(0) lgkmcnt(1)
	v_mul_f32_e32 v32, v12, v29
	v_fmac_f32_e32 v32, v13, v28
	v_add_f32_e32 v3, v3, v32
	v_mul_f32_e32 v32, v14, v31
	;; [unrolled: 8-line block ×3, first 2 shown]
	v_fmac_f32_e32 v36, v19, v34
	v_add_f32_e32 v61, v3, v36
	ds_read_b128 v[36:39], v2 offset:432
	scratch_load_dwordx4 v[44:47], off, off offset:192
	scratch_load_dwordx4 v[48:51], off, off offset:208
	;; [unrolled: 1-line block ×4, first 2 shown]
	v_mul_f32_e32 v3, v5, v21
	v_fma_f32 v3, v4, v20, -v3
	v_mul_f32_e32 v4, v7, v23
	v_add_f32_e32 v3, 0, v3
	v_fma_f32 v4, v6, v22, -v4
	v_add_f32_e32 v3, v3, v4
	v_mul_f32_e32 v4, v9, v25
	v_fma_f32 v4, v8, v24, -v4
	v_add_f32_e32 v3, v3, v4
	v_mul_f32_e32 v4, v11, v27
	;; [unrolled: 3-line block ×6, first 2 shown]
	v_fma_f32 v4, v18, v34, -v4
	v_add_f32_e32 v60, v3, v4
	ds_read_b128 v[4:7], v2 offset:448
	ds_read_b128 v[8:11], v2 offset:464
	;; [unrolled: 1-line block ×4, first 2 shown]
	s_waitcnt lgkmcnt(4)
	v_mul_f32_e32 v63, v36, v41
	v_mul_f32_e32 v3, v37, v41
	v_fmac_f32_e32 v63, v37, v40
	v_mul_f32_e32 v65, v38, v43
	v_fma_f32 v62, v36, v40, -v3
	v_mul_f32_e32 v3, v39, v43
	v_fmac_f32_e32 v65, v39, v42
	v_fma_f32 v64, v38, v42, -v3
	v_pk_add_f32 v[2:3], v[60:61], v[62:63]
	s_waitcnt vmcnt(3) lgkmcnt(3)
	v_pk_mul_f32 v[20:21], v[4:5], v[44:45] op_sel:[1,1] op_sel_hi:[0,1]
	v_pk_fma_f32 v[22:23], v[4:5], v[44:45], v[20:21] neg_lo:[0,0,1] neg_hi:[0,0,1]
	v_pk_fma_f32 v[4:5], v[4:5], v[44:45], v[20:21] op_sel_hi:[1,0,1]
	v_pk_add_f32 v[2:3], v[2:3], v[64:65]
	v_mov_b32_e32 v4, v47
	v_mov_b32_e32 v23, v5
	v_pk_mul_f32 v[4:5], v[6:7], v[4:5] op_sel:[1,0] op_sel_hi:[0,0]
	v_pk_fma_f32 v[20:21], v[6:7], v[46:47], v[4:5] neg_lo:[0,0,1] neg_hi:[0,0,1]
	v_pk_fma_f32 v[4:5], v[6:7], v[46:47], v[4:5] op_sel_hi:[1,0,1]
	v_pk_add_f32 v[2:3], v[2:3], v[22:23]
	v_mov_b32_e32 v21, v5
	s_waitcnt vmcnt(2) lgkmcnt(2)
	v_pk_mul_f32 v[4:5], v[8:9], v[48:49] op_sel:[1,1] op_sel_hi:[0,1]
	v_pk_fma_f32 v[6:7], v[8:9], v[48:49], v[4:5] neg_lo:[0,0,1] neg_hi:[0,0,1]
	v_pk_fma_f32 v[4:5], v[8:9], v[48:49], v[4:5] op_sel_hi:[1,0,1]
	v_pk_add_f32 v[2:3], v[2:3], v[20:21]
	v_mov_b32_e32 v4, v51
	v_mov_b32_e32 v7, v5
	v_pk_mul_f32 v[4:5], v[10:11], v[4:5] op_sel:[1,0] op_sel_hi:[0,0]
	v_pk_add_f32 v[2:3], v[2:3], v[6:7]
	v_pk_fma_f32 v[6:7], v[10:11], v[50:51], v[4:5] neg_lo:[0,0,1] neg_hi:[0,0,1]
	v_pk_fma_f32 v[4:5], v[10:11], v[50:51], v[4:5] op_sel_hi:[1,0,1]
	s_nop 0
	v_mov_b32_e32 v7, v5
	s_waitcnt vmcnt(1) lgkmcnt(1)
	v_pk_mul_f32 v[4:5], v[12:13], v[52:53] op_sel:[1,1] op_sel_hi:[0,1]
	v_pk_add_f32 v[2:3], v[2:3], v[6:7]
	v_pk_fma_f32 v[6:7], v[12:13], v[52:53], v[4:5] neg_lo:[0,0,1] neg_hi:[0,0,1]
	v_pk_fma_f32 v[4:5], v[12:13], v[52:53], v[4:5] op_sel_hi:[1,0,1]
	s_nop 0
	v_mov_b32_e32 v4, v55
	v_mov_b32_e32 v7, v5
	v_pk_mul_f32 v[4:5], v[14:15], v[4:5] op_sel:[1,0] op_sel_hi:[0,0]
	v_pk_add_f32 v[2:3], v[2:3], v[6:7]
	v_pk_fma_f32 v[6:7], v[14:15], v[54:55], v[4:5] neg_lo:[0,0,1] neg_hi:[0,0,1]
	v_pk_fma_f32 v[4:5], v[14:15], v[54:55], v[4:5] op_sel_hi:[1,0,1]
	s_nop 0
	v_mov_b32_e32 v7, v5
	s_waitcnt vmcnt(0) lgkmcnt(0)
	v_pk_mul_f32 v[4:5], v[16:17], v[56:57] op_sel:[1,1] op_sel_hi:[0,1]
	v_pk_add_f32 v[2:3], v[2:3], v[6:7]
	v_pk_fma_f32 v[6:7], v[16:17], v[56:57], v[4:5] neg_lo:[0,0,1] neg_hi:[0,0,1]
	v_pk_fma_f32 v[4:5], v[16:17], v[56:57], v[4:5] op_sel_hi:[1,0,1]
	s_nop 0
	v_mov_b32_e32 v4, v59
	v_mov_b32_e32 v7, v5
	v_pk_mul_f32 v[4:5], v[18:19], v[4:5] op_sel:[1,0] op_sel_hi:[0,0]
	v_pk_add_f32 v[2:3], v[2:3], v[6:7]
	v_pk_fma_f32 v[6:7], v[18:19], v[58:59], v[4:5] neg_lo:[0,0,1] neg_hi:[0,0,1]
	v_pk_fma_f32 v[4:5], v[18:19], v[58:59], v[4:5] op_sel_hi:[1,0,1]
	s_nop 0
	v_mov_b32_e32 v7, v5
	scratch_load_dwordx2 v[4:5], off, off offset:104
	v_pk_add_f32 v[2:3], v[2:3], v[6:7]
	s_waitcnt vmcnt(0)
	v_pk_add_f32 v[2:3], v[4:5], v[2:3] neg_lo:[0,1] neg_hi:[0,1]
	scratch_store_dwordx2 off, v[2:3], off offset:104
	s_and_saveexec_b64 s[0:1], vcc
	s_cbranch_execz .LBB31_181
; %bb.180:
	scratch_load_dwordx2 v[2:3], off, off offset:96
	v_mov_b32_e32 v4, 0
	v_mov_b32_e32 v5, v4
	scratch_store_dwordx2 off, v[4:5], off offset:96
	s_waitcnt vmcnt(1)
	ds_write_b64 v1, v[2:3]
.LBB31_181:
	s_or_b64 exec, exec, s[0:1]
	s_waitcnt lgkmcnt(0)
	; wave barrier
	scratch_load_dwordx4 v[4:7], off, off offset:104
	scratch_load_dwordx4 v[8:11], off, off offset:120
	;; [unrolled: 1-line block ×9, first 2 shown]
	scratch_load_dwordx2 v[76:77], off, off offset:248
	scratch_load_dwordx2 v[78:79], off, off offset:96
	v_mov_b32_e32 v2, 0
	ds_read2_b64 v[40:43], v2 offset0:45 offset1:46
	ds_read2_b64 v[44:47], v2 offset0:47 offset1:48
	;; [unrolled: 1-line block ×9, first 2 shown]
	ds_read_b64 v[80:81], v2 offset:504
	v_cmp_lt_u32_e32 vcc, 11, v0
	s_waitcnt vmcnt(10) lgkmcnt(9)
	v_mul_f32_e32 v87, v42, v7
	v_mul_f32_e32 v3, v40, v5
	;; [unrolled: 1-line block ×3, first 2 shown]
	v_fmac_f32_e32 v87, v43, v6
	s_waitcnt vmcnt(9) lgkmcnt(8)
	v_mul_f32_e32 v88, v44, v9
	s_waitcnt vmcnt(5)
	v_mov_b32_e32 v86, v27
	v_mul_f32_e32 v89, v46, v11
	s_waitcnt lgkmcnt(7)
	v_mul_f32_e32 v91, v50, v15
	v_mul_f32_e32 v7, v43, v7
	v_mul_f32_e32 v9, v45, v9
	v_mul_f32_e32 v11, v47, v11
	v_mul_f32_e32 v15, v51, v15
	v_fmac_f32_e32 v3, v41, v4
	v_fma_f32 v40, v40, v4, -v5
	s_waitcnt lgkmcnt(4)
	v_pk_mul_f32 v[4:5], v[62:63], v[86:87] op_sel:[1,0] op_sel_hi:[0,0]
	v_fmac_f32_e32 v88, v45, v8
	v_fma_f32 v41, v42, v6, -v7
	v_fma_f32 v8, v44, v8, -v9
	v_fma_f32 v9, v46, v10, -v11
	v_fma_f32 v11, v50, v14, -v15
	v_add_f32_e32 v3, 0, v3
	v_add_f32_e32 v15, 0, v40
	v_pk_fma_f32 v[6:7], v[62:63], v[26:27], v[4:5] neg_lo:[0,0,1] neg_hi:[0,0,1]
	v_pk_fma_f32 v[4:5], v[62:63], v[26:27], v[4:5] op_sel_hi:[1,0,1]
	v_add_f32_e32 v3, v3, v87
	v_add_f32_e32 v4, v15, v41
	v_mul_f32_e32 v90, v48, v13
	v_mul_f32_e32 v13, v49, v13
	v_fmac_f32_e32 v89, v47, v10
	v_add_f32_e32 v3, v3, v88
	v_add_f32_e32 v4, v4, v8
	v_fmac_f32_e32 v90, v49, v12
	v_fma_f32 v10, v48, v12, -v13
	v_add_f32_e32 v3, v3, v89
	v_add_f32_e32 v4, v4, v9
	v_mul_f32_e32 v92, v52, v17
	v_mul_f32_e32 v17, v53, v17
	v_fmac_f32_e32 v91, v51, v14
	v_add_f32_e32 v3, v3, v90
	v_add_f32_e32 v4, v4, v10
	v_mul_f32_e32 v93, v54, v19
	v_mul_f32_e32 v19, v55, v19
	v_fmac_f32_e32 v92, v53, v16
	v_fma_f32 v12, v52, v16, -v17
	v_add_f32_e32 v3, v3, v91
	v_add_f32_e32 v4, v4, v11
	v_mul_f32_e32 v94, v56, v21
	v_mul_f32_e32 v21, v57, v21
	v_fmac_f32_e32 v93, v55, v18
	v_fma_f32 v13, v54, v18, -v19
	v_add_f32_e32 v3, v3, v92
	v_add_f32_e32 v4, v4, v12
	v_mul_f32_e32 v83, v58, v23
	v_mul_f32_e32 v23, v59, v23
	v_fmac_f32_e32 v94, v57, v20
	v_fma_f32 v14, v56, v20, -v21
	v_add_f32_e32 v3, v3, v93
	v_add_f32_e32 v4, v4, v13
	v_mul_f32_e32 v85, v60, v25
	v_mul_f32_e32 v25, v61, v25
	v_fmac_f32_e32 v83, v59, v22
	v_fma_f32 v82, v58, v22, -v23
	v_mov_b32_e32 v7, v5
	v_add_f32_e32 v5, v3, v94
	v_add_f32_e32 v4, v4, v14
	v_fmac_f32_e32 v85, v61, v24
	v_fma_f32 v84, v60, v24, -v25
	v_pk_add_f32 v[4:5], v[4:5], v[82:83]
	s_nop 0
	v_pk_add_f32 v[4:5], v[4:5], v[84:85]
	s_nop 0
	v_pk_add_f32 v[4:5], v[4:5], v[6:7]
	s_waitcnt vmcnt(4) lgkmcnt(3)
	v_pk_mul_f32 v[6:7], v[64:65], v[28:29] op_sel:[1,1] op_sel_hi:[0,1]
	v_pk_fma_f32 v[8:9], v[64:65], v[28:29], v[6:7] neg_lo:[0,0,1] neg_hi:[0,0,1]
	v_pk_fma_f32 v[6:7], v[64:65], v[28:29], v[6:7] op_sel_hi:[1,0,1]
	s_nop 0
	v_mov_b32_e32 v6, v31
	v_mov_b32_e32 v9, v7
	v_pk_mul_f32 v[6:7], v[66:67], v[6:7] op_sel:[1,0] op_sel_hi:[0,0]
	v_pk_add_f32 v[4:5], v[4:5], v[8:9]
	v_pk_fma_f32 v[8:9], v[66:67], v[30:31], v[6:7] neg_lo:[0,0,1] neg_hi:[0,0,1]
	v_pk_fma_f32 v[6:7], v[66:67], v[30:31], v[6:7] op_sel_hi:[1,0,1]
	s_nop 0
	v_mov_b32_e32 v9, v7
	s_waitcnt vmcnt(3) lgkmcnt(2)
	v_pk_mul_f32 v[6:7], v[68:69], v[32:33] op_sel:[1,1] op_sel_hi:[0,1]
	v_pk_add_f32 v[4:5], v[4:5], v[8:9]
	v_pk_fma_f32 v[8:9], v[68:69], v[32:33], v[6:7] neg_lo:[0,0,1] neg_hi:[0,0,1]
	v_pk_fma_f32 v[6:7], v[68:69], v[32:33], v[6:7] op_sel_hi:[1,0,1]
	s_nop 0
	v_mov_b32_e32 v6, v35
	v_mov_b32_e32 v9, v7
	v_pk_mul_f32 v[6:7], v[70:71], v[6:7] op_sel:[1,0] op_sel_hi:[0,0]
	v_pk_add_f32 v[4:5], v[4:5], v[8:9]
	v_pk_fma_f32 v[8:9], v[70:71], v[34:35], v[6:7] neg_lo:[0,0,1] neg_hi:[0,0,1]
	v_pk_fma_f32 v[6:7], v[70:71], v[34:35], v[6:7] op_sel_hi:[1,0,1]
	s_nop 0
	v_mov_b32_e32 v9, v7
	s_waitcnt vmcnt(2) lgkmcnt(1)
	v_pk_mul_f32 v[6:7], v[72:73], v[36:37] op_sel:[1,1] op_sel_hi:[0,1]
	v_pk_add_f32 v[4:5], v[4:5], v[8:9]
	v_pk_fma_f32 v[8:9], v[72:73], v[36:37], v[6:7] neg_lo:[0,0,1] neg_hi:[0,0,1]
	v_pk_fma_f32 v[6:7], v[72:73], v[36:37], v[6:7] op_sel_hi:[1,0,1]
	s_nop 0
	v_mov_b32_e32 v6, v39
	v_mov_b32_e32 v9, v7
	v_pk_mul_f32 v[6:7], v[74:75], v[6:7] op_sel:[1,0] op_sel_hi:[0,0]
	v_pk_add_f32 v[4:5], v[4:5], v[8:9]
	v_pk_fma_f32 v[8:9], v[74:75], v[38:39], v[6:7] neg_lo:[0,0,1] neg_hi:[0,0,1]
	v_pk_fma_f32 v[6:7], v[74:75], v[38:39], v[6:7] op_sel_hi:[1,0,1]
	s_nop 0
	v_mov_b32_e32 v9, v7
	s_waitcnt vmcnt(1) lgkmcnt(0)
	v_pk_mul_f32 v[6:7], v[80:81], v[76:77] op_sel:[1,1] op_sel_hi:[0,1]
	v_pk_add_f32 v[4:5], v[4:5], v[8:9]
	v_pk_fma_f32 v[8:9], v[80:81], v[76:77], v[6:7] neg_lo:[0,0,1] neg_hi:[0,0,1]
	v_pk_fma_f32 v[6:7], v[80:81], v[76:77], v[6:7] op_sel_hi:[1,0,1]
	s_nop 0
	v_mov_b32_e32 v9, v7
	v_pk_add_f32 v[4:5], v[4:5], v[8:9]
	s_waitcnt vmcnt(0)
	v_pk_add_f32 v[4:5], v[78:79], v[4:5] neg_lo:[0,1] neg_hi:[0,1]
	scratch_store_dwordx2 off, v[4:5], off offset:96
	s_and_saveexec_b64 s[0:1], vcc
	s_cbranch_execz .LBB31_183
; %bb.182:
	scratch_load_dwordx2 v[4:5], off, off offset:88
	v_mov_b32_e32 v3, v2
	scratch_store_dwordx2 off, v[2:3], off offset:88
	s_waitcnt vmcnt(1)
	ds_write_b64 v1, v[4:5]
.LBB31_183:
	s_or_b64 exec, exec, s[0:1]
	s_waitcnt lgkmcnt(0)
	; wave barrier
	scratch_load_dwordx4 v[4:7], off, off offset:96
	scratch_load_dwordx4 v[8:11], off, off offset:112
	;; [unrolled: 1-line block ×7, first 2 shown]
	ds_read_b128 v[32:35], v2 offset:352
	ds_read_b128 v[36:39], v2 offset:368
	;; [unrolled: 1-line block ×6, first 2 shown]
	scratch_load_dwordx4 v[56:59], off, off offset:208
	scratch_load_dwordx4 v[60:63], off, off offset:224
	;; [unrolled: 1-line block ×3, first 2 shown]
	ds_read_b128 v[68:71], v2 offset:448
	ds_read_b128 v[72:75], v2 offset:464
	;; [unrolled: 1-line block ×4, first 2 shown]
	scratch_load_dwordx2 v[2:3], off, off offset:88
	v_cmp_lt_u32_e32 vcc, 10, v0
	s_waitcnt vmcnt(10) lgkmcnt(9)
	v_mul_f32_e32 v90, v32, v5
	v_mul_f32_e32 v5, v33, v5
	;; [unrolled: 1-line block ×3, first 2 shown]
	s_waitcnt vmcnt(9) lgkmcnt(8)
	v_mul_f32_e32 v92, v36, v9
	s_waitcnt vmcnt(8) lgkmcnt(7)
	v_mul_f32_e32 v95, v42, v15
	v_mul_f32_e32 v7, v35, v7
	;; [unrolled: 1-line block ×4, first 2 shown]
	v_fmac_f32_e32 v90, v33, v4
	v_fma_f32 v4, v32, v4, -v5
	v_fmac_f32_e32 v91, v35, v6
	v_fmac_f32_e32 v95, v43, v14
	v_fma_f32 v5, v34, v6, -v7
	v_fma_f32 v6, v36, v8, -v9
	;; [unrolled: 1-line block ×3, first 2 shown]
	v_add_f32_e32 v14, 0, v90
	v_add_f32_e32 v4, 0, v4
	v_mul_f32_e32 v93, v38, v11
	v_mul_f32_e32 v11, v39, v11
	v_fmac_f32_e32 v92, v37, v8
	v_add_f32_e32 v14, v14, v91
	v_add_f32_e32 v4, v4, v5
	v_mul_f32_e32 v94, v40, v13
	v_mul_f32_e32 v13, v41, v13
	v_fmac_f32_e32 v93, v39, v10
	v_fma_f32 v7, v38, v10, -v11
	v_add_f32_e32 v5, v14, v92
	v_add_f32_e32 v4, v4, v6
	v_fmac_f32_e32 v94, v41, v12
	v_fma_f32 v8, v40, v12, -v13
	v_add_f32_e32 v5, v5, v93
	v_add_f32_e32 v4, v4, v7
	s_waitcnt vmcnt(7) lgkmcnt(6)
	v_mul_f32_e32 v96, v44, v17
	v_mul_f32_e32 v17, v45, v17
	v_add_f32_e32 v5, v5, v94
	v_add_f32_e32 v4, v4, v8
	v_mul_f32_e32 v97, v46, v19
	v_mul_f32_e32 v19, v47, v19
	v_fmac_f32_e32 v96, v45, v16
	v_fma_f32 v10, v44, v16, -v17
	v_add_f32_e32 v5, v5, v95
	v_add_f32_e32 v4, v4, v9
	s_waitcnt vmcnt(6) lgkmcnt(5)
	v_mul_f32_e32 v98, v48, v21
	v_mul_f32_e32 v21, v49, v21
	v_fmac_f32_e32 v97, v47, v18
	v_fma_f32 v11, v46, v18, -v19
	v_add_f32_e32 v5, v5, v96
	v_add_f32_e32 v4, v4, v10
	v_mul_f32_e32 v99, v50, v23
	v_mul_f32_e32 v23, v51, v23
	v_fmac_f32_e32 v98, v49, v20
	v_fma_f32 v12, v48, v20, -v21
	v_add_f32_e32 v5, v5, v97
	v_add_f32_e32 v4, v4, v11
	s_waitcnt vmcnt(5) lgkmcnt(4)
	v_mul_f32_e32 v85, v52, v25
	v_mul_f32_e32 v25, v53, v25
	v_fmac_f32_e32 v99, v51, v22
	v_fma_f32 v13, v50, v22, -v23
	v_add_f32_e32 v5, v5, v98
	v_add_f32_e32 v4, v4, v12
	v_mul_f32_e32 v87, v54, v27
	v_mul_f32_e32 v27, v55, v27
	s_waitcnt vmcnt(4) lgkmcnt(3)
	v_pk_mul_f32 v[88:89], v[68:69], v[28:29] op_sel:[1,1] op_sel_hi:[0,1]
	v_fmac_f32_e32 v85, v53, v24
	v_fma_f32 v84, v52, v24, -v25
	v_add_f32_e32 v5, v5, v99
	v_add_f32_e32 v4, v4, v13
	v_fmac_f32_e32 v87, v55, v26
	v_fma_f32 v86, v54, v26, -v27
	v_pk_add_f32 v[4:5], v[4:5], v[84:85]
	v_pk_fma_f32 v[6:7], v[68:69], v[28:29], v[88:89] neg_lo:[0,0,1] neg_hi:[0,0,1]
	v_pk_fma_f32 v[8:9], v[68:69], v[28:29], v[88:89] op_sel_hi:[1,0,1]
	v_pk_add_f32 v[4:5], v[4:5], v[86:87]
	v_mov_b32_e32 v7, v9
	v_pk_add_f32 v[4:5], v[4:5], v[6:7]
	v_mov_b32_e32 v6, v31
	v_pk_mul_f32 v[6:7], v[70:71], v[6:7] op_sel:[1,0] op_sel_hi:[0,0]
	v_pk_fma_f32 v[8:9], v[70:71], v[30:31], v[6:7] neg_lo:[0,0,1] neg_hi:[0,0,1]
	v_pk_fma_f32 v[6:7], v[70:71], v[30:31], v[6:7] op_sel_hi:[1,0,1]
	s_nop 0
	v_mov_b32_e32 v9, v7
	s_waitcnt vmcnt(3) lgkmcnt(2)
	v_pk_mul_f32 v[6:7], v[72:73], v[56:57] op_sel:[1,1] op_sel_hi:[0,1]
	v_pk_add_f32 v[4:5], v[4:5], v[8:9]
	v_pk_fma_f32 v[8:9], v[72:73], v[56:57], v[6:7] neg_lo:[0,0,1] neg_hi:[0,0,1]
	v_pk_fma_f32 v[6:7], v[72:73], v[56:57], v[6:7] op_sel_hi:[1,0,1]
	s_nop 0
	v_mov_b32_e32 v6, v59
	v_mov_b32_e32 v9, v7
	v_pk_mul_f32 v[6:7], v[74:75], v[6:7] op_sel:[1,0] op_sel_hi:[0,0]
	v_pk_add_f32 v[4:5], v[4:5], v[8:9]
	v_pk_fma_f32 v[8:9], v[74:75], v[58:59], v[6:7] neg_lo:[0,0,1] neg_hi:[0,0,1]
	v_pk_fma_f32 v[6:7], v[74:75], v[58:59], v[6:7] op_sel_hi:[1,0,1]
	s_nop 0
	v_mov_b32_e32 v9, v7
	s_waitcnt vmcnt(2) lgkmcnt(1)
	v_pk_mul_f32 v[6:7], v[76:77], v[60:61] op_sel:[1,1] op_sel_hi:[0,1]
	v_pk_add_f32 v[4:5], v[4:5], v[8:9]
	v_pk_fma_f32 v[8:9], v[76:77], v[60:61], v[6:7] neg_lo:[0,0,1] neg_hi:[0,0,1]
	v_pk_fma_f32 v[6:7], v[76:77], v[60:61], v[6:7] op_sel_hi:[1,0,1]
	s_nop 0
	v_mov_b32_e32 v6, v63
	v_mov_b32_e32 v9, v7
	v_pk_mul_f32 v[6:7], v[78:79], v[6:7] op_sel:[1,0] op_sel_hi:[0,0]
	v_pk_add_f32 v[4:5], v[4:5], v[8:9]
	;; [unrolled: 14-line block ×3, first 2 shown]
	v_pk_fma_f32 v[8:9], v[82:83], v[66:67], v[6:7] neg_lo:[0,0,1] neg_hi:[0,0,1]
	v_pk_fma_f32 v[6:7], v[82:83], v[66:67], v[6:7] op_sel_hi:[1,0,1]
	s_nop 0
	v_mov_b32_e32 v9, v7
	v_pk_add_f32 v[4:5], v[4:5], v[8:9]
	s_waitcnt vmcnt(0)
	v_pk_add_f32 v[2:3], v[2:3], v[4:5] neg_lo:[0,1] neg_hi:[0,1]
	scratch_store_dwordx2 off, v[2:3], off offset:88
	s_and_saveexec_b64 s[0:1], vcc
	s_cbranch_execz .LBB31_185
; %bb.184:
	scratch_load_dwordx2 v[2:3], off, off offset:80
	v_mov_b32_e32 v4, 0
	v_mov_b32_e32 v5, v4
	scratch_store_dwordx2 off, v[4:5], off offset:80
	s_waitcnt vmcnt(1)
	ds_write_b64 v1, v[2:3]
.LBB31_185:
	s_or_b64 exec, exec, s[0:1]
	s_waitcnt lgkmcnt(0)
	; wave barrier
	scratch_load_dwordx4 v[2:5], off, off offset:88
	scratch_load_dwordx4 v[8:11], off, off offset:104
	;; [unrolled: 1-line block ×10, first 2 shown]
	scratch_load_dwordx2 v[76:77], off, off offset:248
	scratch_load_dwordx2 v[78:79], off, off offset:80
	v_mov_b32_e32 v6, 0
	ds_read2_b64 v[44:47], v6 offset0:43 offset1:44
	ds_read2_b64 v[48:51], v6 offset0:45 offset1:46
	;; [unrolled: 1-line block ×8, first 2 shown]
	v_cmp_lt_u32_e32 vcc, 9, v0
	s_waitcnt vmcnt(11) lgkmcnt(7)
	v_mul_f32_e32 v7, v44, v3
	v_mul_f32_e32 v3, v45, v3
	;; [unrolled: 1-line block ×4, first 2 shown]
	v_fmac_f32_e32 v7, v45, v2
	v_fma_f32 v2, v44, v2, -v3
	s_waitcnt vmcnt(10) lgkmcnt(6)
	v_mul_f32_e32 v82, v48, v9
	v_mul_f32_e32 v9, v49, v9
	v_fma_f32 v3, v46, v4, -v5
	v_add_f32_e32 v2, 0, v2
	v_mul_f32_e32 v84, v50, v11
	v_mul_f32_e32 v11, v51, v11
	v_fmac_f32_e32 v80, v47, v4
	v_fma_f32 v4, v48, v8, -v9
	v_add_f32_e32 v7, 0, v7
	v_add_f32_e32 v2, v2, v3
	s_waitcnt vmcnt(9) lgkmcnt(5)
	v_mul_f32_e32 v85, v52, v13
	v_mul_f32_e32 v13, v53, v13
	v_fmac_f32_e32 v82, v49, v8
	v_fma_f32 v5, v50, v10, -v11
	v_add_f32_e32 v7, v7, v80
	v_add_f32_e32 v2, v2, v4
	v_mul_f32_e32 v86, v54, v15
	v_mul_f32_e32 v15, v55, v15
	v_fmac_f32_e32 v84, v51, v10
	v_fma_f32 v8, v52, v12, -v13
	v_add_f32_e32 v3, v7, v82
	v_add_f32_e32 v2, v2, v5
	s_waitcnt vmcnt(8) lgkmcnt(4)
	v_mul_f32_e32 v87, v56, v17
	v_mul_f32_e32 v17, v57, v17
	v_fmac_f32_e32 v85, v53, v12
	v_fma_f32 v9, v54, v14, -v15
	v_add_f32_e32 v3, v3, v84
	;; [unrolled: 13-line block ×4, first 2 shown]
	v_add_f32_e32 v2, v2, v12
	v_fmac_f32_e32 v90, v63, v22
	v_fma_f32 v14, v64, v24, -v25
	v_add_f32_e32 v3, v3, v89
	v_add_f32_e32 v2, v2, v13
	v_mul_f32_e32 v81, v66, v27
	v_fmac_f32_e32 v91, v65, v24
	v_add_f32_e32 v3, v3, v90
	v_add_f32_e32 v12, v2, v14
	v_mul_f32_e32 v2, v67, v27
	s_waitcnt vmcnt(5)
	v_mov_b32_e32 v16, v31
	s_waitcnt lgkmcnt(1)
	v_mul_f32_e32 v83, v68, v29
	v_fmac_f32_e32 v81, v67, v26
	v_add_f32_e32 v13, v3, v91
	v_fma_f32 v80, v66, v26, -v2
	v_mul_f32_e32 v2, v69, v29
	v_pk_mul_f32 v[16:17], v[70:71], v[16:17] op_sel:[1,0] op_sel_hi:[0,0]
	v_fmac_f32_e32 v83, v69, v28
	v_fma_f32 v82, v68, v28, -v2
	v_pk_add_f32 v[12:13], v[12:13], v[80:81]
	v_pk_fma_f32 v[18:19], v[70:71], v[30:31], v[16:17] neg_lo:[0,0,1] neg_hi:[0,0,1]
	v_pk_fma_f32 v[16:17], v[70:71], v[30:31], v[16:17] op_sel_hi:[1,0,1]
	v_pk_add_f32 v[12:13], v[12:13], v[82:83]
	v_mov_b32_e32 v19, v17
	s_waitcnt vmcnt(4) lgkmcnt(0)
	v_pk_mul_f32 v[16:17], v[72:73], v[32:33] op_sel:[1,1] op_sel_hi:[0,1]
	v_pk_add_f32 v[12:13], v[12:13], v[18:19]
	v_pk_fma_f32 v[18:19], v[72:73], v[32:33], v[16:17] neg_lo:[0,0,1] neg_hi:[0,0,1]
	v_pk_fma_f32 v[16:17], v[72:73], v[32:33], v[16:17] op_sel_hi:[1,0,1]
	ds_read2_b64 v[2:5], v6 offset0:59 offset1:60
	ds_read2_b64 v[8:11], v6 offset0:61 offset1:62
	ds_read_b64 v[14:15], v6 offset:504
	v_mov_b32_e32 v16, v35
	v_mov_b32_e32 v19, v17
	v_pk_mul_f32 v[16:17], v[74:75], v[16:17] op_sel:[1,0] op_sel_hi:[0,0]
	v_pk_add_f32 v[12:13], v[12:13], v[18:19]
	v_pk_fma_f32 v[18:19], v[74:75], v[34:35], v[16:17] neg_lo:[0,0,1] neg_hi:[0,0,1]
	v_pk_fma_f32 v[16:17], v[74:75], v[34:35], v[16:17] op_sel_hi:[1,0,1]
	s_nop 0
	v_mov_b32_e32 v19, v17
	s_waitcnt vmcnt(3) lgkmcnt(2)
	v_pk_mul_f32 v[16:17], v[2:3], v[36:37] op_sel:[1,1] op_sel_hi:[0,1]
	v_pk_add_f32 v[12:13], v[12:13], v[18:19]
	v_pk_fma_f32 v[18:19], v[2:3], v[36:37], v[16:17] neg_lo:[0,0,1] neg_hi:[0,0,1]
	v_pk_fma_f32 v[2:3], v[2:3], v[36:37], v[16:17] op_sel_hi:[1,0,1]
	s_nop 0
	v_mov_b32_e32 v19, v3
	v_pk_add_f32 v[2:3], v[12:13], v[18:19]
	v_mov_b32_e32 v12, v39
	v_pk_mul_f32 v[12:13], v[4:5], v[12:13] op_sel:[1,0] op_sel_hi:[0,0]
	v_pk_fma_f32 v[16:17], v[4:5], v[38:39], v[12:13] neg_lo:[0,0,1] neg_hi:[0,0,1]
	v_pk_fma_f32 v[4:5], v[4:5], v[38:39], v[12:13] op_sel_hi:[1,0,1]
	s_nop 0
	v_mov_b32_e32 v17, v5
	s_waitcnt vmcnt(2) lgkmcnt(1)
	v_pk_mul_f32 v[4:5], v[8:9], v[40:41] op_sel:[1,1] op_sel_hi:[0,1]
	v_pk_fma_f32 v[12:13], v[8:9], v[40:41], v[4:5] neg_lo:[0,0,1] neg_hi:[0,0,1]
	v_pk_fma_f32 v[4:5], v[8:9], v[40:41], v[4:5] op_sel_hi:[1,0,1]
	v_pk_add_f32 v[2:3], v[2:3], v[16:17]
	v_mov_b32_e32 v4, v43
	v_mov_b32_e32 v13, v5
	v_pk_mul_f32 v[4:5], v[10:11], v[4:5] op_sel:[1,0] op_sel_hi:[0,0]
	v_pk_fma_f32 v[8:9], v[10:11], v[42:43], v[4:5] neg_lo:[0,0,1] neg_hi:[0,0,1]
	v_pk_fma_f32 v[4:5], v[10:11], v[42:43], v[4:5] op_sel_hi:[1,0,1]
	v_pk_add_f32 v[2:3], v[2:3], v[12:13]
	v_mov_b32_e32 v9, v5
	s_waitcnt vmcnt(1) lgkmcnt(0)
	v_pk_mul_f32 v[4:5], v[14:15], v[76:77] op_sel:[1,1] op_sel_hi:[0,1]
	v_pk_add_f32 v[2:3], v[2:3], v[8:9]
	v_pk_fma_f32 v[8:9], v[14:15], v[76:77], v[4:5] neg_lo:[0,0,1] neg_hi:[0,0,1]
	v_pk_fma_f32 v[4:5], v[14:15], v[76:77], v[4:5] op_sel_hi:[1,0,1]
	s_nop 0
	v_mov_b32_e32 v9, v5
	v_pk_add_f32 v[2:3], v[2:3], v[8:9]
	s_waitcnt vmcnt(0)
	v_pk_add_f32 v[2:3], v[78:79], v[2:3] neg_lo:[0,1] neg_hi:[0,1]
	scratch_store_dwordx2 off, v[2:3], off offset:80
	s_and_saveexec_b64 s[0:1], vcc
	s_cbranch_execz .LBB31_187
; %bb.186:
	scratch_load_dwordx2 v[2:3], off, off offset:72
	v_mov_b32_e32 v7, v6
	scratch_store_dwordx2 off, v[6:7], off offset:72
	s_waitcnt vmcnt(1)
	ds_write_b64 v1, v[2:3]
.LBB31_187:
	s_or_b64 exec, exec, s[0:1]
	s_waitcnt lgkmcnt(0)
	; wave barrier
	scratch_load_dwordx4 v[8:11], off, off offset:80
	scratch_load_dwordx4 v[12:15], off, off offset:96
	;; [unrolled: 1-line block ×7, first 2 shown]
	ds_read_b128 v[36:39], v6 offset:336
	ds_read_b128 v[40:43], v6 offset:352
	;; [unrolled: 1-line block ×6, first 2 shown]
	scratch_load_dwordx4 v[60:63], off, off offset:192
	scratch_load_dwordx4 v[64:67], off, off offset:208
	;; [unrolled: 1-line block ×4, first 2 shown]
	ds_read_b128 v[72:75], v6 offset:432
	ds_read_b128 v[76:79], v6 offset:448
	scratch_load_dwordx2 v[80:81], off, off offset:72
	v_cmp_lt_u32_e32 vcc, 8, v0
	s_waitcnt vmcnt(11) lgkmcnt(7)
	v_mul_f32_e32 v7, v36, v9
	v_mul_f32_e32 v82, v38, v11
	;; [unrolled: 1-line block ×3, first 2 shown]
	v_fmac_f32_e32 v7, v37, v8
	s_waitcnt vmcnt(10) lgkmcnt(6)
	v_mul_f32_e32 v84, v40, v13
	v_mul_f32_e32 v11, v39, v11
	v_fmac_f32_e32 v82, v39, v10
	v_fma_f32 v8, v36, v8, -v9
	v_add_f32_e32 v7, 0, v7
	v_mul_f32_e32 v86, v42, v15
	v_mul_f32_e32 v13, v41, v13
	v_fmac_f32_e32 v84, v41, v12
	v_fma_f32 v9, v38, v10, -v11
	v_add_f32_e32 v8, 0, v8
	v_add_f32_e32 v7, v7, v82
	s_waitcnt vmcnt(9) lgkmcnt(5)
	v_mul_f32_e32 v87, v44, v17
	v_mul_f32_e32 v15, v43, v15
	v_fmac_f32_e32 v86, v43, v14
	v_fma_f32 v10, v40, v12, -v13
	v_add_f32_e32 v8, v8, v9
	v_add_f32_e32 v7, v7, v84
	v_mul_f32_e32 v88, v46, v19
	v_mul_f32_e32 v17, v45, v17
	v_fmac_f32_e32 v87, v45, v16
	v_fma_f32 v11, v42, v14, -v15
	v_add_f32_e32 v8, v8, v10
	v_add_f32_e32 v7, v7, v86
	s_waitcnt vmcnt(8) lgkmcnt(4)
	v_mul_f32_e32 v89, v48, v21
	v_mul_f32_e32 v19, v47, v19
	v_fmac_f32_e32 v88, v47, v18
	v_fma_f32 v12, v44, v16, -v17
	v_add_f32_e32 v8, v8, v11
	;; [unrolled: 13-line block ×4, first 2 shown]
	v_add_f32_e32 v7, v7, v91
	v_mul_f32_e32 v94, v58, v31
	v_mul_f32_e32 v29, v57, v29
	v_fmac_f32_e32 v93, v57, v28
	v_fma_f32 v17, v54, v26, -v27
	v_add_f32_e32 v8, v8, v16
	v_add_f32_e32 v7, v7, v92
	v_fmac_f32_e32 v94, v59, v30
	v_fma_f32 v18, v56, v28, -v29
	v_add_f32_e32 v8, v8, v17
	v_add_f32_e32 v7, v7, v93
	v_add_f32_e32 v21, v7, v94
	v_add_f32_e32 v7, v8, v18
	v_mul_f32_e32 v8, v59, v31
	v_fma_f32 v8, v58, v30, -v8
	s_waitcnt vmcnt(5) lgkmcnt(1)
	v_mul_f32_e32 v83, v72, v33
	v_add_f32_e32 v20, v7, v8
	v_mul_f32_e32 v7, v73, v33
	v_fmac_f32_e32 v83, v73, v32
	v_fma_f32 v82, v72, v32, -v7
	v_mul_f32_e32 v7, v75, v35
	v_fma_f32 v84, v74, v34, -v7
	ds_read_b128 v[8:11], v6 offset:464
	ds_read_b128 v[12:15], v6 offset:480
	;; [unrolled: 1-line block ×3, first 2 shown]
	v_pk_add_f32 v[6:7], v[20:21], v[82:83]
	s_waitcnt vmcnt(4) lgkmcnt(3)
	v_pk_mul_f32 v[20:21], v[76:77], v[60:61] op_sel:[1,1] op_sel_hi:[0,1]
	v_mul_f32_e32 v85, v74, v35
	v_pk_fma_f32 v[22:23], v[76:77], v[60:61], v[20:21] neg_lo:[0,0,1] neg_hi:[0,0,1]
	v_pk_fma_f32 v[20:21], v[76:77], v[60:61], v[20:21] op_sel_hi:[1,0,1]
	v_fmac_f32_e32 v85, v75, v34
	v_mov_b32_e32 v20, v63
	v_pk_add_f32 v[6:7], v[6:7], v[84:85]
	v_mov_b32_e32 v23, v21
	v_pk_mul_f32 v[20:21], v[78:79], v[20:21] op_sel:[1,0] op_sel_hi:[0,0]
	v_pk_add_f32 v[6:7], v[6:7], v[22:23]
	v_pk_fma_f32 v[22:23], v[78:79], v[62:63], v[20:21] neg_lo:[0,0,1] neg_hi:[0,0,1]
	v_pk_fma_f32 v[20:21], v[78:79], v[62:63], v[20:21] op_sel_hi:[1,0,1]
	s_nop 0
	v_mov_b32_e32 v23, v21
	s_waitcnt vmcnt(3) lgkmcnt(2)
	v_pk_mul_f32 v[20:21], v[8:9], v[64:65] op_sel:[1,1] op_sel_hi:[0,1]
	v_pk_add_f32 v[6:7], v[6:7], v[22:23]
	v_pk_fma_f32 v[22:23], v[8:9], v[64:65], v[20:21] neg_lo:[0,0,1] neg_hi:[0,0,1]
	v_pk_fma_f32 v[8:9], v[8:9], v[64:65], v[20:21] op_sel_hi:[1,0,1]
	s_nop 0
	v_mov_b32_e32 v8, v67
	v_mov_b32_e32 v23, v9
	v_pk_mul_f32 v[8:9], v[10:11], v[8:9] op_sel:[1,0] op_sel_hi:[0,0]
	v_pk_fma_f32 v[20:21], v[10:11], v[66:67], v[8:9] neg_lo:[0,0,1] neg_hi:[0,0,1]
	v_pk_fma_f32 v[8:9], v[10:11], v[66:67], v[8:9] op_sel_hi:[1,0,1]
	v_pk_add_f32 v[6:7], v[6:7], v[22:23]
	v_mov_b32_e32 v21, v9
	s_waitcnt vmcnt(2) lgkmcnt(1)
	v_pk_mul_f32 v[8:9], v[12:13], v[68:69] op_sel:[1,1] op_sel_hi:[0,1]
	v_pk_fma_f32 v[10:11], v[12:13], v[68:69], v[8:9] neg_lo:[0,0,1] neg_hi:[0,0,1]
	v_pk_fma_f32 v[8:9], v[12:13], v[68:69], v[8:9] op_sel_hi:[1,0,1]
	v_pk_add_f32 v[6:7], v[6:7], v[20:21]
	v_mov_b32_e32 v8, v71
	v_mov_b32_e32 v11, v9
	v_pk_mul_f32 v[8:9], v[14:15], v[8:9] op_sel:[1,0] op_sel_hi:[0,0]
	v_pk_add_f32 v[6:7], v[6:7], v[10:11]
	v_pk_fma_f32 v[10:11], v[14:15], v[70:71], v[8:9] neg_lo:[0,0,1] neg_hi:[0,0,1]
	v_pk_fma_f32 v[8:9], v[14:15], v[70:71], v[8:9] op_sel_hi:[1,0,1]
	s_nop 0
	v_mov_b32_e32 v11, v9
	s_waitcnt vmcnt(1) lgkmcnt(0)
	v_pk_mul_f32 v[8:9], v[16:17], v[2:3] op_sel:[1,1] op_sel_hi:[0,1]
	v_pk_add_f32 v[6:7], v[6:7], v[10:11]
	v_pk_fma_f32 v[10:11], v[16:17], v[2:3], v[8:9] neg_lo:[0,0,1] neg_hi:[0,0,1]
	v_pk_fma_f32 v[2:3], v[16:17], v[2:3], v[8:9] op_sel_hi:[1,0,1]
	s_nop 0
	v_mov_b32_e32 v11, v3
	v_pk_add_f32 v[2:3], v[6:7], v[10:11]
	v_mov_b32_e32 v6, v5
	v_pk_mul_f32 v[6:7], v[18:19], v[6:7] op_sel:[1,0] op_sel_hi:[0,0]
	v_pk_fma_f32 v[8:9], v[18:19], v[4:5], v[6:7] neg_lo:[0,0,1] neg_hi:[0,0,1]
	v_pk_fma_f32 v[4:5], v[18:19], v[4:5], v[6:7] op_sel_hi:[1,0,1]
	s_nop 0
	v_mov_b32_e32 v9, v5
	v_pk_add_f32 v[2:3], v[2:3], v[8:9]
	s_waitcnt vmcnt(0)
	v_pk_add_f32 v[2:3], v[80:81], v[2:3] neg_lo:[0,1] neg_hi:[0,1]
	scratch_store_dwordx2 off, v[2:3], off offset:72
	s_and_saveexec_b64 s[0:1], vcc
	s_cbranch_execz .LBB31_189
; %bb.188:
	scratch_load_dwordx2 v[2:3], off, off offset:64
	v_mov_b32_e32 v4, 0
	v_mov_b32_e32 v5, v4
	scratch_store_dwordx2 off, v[4:5], off offset:64
	s_waitcnt vmcnt(1)
	ds_write_b64 v1, v[2:3]
.LBB31_189:
	s_or_b64 exec, exec, s[0:1]
	s_waitcnt lgkmcnt(0)
	; wave barrier
	scratch_load_dwordx4 v[2:5], off, off offset:72
	scratch_load_dwordx4 v[14:17], off, off offset:88
	;; [unrolled: 1-line block ×11, first 2 shown]
	scratch_load_dwordx2 v[22:23], off, off offset:248
	scratch_load_dwordx2 v[36:37], off, off offset:64
	v_mov_b32_e32 v38, 0
	ds_read2_b64 v[52:55], v38 offset0:41 offset1:42
	ds_read2_b64 v[56:59], v38 offset0:43 offset1:44
	;; [unrolled: 1-line block ×8, first 2 shown]
	v_cmp_lt_u32_e32 vcc, 7, v0
	s_waitcnt vmcnt(12) lgkmcnt(7)
	v_mul_f32_e32 v39, v52, v3
	v_mul_f32_e32 v84, v54, v5
	;; [unrolled: 1-line block ×3, first 2 shown]
	v_fmac_f32_e32 v39, v53, v2
	s_waitcnt vmcnt(8) lgkmcnt(3)
	v_mul_f32_e32 v93, v68, v19
	v_mul_f32_e32 v19, v69, v19
	;; [unrolled: 1-line block ×4, first 2 shown]
	v_fmac_f32_e32 v84, v55, v4
	v_fmac_f32_e32 v93, v69, v18
	v_fma_f32 v2, v52, v2, -v3
	v_fma_f32 v18, v68, v18, -v19
	v_add_f32_e32 v19, 0, v39
	v_mul_f32_e32 v88, v58, v17
	v_fmac_f32_e32 v86, v57, v14
	v_fma_f32 v3, v54, v4, -v5
	v_add_f32_e32 v2, 0, v2
	v_add_f32_e32 v19, v19, v84
	v_mul_f32_e32 v89, v60, v25
	v_fmac_f32_e32 v88, v59, v16
	v_add_f32_e32 v2, v2, v3
	v_add_f32_e32 v3, v19, v86
	v_mul_f32_e32 v90, v62, v27
	v_fmac_f32_e32 v89, v61, v24
	v_add_f32_e32 v3, v3, v88
	v_mul_f32_e32 v91, v64, v29
	v_mul_f32_e32 v15, v57, v15
	v_fmac_f32_e32 v90, v63, v26
	v_add_f32_e32 v3, v3, v89
	v_mul_f32_e32 v92, v66, v31
	v_mul_f32_e32 v17, v59, v17
	v_fmac_f32_e32 v91, v65, v28
	v_fma_f32 v4, v56, v14, -v15
	v_add_f32_e32 v3, v3, v90
	v_mul_f32_e32 v25, v61, v25
	v_fmac_f32_e32 v92, v67, v30
	v_fma_f32 v5, v58, v16, -v17
	v_add_f32_e32 v2, v2, v4
	v_add_f32_e32 v3, v3, v91
	v_mul_f32_e32 v94, v70, v21
	v_mul_f32_e32 v27, v63, v27
	v_fma_f32 v14, v60, v24, -v25
	v_add_f32_e32 v2, v2, v5
	v_add_f32_e32 v3, v3, v92
	s_waitcnt vmcnt(7) lgkmcnt(2)
	v_mul_f32_e32 v95, v72, v33
	v_mul_f32_e32 v29, v65, v29
	v_fmac_f32_e32 v94, v71, v20
	v_fma_f32 v15, v62, v26, -v27
	v_add_f32_e32 v2, v2, v14
	v_add_f32_e32 v3, v3, v93
	v_mul_f32_e32 v96, v74, v35
	v_mul_f32_e32 v31, v67, v31
	v_fmac_f32_e32 v95, v73, v32
	v_fma_f32 v16, v64, v28, -v29
	v_add_f32_e32 v2, v2, v15
	v_add_f32_e32 v3, v3, v94
	s_waitcnt vmcnt(6) lgkmcnt(1)
	v_mul_f32_e32 v97, v76, v41
	v_fmac_f32_e32 v96, v75, v34
	v_fma_f32 v17, v66, v30, -v31
	v_add_f32_e32 v2, v2, v16
	v_add_f32_e32 v3, v3, v95
	v_mul_f32_e32 v21, v71, v21
	v_fmac_f32_e32 v97, v77, v40
	v_add_f32_e32 v2, v2, v17
	v_add_f32_e32 v3, v3, v96
	;; [unrolled: 1-line block ×4, first 2 shown]
	v_fma_f32 v3, v70, v20, -v21
	v_add_f32_e32 v2, v2, v3
	v_mul_f32_e32 v3, v73, v33
	v_fma_f32 v3, v72, v32, -v3
	v_add_f32_e32 v2, v2, v3
	v_mul_f32_e32 v3, v75, v35
	;; [unrolled: 3-line block ×4, first 2 shown]
	v_mul_f32_e32 v85, v78, v43
	v_fma_f32 v84, v78, v42, -v2
	s_waitcnt vmcnt(5) lgkmcnt(0)
	v_mul_f32_e32 v2, v81, v45
	v_mov_b32_e32 v28, v47
	v_mul_f32_e32 v87, v80, v45
	v_fmac_f32_e32 v85, v79, v42
	v_fma_f32 v86, v80, v44, -v2
	ds_read2_b64 v[2:5], v38 offset0:57 offset1:58
	ds_read2_b64 v[14:17], v38 offset0:59 offset1:60
	;; [unrolled: 1-line block ×3, first 2 shown]
	ds_read_b64 v[26:27], v38 offset:504
	v_pk_mul_f32 v[28:29], v[82:83], v[28:29] op_sel:[1,0] op_sel_hi:[0,0]
	v_fmac_f32_e32 v87, v81, v44
	v_pk_add_f32 v[24:25], v[24:25], v[84:85]
	v_pk_fma_f32 v[30:31], v[82:83], v[46:47], v[28:29] neg_lo:[0,0,1] neg_hi:[0,0,1]
	v_pk_fma_f32 v[28:29], v[82:83], v[46:47], v[28:29] op_sel_hi:[1,0,1]
	v_pk_add_f32 v[24:25], v[24:25], v[86:87]
	v_mov_b32_e32 v31, v29
	s_waitcnt vmcnt(4) lgkmcnt(3)
	v_pk_mul_f32 v[28:29], v[2:3], v[48:49] op_sel:[1,1] op_sel_hi:[0,1]
	v_pk_add_f32 v[24:25], v[24:25], v[30:31]
	v_pk_fma_f32 v[30:31], v[2:3], v[48:49], v[28:29] neg_lo:[0,0,1] neg_hi:[0,0,1]
	v_pk_fma_f32 v[2:3], v[2:3], v[48:49], v[28:29] op_sel_hi:[1,0,1]
	s_nop 0
	v_mov_b32_e32 v31, v3
	v_pk_add_f32 v[2:3], v[24:25], v[30:31]
	v_mov_b32_e32 v24, v51
	v_pk_mul_f32 v[24:25], v[4:5], v[24:25] op_sel:[1,0] op_sel_hi:[0,0]
	v_pk_fma_f32 v[28:29], v[4:5], v[50:51], v[24:25] neg_lo:[0,0,1] neg_hi:[0,0,1]
	v_pk_fma_f32 v[4:5], v[4:5], v[50:51], v[24:25] op_sel_hi:[1,0,1]
	s_nop 0
	v_mov_b32_e32 v29, v5
	s_waitcnt vmcnt(3) lgkmcnt(2)
	v_pk_mul_f32 v[4:5], v[14:15], v[10:11] op_sel:[1,1] op_sel_hi:[0,1]
	v_pk_fma_f32 v[24:25], v[14:15], v[10:11], v[4:5] neg_lo:[0,0,1] neg_hi:[0,0,1]
	v_pk_fma_f32 v[4:5], v[14:15], v[10:11], v[4:5] op_sel_hi:[1,0,1]
	v_pk_add_f32 v[2:3], v[2:3], v[28:29]
	v_mov_b32_e32 v4, v13
	v_mov_b32_e32 v25, v5
	v_pk_mul_f32 v[4:5], v[16:17], v[4:5] op_sel:[1,0] op_sel_hi:[0,0]
	v_pk_fma_f32 v[10:11], v[16:17], v[12:13], v[4:5] neg_lo:[0,0,1] neg_hi:[0,0,1]
	v_pk_fma_f32 v[4:5], v[16:17], v[12:13], v[4:5] op_sel_hi:[1,0,1]
	v_pk_add_f32 v[2:3], v[2:3], v[24:25]
	v_mov_b32_e32 v11, v5
	s_waitcnt vmcnt(2) lgkmcnt(1)
	v_pk_mul_f32 v[4:5], v[18:19], v[6:7] op_sel:[1,1] op_sel_hi:[0,1]
	v_pk_add_f32 v[2:3], v[2:3], v[10:11]
	v_pk_fma_f32 v[10:11], v[18:19], v[6:7], v[4:5] neg_lo:[0,0,1] neg_hi:[0,0,1]
	v_pk_fma_f32 v[4:5], v[18:19], v[6:7], v[4:5] op_sel_hi:[1,0,1]
	s_nop 0
	v_mov_b32_e32 v4, v9
	v_mov_b32_e32 v11, v5
	v_pk_mul_f32 v[4:5], v[20:21], v[4:5] op_sel:[1,0] op_sel_hi:[0,0]
	v_pk_fma_f32 v[6:7], v[20:21], v[8:9], v[4:5] neg_lo:[0,0,1] neg_hi:[0,0,1]
	v_pk_fma_f32 v[4:5], v[20:21], v[8:9], v[4:5] op_sel_hi:[1,0,1]
	v_pk_add_f32 v[2:3], v[2:3], v[10:11]
	v_mov_b32_e32 v7, v5
	s_waitcnt vmcnt(1) lgkmcnt(0)
	v_pk_mul_f32 v[4:5], v[26:27], v[22:23] op_sel:[1,1] op_sel_hi:[0,1]
	v_pk_add_f32 v[2:3], v[2:3], v[6:7]
	v_pk_fma_f32 v[6:7], v[26:27], v[22:23], v[4:5] neg_lo:[0,0,1] neg_hi:[0,0,1]
	v_pk_fma_f32 v[4:5], v[26:27], v[22:23], v[4:5] op_sel_hi:[1,0,1]
	s_nop 0
	v_mov_b32_e32 v7, v5
	v_pk_add_f32 v[2:3], v[2:3], v[6:7]
	s_waitcnt vmcnt(0)
	v_pk_add_f32 v[2:3], v[36:37], v[2:3] neg_lo:[0,1] neg_hi:[0,1]
	scratch_store_dwordx2 off, v[2:3], off offset:64
	s_and_saveexec_b64 s[0:1], vcc
	s_cbranch_execz .LBB31_191
; %bb.190:
	scratch_load_dwordx2 v[2:3], off, off offset:56
	v_mov_b32_e32 v39, v38
	scratch_store_dwordx2 off, v[38:39], off offset:56
	s_waitcnt vmcnt(1)
	ds_write_b64 v1, v[2:3]
.LBB31_191:
	s_or_b64 exec, exec, s[0:1]
	s_waitcnt lgkmcnt(0)
	; wave barrier
	scratch_load_dwordx4 v[6:9], off, off offset:64
	scratch_load_dwordx4 v[18:21], off, off offset:80
	;; [unrolled: 1-line block ×8, first 2 shown]
	ds_read_b128 v[48:51], v38 offset:320
	ds_read_b128 v[52:55], v38 offset:336
	;; [unrolled: 1-line block ×8, first 2 shown]
	scratch_load_dwordx4 v[80:83], off, off offset:192
	scratch_load_dwordx4 v[26:29], off, off offset:208
	;; [unrolled: 1-line block ×4, first 2 shown]
	scratch_load_dwordx2 v[84:85], off, off offset:56
	v_cmp_lt_u32_e32 vcc, 6, v0
	s_waitcnt vmcnt(12) lgkmcnt(7)
	v_mul_f32_e32 v39, v48, v7
	v_mul_f32_e32 v86, v50, v9
	;; [unrolled: 1-line block ×3, first 2 shown]
	v_fmac_f32_e32 v39, v49, v6
	s_waitcnt vmcnt(8) lgkmcnt(3)
	v_mul_f32_e32 v95, v64, v15
	v_mul_f32_e32 v15, v65, v15
	;; [unrolled: 1-line block ×4, first 2 shown]
	v_fmac_f32_e32 v86, v51, v8
	v_fmac_f32_e32 v95, v65, v14
	v_fma_f32 v6, v48, v6, -v7
	v_fma_f32 v14, v64, v14, -v15
	v_add_f32_e32 v15, 0, v39
	v_mul_f32_e32 v90, v54, v21
	v_fmac_f32_e32 v88, v53, v18
	v_fma_f32 v7, v50, v8, -v9
	v_add_f32_e32 v6, 0, v6
	v_add_f32_e32 v15, v15, v86
	v_mul_f32_e32 v91, v56, v35
	v_fmac_f32_e32 v90, v55, v20
	v_add_f32_e32 v6, v6, v7
	v_add_f32_e32 v7, v15, v88
	v_mul_f32_e32 v92, v58, v37
	v_fmac_f32_e32 v91, v57, v34
	v_add_f32_e32 v7, v7, v90
	v_mul_f32_e32 v93, v60, v41
	v_fmac_f32_e32 v92, v59, v36
	;; [unrolled: 3-line block ×4, first 2 shown]
	v_add_f32_e32 v7, v7, v93
	v_mul_f32_e32 v96, v66, v17
	v_mul_f32_e32 v21, v55, v21
	v_fma_f32 v8, v52, v18, -v19
	v_add_f32_e32 v7, v7, v94
	s_waitcnt vmcnt(7) lgkmcnt(2)
	v_mul_f32_e32 v97, v68, v23
	v_mul_f32_e32 v35, v57, v35
	v_fmac_f32_e32 v96, v67, v16
	v_fma_f32 v9, v54, v20, -v21
	v_add_f32_e32 v6, v6, v8
	v_add_f32_e32 v7, v7, v95
	v_mul_f32_e32 v98, v70, v25
	v_mul_f32_e32 v37, v59, v37
	v_fmac_f32_e32 v97, v69, v22
	v_fma_f32 v18, v56, v34, -v35
	v_add_f32_e32 v6, v6, v9
	v_add_f32_e32 v7, v7, v96
	s_waitcnt vmcnt(6) lgkmcnt(1)
	v_mul_f32_e32 v99, v72, v31
	v_mul_f32_e32 v41, v61, v41
	v_fmac_f32_e32 v98, v71, v24
	v_fma_f32 v19, v58, v36, -v37
	v_add_f32_e32 v6, v6, v18
	v_add_f32_e32 v7, v7, v97
	v_mul_f32_e32 v100, v74, v33
	v_mul_f32_e32 v43, v63, v43
	v_fmac_f32_e32 v99, v73, v30
	v_fma_f32 v20, v60, v40, -v41
	v_add_f32_e32 v6, v6, v19
	v_add_f32_e32 v7, v7, v98
	v_fmac_f32_e32 v100, v75, v32
	v_fma_f32 v21, v62, v42, -v43
	v_add_f32_e32 v6, v6, v20
	v_add_f32_e32 v7, v7, v99
	;; [unrolled: 1-line block ×4, first 2 shown]
	v_mul_f32_e32 v7, v67, v17
	v_add_f32_e32 v6, v6, v14
	v_fma_f32 v7, v66, v16, -v7
	v_add_f32_e32 v6, v6, v7
	v_mul_f32_e32 v7, v69, v23
	v_fma_f32 v7, v68, v22, -v7
	v_add_f32_e32 v6, v6, v7
	v_mul_f32_e32 v7, v71, v25
	;; [unrolled: 3-line block ×4, first 2 shown]
	v_fma_f32 v7, v74, v32, -v7
	v_add_f32_e32 v34, v6, v7
	s_waitcnt vmcnt(5) lgkmcnt(0)
	v_mul_f32_e32 v6, v77, v45
	v_fma_f32 v86, v76, v44, -v6
	v_mul_f32_e32 v6, v79, v47
	v_fma_f32 v88, v78, v46, -v6
	ds_read_b128 v[6:9], v38 offset:448
	ds_read_b128 v[14:17], v38 offset:464
	;; [unrolled: 1-line block ×4, first 2 shown]
	v_mul_f32_e32 v87, v76, v45
	v_mul_f32_e32 v89, v78, v47
	v_fmac_f32_e32 v87, v77, v44
	s_waitcnt vmcnt(4) lgkmcnt(3)
	v_pk_mul_f32 v[32:33], v[6:7], v[80:81] op_sel:[1,1] op_sel_hi:[0,1]
	v_fmac_f32_e32 v89, v79, v46
	v_pk_add_f32 v[30:31], v[34:35], v[86:87]
	v_pk_fma_f32 v[34:35], v[6:7], v[80:81], v[32:33] neg_lo:[0,0,1] neg_hi:[0,0,1]
	v_pk_fma_f32 v[6:7], v[6:7], v[80:81], v[32:33] op_sel_hi:[1,0,1]
	v_pk_add_f32 v[30:31], v[30:31], v[88:89]
	v_mov_b32_e32 v35, v7
	v_pk_add_f32 v[6:7], v[30:31], v[34:35]
	v_mov_b32_e32 v30, v83
	v_pk_mul_f32 v[30:31], v[8:9], v[30:31] op_sel:[1,0] op_sel_hi:[0,0]
	v_pk_fma_f32 v[32:33], v[8:9], v[82:83], v[30:31] neg_lo:[0,0,1] neg_hi:[0,0,1]
	v_pk_fma_f32 v[8:9], v[8:9], v[82:83], v[30:31] op_sel_hi:[1,0,1]
	s_nop 0
	v_mov_b32_e32 v33, v9
	s_waitcnt vmcnt(3) lgkmcnt(2)
	v_pk_mul_f32 v[8:9], v[14:15], v[26:27] op_sel:[1,1] op_sel_hi:[0,1]
	v_pk_fma_f32 v[30:31], v[14:15], v[26:27], v[8:9] neg_lo:[0,0,1] neg_hi:[0,0,1]
	v_pk_fma_f32 v[8:9], v[14:15], v[26:27], v[8:9] op_sel_hi:[1,0,1]
	v_pk_add_f32 v[6:7], v[6:7], v[32:33]
	v_mov_b32_e32 v8, v29
	v_mov_b32_e32 v31, v9
	v_pk_mul_f32 v[8:9], v[16:17], v[8:9] op_sel:[1,0] op_sel_hi:[0,0]
	v_pk_fma_f32 v[14:15], v[16:17], v[28:29], v[8:9] neg_lo:[0,0,1] neg_hi:[0,0,1]
	v_pk_fma_f32 v[8:9], v[16:17], v[28:29], v[8:9] op_sel_hi:[1,0,1]
	v_pk_add_f32 v[6:7], v[6:7], v[30:31]
	v_mov_b32_e32 v15, v9
	s_waitcnt vmcnt(2) lgkmcnt(1)
	v_pk_mul_f32 v[8:9], v[18:19], v[10:11] op_sel:[1,1] op_sel_hi:[0,1]
	v_pk_add_f32 v[6:7], v[6:7], v[14:15]
	v_pk_fma_f32 v[14:15], v[18:19], v[10:11], v[8:9] neg_lo:[0,0,1] neg_hi:[0,0,1]
	v_pk_fma_f32 v[8:9], v[18:19], v[10:11], v[8:9] op_sel_hi:[1,0,1]
	s_nop 0
	v_mov_b32_e32 v8, v13
	v_mov_b32_e32 v15, v9
	v_pk_mul_f32 v[8:9], v[20:21], v[8:9] op_sel:[1,0] op_sel_hi:[0,0]
	v_pk_fma_f32 v[10:11], v[20:21], v[12:13], v[8:9] neg_lo:[0,0,1] neg_hi:[0,0,1]
	v_pk_fma_f32 v[8:9], v[20:21], v[12:13], v[8:9] op_sel_hi:[1,0,1]
	v_pk_add_f32 v[6:7], v[6:7], v[14:15]
	v_mov_b32_e32 v11, v9
	s_waitcnt vmcnt(1) lgkmcnt(0)
	v_pk_mul_f32 v[8:9], v[22:23], v[2:3] op_sel:[1,1] op_sel_hi:[0,1]
	v_pk_add_f32 v[6:7], v[6:7], v[10:11]
	v_pk_fma_f32 v[10:11], v[22:23], v[2:3], v[8:9] neg_lo:[0,0,1] neg_hi:[0,0,1]
	v_pk_fma_f32 v[2:3], v[22:23], v[2:3], v[8:9] op_sel_hi:[1,0,1]
	s_nop 0
	v_mov_b32_e32 v11, v3
	v_pk_add_f32 v[2:3], v[6:7], v[10:11]
	v_mov_b32_e32 v6, v5
	v_pk_mul_f32 v[6:7], v[24:25], v[6:7] op_sel:[1,0] op_sel_hi:[0,0]
	v_pk_fma_f32 v[8:9], v[24:25], v[4:5], v[6:7] neg_lo:[0,0,1] neg_hi:[0,0,1]
	v_pk_fma_f32 v[4:5], v[24:25], v[4:5], v[6:7] op_sel_hi:[1,0,1]
	s_nop 0
	v_mov_b32_e32 v9, v5
	v_pk_add_f32 v[2:3], v[2:3], v[8:9]
	s_waitcnt vmcnt(0)
	v_pk_add_f32 v[2:3], v[84:85], v[2:3] neg_lo:[0,1] neg_hi:[0,1]
	scratch_store_dwordx2 off, v[2:3], off offset:56
	s_and_saveexec_b64 s[0:1], vcc
	s_cbranch_execz .LBB31_193
; %bb.192:
	scratch_load_dwordx2 v[2:3], off, off offset:48
	v_mov_b32_e32 v4, 0
	v_mov_b32_e32 v5, v4
	scratch_store_dwordx2 off, v[4:5], off offset:48
	s_waitcnt vmcnt(1)
	ds_write_b64 v1, v[2:3]
.LBB31_193:
	s_or_b64 exec, exec, s[0:1]
	s_waitcnt lgkmcnt(0)
	; wave barrier
	scratch_load_dwordx4 v[8:11], off, off offset:56
	scratch_load_dwordx4 v[16:19], off, off offset:72
	;; [unrolled: 1-line block ×8, first 2 shown]
	v_mov_b32_e32 v2, 0
	ds_read2_b64 v[4:7], v2 offset0:39 offset1:40
	scratch_load_dwordx4 v[72:75], off, off offset:184
	v_cmp_lt_u32_e32 vcc, 5, v0
	s_waitcnt vmcnt(8) lgkmcnt(0)
	v_mul_f32_e32 v3, v4, v9
	v_fmac_f32_e32 v3, v5, v8
	v_mul_f32_e32 v12, v6, v11
	v_add_f32_e32 v3, 0, v3
	v_fmac_f32_e32 v12, v7, v10
	v_add_f32_e32 v3, v3, v12
	ds_read2_b64 v[12:15], v2 offset0:41 offset1:42
	s_waitcnt vmcnt(7) lgkmcnt(0)
	v_mul_f32_e32 v20, v12, v17
	v_fmac_f32_e32 v20, v13, v16
	v_add_f32_e32 v3, v3, v20
	v_mul_f32_e32 v20, v14, v19
	v_fmac_f32_e32 v20, v15, v18
	v_add_f32_e32 v3, v3, v20
	ds_read2_b64 v[20:23], v2 offset0:43 offset1:44
	s_waitcnt vmcnt(6) lgkmcnt(0)
	v_mul_f32_e32 v28, v20, v25
	v_fmac_f32_e32 v28, v21, v24
	v_add_f32_e32 v3, v3, v28
	v_mul_f32_e32 v28, v22, v27
	v_fmac_f32_e32 v28, v23, v26
	v_add_f32_e32 v3, v3, v28
	ds_read2_b64 v[28:31], v2 offset0:45 offset1:46
	s_waitcnt vmcnt(5) lgkmcnt(0)
	v_mul_f32_e32 v36, v28, v33
	v_fmac_f32_e32 v36, v29, v32
	v_add_f32_e32 v3, v3, v36
	v_mul_f32_e32 v36, v30, v35
	v_fmac_f32_e32 v36, v31, v34
	v_add_f32_e32 v3, v3, v36
	ds_read2_b64 v[36:39], v2 offset0:47 offset1:48
	s_waitcnt vmcnt(4) lgkmcnt(0)
	v_mul_f32_e32 v44, v36, v41
	v_fmac_f32_e32 v44, v37, v40
	v_add_f32_e32 v3, v3, v44
	v_mul_f32_e32 v44, v38, v43
	v_fmac_f32_e32 v44, v39, v42
	v_add_f32_e32 v3, v3, v44
	ds_read2_b64 v[44:47], v2 offset0:49 offset1:50
	s_waitcnt vmcnt(3) lgkmcnt(0)
	v_mul_f32_e32 v52, v44, v49
	v_fmac_f32_e32 v52, v45, v48
	v_add_f32_e32 v3, v3, v52
	v_mul_f32_e32 v52, v46, v51
	v_fmac_f32_e32 v52, v47, v50
	v_add_f32_e32 v3, v3, v52
	ds_read2_b64 v[52:55], v2 offset0:51 offset1:52
	s_waitcnt vmcnt(2) lgkmcnt(0)
	v_mul_f32_e32 v60, v52, v57
	v_fmac_f32_e32 v60, v53, v56
	v_add_f32_e32 v3, v3, v60
	v_mul_f32_e32 v60, v54, v59
	v_fmac_f32_e32 v60, v55, v58
	v_add_f32_e32 v3, v3, v60
	ds_read2_b64 v[60:63], v2 offset0:53 offset1:54
	s_waitcnt vmcnt(1) lgkmcnt(0)
	v_mul_f32_e32 v68, v60, v65
	v_fmac_f32_e32 v68, v61, v64
	v_add_f32_e32 v89, v3, v68
	ds_read2_b64 v[68:71], v2 offset0:55 offset1:56
	scratch_load_dwordx4 v[76:79], off, off offset:200
	scratch_load_dwordx4 v[80:83], off, off offset:216
	;; [unrolled: 1-line block ×3, first 2 shown]
	scratch_load_dwordx2 v[94:95], off, off offset:248
	v_mul_f32_e32 v3, v5, v9
	v_fma_f32 v3, v4, v8, -v3
	v_mul_f32_e32 v4, v7, v11
	v_add_f32_e32 v3, 0, v3
	v_fma_f32 v4, v6, v10, -v4
	v_add_f32_e32 v3, v3, v4
	v_mul_f32_e32 v4, v13, v17
	v_fma_f32 v4, v12, v16, -v4
	v_add_f32_e32 v3, v3, v4
	v_mul_f32_e32 v4, v15, v19
	v_fma_f32 v4, v14, v18, -v4
	v_add_f32_e32 v3, v3, v4
	v_mul_f32_e32 v4, v21, v25
	v_fma_f32 v4, v20, v24, -v4
	v_add_f32_e32 v3, v3, v4
	v_mul_f32_e32 v4, v23, v27
	v_fma_f32 v4, v22, v26, -v4
	v_add_f32_e32 v3, v3, v4
	v_mul_f32_e32 v4, v29, v33
	v_fma_f32 v4, v28, v32, -v4
	v_add_f32_e32 v3, v3, v4
	v_mul_f32_e32 v4, v31, v35
	v_fma_f32 v4, v30, v34, -v4
	v_add_f32_e32 v3, v3, v4
	v_mul_f32_e32 v4, v37, v41
	v_fma_f32 v4, v36, v40, -v4
	v_add_f32_e32 v3, v3, v4
	v_mul_f32_e32 v4, v39, v43
	v_fma_f32 v4, v38, v42, -v4
	v_add_f32_e32 v3, v3, v4
	v_mul_f32_e32 v4, v45, v49
	v_fma_f32 v4, v44, v48, -v4
	v_add_f32_e32 v3, v3, v4
	v_mul_f32_e32 v4, v47, v51
	v_fma_f32 v4, v46, v50, -v4
	v_add_f32_e32 v3, v3, v4
	v_mul_f32_e32 v4, v53, v57
	v_fma_f32 v4, v52, v56, -v4
	v_add_f32_e32 v3, v3, v4
	v_mul_f32_e32 v4, v55, v59
	v_fma_f32 v4, v54, v58, -v4
	v_add_f32_e32 v3, v3, v4
	v_mul_f32_e32 v4, v61, v65
	v_fma_f32 v4, v60, v64, -v4
	v_mul_f32_e32 v91, v62, v67
	v_add_f32_e32 v88, v3, v4
	v_mul_f32_e32 v3, v63, v67
	s_waitcnt vmcnt(4)
	v_mov_b32_e32 v20, v75
	v_fmac_f32_e32 v91, v63, v66
	s_waitcnt lgkmcnt(0)
	v_mul_f32_e32 v93, v68, v73
	v_fma_f32 v90, v62, v66, -v3
	v_mul_f32_e32 v3, v69, v73
	ds_read2_b64 v[4:7], v2 offset0:57 offset1:58
	ds_read2_b64 v[8:11], v2 offset0:59 offset1:60
	;; [unrolled: 1-line block ×3, first 2 shown]
	ds_read_b64 v[16:17], v2 offset:504
	v_pk_mul_f32 v[20:21], v[70:71], v[20:21] op_sel:[1,0] op_sel_hi:[0,0]
	v_fmac_f32_e32 v93, v69, v72
	v_fma_f32 v92, v68, v72, -v3
	v_pk_add_f32 v[18:19], v[88:89], v[90:91]
	v_pk_fma_f32 v[22:23], v[70:71], v[74:75], v[20:21] neg_lo:[0,0,1] neg_hi:[0,0,1]
	v_pk_fma_f32 v[20:21], v[70:71], v[74:75], v[20:21] op_sel_hi:[1,0,1]
	v_pk_add_f32 v[18:19], v[18:19], v[92:93]
	v_mov_b32_e32 v23, v21
	v_pk_add_f32 v[18:19], v[18:19], v[22:23]
	s_waitcnt vmcnt(3) lgkmcnt(3)
	v_pk_mul_f32 v[20:21], v[4:5], v[76:77] op_sel:[1,1] op_sel_hi:[0,1]
	v_pk_fma_f32 v[22:23], v[4:5], v[76:77], v[20:21] neg_lo:[0,0,1] neg_hi:[0,0,1]
	v_pk_fma_f32 v[4:5], v[4:5], v[76:77], v[20:21] op_sel_hi:[1,0,1]
	s_nop 0
	v_mov_b32_e32 v23, v5
	v_pk_add_f32 v[4:5], v[18:19], v[22:23]
	v_mov_b32_e32 v18, v79
	v_pk_mul_f32 v[18:19], v[6:7], v[18:19] op_sel:[1,0] op_sel_hi:[0,0]
	v_pk_fma_f32 v[20:21], v[6:7], v[78:79], v[18:19] neg_lo:[0,0,1] neg_hi:[0,0,1]
	v_pk_fma_f32 v[6:7], v[6:7], v[78:79], v[18:19] op_sel_hi:[1,0,1]
	s_nop 0
	v_mov_b32_e32 v21, v7
	s_waitcnt vmcnt(2) lgkmcnt(2)
	v_pk_mul_f32 v[6:7], v[8:9], v[80:81] op_sel:[1,1] op_sel_hi:[0,1]
	v_pk_fma_f32 v[18:19], v[8:9], v[80:81], v[6:7] neg_lo:[0,0,1] neg_hi:[0,0,1]
	v_pk_fma_f32 v[6:7], v[8:9], v[80:81], v[6:7] op_sel_hi:[1,0,1]
	v_pk_add_f32 v[4:5], v[4:5], v[20:21]
	v_mov_b32_e32 v6, v83
	v_mov_b32_e32 v19, v7
	v_pk_mul_f32 v[6:7], v[10:11], v[6:7] op_sel:[1,0] op_sel_hi:[0,0]
	v_pk_fma_f32 v[8:9], v[10:11], v[82:83], v[6:7] neg_lo:[0,0,1] neg_hi:[0,0,1]
	v_pk_fma_f32 v[6:7], v[10:11], v[82:83], v[6:7] op_sel_hi:[1,0,1]
	v_pk_add_f32 v[4:5], v[4:5], v[18:19]
	v_mov_b32_e32 v9, v7
	s_waitcnt vmcnt(1) lgkmcnt(1)
	v_pk_mul_f32 v[6:7], v[12:13], v[84:85] op_sel:[1,1] op_sel_hi:[0,1]
	v_pk_add_f32 v[4:5], v[4:5], v[8:9]
	v_pk_fma_f32 v[8:9], v[12:13], v[84:85], v[6:7] neg_lo:[0,0,1] neg_hi:[0,0,1]
	v_pk_fma_f32 v[6:7], v[12:13], v[84:85], v[6:7] op_sel_hi:[1,0,1]
	s_nop 0
	v_mov_b32_e32 v6, v87
	v_mov_b32_e32 v9, v7
	v_pk_mul_f32 v[6:7], v[14:15], v[6:7] op_sel:[1,0] op_sel_hi:[0,0]
	v_pk_add_f32 v[4:5], v[4:5], v[8:9]
	v_pk_fma_f32 v[8:9], v[14:15], v[86:87], v[6:7] neg_lo:[0,0,1] neg_hi:[0,0,1]
	v_pk_fma_f32 v[6:7], v[14:15], v[86:87], v[6:7] op_sel_hi:[1,0,1]
	s_nop 0
	v_mov_b32_e32 v9, v7
	s_waitcnt vmcnt(0) lgkmcnt(0)
	v_pk_mul_f32 v[6:7], v[16:17], v[94:95] op_sel:[1,1] op_sel_hi:[0,1]
	v_pk_add_f32 v[4:5], v[4:5], v[8:9]
	v_pk_fma_f32 v[8:9], v[16:17], v[94:95], v[6:7] neg_lo:[0,0,1] neg_hi:[0,0,1]
	v_pk_fma_f32 v[6:7], v[16:17], v[94:95], v[6:7] op_sel_hi:[1,0,1]
	s_nop 0
	v_mov_b32_e32 v9, v7
	scratch_load_dwordx2 v[6:7], off, off offset:48
	v_pk_add_f32 v[4:5], v[4:5], v[8:9]
	s_waitcnt vmcnt(0)
	v_pk_add_f32 v[4:5], v[6:7], v[4:5] neg_lo:[0,1] neg_hi:[0,1]
	scratch_store_dwordx2 off, v[4:5], off offset:48
	s_and_saveexec_b64 s[0:1], vcc
	s_cbranch_execz .LBB31_195
; %bb.194:
	scratch_load_dwordx2 v[4:5], off, off offset:40
	v_mov_b32_e32 v3, v2
	scratch_store_dwordx2 off, v[2:3], off offset:40
	s_waitcnt vmcnt(1)
	ds_write_b64 v1, v[4:5]
.LBB31_195:
	s_or_b64 exec, exec, s[0:1]
	s_waitcnt lgkmcnt(0)
	; wave barrier
	ds_read_b128 v[4:7], v2 offset:304
	ds_read_b128 v[8:11], v2 offset:320
	;; [unrolled: 1-line block ×4, first 2 shown]
	scratch_load_dwordx4 v[20:23], off, off offset:48
	scratch_load_dwordx4 v[40:43], off, off offset:112
	;; [unrolled: 1-line block ×3, first 2 shown]
	v_cmp_lt_u32_e32 vcc, 4, v0
	scratch_load_dwordx4 v[48:51], off, off offset:128
	scratch_load_dwordx4 v[56:59], off, off offset:144
	scratch_load_dwordx4 v[64:67], off, off offset:160
	s_waitcnt vmcnt(5) lgkmcnt(3)
	v_mul_f32_e32 v3, v4, v21
	v_fmac_f32_e32 v3, v5, v20
	v_mul_f32_e32 v24, v6, v23
	v_add_f32_e32 v3, 0, v3
	v_fmac_f32_e32 v24, v7, v22
	v_add_f32_e32 v3, v3, v24
	scratch_load_dwordx4 v[24:27], off, off offset:64
	s_waitcnt vmcnt(0) lgkmcnt(2)
	v_mul_f32_e32 v28, v8, v25
	v_fmac_f32_e32 v28, v9, v24
	v_add_f32_e32 v3, v3, v28
	v_mul_f32_e32 v28, v10, v27
	v_fmac_f32_e32 v28, v11, v26
	v_add_f32_e32 v3, v3, v28
	scratch_load_dwordx4 v[28:31], off, off offset:80
	s_waitcnt vmcnt(0) lgkmcnt(1)
	v_mul_f32_e32 v32, v12, v29
	v_fmac_f32_e32 v32, v13, v28
	v_add_f32_e32 v3, v3, v32
	v_mul_f32_e32 v32, v14, v31
	;; [unrolled: 8-line block ×3, first 2 shown]
	v_fmac_f32_e32 v36, v19, v34
	v_add_f32_e32 v3, v3, v36
	ds_read_b128 v[36:39], v2 offset:368
	s_waitcnt lgkmcnt(0)
	v_mul_f32_e32 v44, v36, v41
	v_fmac_f32_e32 v44, v37, v40
	v_add_f32_e32 v3, v3, v44
	v_mul_f32_e32 v44, v38, v43
	v_fmac_f32_e32 v44, v39, v42
	v_add_f32_e32 v3, v3, v44
	ds_read_b128 v[44:47], v2 offset:384
	s_waitcnt lgkmcnt(0)
	v_mul_f32_e32 v52, v44, v49
	v_fmac_f32_e32 v52, v45, v48
	v_add_f32_e32 v3, v3, v52
	v_mul_f32_e32 v52, v46, v51
	;; [unrolled: 8-line block ×4, first 2 shown]
	v_fmac_f32_e32 v68, v63, v66
	v_add_f32_e32 v93, v3, v68
	ds_read_b128 v[68:71], v2 offset:432
	scratch_load_dwordx4 v[76:79], off, off offset:192
	scratch_load_dwordx4 v[80:83], off, off offset:208
	;; [unrolled: 1-line block ×4, first 2 shown]
	v_mul_f32_e32 v3, v5, v21
	v_fma_f32 v3, v4, v20, -v3
	v_mul_f32_e32 v4, v7, v23
	v_add_f32_e32 v3, 0, v3
	v_fma_f32 v4, v6, v22, -v4
	v_add_f32_e32 v3, v3, v4
	v_mul_f32_e32 v4, v9, v25
	v_fma_f32 v4, v8, v24, -v4
	v_add_f32_e32 v3, v3, v4
	v_mul_f32_e32 v4, v11, v27
	;; [unrolled: 3-line block ×14, first 2 shown]
	v_fma_f32 v4, v62, v66, -v4
	v_add_f32_e32 v92, v3, v4
	ds_read_b128 v[4:7], v2 offset:448
	ds_read_b128 v[8:11], v2 offset:464
	;; [unrolled: 1-line block ×4, first 2 shown]
	s_waitcnt lgkmcnt(4)
	v_mul_f32_e32 v95, v68, v73
	v_mul_f32_e32 v3, v69, v73
	v_fmac_f32_e32 v95, v69, v72
	v_mul_f32_e32 v97, v70, v75
	v_fma_f32 v94, v68, v72, -v3
	v_mul_f32_e32 v3, v71, v75
	v_fmac_f32_e32 v97, v71, v74
	v_fma_f32 v96, v70, v74, -v3
	v_pk_add_f32 v[2:3], v[92:93], v[94:95]
	s_waitcnt vmcnt(3) lgkmcnt(3)
	v_pk_mul_f32 v[20:21], v[4:5], v[76:77] op_sel:[1,1] op_sel_hi:[0,1]
	v_pk_fma_f32 v[22:23], v[4:5], v[76:77], v[20:21] neg_lo:[0,0,1] neg_hi:[0,0,1]
	v_pk_fma_f32 v[4:5], v[4:5], v[76:77], v[20:21] op_sel_hi:[1,0,1]
	v_pk_add_f32 v[2:3], v[2:3], v[96:97]
	v_mov_b32_e32 v4, v79
	v_mov_b32_e32 v23, v5
	v_pk_mul_f32 v[4:5], v[6:7], v[4:5] op_sel:[1,0] op_sel_hi:[0,0]
	v_pk_fma_f32 v[20:21], v[6:7], v[78:79], v[4:5] neg_lo:[0,0,1] neg_hi:[0,0,1]
	v_pk_fma_f32 v[4:5], v[6:7], v[78:79], v[4:5] op_sel_hi:[1,0,1]
	v_pk_add_f32 v[2:3], v[2:3], v[22:23]
	v_mov_b32_e32 v21, v5
	s_waitcnt vmcnt(2) lgkmcnt(2)
	v_pk_mul_f32 v[4:5], v[8:9], v[80:81] op_sel:[1,1] op_sel_hi:[0,1]
	v_pk_fma_f32 v[6:7], v[8:9], v[80:81], v[4:5] neg_lo:[0,0,1] neg_hi:[0,0,1]
	v_pk_fma_f32 v[4:5], v[8:9], v[80:81], v[4:5] op_sel_hi:[1,0,1]
	v_pk_add_f32 v[2:3], v[2:3], v[20:21]
	v_mov_b32_e32 v4, v83
	v_mov_b32_e32 v7, v5
	v_pk_mul_f32 v[4:5], v[10:11], v[4:5] op_sel:[1,0] op_sel_hi:[0,0]
	v_pk_add_f32 v[2:3], v[2:3], v[6:7]
	v_pk_fma_f32 v[6:7], v[10:11], v[82:83], v[4:5] neg_lo:[0,0,1] neg_hi:[0,0,1]
	v_pk_fma_f32 v[4:5], v[10:11], v[82:83], v[4:5] op_sel_hi:[1,0,1]
	s_nop 0
	v_mov_b32_e32 v7, v5
	s_waitcnt vmcnt(1) lgkmcnt(1)
	v_pk_mul_f32 v[4:5], v[12:13], v[84:85] op_sel:[1,1] op_sel_hi:[0,1]
	v_pk_add_f32 v[2:3], v[2:3], v[6:7]
	v_pk_fma_f32 v[6:7], v[12:13], v[84:85], v[4:5] neg_lo:[0,0,1] neg_hi:[0,0,1]
	v_pk_fma_f32 v[4:5], v[12:13], v[84:85], v[4:5] op_sel_hi:[1,0,1]
	s_nop 0
	v_mov_b32_e32 v4, v87
	v_mov_b32_e32 v7, v5
	v_pk_mul_f32 v[4:5], v[14:15], v[4:5] op_sel:[1,0] op_sel_hi:[0,0]
	v_pk_add_f32 v[2:3], v[2:3], v[6:7]
	v_pk_fma_f32 v[6:7], v[14:15], v[86:87], v[4:5] neg_lo:[0,0,1] neg_hi:[0,0,1]
	v_pk_fma_f32 v[4:5], v[14:15], v[86:87], v[4:5] op_sel_hi:[1,0,1]
	s_nop 0
	v_mov_b32_e32 v7, v5
	s_waitcnt vmcnt(0) lgkmcnt(0)
	v_pk_mul_f32 v[4:5], v[16:17], v[88:89] op_sel:[1,1] op_sel_hi:[0,1]
	v_pk_add_f32 v[2:3], v[2:3], v[6:7]
	v_pk_fma_f32 v[6:7], v[16:17], v[88:89], v[4:5] neg_lo:[0,0,1] neg_hi:[0,0,1]
	v_pk_fma_f32 v[4:5], v[16:17], v[88:89], v[4:5] op_sel_hi:[1,0,1]
	s_nop 0
	v_mov_b32_e32 v4, v91
	v_mov_b32_e32 v7, v5
	v_pk_mul_f32 v[4:5], v[18:19], v[4:5] op_sel:[1,0] op_sel_hi:[0,0]
	v_pk_add_f32 v[2:3], v[2:3], v[6:7]
	v_pk_fma_f32 v[6:7], v[18:19], v[90:91], v[4:5] neg_lo:[0,0,1] neg_hi:[0,0,1]
	v_pk_fma_f32 v[4:5], v[18:19], v[90:91], v[4:5] op_sel_hi:[1,0,1]
	s_nop 0
	v_mov_b32_e32 v7, v5
	scratch_load_dwordx2 v[4:5], off, off offset:40
	v_pk_add_f32 v[2:3], v[2:3], v[6:7]
	s_waitcnt vmcnt(0)
	v_pk_add_f32 v[2:3], v[4:5], v[2:3] neg_lo:[0,1] neg_hi:[0,1]
	scratch_store_dwordx2 off, v[2:3], off offset:40
	s_and_saveexec_b64 s[0:1], vcc
	s_cbranch_execz .LBB31_197
; %bb.196:
	scratch_load_dwordx2 v[2:3], off, off offset:32
	v_mov_b32_e32 v4, 0
	v_mov_b32_e32 v5, v4
	scratch_store_dwordx2 off, v[4:5], off offset:32
	s_waitcnt vmcnt(1)
	ds_write_b64 v1, v[2:3]
.LBB31_197:
	s_or_b64 exec, exec, s[0:1]
	s_waitcnt lgkmcnt(0)
	; wave barrier
	scratch_load_dwordx4 v[8:11], off, off offset:40
	scratch_load_dwordx4 v[16:19], off, off offset:56
	;; [unrolled: 1-line block ×10, first 2 shown]
	v_mov_b32_e32 v2, 0
	ds_read2_b64 v[4:7], v2 offset0:37 offset1:38
	v_cmp_lt_u32_e32 vcc, 3, v0
	s_waitcnt vmcnt(9) lgkmcnt(0)
	v_mul_f32_e32 v3, v4, v9
	v_fmac_f32_e32 v3, v5, v8
	v_mul_f32_e32 v12, v6, v11
	v_add_f32_e32 v3, 0, v3
	v_fmac_f32_e32 v12, v7, v10
	v_add_f32_e32 v3, v3, v12
	ds_read2_b64 v[12:15], v2 offset0:39 offset1:40
	s_waitcnt vmcnt(8) lgkmcnt(0)
	v_mul_f32_e32 v20, v12, v17
	v_fmac_f32_e32 v20, v13, v16
	v_add_f32_e32 v3, v3, v20
	v_mul_f32_e32 v20, v14, v19
	v_fmac_f32_e32 v20, v15, v18
	v_add_f32_e32 v3, v3, v20
	ds_read2_b64 v[20:23], v2 offset0:41 offset1:42
	s_waitcnt vmcnt(7) lgkmcnt(0)
	v_mul_f32_e32 v28, v20, v25
	v_fmac_f32_e32 v28, v21, v24
	v_add_f32_e32 v3, v3, v28
	v_mul_f32_e32 v28, v22, v27
	;; [unrolled: 8-line block ×7, first 2 shown]
	v_fmac_f32_e32 v68, v63, v66
	v_add_f32_e32 v3, v3, v68
	ds_read2_b64 v[68:71], v2 offset0:53 offset1:54
	s_waitcnt vmcnt(1) lgkmcnt(0)
	v_mul_f32_e32 v76, v68, v73
	v_fmac_f32_e32 v76, v69, v72
	v_add_f32_e32 v97, v3, v76
	ds_read2_b64 v[76:79], v2 offset0:55 offset1:56
	scratch_load_dwordx4 v[84:87], off, off offset:200
	scratch_load_dwordx4 v[88:91], off, off offset:216
	;; [unrolled: 1-line block ×3, first 2 shown]
	scratch_load_dwordx2 v[166:167], off, off offset:248
	v_mul_f32_e32 v3, v5, v9
	v_fma_f32 v3, v4, v8, -v3
	v_mul_f32_e32 v4, v7, v11
	v_add_f32_e32 v3, 0, v3
	v_fma_f32 v4, v6, v10, -v4
	v_add_f32_e32 v3, v3, v4
	v_mul_f32_e32 v4, v13, v17
	v_fma_f32 v4, v12, v16, -v4
	v_add_f32_e32 v3, v3, v4
	v_mul_f32_e32 v4, v15, v19
	;; [unrolled: 3-line block ×15, first 2 shown]
	v_fma_f32 v4, v68, v72, -v4
	v_mul_f32_e32 v99, v70, v75
	v_add_f32_e32 v96, v3, v4
	v_mul_f32_e32 v3, v71, v75
	s_waitcnt vmcnt(4)
	v_mov_b32_e32 v20, v83
	v_fmac_f32_e32 v99, v71, v74
	s_waitcnt lgkmcnt(0)
	v_mul_f32_e32 v101, v76, v81
	v_fma_f32 v98, v70, v74, -v3
	v_mul_f32_e32 v3, v77, v81
	ds_read2_b64 v[4:7], v2 offset0:57 offset1:58
	ds_read2_b64 v[8:11], v2 offset0:59 offset1:60
	;; [unrolled: 1-line block ×3, first 2 shown]
	ds_read_b64 v[16:17], v2 offset:504
	v_pk_mul_f32 v[20:21], v[78:79], v[20:21] op_sel:[1,0] op_sel_hi:[0,0]
	v_fmac_f32_e32 v101, v77, v80
	v_fma_f32 v100, v76, v80, -v3
	v_pk_add_f32 v[18:19], v[96:97], v[98:99]
	v_pk_fma_f32 v[22:23], v[78:79], v[82:83], v[20:21] neg_lo:[0,0,1] neg_hi:[0,0,1]
	v_pk_fma_f32 v[20:21], v[78:79], v[82:83], v[20:21] op_sel_hi:[1,0,1]
	v_pk_add_f32 v[18:19], v[18:19], v[100:101]
	v_mov_b32_e32 v23, v21
	v_pk_add_f32 v[18:19], v[18:19], v[22:23]
	s_waitcnt vmcnt(3) lgkmcnt(3)
	v_pk_mul_f32 v[20:21], v[4:5], v[84:85] op_sel:[1,1] op_sel_hi:[0,1]
	v_pk_fma_f32 v[22:23], v[4:5], v[84:85], v[20:21] neg_lo:[0,0,1] neg_hi:[0,0,1]
	v_pk_fma_f32 v[4:5], v[4:5], v[84:85], v[20:21] op_sel_hi:[1,0,1]
	s_nop 0
	v_mov_b32_e32 v23, v5
	v_pk_add_f32 v[4:5], v[18:19], v[22:23]
	v_mov_b32_e32 v18, v87
	v_pk_mul_f32 v[18:19], v[6:7], v[18:19] op_sel:[1,0] op_sel_hi:[0,0]
	v_pk_fma_f32 v[20:21], v[6:7], v[86:87], v[18:19] neg_lo:[0,0,1] neg_hi:[0,0,1]
	v_pk_fma_f32 v[6:7], v[6:7], v[86:87], v[18:19] op_sel_hi:[1,0,1]
	s_nop 0
	v_mov_b32_e32 v21, v7
	s_waitcnt vmcnt(2) lgkmcnt(2)
	v_pk_mul_f32 v[6:7], v[8:9], v[88:89] op_sel:[1,1] op_sel_hi:[0,1]
	v_pk_fma_f32 v[18:19], v[8:9], v[88:89], v[6:7] neg_lo:[0,0,1] neg_hi:[0,0,1]
	v_pk_fma_f32 v[6:7], v[8:9], v[88:89], v[6:7] op_sel_hi:[1,0,1]
	v_pk_add_f32 v[4:5], v[4:5], v[20:21]
	v_mov_b32_e32 v6, v91
	v_mov_b32_e32 v19, v7
	v_pk_mul_f32 v[6:7], v[10:11], v[6:7] op_sel:[1,0] op_sel_hi:[0,0]
	v_pk_fma_f32 v[8:9], v[10:11], v[90:91], v[6:7] neg_lo:[0,0,1] neg_hi:[0,0,1]
	v_pk_fma_f32 v[6:7], v[10:11], v[90:91], v[6:7] op_sel_hi:[1,0,1]
	v_pk_add_f32 v[4:5], v[4:5], v[18:19]
	v_mov_b32_e32 v9, v7
	s_waitcnt vmcnt(1) lgkmcnt(1)
	v_pk_mul_f32 v[6:7], v[12:13], v[92:93] op_sel:[1,1] op_sel_hi:[0,1]
	v_pk_add_f32 v[4:5], v[4:5], v[8:9]
	v_pk_fma_f32 v[8:9], v[12:13], v[92:93], v[6:7] neg_lo:[0,0,1] neg_hi:[0,0,1]
	v_pk_fma_f32 v[6:7], v[12:13], v[92:93], v[6:7] op_sel_hi:[1,0,1]
	s_nop 0
	v_mov_b32_e32 v6, v95
	v_mov_b32_e32 v9, v7
	v_pk_mul_f32 v[6:7], v[14:15], v[6:7] op_sel:[1,0] op_sel_hi:[0,0]
	v_pk_add_f32 v[4:5], v[4:5], v[8:9]
	v_pk_fma_f32 v[8:9], v[14:15], v[94:95], v[6:7] neg_lo:[0,0,1] neg_hi:[0,0,1]
	v_pk_fma_f32 v[6:7], v[14:15], v[94:95], v[6:7] op_sel_hi:[1,0,1]
	s_nop 0
	v_mov_b32_e32 v9, v7
	s_waitcnt vmcnt(0) lgkmcnt(0)
	v_pk_mul_f32 v[6:7], v[16:17], v[166:167] op_sel:[1,1] op_sel_hi:[0,1]
	v_pk_add_f32 v[4:5], v[4:5], v[8:9]
	v_pk_fma_f32 v[8:9], v[16:17], v[166:167], v[6:7] neg_lo:[0,0,1] neg_hi:[0,0,1]
	v_pk_fma_f32 v[6:7], v[16:17], v[166:167], v[6:7] op_sel_hi:[1,0,1]
	s_nop 0
	v_mov_b32_e32 v9, v7
	scratch_load_dwordx2 v[6:7], off, off offset:32
	v_pk_add_f32 v[4:5], v[4:5], v[8:9]
	s_waitcnt vmcnt(0)
	v_pk_add_f32 v[4:5], v[6:7], v[4:5] neg_lo:[0,1] neg_hi:[0,1]
	scratch_store_dwordx2 off, v[4:5], off offset:32
	s_and_saveexec_b64 s[0:1], vcc
	s_cbranch_execz .LBB31_199
; %bb.198:
	scratch_load_dwordx2 v[4:5], off, off offset:24
	v_mov_b32_e32 v3, v2
	scratch_store_dwordx2 off, v[2:3], off offset:24
	s_waitcnt vmcnt(1)
	ds_write_b64 v1, v[4:5]
.LBB31_199:
	s_or_b64 exec, exec, s[0:1]
	s_waitcnt lgkmcnt(0)
	; wave barrier
	ds_read_b128 v[4:7], v2 offset:288
	ds_read_b128 v[8:11], v2 offset:304
	;; [unrolled: 1-line block ×4, first 2 shown]
	scratch_load_dwordx4 v[20:23], off, off offset:32
	scratch_load_dwordx4 v[40:43], off, off offset:96
	;; [unrolled: 1-line block ×4, first 2 shown]
	v_cmp_lt_u32_e32 vcc, 2, v0
	scratch_load_dwordx4 v[48:51], off, off offset:112
	scratch_load_dwordx4 v[56:59], off, off offset:128
	;; [unrolled: 1-line block ×3, first 2 shown]
	s_waitcnt vmcnt(6) lgkmcnt(3)
	v_mul_f32_e32 v3, v4, v21
	v_fmac_f32_e32 v3, v5, v20
	v_mul_f32_e32 v24, v6, v23
	v_add_f32_e32 v3, 0, v3
	v_fmac_f32_e32 v24, v7, v22
	v_add_f32_e32 v3, v3, v24
	scratch_load_dwordx4 v[24:27], off, off offset:48
	s_waitcnt vmcnt(0) lgkmcnt(2)
	v_mul_f32_e32 v28, v8, v25
	v_fmac_f32_e32 v28, v9, v24
	v_add_f32_e32 v3, v3, v28
	v_mul_f32_e32 v28, v10, v27
	v_fmac_f32_e32 v28, v11, v26
	v_add_f32_e32 v3, v3, v28
	scratch_load_dwordx4 v[28:31], off, off offset:64
	s_waitcnt vmcnt(0) lgkmcnt(1)
	v_mul_f32_e32 v32, v12, v29
	v_fmac_f32_e32 v32, v13, v28
	v_add_f32_e32 v3, v3, v32
	v_mul_f32_e32 v32, v14, v31
	;; [unrolled: 8-line block ×3, first 2 shown]
	v_fmac_f32_e32 v36, v19, v34
	v_add_f32_e32 v3, v3, v36
	ds_read_b128 v[36:39], v2 offset:352
	s_waitcnt lgkmcnt(0)
	v_mul_f32_e32 v44, v36, v41
	v_fmac_f32_e32 v44, v37, v40
	v_add_f32_e32 v3, v3, v44
	v_mul_f32_e32 v44, v38, v43
	v_fmac_f32_e32 v44, v39, v42
	v_add_f32_e32 v3, v3, v44
	ds_read_b128 v[44:47], v2 offset:368
	s_waitcnt lgkmcnt(0)
	v_mul_f32_e32 v52, v44, v49
	v_fmac_f32_e32 v52, v45, v48
	v_add_f32_e32 v3, v3, v52
	v_mul_f32_e32 v52, v46, v51
	;; [unrolled: 8-line block ×5, first 2 shown]
	v_fmac_f32_e32 v76, v71, v74
	v_add_f32_e32 v101, v3, v76
	ds_read_b128 v[76:79], v2 offset:432
	scratch_load_dwordx4 v[84:87], off, off offset:192
	scratch_load_dwordx4 v[88:91], off, off offset:208
	;; [unrolled: 1-line block ×4, first 2 shown]
	v_mul_f32_e32 v3, v5, v21
	v_fma_f32 v3, v4, v20, -v3
	v_mul_f32_e32 v4, v7, v23
	v_add_f32_e32 v3, 0, v3
	v_fma_f32 v4, v6, v22, -v4
	v_add_f32_e32 v3, v3, v4
	v_mul_f32_e32 v4, v9, v25
	v_fma_f32 v4, v8, v24, -v4
	v_add_f32_e32 v3, v3, v4
	v_mul_f32_e32 v4, v11, v27
	;; [unrolled: 3-line block ×16, first 2 shown]
	v_fma_f32 v4, v70, v74, -v4
	v_add_f32_e32 v100, v3, v4
	ds_read_b128 v[4:7], v2 offset:448
	ds_read_b128 v[8:11], v2 offset:464
	;; [unrolled: 1-line block ×4, first 2 shown]
	s_waitcnt lgkmcnt(4)
	v_mul_f32_e32 v167, v76, v81
	v_mul_f32_e32 v3, v77, v81
	v_fmac_f32_e32 v167, v77, v80
	v_mul_f32_e32 v169, v78, v83
	v_fma_f32 v166, v76, v80, -v3
	v_mul_f32_e32 v3, v79, v83
	v_fmac_f32_e32 v169, v79, v82
	v_fma_f32 v168, v78, v82, -v3
	v_pk_add_f32 v[2:3], v[100:101], v[166:167]
	s_waitcnt vmcnt(3) lgkmcnt(3)
	v_pk_mul_f32 v[20:21], v[4:5], v[84:85] op_sel:[1,1] op_sel_hi:[0,1]
	v_pk_fma_f32 v[22:23], v[4:5], v[84:85], v[20:21] neg_lo:[0,0,1] neg_hi:[0,0,1]
	v_pk_fma_f32 v[4:5], v[4:5], v[84:85], v[20:21] op_sel_hi:[1,0,1]
	v_pk_add_f32 v[2:3], v[2:3], v[168:169]
	v_mov_b32_e32 v4, v87
	v_mov_b32_e32 v23, v5
	v_pk_mul_f32 v[4:5], v[6:7], v[4:5] op_sel:[1,0] op_sel_hi:[0,0]
	v_pk_fma_f32 v[20:21], v[6:7], v[86:87], v[4:5] neg_lo:[0,0,1] neg_hi:[0,0,1]
	v_pk_fma_f32 v[4:5], v[6:7], v[86:87], v[4:5] op_sel_hi:[1,0,1]
	v_pk_add_f32 v[2:3], v[2:3], v[22:23]
	v_mov_b32_e32 v21, v5
	s_waitcnt vmcnt(2) lgkmcnt(2)
	v_pk_mul_f32 v[4:5], v[8:9], v[88:89] op_sel:[1,1] op_sel_hi:[0,1]
	v_pk_fma_f32 v[6:7], v[8:9], v[88:89], v[4:5] neg_lo:[0,0,1] neg_hi:[0,0,1]
	v_pk_fma_f32 v[4:5], v[8:9], v[88:89], v[4:5] op_sel_hi:[1,0,1]
	v_pk_add_f32 v[2:3], v[2:3], v[20:21]
	v_mov_b32_e32 v4, v91
	v_mov_b32_e32 v7, v5
	v_pk_mul_f32 v[4:5], v[10:11], v[4:5] op_sel:[1,0] op_sel_hi:[0,0]
	v_pk_add_f32 v[2:3], v[2:3], v[6:7]
	v_pk_fma_f32 v[6:7], v[10:11], v[90:91], v[4:5] neg_lo:[0,0,1] neg_hi:[0,0,1]
	v_pk_fma_f32 v[4:5], v[10:11], v[90:91], v[4:5] op_sel_hi:[1,0,1]
	s_nop 0
	v_mov_b32_e32 v7, v5
	s_waitcnt vmcnt(1) lgkmcnt(1)
	v_pk_mul_f32 v[4:5], v[12:13], v[92:93] op_sel:[1,1] op_sel_hi:[0,1]
	v_pk_add_f32 v[2:3], v[2:3], v[6:7]
	v_pk_fma_f32 v[6:7], v[12:13], v[92:93], v[4:5] neg_lo:[0,0,1] neg_hi:[0,0,1]
	v_pk_fma_f32 v[4:5], v[12:13], v[92:93], v[4:5] op_sel_hi:[1,0,1]
	s_nop 0
	v_mov_b32_e32 v4, v95
	v_mov_b32_e32 v7, v5
	v_pk_mul_f32 v[4:5], v[14:15], v[4:5] op_sel:[1,0] op_sel_hi:[0,0]
	v_pk_add_f32 v[2:3], v[2:3], v[6:7]
	v_pk_fma_f32 v[6:7], v[14:15], v[94:95], v[4:5] neg_lo:[0,0,1] neg_hi:[0,0,1]
	v_pk_fma_f32 v[4:5], v[14:15], v[94:95], v[4:5] op_sel_hi:[1,0,1]
	s_nop 0
	v_mov_b32_e32 v7, v5
	s_waitcnt vmcnt(0) lgkmcnt(0)
	v_pk_mul_f32 v[4:5], v[16:17], v[96:97] op_sel:[1,1] op_sel_hi:[0,1]
	v_pk_add_f32 v[2:3], v[2:3], v[6:7]
	v_pk_fma_f32 v[6:7], v[16:17], v[96:97], v[4:5] neg_lo:[0,0,1] neg_hi:[0,0,1]
	v_pk_fma_f32 v[4:5], v[16:17], v[96:97], v[4:5] op_sel_hi:[1,0,1]
	s_nop 0
	v_mov_b32_e32 v4, v99
	v_mov_b32_e32 v7, v5
	v_pk_mul_f32 v[4:5], v[18:19], v[4:5] op_sel:[1,0] op_sel_hi:[0,0]
	v_pk_add_f32 v[2:3], v[2:3], v[6:7]
	v_pk_fma_f32 v[6:7], v[18:19], v[98:99], v[4:5] neg_lo:[0,0,1] neg_hi:[0,0,1]
	v_pk_fma_f32 v[4:5], v[18:19], v[98:99], v[4:5] op_sel_hi:[1,0,1]
	s_nop 0
	v_mov_b32_e32 v7, v5
	scratch_load_dwordx2 v[4:5], off, off offset:24
	v_pk_add_f32 v[2:3], v[2:3], v[6:7]
	s_waitcnt vmcnt(0)
	v_pk_add_f32 v[2:3], v[4:5], v[2:3] neg_lo:[0,1] neg_hi:[0,1]
	scratch_store_dwordx2 off, v[2:3], off offset:24
	s_and_saveexec_b64 s[0:1], vcc
	s_cbranch_execz .LBB31_201
; %bb.200:
	scratch_load_dwordx2 v[2:3], off, off offset:16
	v_mov_b32_e32 v4, 0
	v_mov_b32_e32 v5, v4
	scratch_store_dwordx2 off, v[4:5], off offset:16
	s_waitcnt vmcnt(1)
	ds_write_b64 v1, v[2:3]
.LBB31_201:
	s_or_b64 exec, exec, s[0:1]
	s_waitcnt lgkmcnt(0)
	; wave barrier
	scratch_load_dwordx4 v[18:21], off, off offset:24
	scratch_load_dwordx4 v[2:5], off, off offset:40
	;; [unrolled: 1-line block ×14, first 2 shown]
	scratch_load_dwordx2 v[58:59], off, off offset:248
	scratch_load_dwordx2 v[100:101], off, off offset:16
	v_mov_b32_e32 v166, 0
	ds_read2_b64 v[60:63], v166 offset0:35 offset1:36
	ds_read2_b64 v[64:67], v166 offset0:37 offset1:38
	;; [unrolled: 1-line block ×12, first 2 shown]
	v_cmp_lt_u32_e32 vcc, 1, v0
	s_waitcnt vmcnt(15) lgkmcnt(11)
	v_mul_f32_e32 v167, v60, v19
	v_mul_f32_e32 v176, v62, v21
	s_waitcnt vmcnt(14) lgkmcnt(10)
	v_mul_f32_e32 v178, v64, v3
	v_mul_f32_e32 v3, v65, v3
	v_fmac_f32_e32 v167, v61, v18
	v_fmac_f32_e32 v176, v63, v20
	;; [unrolled: 1-line block ×3, first 2 shown]
	v_fma_f32 v2, v64, v2, -v3
	v_add_f32_e32 v3, 0, v167
	v_mul_f32_e32 v180, v66, v5
	v_add_f32_e32 v3, v3, v176
	s_waitcnt vmcnt(13) lgkmcnt(9)
	v_mul_f32_e32 v181, v68, v7
	v_fmac_f32_e32 v180, v67, v4
	v_add_f32_e32 v3, v3, v178
	v_mul_f32_e32 v182, v70, v9
	v_fmac_f32_e32 v181, v69, v6
	v_add_f32_e32 v3, v3, v180
	s_waitcnt vmcnt(12) lgkmcnt(8)
	v_mul_f32_e32 v183, v72, v11
	v_fmac_f32_e32 v182, v71, v8
	v_add_f32_e32 v3, v3, v181
	v_mul_f32_e32 v184, v74, v13
	v_fmac_f32_e32 v183, v73, v10
	;; [unrolled: 7-line block ×6, first 2 shown]
	v_add_f32_e32 v3, v3, v190
	s_waitcnt vmcnt(7) lgkmcnt(3)
	v_mul_f32_e32 v193, v92, v43
	v_fmac_f32_e32 v192, v91, v40
	v_add_f32_e32 v3, v3, v191
	v_mul_f32_e32 v194, v94, v45
	v_mul_f32_e32 v19, v61, v19
	v_fmac_f32_e32 v193, v93, v42
	v_add_f32_e32 v3, v3, v192
	s_waitcnt vmcnt(6) lgkmcnt(2)
	v_mul_f32_e32 v195, v96, v51
	v_mul_f32_e32 v21, v63, v21
	v_fmac_f32_e32 v194, v95, v44
	v_fma_f32 v18, v60, v18, -v19
	v_add_f32_e32 v3, v3, v193
	v_fmac_f32_e32 v195, v97, v50
	v_fma_f32 v19, v62, v20, -v21
	v_add_f32_e32 v18, 0, v18
	v_add_f32_e32 v3, v3, v194
	;; [unrolled: 1-line block ×4, first 2 shown]
	v_mul_f32_e32 v3, v67, v5
	v_add_f32_e32 v2, v18, v2
	v_fma_f32 v3, v66, v4, -v3
	v_add_f32_e32 v2, v2, v3
	v_mul_f32_e32 v3, v69, v7
	v_fma_f32 v3, v68, v6, -v3
	v_add_f32_e32 v2, v2, v3
	v_mul_f32_e32 v3, v71, v9
	;; [unrolled: 3-line block ×15, first 2 shown]
	v_fma_f32 v3, v96, v50, -v3
	v_mul_f32_e32 v177, v98, v53
	v_add_f32_e32 v18, v2, v3
	v_mul_f32_e32 v2, v99, v53
	s_waitcnt vmcnt(5)
	v_mov_b32_e32 v14, v57
	s_waitcnt lgkmcnt(1)
	v_mul_f32_e32 v179, v168, v55
	v_fmac_f32_e32 v177, v99, v52
	v_fma_f32 v176, v98, v52, -v2
	v_mul_f32_e32 v2, v169, v55
	v_pk_mul_f32 v[14:15], v[170:171], v[14:15] op_sel:[1,0] op_sel_hi:[0,0]
	v_fmac_f32_e32 v179, v169, v54
	v_fma_f32 v178, v168, v54, -v2
	v_pk_add_f32 v[12:13], v[18:19], v[176:177]
	v_pk_fma_f32 v[16:17], v[170:171], v[56:57], v[14:15] neg_lo:[0,0,1] neg_hi:[0,0,1]
	v_pk_fma_f32 v[14:15], v[170:171], v[56:57], v[14:15] op_sel_hi:[1,0,1]
	v_pk_add_f32 v[12:13], v[12:13], v[178:179]
	v_mov_b32_e32 v17, v15
	s_waitcnt vmcnt(4) lgkmcnt(0)
	v_pk_mul_f32 v[14:15], v[172:173], v[46:47] op_sel:[1,1] op_sel_hi:[0,1]
	v_pk_add_f32 v[12:13], v[12:13], v[16:17]
	v_pk_fma_f32 v[16:17], v[172:173], v[46:47], v[14:15] neg_lo:[0,0,1] neg_hi:[0,0,1]
	v_pk_fma_f32 v[14:15], v[172:173], v[46:47], v[14:15] op_sel_hi:[1,0,1]
	ds_read2_b64 v[2:5], v166 offset0:59 offset1:60
	ds_read2_b64 v[6:9], v166 offset0:61 offset1:62
	ds_read_b64 v[10:11], v166 offset:504
	v_mov_b32_e32 v14, v49
	v_mov_b32_e32 v17, v15
	v_pk_mul_f32 v[14:15], v[174:175], v[14:15] op_sel:[1,0] op_sel_hi:[0,0]
	v_pk_add_f32 v[12:13], v[12:13], v[16:17]
	v_pk_fma_f32 v[16:17], v[174:175], v[48:49], v[14:15] neg_lo:[0,0,1] neg_hi:[0,0,1]
	v_pk_fma_f32 v[14:15], v[174:175], v[48:49], v[14:15] op_sel_hi:[1,0,1]
	s_nop 0
	v_mov_b32_e32 v17, v15
	s_waitcnt vmcnt(3) lgkmcnt(2)
	v_pk_mul_f32 v[14:15], v[2:3], v[34:35] op_sel:[1,1] op_sel_hi:[0,1]
	v_pk_add_f32 v[12:13], v[12:13], v[16:17]
	v_pk_fma_f32 v[16:17], v[2:3], v[34:35], v[14:15] neg_lo:[0,0,1] neg_hi:[0,0,1]
	v_pk_fma_f32 v[2:3], v[2:3], v[34:35], v[14:15] op_sel_hi:[1,0,1]
	s_nop 0
	v_mov_b32_e32 v17, v3
	v_pk_add_f32 v[2:3], v[12:13], v[16:17]
	v_mov_b32_e32 v12, v37
	v_pk_mul_f32 v[12:13], v[4:5], v[12:13] op_sel:[1,0] op_sel_hi:[0,0]
	v_pk_fma_f32 v[14:15], v[4:5], v[36:37], v[12:13] neg_lo:[0,0,1] neg_hi:[0,0,1]
	v_pk_fma_f32 v[4:5], v[4:5], v[36:37], v[12:13] op_sel_hi:[1,0,1]
	s_nop 0
	v_mov_b32_e32 v15, v5
	s_waitcnt vmcnt(2) lgkmcnt(1)
	v_pk_mul_f32 v[4:5], v[6:7], v[22:23] op_sel:[1,1] op_sel_hi:[0,1]
	v_pk_fma_f32 v[12:13], v[6:7], v[22:23], v[4:5] neg_lo:[0,0,1] neg_hi:[0,0,1]
	v_pk_fma_f32 v[4:5], v[6:7], v[22:23], v[4:5] op_sel_hi:[1,0,1]
	v_pk_add_f32 v[2:3], v[2:3], v[14:15]
	v_mov_b32_e32 v4, v25
	v_mov_b32_e32 v13, v5
	v_pk_mul_f32 v[4:5], v[8:9], v[4:5] op_sel:[1,0] op_sel_hi:[0,0]
	v_pk_fma_f32 v[6:7], v[8:9], v[24:25], v[4:5] neg_lo:[0,0,1] neg_hi:[0,0,1]
	v_pk_fma_f32 v[4:5], v[8:9], v[24:25], v[4:5] op_sel_hi:[1,0,1]
	v_pk_add_f32 v[2:3], v[2:3], v[12:13]
	v_mov_b32_e32 v7, v5
	s_waitcnt vmcnt(1) lgkmcnt(0)
	v_pk_mul_f32 v[4:5], v[10:11], v[58:59] op_sel:[1,1] op_sel_hi:[0,1]
	v_pk_add_f32 v[2:3], v[2:3], v[6:7]
	v_pk_fma_f32 v[6:7], v[10:11], v[58:59], v[4:5] neg_lo:[0,0,1] neg_hi:[0,0,1]
	v_pk_fma_f32 v[4:5], v[10:11], v[58:59], v[4:5] op_sel_hi:[1,0,1]
	s_nop 0
	v_mov_b32_e32 v7, v5
	v_pk_add_f32 v[2:3], v[2:3], v[6:7]
	s_waitcnt vmcnt(0)
	v_pk_add_f32 v[2:3], v[100:101], v[2:3] neg_lo:[0,1] neg_hi:[0,1]
	scratch_store_dwordx2 off, v[2:3], off offset:16
	s_and_saveexec_b64 s[0:1], vcc
	s_cbranch_execz .LBB31_203
; %bb.202:
	scratch_load_dwordx2 v[2:3], off, off offset:8
	v_mov_b32_e32 v167, v166
	scratch_store_dwordx2 off, v[166:167], off offset:8
	s_waitcnt vmcnt(1)
	ds_write_b64 v1, v[2:3]
.LBB31_203:
	s_or_b64 exec, exec, s[0:1]
	s_waitcnt lgkmcnt(0)
	; wave barrier
	scratch_load_dwordx4 v[22:25], off, off offset:16
	scratch_load_dwordx4 v[2:5], off, off offset:32
	scratch_load_dwordx4 v[6:9], off, off offset:48
	scratch_load_dwordx4 v[10:13], off, off offset:64
	scratch_load_dwordx4 v[14:17], off, off offset:80
	scratch_load_dwordx4 v[18:21], off, off offset:96
	scratch_load_dwordx4 v[30:33], off, off offset:112
	scratch_load_dwordx4 v[34:37], off, off offset:128
	scratch_load_dwordx4 v[42:45], off, off offset:144
	scratch_load_dwordx4 v[46:49], off, off offset:160
	scratch_load_dwordx4 v[54:57], off, off offset:176
	ds_read_b128 v[168:171], v166 offset:272
	ds_read_b128 v[98:101], v166 offset:288
	;; [unrolled: 1-line block ×10, first 2 shown]
	scratch_load_dwordx4 v[58:61], off, off offset:192
	scratch_load_dwordx4 v[50:53], off, off offset:208
	scratch_load_dwordx4 v[38:41], off, off offset:224
	scratch_load_dwordx4 v[26:29], off, off offset:240
	ds_read_b128 v[78:81], v166 offset:432
	ds_read_b128 v[172:175], v166 offset:448
	scratch_load_dwordx2 v[176:177], off, off offset:8
	v_cmp_ne_u32_e32 vcc, 0, v0
	s_waitcnt vmcnt(15) lgkmcnt(11)
	v_mul_f32_e32 v167, v168, v23
	v_mul_f32_e32 v178, v170, v25
	s_waitcnt vmcnt(14) lgkmcnt(10)
	v_mul_f32_e32 v180, v98, v3
	v_mul_f32_e32 v3, v99, v3
	v_fmac_f32_e32 v167, v169, v22
	v_fmac_f32_e32 v178, v171, v24
	;; [unrolled: 1-line block ×3, first 2 shown]
	v_fma_f32 v2, v98, v2, -v3
	v_add_f32_e32 v3, 0, v167
	v_mul_f32_e32 v182, v100, v5
	v_add_f32_e32 v3, v3, v178
	s_waitcnt vmcnt(13) lgkmcnt(9)
	v_mul_f32_e32 v183, v94, v7
	v_fmac_f32_e32 v182, v101, v4
	v_add_f32_e32 v3, v3, v180
	v_mul_f32_e32 v184, v96, v9
	v_fmac_f32_e32 v183, v95, v6
	v_add_f32_e32 v3, v3, v182
	s_waitcnt vmcnt(12) lgkmcnt(8)
	v_mul_f32_e32 v185, v90, v11
	v_fmac_f32_e32 v184, v97, v8
	v_add_f32_e32 v3, v3, v183
	v_mul_f32_e32 v186, v92, v13
	v_fmac_f32_e32 v185, v91, v10
	;; [unrolled: 7-line block ×7, first 2 shown]
	v_add_f32_e32 v3, v3, v194
	s_waitcnt vmcnt(6) lgkmcnt(2)
	v_mul_f32_e32 v197, v62, v47
	v_mul_f32_e32 v23, v169, v23
	v_fmac_f32_e32 v196, v69, v44
	v_add_f32_e32 v3, v3, v195
	v_mul_f32_e32 v198, v64, v49
	v_mul_f32_e32 v25, v171, v25
	v_fmac_f32_e32 v197, v63, v46
	v_fma_f32 v22, v168, v22, -v23
	v_add_f32_e32 v3, v3, v196
	v_fmac_f32_e32 v198, v65, v48
	v_fma_f32 v23, v170, v24, -v25
	v_add_f32_e32 v22, 0, v22
	v_add_f32_e32 v3, v3, v197
	;; [unrolled: 1-line block ×4, first 2 shown]
	v_mul_f32_e32 v3, v101, v5
	v_add_f32_e32 v2, v22, v2
	v_fma_f32 v3, v100, v4, -v3
	v_add_f32_e32 v2, v2, v3
	v_mul_f32_e32 v3, v95, v7
	v_fma_f32 v3, v94, v6, -v3
	v_add_f32_e32 v2, v2, v3
	v_mul_f32_e32 v3, v97, v9
	;; [unrolled: 3-line block ×16, first 2 shown]
	v_fma_f32 v3, v64, v48, -v3
	s_waitcnt vmcnt(5) lgkmcnt(1)
	v_mul_f32_e32 v179, v78, v55
	v_add_f32_e32 v22, v2, v3
	v_mul_f32_e32 v2, v79, v55
	s_waitcnt vmcnt(4) lgkmcnt(0)
	v_pk_mul_f32 v[16:17], v[172:173], v[58:59] op_sel:[1,1] op_sel_hi:[0,1]
	v_mul_f32_e32 v181, v80, v57
	v_fmac_f32_e32 v179, v79, v54
	v_fma_f32 v178, v78, v54, -v2
	v_mul_f32_e32 v2, v81, v57
	v_pk_fma_f32 v[18:19], v[172:173], v[58:59], v[16:17] neg_lo:[0,0,1] neg_hi:[0,0,1]
	v_pk_fma_f32 v[16:17], v[172:173], v[58:59], v[16:17] op_sel_hi:[1,0,1]
	v_fmac_f32_e32 v181, v81, v56
	v_fma_f32 v180, v80, v56, -v2
	ds_read_b128 v[2:5], v166 offset:464
	ds_read_b128 v[6:9], v166 offset:480
	;; [unrolled: 1-line block ×3, first 2 shown]
	v_pk_add_f32 v[14:15], v[22:23], v[178:179]
	v_mov_b32_e32 v16, v61
	v_pk_add_f32 v[14:15], v[14:15], v[180:181]
	v_mov_b32_e32 v19, v17
	v_pk_mul_f32 v[16:17], v[174:175], v[16:17] op_sel:[1,0] op_sel_hi:[0,0]
	v_pk_add_f32 v[14:15], v[14:15], v[18:19]
	v_pk_fma_f32 v[18:19], v[174:175], v[60:61], v[16:17] neg_lo:[0,0,1] neg_hi:[0,0,1]
	v_pk_fma_f32 v[16:17], v[174:175], v[60:61], v[16:17] op_sel_hi:[1,0,1]
	s_nop 0
	v_mov_b32_e32 v19, v17
	s_waitcnt vmcnt(3) lgkmcnt(2)
	v_pk_mul_f32 v[16:17], v[2:3], v[50:51] op_sel:[1,1] op_sel_hi:[0,1]
	v_pk_add_f32 v[14:15], v[14:15], v[18:19]
	v_pk_fma_f32 v[18:19], v[2:3], v[50:51], v[16:17] neg_lo:[0,0,1] neg_hi:[0,0,1]
	v_pk_fma_f32 v[2:3], v[2:3], v[50:51], v[16:17] op_sel_hi:[1,0,1]
	s_nop 0
	v_mov_b32_e32 v19, v3
	v_pk_add_f32 v[2:3], v[14:15], v[18:19]
	v_mov_b32_e32 v14, v53
	v_pk_mul_f32 v[14:15], v[4:5], v[14:15] op_sel:[1,0] op_sel_hi:[0,0]
	v_pk_fma_f32 v[16:17], v[4:5], v[52:53], v[14:15] neg_lo:[0,0,1] neg_hi:[0,0,1]
	v_pk_fma_f32 v[4:5], v[4:5], v[52:53], v[14:15] op_sel_hi:[1,0,1]
	s_nop 0
	v_mov_b32_e32 v17, v5
	s_waitcnt vmcnt(2) lgkmcnt(1)
	v_pk_mul_f32 v[4:5], v[6:7], v[38:39] op_sel:[1,1] op_sel_hi:[0,1]
	v_pk_fma_f32 v[14:15], v[6:7], v[38:39], v[4:5] neg_lo:[0,0,1] neg_hi:[0,0,1]
	v_pk_fma_f32 v[4:5], v[6:7], v[38:39], v[4:5] op_sel_hi:[1,0,1]
	v_pk_add_f32 v[2:3], v[2:3], v[16:17]
	v_mov_b32_e32 v4, v41
	v_mov_b32_e32 v15, v5
	v_pk_mul_f32 v[4:5], v[8:9], v[4:5] op_sel:[1,0] op_sel_hi:[0,0]
	v_pk_fma_f32 v[6:7], v[8:9], v[40:41], v[4:5] neg_lo:[0,0,1] neg_hi:[0,0,1]
	v_pk_fma_f32 v[4:5], v[8:9], v[40:41], v[4:5] op_sel_hi:[1,0,1]
	v_pk_add_f32 v[2:3], v[2:3], v[14:15]
	v_mov_b32_e32 v7, v5
	s_waitcnt vmcnt(1) lgkmcnt(0)
	v_pk_mul_f32 v[4:5], v[10:11], v[26:27] op_sel:[1,1] op_sel_hi:[0,1]
	v_pk_add_f32 v[2:3], v[2:3], v[6:7]
	v_pk_fma_f32 v[6:7], v[10:11], v[26:27], v[4:5] neg_lo:[0,0,1] neg_hi:[0,0,1]
	v_pk_fma_f32 v[4:5], v[10:11], v[26:27], v[4:5] op_sel_hi:[1,0,1]
	s_nop 0
	v_mov_b32_e32 v4, v29
	v_mov_b32_e32 v7, v5
	v_pk_mul_f32 v[4:5], v[12:13], v[4:5] op_sel:[1,0] op_sel_hi:[0,0]
	v_pk_add_f32 v[2:3], v[2:3], v[6:7]
	v_pk_fma_f32 v[6:7], v[12:13], v[28:29], v[4:5] neg_lo:[0,0,1] neg_hi:[0,0,1]
	v_pk_fma_f32 v[4:5], v[12:13], v[28:29], v[4:5] op_sel_hi:[1,0,1]
	s_nop 0
	v_mov_b32_e32 v7, v5
	v_pk_add_f32 v[2:3], v[2:3], v[6:7]
	s_waitcnt vmcnt(0)
	v_pk_add_f32 v[2:3], v[176:177], v[2:3] neg_lo:[0,1] neg_hi:[0,1]
	scratch_store_dwordx2 off, v[2:3], off offset:8
	s_and_saveexec_b64 s[0:1], vcc
	s_cbranch_execz .LBB31_205
; %bb.204:
	scratch_load_dwordx2 v[2:3], off, off
	v_mov_b32_e32 v4, 0
	v_mov_b32_e32 v5, v4
	scratch_store_dwordx2 off, v[4:5], off
	s_waitcnt vmcnt(1)
	ds_write_b64 v1, v[2:3]
.LBB31_205:
	s_or_b64 exec, exec, s[0:1]
	s_waitcnt lgkmcnt(0)
	; wave barrier
	scratch_load_dwordx4 v[0:3], off, off offset:8
	scratch_load_dwordx4 v[4:7], off, off offset:24
	;; [unrolled: 1-line block ×15, first 2 shown]
	scratch_load_dwordx2 v[60:61], off, off offset:248
	scratch_load_dwordx2 v[100:101], off, off
	v_mov_b32_e32 v62, 0
	ds_read2_b64 v[64:67], v62 offset0:33 offset1:34
	ds_read2_b64 v[68:71], v62 offset0:35 offset1:36
	;; [unrolled: 1-line block ×12, first 2 shown]
	s_and_b64 vcc, exec, s[18:19]
	s_waitcnt vmcnt(16) lgkmcnt(11)
	v_mul_f32_e32 v63, v64, v1
	v_mul_f32_e32 v178, v66, v3
	;; [unrolled: 1-line block ×3, first 2 shown]
	v_fmac_f32_e32 v63, v65, v0
	s_waitcnt vmcnt(15) lgkmcnt(10)
	v_mul_f32_e32 v180, v68, v5
	v_fmac_f32_e32 v178, v67, v2
	v_fma_f32 v0, v64, v0, -v1
	v_add_f32_e32 v1, 0, v63
	v_mul_f32_e32 v182, v70, v7
	v_fmac_f32_e32 v180, v69, v4
	v_add_f32_e32 v1, v1, v178
	s_waitcnt vmcnt(14) lgkmcnt(9)
	v_mul_f32_e32 v183, v72, v9
	v_fmac_f32_e32 v182, v71, v6
	v_add_f32_e32 v1, v1, v180
	v_mul_f32_e32 v184, v74, v11
	v_fmac_f32_e32 v183, v73, v8
	v_add_f32_e32 v1, v1, v182
	s_waitcnt vmcnt(13) lgkmcnt(8)
	v_mul_f32_e32 v185, v76, v13
	v_fmac_f32_e32 v184, v75, v10
	;; [unrolled: 7-line block ×9, first 2 shown]
	v_add_f32_e32 v1, v1, v197
	v_mul_f32_e32 v3, v67, v3
	v_fmac_f32_e32 v199, v171, v56
	v_add_f32_e32 v1, v1, v198
	v_add_f32_e32 v0, 0, v0
	v_add_f32_e32 v65, v1, v199
	v_fma_f32 v1, v66, v2, -v3
	v_add_f32_e32 v0, v0, v1
	v_mul_f32_e32 v1, v69, v5
	v_fma_f32 v1, v68, v4, -v1
	v_add_f32_e32 v0, v0, v1
	v_mul_f32_e32 v1, v71, v7
	;; [unrolled: 3-line block ×20, first 2 shown]
	v_mul_f32_e32 v179, v172, v59
	v_fma_f32 v178, v172, v58, -v0
	s_waitcnt vmcnt(5) lgkmcnt(0)
	v_mul_f32_e32 v0, v175, v53
	v_mov_b32_e32 v16, v55
	v_mul_f32_e32 v181, v174, v53
	v_fmac_f32_e32 v179, v173, v58
	v_fma_f32 v180, v174, v52, -v0
	ds_read2_b64 v[0:3], v62 offset0:57 offset1:58
	ds_read2_b64 v[4:7], v62 offset0:59 offset1:60
	;; [unrolled: 1-line block ×3, first 2 shown]
	ds_read_b64 v[12:13], v62 offset:504
	v_pk_mul_f32 v[16:17], v[176:177], v[16:17] op_sel:[1,0] op_sel_hi:[0,0]
	v_fmac_f32_e32 v181, v175, v52
	v_pk_add_f32 v[14:15], v[64:65], v[178:179]
	v_pk_fma_f32 v[18:19], v[176:177], v[54:55], v[16:17] neg_lo:[0,0,1] neg_hi:[0,0,1]
	v_pk_fma_f32 v[16:17], v[176:177], v[54:55], v[16:17] op_sel_hi:[1,0,1]
	v_pk_add_f32 v[14:15], v[14:15], v[180:181]
	v_mov_b32_e32 v19, v17
	s_waitcnt vmcnt(4) lgkmcnt(3)
	v_pk_mul_f32 v[16:17], v[0:1], v[48:49] op_sel:[1,1] op_sel_hi:[0,1]
	v_pk_add_f32 v[14:15], v[14:15], v[18:19]
	v_pk_fma_f32 v[18:19], v[0:1], v[48:49], v[16:17] neg_lo:[0,0,1] neg_hi:[0,0,1]
	v_pk_fma_f32 v[0:1], v[0:1], v[48:49], v[16:17] op_sel_hi:[1,0,1]
	s_nop 0
	v_mov_b32_e32 v19, v1
	v_pk_add_f32 v[0:1], v[14:15], v[18:19]
	v_mov_b32_e32 v14, v51
	v_pk_mul_f32 v[14:15], v[2:3], v[14:15] op_sel:[1,0] op_sel_hi:[0,0]
	v_pk_fma_f32 v[16:17], v[2:3], v[50:51], v[14:15] neg_lo:[0,0,1] neg_hi:[0,0,1]
	v_pk_fma_f32 v[2:3], v[2:3], v[50:51], v[14:15] op_sel_hi:[1,0,1]
	s_nop 0
	v_mov_b32_e32 v17, v3
	s_waitcnt vmcnt(3) lgkmcnt(2)
	v_pk_mul_f32 v[2:3], v[4:5], v[36:37] op_sel:[1,1] op_sel_hi:[0,1]
	v_pk_fma_f32 v[14:15], v[4:5], v[36:37], v[2:3] neg_lo:[0,0,1] neg_hi:[0,0,1]
	v_pk_fma_f32 v[2:3], v[4:5], v[36:37], v[2:3] op_sel_hi:[1,0,1]
	v_pk_add_f32 v[0:1], v[0:1], v[16:17]
	v_mov_b32_e32 v2, v39
	v_mov_b32_e32 v15, v3
	v_pk_mul_f32 v[2:3], v[6:7], v[2:3] op_sel:[1,0] op_sel_hi:[0,0]
	v_pk_fma_f32 v[4:5], v[6:7], v[38:39], v[2:3] neg_lo:[0,0,1] neg_hi:[0,0,1]
	v_pk_fma_f32 v[2:3], v[6:7], v[38:39], v[2:3] op_sel_hi:[1,0,1]
	v_pk_add_f32 v[0:1], v[0:1], v[14:15]
	v_mov_b32_e32 v5, v3
	s_waitcnt vmcnt(2) lgkmcnt(1)
	v_pk_mul_f32 v[2:3], v[8:9], v[24:25] op_sel:[1,1] op_sel_hi:[0,1]
	v_pk_add_f32 v[0:1], v[0:1], v[4:5]
	v_pk_fma_f32 v[4:5], v[8:9], v[24:25], v[2:3] neg_lo:[0,0,1] neg_hi:[0,0,1]
	v_pk_fma_f32 v[2:3], v[8:9], v[24:25], v[2:3] op_sel_hi:[1,0,1]
	s_nop 0
	v_mov_b32_e32 v2, v27
	v_mov_b32_e32 v5, v3
	v_pk_mul_f32 v[2:3], v[10:11], v[2:3] op_sel:[1,0] op_sel_hi:[0,0]
	v_pk_add_f32 v[0:1], v[0:1], v[4:5]
	v_pk_fma_f32 v[4:5], v[10:11], v[26:27], v[2:3] neg_lo:[0,0,1] neg_hi:[0,0,1]
	v_pk_fma_f32 v[2:3], v[10:11], v[26:27], v[2:3] op_sel_hi:[1,0,1]
	s_nop 0
	v_mov_b32_e32 v5, v3
	s_waitcnt vmcnt(1) lgkmcnt(0)
	v_pk_mul_f32 v[2:3], v[12:13], v[60:61] op_sel:[1,1] op_sel_hi:[0,1]
	v_pk_add_f32 v[0:1], v[0:1], v[4:5]
	v_pk_fma_f32 v[4:5], v[12:13], v[60:61], v[2:3] neg_lo:[0,0,1] neg_hi:[0,0,1]
	v_pk_fma_f32 v[2:3], v[12:13], v[60:61], v[2:3] op_sel_hi:[1,0,1]
	s_nop 0
	v_mov_b32_e32 v5, v3
	v_pk_add_f32 v[0:1], v[0:1], v[4:5]
	s_waitcnt vmcnt(0)
	v_pk_add_f32 v[0:1], v[100:101], v[0:1] neg_lo:[0,1] neg_hi:[0,1]
	scratch_store_dwordx2 off, v[0:1], off
	s_cbranch_vccz .LBB31_268
; %bb.206:
	global_load_dword v0, v62, s[16:17] offset:120
	s_waitcnt vmcnt(0)
	v_readfirstlane_b32 s0, v0
	s_add_i32 s0, s0, -1
	s_cmp_lg_u32 s0, 30
	s_cbranch_scc0 .LBB31_208
; %bb.207:
	s_lshl_b32 s0, s0, 3
	s_nop 0
	scratch_load_dwordx2 v[0:1], off, s0
	scratch_load_dwordx2 v[2:3], off, off offset:240
	s_waitcnt vmcnt(1)
	scratch_store_dwordx2 off, v[0:1], off offset:240
	s_waitcnt vmcnt(1)
	scratch_store_dwordx2 off, v[2:3], s0
.LBB31_208:
	v_mov_b32_e32 v0, 0
	global_load_dword v1, v0, s[16:17] offset:116
	s_waitcnt vmcnt(0)
	v_readfirstlane_b32 s0, v1
	s_add_i32 s0, s0, -1
	s_cmp_eq_u32 s0, 29
	s_cbranch_scc1 .LBB31_210
; %bb.209:
	s_lshl_b32 s0, s0, 3
	s_nop 0
	scratch_load_dwordx2 v[2:3], off, s0
	scratch_load_dwordx2 v[4:5], off, off offset:232
	s_waitcnt vmcnt(1)
	scratch_store_dwordx2 off, v[2:3], off offset:232
	s_waitcnt vmcnt(1)
	scratch_store_dwordx2 off, v[4:5], s0
.LBB31_210:
	global_load_dword v0, v0, s[16:17] offset:112
	s_waitcnt vmcnt(0)
	v_readfirstlane_b32 s0, v0
	s_add_i32 s0, s0, -1
	s_cmp_eq_u32 s0, 28
	s_cbranch_scc1 .LBB31_212
; %bb.211:
	s_lshl_b32 s0, s0, 3
	s_nop 0
	scratch_load_dwordx2 v[0:1], off, s0
	scratch_load_dwordx2 v[2:3], off, off offset:224
	s_waitcnt vmcnt(1)
	scratch_store_dwordx2 off, v[0:1], off offset:224
	s_waitcnt vmcnt(1)
	scratch_store_dwordx2 off, v[2:3], s0
.LBB31_212:
	v_mov_b32_e32 v0, 0
	global_load_dword v1, v0, s[16:17] offset:108
	s_waitcnt vmcnt(0)
	v_readfirstlane_b32 s0, v1
	s_add_i32 s0, s0, -1
	s_cmp_eq_u32 s0, 27
	s_cbranch_scc1 .LBB31_214
; %bb.213:
	s_lshl_b32 s0, s0, 3
	s_nop 0
	scratch_load_dwordx2 v[2:3], off, s0
	scratch_load_dwordx2 v[4:5], off, off offset:216
	s_waitcnt vmcnt(1)
	scratch_store_dwordx2 off, v[2:3], off offset:216
	s_waitcnt vmcnt(1)
	scratch_store_dwordx2 off, v[4:5], s0
.LBB31_214:
	global_load_dword v0, v0, s[16:17] offset:104
	s_waitcnt vmcnt(0)
	v_readfirstlane_b32 s0, v0
	s_add_i32 s0, s0, -1
	s_cmp_eq_u32 s0, 26
	s_cbranch_scc1 .LBB31_216
; %bb.215:
	s_lshl_b32 s0, s0, 3
	s_nop 0
	scratch_load_dwordx2 v[0:1], off, s0
	scratch_load_dwordx2 v[2:3], off, off offset:208
	s_waitcnt vmcnt(1)
	scratch_store_dwordx2 off, v[0:1], off offset:208
	s_waitcnt vmcnt(1)
	scratch_store_dwordx2 off, v[2:3], s0
.LBB31_216:
	;; [unrolled: 33-line block ×14, first 2 shown]
	v_mov_b32_e32 v0, 0
	global_load_dword v1, v0, s[16:17] offset:4
	s_waitcnt vmcnt(0)
	v_readfirstlane_b32 s0, v1
	s_add_i32 s0, s0, -1
	s_cmp_eq_u32 s0, 1
	s_cbranch_scc1 .LBB31_266
; %bb.265:
	s_lshl_b32 s0, s0, 3
	s_nop 0
	scratch_load_dwordx2 v[2:3], off, s0
	scratch_load_dwordx2 v[4:5], off, off offset:8
	s_waitcnt vmcnt(1)
	scratch_store_dwordx2 off, v[2:3], off offset:8
	s_waitcnt vmcnt(1)
	scratch_store_dwordx2 off, v[4:5], s0
.LBB31_266:
	global_load_dword v2, v0, s[16:17]
	s_nop 0
	scratch_load_dwordx2 v[0:1], off, off
	s_waitcnt vmcnt(1)
	v_readfirstlane_b32 s0, v2
	s_add_i32 s0, s0, -1
	s_cmp_eq_u32 s0, 0
	s_cbranch_scc1 .LBB31_268
; %bb.267:
	s_lshl_b32 s0, s0, 3
	s_nop 0
	scratch_load_dwordx2 v[2:3], off, s0
	s_waitcnt vmcnt(0)
	scratch_store_dwordx2 off, v[2:3], off
	scratch_store_dwordx2 off, v[0:1], s0
	scratch_load_dwordx2 v[0:1], off, off
.LBB31_268:
	s_nop 0
	scratch_load_dwordx4 v[4:7], off, off offset:8
	scratch_load_dwordx4 v[8:11], off, off offset:24
	;; [unrolled: 1-line block ×15, first 2 shown]
	scratch_load_dwordx2 v[2:3], off, off offset:248
	s_waitcnt vmcnt(16)
	global_store_dwordx2 v[102:103], v[0:1], off
	s_waitcnt vmcnt(16)
	global_store_dwordx2 v[104:105], v[4:5], off
	global_store_dwordx2 v[106:107], v[6:7], off
	s_waitcnt vmcnt(17)
	global_store_dwordx2 v[108:109], v[8:9], off
	;; [unrolled: 3-line block ×16, first 2 shown]
	s_endpgm
	.section	.rodata,"a",@progbits
	.p2align	6, 0x0
	.amdhsa_kernel _ZN9rocsolver6v33100L18getri_kernel_smallILi32E19rocblas_complex_numIfEPS3_EEvT1_iilPiilS6_bb
		.amdhsa_group_segment_fixed_size 516
		.amdhsa_private_segment_fixed_size 272
		.amdhsa_kernarg_size 60
		.amdhsa_user_sgpr_count 2
		.amdhsa_user_sgpr_dispatch_ptr 0
		.amdhsa_user_sgpr_queue_ptr 0
		.amdhsa_user_sgpr_kernarg_segment_ptr 1
		.amdhsa_user_sgpr_dispatch_id 0
		.amdhsa_user_sgpr_kernarg_preload_length 0
		.amdhsa_user_sgpr_kernarg_preload_offset 0
		.amdhsa_user_sgpr_private_segment_size 0
		.amdhsa_uses_dynamic_stack 0
		.amdhsa_enable_private_segment 1
		.amdhsa_system_sgpr_workgroup_id_x 1
		.amdhsa_system_sgpr_workgroup_id_y 0
		.amdhsa_system_sgpr_workgroup_id_z 0
		.amdhsa_system_sgpr_workgroup_info 0
		.amdhsa_system_vgpr_workitem_id 0
		.amdhsa_next_free_vgpr 200
		.amdhsa_next_free_sgpr 20
		.amdhsa_accum_offset 200
		.amdhsa_reserve_vcc 1
		.amdhsa_float_round_mode_32 0
		.amdhsa_float_round_mode_16_64 0
		.amdhsa_float_denorm_mode_32 3
		.amdhsa_float_denorm_mode_16_64 3
		.amdhsa_dx10_clamp 1
		.amdhsa_ieee_mode 1
		.amdhsa_fp16_overflow 0
		.amdhsa_tg_split 0
		.amdhsa_exception_fp_ieee_invalid_op 0
		.amdhsa_exception_fp_denorm_src 0
		.amdhsa_exception_fp_ieee_div_zero 0
		.amdhsa_exception_fp_ieee_overflow 0
		.amdhsa_exception_fp_ieee_underflow 0
		.amdhsa_exception_fp_ieee_inexact 0
		.amdhsa_exception_int_div_zero 0
	.end_amdhsa_kernel
	.section	.text._ZN9rocsolver6v33100L18getri_kernel_smallILi32E19rocblas_complex_numIfEPS3_EEvT1_iilPiilS6_bb,"axG",@progbits,_ZN9rocsolver6v33100L18getri_kernel_smallILi32E19rocblas_complex_numIfEPS3_EEvT1_iilPiilS6_bb,comdat
.Lfunc_end31:
	.size	_ZN9rocsolver6v33100L18getri_kernel_smallILi32E19rocblas_complex_numIfEPS3_EEvT1_iilPiilS6_bb, .Lfunc_end31-_ZN9rocsolver6v33100L18getri_kernel_smallILi32E19rocblas_complex_numIfEPS3_EEvT1_iilPiilS6_bb
                                        ; -- End function
	.set _ZN9rocsolver6v33100L18getri_kernel_smallILi32E19rocblas_complex_numIfEPS3_EEvT1_iilPiilS6_bb.num_vgpr, 200
	.set _ZN9rocsolver6v33100L18getri_kernel_smallILi32E19rocblas_complex_numIfEPS3_EEvT1_iilPiilS6_bb.num_agpr, 0
	.set _ZN9rocsolver6v33100L18getri_kernel_smallILi32E19rocblas_complex_numIfEPS3_EEvT1_iilPiilS6_bb.numbered_sgpr, 20
	.set _ZN9rocsolver6v33100L18getri_kernel_smallILi32E19rocblas_complex_numIfEPS3_EEvT1_iilPiilS6_bb.num_named_barrier, 0
	.set _ZN9rocsolver6v33100L18getri_kernel_smallILi32E19rocblas_complex_numIfEPS3_EEvT1_iilPiilS6_bb.private_seg_size, 272
	.set _ZN9rocsolver6v33100L18getri_kernel_smallILi32E19rocblas_complex_numIfEPS3_EEvT1_iilPiilS6_bb.uses_vcc, 1
	.set _ZN9rocsolver6v33100L18getri_kernel_smallILi32E19rocblas_complex_numIfEPS3_EEvT1_iilPiilS6_bb.uses_flat_scratch, 0
	.set _ZN9rocsolver6v33100L18getri_kernel_smallILi32E19rocblas_complex_numIfEPS3_EEvT1_iilPiilS6_bb.has_dyn_sized_stack, 0
	.set _ZN9rocsolver6v33100L18getri_kernel_smallILi32E19rocblas_complex_numIfEPS3_EEvT1_iilPiilS6_bb.has_recursion, 0
	.set _ZN9rocsolver6v33100L18getri_kernel_smallILi32E19rocblas_complex_numIfEPS3_EEvT1_iilPiilS6_bb.has_indirect_call, 0
	.section	.AMDGPU.csdata,"",@progbits
; Kernel info:
; codeLenInByte = 35656
; TotalNumSgprs: 26
; NumVgprs: 200
; NumAgprs: 0
; TotalNumVgprs: 200
; ScratchSize: 272
; MemoryBound: 0
; FloatMode: 240
; IeeeMode: 1
; LDSByteSize: 516 bytes/workgroup (compile time only)
; SGPRBlocks: 3
; VGPRBlocks: 24
; NumSGPRsForWavesPerEU: 26
; NumVGPRsForWavesPerEU: 200
; AccumOffset: 200
; Occupancy: 2
; WaveLimiterHint : 1
; COMPUTE_PGM_RSRC2:SCRATCH_EN: 1
; COMPUTE_PGM_RSRC2:USER_SGPR: 2
; COMPUTE_PGM_RSRC2:TRAP_HANDLER: 0
; COMPUTE_PGM_RSRC2:TGID_X_EN: 1
; COMPUTE_PGM_RSRC2:TGID_Y_EN: 0
; COMPUTE_PGM_RSRC2:TGID_Z_EN: 0
; COMPUTE_PGM_RSRC2:TIDIG_COMP_CNT: 0
; COMPUTE_PGM_RSRC3_GFX90A:ACCUM_OFFSET: 49
; COMPUTE_PGM_RSRC3_GFX90A:TG_SPLIT: 0
	.section	.text._ZN9rocsolver6v33100L18getri_kernel_smallILi33E19rocblas_complex_numIfEPS3_EEvT1_iilPiilS6_bb,"axG",@progbits,_ZN9rocsolver6v33100L18getri_kernel_smallILi33E19rocblas_complex_numIfEPS3_EEvT1_iilPiilS6_bb,comdat
	.globl	_ZN9rocsolver6v33100L18getri_kernel_smallILi33E19rocblas_complex_numIfEPS3_EEvT1_iilPiilS6_bb ; -- Begin function _ZN9rocsolver6v33100L18getri_kernel_smallILi33E19rocblas_complex_numIfEPS3_EEvT1_iilPiilS6_bb
	.p2align	8
	.type	_ZN9rocsolver6v33100L18getri_kernel_smallILi33E19rocblas_complex_numIfEPS3_EEvT1_iilPiilS6_bb,@function
_ZN9rocsolver6v33100L18getri_kernel_smallILi33E19rocblas_complex_numIfEPS3_EEvT1_iilPiilS6_bb: ; @_ZN9rocsolver6v33100L18getri_kernel_smallILi33E19rocblas_complex_numIfEPS3_EEvT1_iilPiilS6_bb
; %bb.0:
	v_cmp_gt_u32_e32 vcc, 33, v0
	s_and_saveexec_b64 s[4:5], vcc
	s_cbranch_execz .LBB32_146
; %bb.1:
	s_load_dword s8, s[0:1], 0x38
	s_load_dwordx4 s[12:15], s[0:1], 0x10
	s_load_dwordx4 s[4:7], s[0:1], 0x28
                                        ; implicit-def: $sgpr16_sgpr17
	s_waitcnt lgkmcnt(0)
	s_bitcmp1_b32 s8, 8
	s_cselect_b64 s[18:19], -1, 0
	s_ashr_i32 s3, s2, 31
	s_bfe_u32 s8, s8, 0x10008
	s_cmp_eq_u32 s8, 0
	s_cbranch_scc1 .LBB32_3
; %bb.2:
	s_load_dword s8, s[0:1], 0x20
	s_mul_i32 s9, s4, s3
	s_mul_hi_u32 s10, s4, s2
	s_mul_i32 s5, s5, s2
	s_add_i32 s10, s10, s9
	s_add_i32 s5, s10, s5
	s_mul_i32 s4, s4, s2
	s_waitcnt lgkmcnt(0)
	s_ashr_i32 s9, s8, 31
	s_lshl_b64 s[4:5], s[4:5], 2
	s_add_u32 s10, s14, s4
	s_addc_u32 s11, s15, s5
	s_lshl_b64 s[4:5], s[8:9], 2
	s_add_u32 s16, s10, s4
	s_addc_u32 s17, s11, s5
.LBB32_3:
	s_load_dwordx4 s[8:11], s[0:1], 0x0
	s_load_dword s4, s[0:1], 0x38
	s_mul_i32 s5, s12, s3
	s_mul_hi_u32 s14, s12, s2
	s_add_i32 s5, s14, s5
	s_waitcnt lgkmcnt(0)
	s_ashr_i32 s1, s10, 31
	s_mov_b32 s0, s10
	s_mul_i32 s10, s13, s2
	s_add_i32 s13, s5, s10
	s_mul_i32 s12, s12, s2
	s_lshl_b64 s[12:13], s[12:13], 3
	s_add_u32 s5, s8, s12
	s_addc_u32 s8, s9, s13
	s_lshl_b64 s[0:1], s[0:1], 3
	s_add_u32 s0, s5, s0
	s_addc_u32 s1, s8, s1
	s_add_i32 s5, s11, s11
	v_add_u32_e32 v4, s5, v0
	v_ashrrev_i32_e32 v5, 31, v4
	v_lshl_add_u64 v[116:117], v[4:5], 3, s[0:1]
	v_add_u32_e32 v4, s11, v4
	v_ashrrev_i32_e32 v5, 31, v4
	v_lshl_add_u64 v[118:119], v[4:5], 3, s[0:1]
	;; [unrolled: 3-line block ×29, first 2 shown]
	v_add_u32_e32 v4, s11, v4
	v_lshlrev_b32_e32 v2, 3, v0
	v_mov_b32_e32 v3, 0
	v_ashrrev_i32_e32 v5, 31, v4
	v_lshl_add_u64 v[112:113], s[0:1], 0, v[2:3]
	s_ashr_i32 s9, s11, 31
	s_mov_b32 s8, s11
	v_lshl_add_u64 v[174:175], v[4:5], 3, s[0:1]
	v_add_u32_e32 v4, s11, v4
	v_lshl_add_u64 v[114:115], s[8:9], 3, v[112:113]
	v_ashrrev_i32_e32 v5, 31, v4
	global_load_dwordx2 v[6:7], v2, s[0:1]
	global_load_dwordx2 v[8:9], v[114:115], off
	global_load_dwordx2 v[10:11], v[116:117], off
	;; [unrolled: 1-line block ×28, first 2 shown]
	v_lshl_add_u64 v[176:177], v[4:5], 3, s[0:1]
	global_load_dwordx2 v[64:65], v[170:171], off
	global_load_dwordx2 v[66:67], v[172:173], off
	;; [unrolled: 1-line block ×4, first 2 shown]
	s_bitcmp0_b32 s4, 0
	s_mov_b64 s[4:5], -1
	s_waitcnt vmcnt(31)
	scratch_store_dwordx4 off, v[6:9], off
	s_waitcnt vmcnt(30)
	scratch_store_dwordx4 off, v[10:13], off offset:16
	s_waitcnt vmcnt(29)
	scratch_store_dwordx4 off, v[14:17], off offset:32
	;; [unrolled: 2-line block ×15, first 2 shown]
	s_waitcnt vmcnt(16)
	scratch_store_dwordx2 off, v[4:5], off offset:256
	s_cbranch_scc1 .LBB32_144
; %bb.4:
	v_cmp_eq_u32_e64 s[0:1], 0, v0
	s_and_saveexec_b64 s[4:5], s[0:1]
; %bb.5:
	v_mov_b32_e32 v1, 0
	ds_write_b32 v1, v1 offset:264
; %bb.6:
	s_or_b64 exec, exec, s[4:5]
	s_waitcnt lgkmcnt(0)
	; wave barrier
	scratch_load_dwordx2 v[4:5], v2, off
	s_waitcnt vmcnt(0)
	v_cmp_eq_f32_e32 vcc, 0, v4
	v_cmp_eq_f32_e64 s[4:5], 0, v5
	s_and_b64 s[4:5], vcc, s[4:5]
	s_and_saveexec_b64 s[8:9], s[4:5]
	s_cbranch_execz .LBB32_10
; %bb.7:
	v_mov_b32_e32 v1, 0
	ds_read_b32 v4, v1 offset:264
	v_add_u32_e32 v3, 1, v0
	s_waitcnt lgkmcnt(0)
	v_readfirstlane_b32 s4, v4
	s_cmp_eq_u32 s4, 0
	s_cselect_b64 s[10:11], -1, 0
	v_cmp_gt_i32_e32 vcc, s4, v3
	s_or_b64 s[10:11], s[10:11], vcc
	s_and_b64 exec, exec, s[10:11]
	s_cbranch_execz .LBB32_10
; %bb.8:
	s_mov_b64 s[10:11], 0
	v_mov_b32_e32 v4, s4
.LBB32_9:                               ; =>This Inner Loop Header: Depth=1
	ds_cmpst_rtn_b32 v4, v1, v4, v3 offset:264
	s_waitcnt lgkmcnt(0)
	v_cmp_ne_u32_e32 vcc, 0, v4
	v_cmp_le_i32_e64 s[4:5], v4, v3
	s_and_b64 s[4:5], vcc, s[4:5]
	s_and_b64 s[4:5], exec, s[4:5]
	s_or_b64 s[10:11], s[4:5], s[10:11]
	s_andn2_b64 exec, exec, s[10:11]
	s_cbranch_execnz .LBB32_9
.LBB32_10:
	s_or_b64 exec, exec, s[8:9]
	v_mov_b32_e32 v3, 0
	; wave barrier
	ds_read_b32 v1, v3 offset:264
	s_and_saveexec_b64 s[4:5], s[0:1]
	s_cbranch_execz .LBB32_12
; %bb.11:
	s_lshl_b64 s[8:9], s[2:3], 2
	s_add_u32 s8, s6, s8
	s_addc_u32 s9, s7, s9
	s_waitcnt lgkmcnt(0)
	global_store_dword v3, v1, s[8:9]
.LBB32_12:
	s_or_b64 exec, exec, s[4:5]
	s_waitcnt lgkmcnt(0)
	v_cmp_ne_u32_e32 vcc, 0, v1
	s_mov_b64 s[4:5], 0
	s_cbranch_vccnz .LBB32_144
; %bb.13:
	v_mov_b32_e32 v3, v2
	scratch_load_dwordx2 v[4:5], v3, off
                                        ; implicit-def: $vgpr7
                                        ; implicit-def: $vgpr8
	s_waitcnt vmcnt(0)
	v_cmp_ngt_f32_e64 s[4:5], |v4|, |v5|
	s_and_saveexec_b64 s[8:9], s[4:5]
	s_xor_b64 s[4:5], exec, s[8:9]
	s_cbranch_execz .LBB32_15
; %bb.14:
	v_div_scale_f32 v1, s[8:9], v5, v5, v4
	v_rcp_f32_e32 v6, v1
	v_div_scale_f32 v7, vcc, v4, v5, v4
	v_fma_f32 v8, -v1, v6, 1.0
	v_fmac_f32_e32 v6, v8, v6
	v_mul_f32_e32 v8, v7, v6
	v_fma_f32 v9, -v1, v8, v7
	v_fmac_f32_e32 v8, v9, v6
	v_fma_f32 v1, -v1, v8, v7
	v_div_fmas_f32 v1, v1, v6, v8
	v_div_fixup_f32 v1, v1, v5, v4
	v_fmac_f32_e32 v5, v4, v1
	v_div_scale_f32 v4, s[8:9], v5, v5, -1.0
	v_rcp_f32_e32 v6, v4
	s_nop 0
	v_fma_f32 v7, -v4, v6, 1.0
	v_fmac_f32_e32 v6, v7, v6
	v_div_scale_f32 v7, vcc, -1.0, v5, -1.0
	v_mul_f32_e32 v8, v7, v6
	v_fma_f32 v9, -v4, v8, v7
	v_fmac_f32_e32 v8, v9, v6
	v_fma_f32 v4, -v4, v8, v7
	v_div_fmas_f32 v4, v4, v6, v8
	v_div_fixup_f32 v7, v4, v5, -1.0
	v_mul_f32_e32 v8, v1, v7
	v_xor_b32_e32 v6, 0x80000000, v8
                                        ; implicit-def: $vgpr4_vgpr5
.LBB32_15:
	s_andn2_saveexec_b64 s[4:5], s[4:5]
	s_cbranch_execz .LBB32_17
; %bb.16:
	v_div_scale_f32 v1, s[8:9], v4, v4, v5
	v_rcp_f32_e32 v6, v1
	v_div_scale_f32 v7, vcc, v5, v4, v5
	v_fma_f32 v8, -v1, v6, 1.0
	v_fmac_f32_e32 v6, v8, v6
	v_mul_f32_e32 v8, v7, v6
	v_fma_f32 v9, -v1, v8, v7
	v_fmac_f32_e32 v8, v9, v6
	v_fma_f32 v1, -v1, v8, v7
	v_div_fmas_f32 v1, v1, v6, v8
	v_div_fixup_f32 v1, v1, v4, v5
	v_fmac_f32_e32 v4, v5, v1
	v_div_scale_f32 v5, s[8:9], v4, v4, 1.0
	v_rcp_f32_e32 v6, v5
	s_nop 0
	v_fma_f32 v7, -v5, v6, 1.0
	v_fmac_f32_e32 v6, v7, v6
	v_div_scale_f32 v7, vcc, 1.0, v4, 1.0
	v_mul_f32_e32 v8, v7, v6
	v_fma_f32 v9, -v5, v8, v7
	v_fmac_f32_e32 v8, v9, v6
	v_fma_f32 v5, -v5, v8, v7
	v_div_fmas_f32 v5, v5, v6, v8
	v_div_fixup_f32 v6, v5, v4, 1.0
	v_xor_b32_e32 v8, 0x80000000, v6
	v_mul_f32_e64 v7, v1, -v6
.LBB32_17:
	s_or_b64 exec, exec, s[4:5]
	scratch_store_dwordx2 v3, v[6:7], off
	scratch_load_dwordx2 v[4:5], off, off offset:8
	v_xor_b32_e32 v9, 0x80000000, v7
	v_add_u32_e32 v1, 0x110, v2
	s_waitcnt vmcnt(0)
	ds_write2_b64 v2, v[8:9], v[4:5] offset1:34
	s_waitcnt lgkmcnt(0)
	; wave barrier
	s_and_saveexec_b64 s[4:5], s[0:1]
	s_cbranch_execz .LBB32_19
; %bb.18:
	scratch_load_dwordx2 v[4:5], v3, off
	ds_read_b64 v[6:7], v1
	v_mov_b32_e32 v8, 0
	ds_read_b64 v[8:9], v8 offset:8
	s_waitcnt vmcnt(0) lgkmcnt(1)
	v_pk_mul_f32 v[10:11], v[6:7], v[4:5] op_sel:[1,1] op_sel_hi:[0,1]
	v_pk_fma_f32 v[12:13], v[6:7], v[4:5], v[10:11] neg_lo:[0,0,1] neg_hi:[0,0,1]
	v_pk_fma_f32 v[4:5], v[6:7], v[4:5], v[10:11] op_sel_hi:[1,0,1]
	s_nop 0
	v_mov_b32_e32 v13, v5
	v_pk_add_f32 v[4:5], v[12:13], 0 op_sel_hi:[1,0]
	s_waitcnt lgkmcnt(0)
	v_pk_mul_f32 v[6:7], v[4:5], v[8:9] op_sel:[1,1] op_sel_hi:[0,1]
	v_pk_fma_f32 v[10:11], v[4:5], v[8:9], v[6:7] neg_lo:[0,0,1] neg_hi:[0,0,1]
	v_pk_fma_f32 v[4:5], v[4:5], v[8:9], v[6:7] op_sel_hi:[1,0,1]
	s_nop 0
	v_mov_b32_e32 v11, v5
	scratch_store_dwordx2 off, v[10:11], off offset:8
.LBB32_19:
	s_or_b64 exec, exec, s[4:5]
	; wave barrier
	scratch_load_dwordx2 v[4:5], off, off offset:16
	v_cmp_gt_u32_e32 vcc, 2, v0
	s_waitcnt vmcnt(0)
	ds_write_b64 v1, v[4:5]
	s_waitcnt lgkmcnt(0)
	; wave barrier
	s_and_saveexec_b64 s[4:5], vcc
	s_cbranch_execz .LBB32_23
; %bb.20:
	scratch_load_dwordx2 v[4:5], v3, off
	ds_read_b64 v[6:7], v1
	s_waitcnt vmcnt(0) lgkmcnt(0)
	v_pk_mul_f32 v[8:9], v[6:7], v[4:5] op_sel:[1,1] op_sel_hi:[0,1]
	v_pk_fma_f32 v[10:11], v[6:7], v[4:5], v[8:9] neg_lo:[0,0,1] neg_hi:[0,0,1]
	v_pk_fma_f32 v[4:5], v[6:7], v[4:5], v[8:9] op_sel_hi:[1,0,1]
	s_nop 0
	v_mov_b32_e32 v11, v5
	v_pk_add_f32 v[4:5], v[10:11], 0 op_sel_hi:[1,0]
	s_and_saveexec_b64 s[8:9], s[0:1]
	s_cbranch_execz .LBB32_22
; %bb.21:
	scratch_load_dwordx2 v[6:7], off, off offset:8
	v_mov_b32_e32 v3, 0
	ds_read_b64 v[8:9], v3 offset:280
	s_waitcnt vmcnt(0) lgkmcnt(0)
	v_pk_mul_f32 v[10:11], v[8:9], v[6:7] op_sel:[1,1] op_sel_hi:[0,1]
	v_pk_fma_f32 v[12:13], v[8:9], v[6:7], v[10:11] neg_lo:[0,0,1] neg_hi:[0,0,1]
	v_pk_fma_f32 v[6:7], v[8:9], v[6:7], v[10:11] op_sel_hi:[1,0,1]
	s_nop 0
	v_mov_b32_e32 v13, v7
	v_pk_add_f32 v[4:5], v[4:5], v[12:13]
.LBB32_22:
	s_or_b64 exec, exec, s[8:9]
	v_mov_b32_e32 v3, 0
	ds_read_b64 v[6:7], v3 offset:16
	s_waitcnt lgkmcnt(0)
	v_pk_mul_f32 v[8:9], v[4:5], v[6:7] op_sel:[1,1] op_sel_hi:[0,1]
	v_pk_fma_f32 v[10:11], v[4:5], v[6:7], v[8:9] neg_lo:[0,0,1] neg_hi:[0,0,1]
	v_pk_fma_f32 v[4:5], v[4:5], v[6:7], v[8:9] op_sel_hi:[1,0,1]
	s_nop 0
	v_mov_b32_e32 v11, v5
	scratch_store_dwordx2 off, v[10:11], off offset:16
.LBB32_23:
	s_or_b64 exec, exec, s[4:5]
	; wave barrier
	scratch_load_dwordx2 v[4:5], off, off offset:24
	v_cmp_gt_u32_e32 vcc, 3, v0
	v_add_u32_e32 v6, -1, v0
	s_waitcnt vmcnt(0)
	ds_write_b64 v1, v[4:5]
	s_waitcnt lgkmcnt(0)
	; wave barrier
	s_and_saveexec_b64 s[0:1], vcc
	s_cbranch_execz .LBB32_27
; %bb.24:
	v_mov_b32_e32 v4, 0
	v_add_u32_e32 v3, -1, v0
	v_add_u32_e32 v7, 0x110, v2
	v_mov_b32_e32 v8, v2
	s_mov_b64 s[4:5], 0
	v_mov_b32_e32 v5, v4
.LBB32_25:                              ; =>This Inner Loop Header: Depth=1
	scratch_load_dwordx2 v[10:11], v8, off
	ds_read_b64 v[12:13], v7
	v_add_u32_e32 v3, 1, v3
	v_cmp_lt_u32_e32 vcc, 1, v3
	v_add_u32_e32 v7, 8, v7
	v_add_u32_e32 v8, 8, v8
	s_or_b64 s[4:5], vcc, s[4:5]
	s_waitcnt vmcnt(0) lgkmcnt(0)
	v_pk_mul_f32 v[14:15], v[12:13], v[10:11] op_sel:[1,1] op_sel_hi:[0,1]
	v_pk_fma_f32 v[16:17], v[12:13], v[10:11], v[14:15] neg_lo:[0,0,1] neg_hi:[0,0,1]
	v_pk_fma_f32 v[10:11], v[12:13], v[10:11], v[14:15] op_sel_hi:[1,0,1]
	s_nop 0
	v_mov_b32_e32 v17, v11
	v_pk_add_f32 v[4:5], v[4:5], v[16:17]
	s_andn2_b64 exec, exec, s[4:5]
	s_cbranch_execnz .LBB32_25
; %bb.26:
	s_or_b64 exec, exec, s[4:5]
	v_mov_b32_e32 v3, 0
	ds_read_b64 v[8:9], v3 offset:24
	s_waitcnt lgkmcnt(0)
	v_pk_mul_f32 v[10:11], v[4:5], v[8:9] op_sel:[1,1] op_sel_hi:[0,1]
	v_pk_fma_f32 v[12:13], v[4:5], v[8:9], v[10:11] neg_lo:[0,0,1] neg_hi:[0,0,1]
	v_pk_fma_f32 v[4:5], v[4:5], v[8:9], v[10:11] op_sel_hi:[1,0,1]
	s_nop 0
	v_mov_b32_e32 v13, v5
	scratch_store_dwordx2 off, v[12:13], off offset:24
.LBB32_27:
	s_or_b64 exec, exec, s[0:1]
	; wave barrier
	scratch_load_dwordx2 v[4:5], off, off offset:32
	v_cmp_gt_u32_e32 vcc, 4, v0
	s_waitcnt vmcnt(0)
	ds_write_b64 v1, v[4:5]
	s_waitcnt lgkmcnt(0)
	; wave barrier
	s_and_saveexec_b64 s[0:1], vcc
	s_cbranch_execz .LBB32_31
; %bb.28:
	v_mov_b32_e32 v4, 0
	v_add_u32_e32 v3, -1, v0
	v_add_u32_e32 v7, 0x110, v2
	v_mov_b32_e32 v8, v2
	s_mov_b64 s[4:5], 0
	v_mov_b32_e32 v5, v4
.LBB32_29:                              ; =>This Inner Loop Header: Depth=1
	scratch_load_dwordx2 v[10:11], v8, off
	ds_read_b64 v[12:13], v7
	v_add_u32_e32 v3, 1, v3
	v_cmp_lt_u32_e32 vcc, 2, v3
	v_add_u32_e32 v7, 8, v7
	v_add_u32_e32 v8, 8, v8
	s_or_b64 s[4:5], vcc, s[4:5]
	s_waitcnt vmcnt(0) lgkmcnt(0)
	v_pk_mul_f32 v[14:15], v[12:13], v[10:11] op_sel:[1,1] op_sel_hi:[0,1]
	v_pk_fma_f32 v[16:17], v[12:13], v[10:11], v[14:15] neg_lo:[0,0,1] neg_hi:[0,0,1]
	v_pk_fma_f32 v[10:11], v[12:13], v[10:11], v[14:15] op_sel_hi:[1,0,1]
	s_nop 0
	v_mov_b32_e32 v17, v11
	v_pk_add_f32 v[4:5], v[4:5], v[16:17]
	s_andn2_b64 exec, exec, s[4:5]
	s_cbranch_execnz .LBB32_29
; %bb.30:
	s_or_b64 exec, exec, s[4:5]
	v_mov_b32_e32 v3, 0
	ds_read_b64 v[8:9], v3 offset:32
	s_waitcnt lgkmcnt(0)
	v_pk_mul_f32 v[10:11], v[4:5], v[8:9] op_sel:[1,1] op_sel_hi:[0,1]
	v_pk_fma_f32 v[12:13], v[4:5], v[8:9], v[10:11] neg_lo:[0,0,1] neg_hi:[0,0,1]
	v_pk_fma_f32 v[4:5], v[4:5], v[8:9], v[10:11] op_sel_hi:[1,0,1]
	s_nop 0
	v_mov_b32_e32 v13, v5
	scratch_store_dwordx2 off, v[12:13], off offset:32
.LBB32_31:
	s_or_b64 exec, exec, s[0:1]
	; wave barrier
	scratch_load_dwordx2 v[4:5], off, off offset:40
	v_cmp_gt_u32_e32 vcc, 5, v0
	;; [unrolled: 46-line block ×19, first 2 shown]
	s_waitcnt vmcnt(0)
	ds_write_b64 v1, v[4:5]
	s_waitcnt lgkmcnt(0)
	; wave barrier
	s_and_saveexec_b64 s[0:1], vcc
	s_cbranch_execz .LBB32_103
; %bb.100:
	v_mov_b32_e32 v4, 0
	v_add_u32_e32 v3, -1, v0
	v_add_u32_e32 v7, 0x110, v2
	v_mov_b32_e32 v8, v2
	s_mov_b64 s[4:5], 0
	v_mov_b32_e32 v5, v4
.LBB32_101:                             ; =>This Inner Loop Header: Depth=1
	scratch_load_dwordx2 v[10:11], v8, off
	ds_read_b64 v[12:13], v7
	v_add_u32_e32 v3, 1, v3
	v_cmp_lt_u32_e32 vcc, 20, v3
	v_add_u32_e32 v7, 8, v7
	v_add_u32_e32 v8, 8, v8
	s_or_b64 s[4:5], vcc, s[4:5]
	s_waitcnt vmcnt(0) lgkmcnt(0)
	v_pk_mul_f32 v[14:15], v[12:13], v[10:11] op_sel:[1,1] op_sel_hi:[0,1]
	v_pk_fma_f32 v[16:17], v[12:13], v[10:11], v[14:15] neg_lo:[0,0,1] neg_hi:[0,0,1]
	v_pk_fma_f32 v[10:11], v[12:13], v[10:11], v[14:15] op_sel_hi:[1,0,1]
	s_nop 0
	v_mov_b32_e32 v17, v11
	v_pk_add_f32 v[4:5], v[4:5], v[16:17]
	s_andn2_b64 exec, exec, s[4:5]
	s_cbranch_execnz .LBB32_101
; %bb.102:
	s_or_b64 exec, exec, s[4:5]
	v_mov_b32_e32 v3, 0
	ds_read_b64 v[8:9], v3 offset:176
	s_waitcnt lgkmcnt(0)
	v_pk_mul_f32 v[10:11], v[4:5], v[8:9] op_sel:[1,1] op_sel_hi:[0,1]
	v_pk_fma_f32 v[12:13], v[4:5], v[8:9], v[10:11] neg_lo:[0,0,1] neg_hi:[0,0,1]
	v_pk_fma_f32 v[4:5], v[4:5], v[8:9], v[10:11] op_sel_hi:[1,0,1]
	s_nop 0
	v_mov_b32_e32 v13, v5
	scratch_store_dwordx2 off, v[12:13], off offset:176
.LBB32_103:
	s_or_b64 exec, exec, s[0:1]
	; wave barrier
	scratch_load_dwordx2 v[4:5], off, off offset:184
	v_cmp_gt_u32_e32 vcc, 23, v0
	s_waitcnt vmcnt(0)
	ds_write_b64 v1, v[4:5]
	s_waitcnt lgkmcnt(0)
	; wave barrier
	s_and_saveexec_b64 s[0:1], vcc
	s_cbranch_execz .LBB32_107
; %bb.104:
	v_mov_b32_e32 v4, 0
	v_add_u32_e32 v3, -1, v0
	v_add_u32_e32 v7, 0x110, v2
	v_mov_b32_e32 v8, v2
	s_mov_b64 s[4:5], 0
	v_mov_b32_e32 v5, v4
.LBB32_105:                             ; =>This Inner Loop Header: Depth=1
	scratch_load_dwordx2 v[10:11], v8, off
	ds_read_b64 v[12:13], v7
	v_add_u32_e32 v3, 1, v3
	v_cmp_lt_u32_e32 vcc, 21, v3
	v_add_u32_e32 v7, 8, v7
	v_add_u32_e32 v8, 8, v8
	s_or_b64 s[4:5], vcc, s[4:5]
	s_waitcnt vmcnt(0) lgkmcnt(0)
	v_pk_mul_f32 v[14:15], v[12:13], v[10:11] op_sel:[1,1] op_sel_hi:[0,1]
	v_pk_fma_f32 v[16:17], v[12:13], v[10:11], v[14:15] neg_lo:[0,0,1] neg_hi:[0,0,1]
	v_pk_fma_f32 v[10:11], v[12:13], v[10:11], v[14:15] op_sel_hi:[1,0,1]
	s_nop 0
	v_mov_b32_e32 v17, v11
	v_pk_add_f32 v[4:5], v[4:5], v[16:17]
	s_andn2_b64 exec, exec, s[4:5]
	s_cbranch_execnz .LBB32_105
; %bb.106:
	s_or_b64 exec, exec, s[4:5]
	v_mov_b32_e32 v3, 0
	ds_read_b64 v[8:9], v3 offset:184
	s_waitcnt lgkmcnt(0)
	v_pk_mul_f32 v[10:11], v[4:5], v[8:9] op_sel:[1,1] op_sel_hi:[0,1]
	v_pk_fma_f32 v[12:13], v[4:5], v[8:9], v[10:11] neg_lo:[0,0,1] neg_hi:[0,0,1]
	v_pk_fma_f32 v[4:5], v[4:5], v[8:9], v[10:11] op_sel_hi:[1,0,1]
	s_nop 0
	v_mov_b32_e32 v13, v5
	scratch_store_dwordx2 off, v[12:13], off offset:184
.LBB32_107:
	s_or_b64 exec, exec, s[0:1]
	; wave barrier
	scratch_load_dwordx2 v[4:5], off, off offset:192
	v_cmp_gt_u32_e32 vcc, 24, v0
	;; [unrolled: 46-line block ×9, first 2 shown]
	s_waitcnt vmcnt(0)
	ds_write_b64 v1, v[4:5]
	s_waitcnt lgkmcnt(0)
	; wave barrier
	s_and_saveexec_b64 s[0:1], vcc
	s_cbranch_execz .LBB32_139
; %bb.136:
	v_mov_b32_e32 v4, 0
	v_add_u32_e32 v3, -1, v0
	v_add_u32_e32 v7, 0x110, v2
	v_mov_b32_e32 v8, v2
	s_mov_b64 s[4:5], 0
	v_mov_b32_e32 v5, v4
.LBB32_137:                             ; =>This Inner Loop Header: Depth=1
	scratch_load_dwordx2 v[10:11], v8, off
	ds_read_b64 v[12:13], v7
	v_add_u32_e32 v3, 1, v3
	v_cmp_lt_u32_e32 vcc, 29, v3
	v_add_u32_e32 v7, 8, v7
	v_add_u32_e32 v8, 8, v8
	s_or_b64 s[4:5], vcc, s[4:5]
	s_waitcnt vmcnt(0) lgkmcnt(0)
	v_pk_mul_f32 v[14:15], v[12:13], v[10:11] op_sel:[1,1] op_sel_hi:[0,1]
	v_pk_fma_f32 v[16:17], v[12:13], v[10:11], v[14:15] neg_lo:[0,0,1] neg_hi:[0,0,1]
	v_pk_fma_f32 v[10:11], v[12:13], v[10:11], v[14:15] op_sel_hi:[1,0,1]
	s_nop 0
	v_mov_b32_e32 v17, v11
	v_pk_add_f32 v[4:5], v[4:5], v[16:17]
	s_andn2_b64 exec, exec, s[4:5]
	s_cbranch_execnz .LBB32_137
; %bb.138:
	s_or_b64 exec, exec, s[4:5]
	v_mov_b32_e32 v3, 0
	ds_read_b64 v[8:9], v3 offset:248
	s_waitcnt lgkmcnt(0)
	v_pk_mul_f32 v[10:11], v[4:5], v[8:9] op_sel:[1,1] op_sel_hi:[0,1]
	v_pk_fma_f32 v[12:13], v[4:5], v[8:9], v[10:11] neg_lo:[0,0,1] neg_hi:[0,0,1]
	v_pk_fma_f32 v[4:5], v[4:5], v[8:9], v[10:11] op_sel_hi:[1,0,1]
	s_nop 0
	v_mov_b32_e32 v13, v5
	scratch_store_dwordx2 off, v[12:13], off offset:248
.LBB32_139:
	s_or_b64 exec, exec, s[0:1]
	; wave barrier
	scratch_load_dwordx2 v[4:5], off, off offset:256
	v_cmp_ne_u32_e32 vcc, 32, v0
	s_waitcnt vmcnt(0)
	ds_write_b64 v1, v[4:5]
	s_waitcnt lgkmcnt(0)
	; wave barrier
	s_and_saveexec_b64 s[0:1], vcc
	s_cbranch_execz .LBB32_143
; %bb.140:
	v_add_u32_e32 v1, 0x110, v2
	v_mov_b32_e32 v4, v2
	v_mov_b32_e32 v2, 0
	s_mov_b64 s[4:5], 0
	v_mov_b32_e32 v3, v2
.LBB32_141:                             ; =>This Inner Loop Header: Depth=1
	scratch_load_dwordx2 v[8:9], v4, off
	ds_read_b64 v[10:11], v1
	v_add_u32_e32 v6, 1, v6
	v_cmp_lt_u32_e32 vcc, 30, v6
	v_add_u32_e32 v1, 8, v1
	v_add_u32_e32 v4, 8, v4
	s_or_b64 s[4:5], vcc, s[4:5]
	s_waitcnt vmcnt(0) lgkmcnt(0)
	v_pk_mul_f32 v[12:13], v[10:11], v[8:9] op_sel:[1,1] op_sel_hi:[0,1]
	v_pk_fma_f32 v[14:15], v[10:11], v[8:9], v[12:13] neg_lo:[0,0,1] neg_hi:[0,0,1]
	v_pk_fma_f32 v[8:9], v[10:11], v[8:9], v[12:13] op_sel_hi:[1,0,1]
	s_nop 0
	v_mov_b32_e32 v15, v9
	v_pk_add_f32 v[2:3], v[2:3], v[14:15]
	s_andn2_b64 exec, exec, s[4:5]
	s_cbranch_execnz .LBB32_141
; %bb.142:
	s_or_b64 exec, exec, s[4:5]
	v_mov_b32_e32 v1, 0
	ds_read_b64 v[4:5], v1 offset:256
	s_waitcnt lgkmcnt(0)
	v_pk_mul_f32 v[6:7], v[2:3], v[4:5] op_sel:[1,1] op_sel_hi:[0,1]
	v_pk_fma_f32 v[8:9], v[2:3], v[4:5], v[6:7] neg_lo:[0,0,1] neg_hi:[0,0,1]
	v_pk_fma_f32 v[2:3], v[2:3], v[4:5], v[6:7] op_sel_hi:[1,0,1]
	s_nop 0
	v_mov_b32_e32 v9, v3
	scratch_store_dwordx2 off, v[8:9], off offset:256
.LBB32_143:
	s_or_b64 exec, exec, s[0:1]
	s_mov_b64 s[4:5], -1
	; wave barrier
.LBB32_144:
	s_and_b64 vcc, exec, s[4:5]
	s_cbranch_vccz .LBB32_146
; %bb.145:
	s_lshl_b64 s[0:1], s[2:3], 2
	s_add_u32 s0, s6, s0
	s_addc_u32 s1, s7, s1
	v_mov_b32_e32 v1, 0
	global_load_dword v1, v1, s[0:1]
	s_waitcnt vmcnt(0)
	v_cmp_ne_u32_e32 vcc, 0, v1
	s_cbranch_vccz .LBB32_147
.LBB32_146:
	s_endpgm
.LBB32_147:
	v_mov_b32_e32 v1, 0x110
	v_lshl_add_u32 v1, v0, 3, v1
	v_cmp_eq_u32_e32 vcc, 32, v0
	s_and_saveexec_b64 s[0:1], vcc
	s_cbranch_execz .LBB32_149
; %bb.148:
	scratch_load_dwordx2 v[2:3], off, off offset:248
	v_mov_b32_e32 v4, 0
	v_mov_b32_e32 v5, v4
	scratch_store_dwordx2 off, v[4:5], off offset:248
	s_waitcnt vmcnt(1)
	ds_write_b64 v1, v[2:3]
.LBB32_149:
	s_or_b64 exec, exec, s[0:1]
	s_waitcnt lgkmcnt(0)
	; wave barrier
	scratch_load_dwordx2 v[4:5], off, off offset:256
	scratch_load_dwordx2 v[6:7], off, off offset:248
	v_mov_b32_e32 v2, 0
	ds_read_b64 v[8:9], v2 offset:528
	v_cmp_lt_u32_e32 vcc, 30, v0
	s_waitcnt vmcnt(1) lgkmcnt(0)
	v_pk_mul_f32 v[10:11], v[8:9], v[4:5] op_sel:[1,1] op_sel_hi:[0,1]
	v_pk_fma_f32 v[12:13], v[8:9], v[4:5], v[10:11] neg_lo:[0,0,1] neg_hi:[0,0,1]
	v_pk_fma_f32 v[4:5], v[8:9], v[4:5], v[10:11] op_sel_hi:[1,0,1]
	s_nop 0
	v_mov_b32_e32 v13, v5
	v_pk_add_f32 v[4:5], v[12:13], 0 op_sel_hi:[1,0]
	s_waitcnt vmcnt(0)
	v_pk_add_f32 v[4:5], v[6:7], v[4:5] neg_lo:[0,1] neg_hi:[0,1]
	scratch_store_dwordx2 off, v[4:5], off offset:248
	s_and_saveexec_b64 s[0:1], vcc
	s_cbranch_execz .LBB32_151
; %bb.150:
	scratch_load_dwordx2 v[4:5], off, off offset:240
	v_mov_b32_e32 v3, v2
	scratch_store_dwordx2 off, v[2:3], off offset:240
	s_waitcnt vmcnt(1)
	ds_write_b64 v1, v[4:5]
.LBB32_151:
	s_or_b64 exec, exec, s[0:1]
	s_waitcnt lgkmcnt(0)
	; wave barrier
	scratch_load_dwordx4 v[4:7], off, off offset:248
	scratch_load_dwordx2 v[12:13], off, off offset:240
	ds_read2_b64 v[8:11], v2 offset0:65 offset1:66
	v_cmp_lt_u32_e32 vcc, 29, v0
	s_waitcnt vmcnt(1) lgkmcnt(0)
	v_pk_mul_f32 v[2:3], v[8:9], v[4:5] op_sel:[1,1] op_sel_hi:[0,1]
	v_mov_b32_e32 v14, v7
	v_pk_fma_f32 v[16:17], v[8:9], v[4:5], v[2:3] neg_lo:[0,0,1] neg_hi:[0,0,1]
	v_pk_fma_f32 v[2:3], v[8:9], v[4:5], v[2:3] op_sel_hi:[1,0,1]
	v_pk_mul_f32 v[4:5], v[10:11], v[14:15] op_sel:[1,0] op_sel_hi:[0,0]
	v_mov_b32_e32 v17, v3
	v_pk_fma_f32 v[2:3], v[10:11], v[6:7], v[4:5] neg_lo:[0,0,1] neg_hi:[0,0,1]
	v_pk_fma_f32 v[4:5], v[10:11], v[6:7], v[4:5] op_sel_hi:[1,0,1]
	v_pk_add_f32 v[6:7], v[16:17], 0 op_sel_hi:[1,0]
	v_mov_b32_e32 v3, v5
	v_pk_add_f32 v[2:3], v[6:7], v[2:3]
	s_waitcnt vmcnt(0)
	v_pk_add_f32 v[2:3], v[12:13], v[2:3] neg_lo:[0,1] neg_hi:[0,1]
	scratch_store_dwordx2 off, v[2:3], off offset:240
	s_and_saveexec_b64 s[0:1], vcc
	s_cbranch_execz .LBB32_153
; %bb.152:
	scratch_load_dwordx2 v[2:3], off, off offset:232
	v_mov_b32_e32 v4, 0
	v_mov_b32_e32 v5, v4
	scratch_store_dwordx2 off, v[4:5], off offset:232
	s_waitcnt vmcnt(1)
	ds_write_b64 v1, v[2:3]
.LBB32_153:
	s_or_b64 exec, exec, s[0:1]
	s_waitcnt lgkmcnt(0)
	; wave barrier
	scratch_load_dwordx4 v[4:7], off, off offset:240
	scratch_load_dwordx2 v[12:13], off, off offset:256
	scratch_load_dwordx2 v[14:15], off, off offset:232
	v_mov_b32_e32 v2, 0
	ds_read_b128 v[8:11], v2 offset:512
	ds_read_b64 v[16:17], v2 offset:528
	v_cmp_lt_u32_e32 vcc, 28, v0
	s_waitcnt vmcnt(2) lgkmcnt(1)
	v_pk_mul_f32 v[18:19], v[8:9], v[4:5] op_sel:[1,1] op_sel_hi:[0,1]
	v_mov_b32_e32 v20, v7
	v_pk_fma_f32 v[24:25], v[8:9], v[4:5], v[18:19] neg_lo:[0,0,1] neg_hi:[0,0,1]
	v_pk_fma_f32 v[4:5], v[8:9], v[4:5], v[18:19] op_sel_hi:[1,0,1]
	v_pk_mul_f32 v[8:9], v[10:11], v[20:21] op_sel:[1,0] op_sel_hi:[0,0]
	s_waitcnt vmcnt(1) lgkmcnt(0)
	v_pk_mul_f32 v[22:23], v[16:17], v[12:13] op_sel:[1,1] op_sel_hi:[0,1]
	v_mov_b32_e32 v25, v5
	v_pk_fma_f32 v[4:5], v[10:11], v[6:7], v[8:9] neg_lo:[0,0,1] neg_hi:[0,0,1]
	v_pk_fma_f32 v[6:7], v[10:11], v[6:7], v[8:9] op_sel_hi:[1,0,1]
	v_pk_fma_f32 v[18:19], v[16:17], v[12:13], v[22:23] neg_lo:[0,0,1] neg_hi:[0,0,1]
	v_pk_fma_f32 v[12:13], v[16:17], v[12:13], v[22:23] op_sel_hi:[1,0,1]
	v_pk_add_f32 v[8:9], v[24:25], 0 op_sel_hi:[1,0]
	v_mov_b32_e32 v5, v7
	v_mov_b32_e32 v19, v13
	v_pk_add_f32 v[4:5], v[8:9], v[4:5]
	s_nop 0
	v_pk_add_f32 v[4:5], v[4:5], v[18:19]
	s_waitcnt vmcnt(0)
	v_pk_add_f32 v[4:5], v[14:15], v[4:5] neg_lo:[0,1] neg_hi:[0,1]
	scratch_store_dwordx2 off, v[4:5], off offset:232
	s_and_saveexec_b64 s[0:1], vcc
	s_cbranch_execz .LBB32_155
; %bb.154:
	scratch_load_dwordx2 v[4:5], off, off offset:224
	v_mov_b32_e32 v3, v2
	scratch_store_dwordx2 off, v[2:3], off offset:224
	s_waitcnt vmcnt(1)
	ds_write_b64 v1, v[4:5]
.LBB32_155:
	s_or_b64 exec, exec, s[0:1]
	s_waitcnt lgkmcnt(0)
	; wave barrier
	scratch_load_dwordx4 v[4:7], off, off offset:232
	scratch_load_dwordx4 v[8:11], off, off offset:248
	scratch_load_dwordx2 v[20:21], off, off offset:224
	ds_read2_b64 v[12:15], v2 offset0:63 offset1:64
	ds_read2_b64 v[16:19], v2 offset0:65 offset1:66
	v_cmp_lt_u32_e32 vcc, 27, v0
	s_waitcnt vmcnt(2) lgkmcnt(1)
	v_pk_mul_f32 v[2:3], v[12:13], v[4:5] op_sel:[1,1] op_sel_hi:[0,1]
	v_mov_b32_e32 v22, v7
	s_waitcnt vmcnt(1) lgkmcnt(0)
	v_pk_mul_f32 v[24:25], v[16:17], v[8:9] op_sel:[1,1] op_sel_hi:[0,1]
	v_mov_b32_e32 v26, v11
	v_pk_fma_f32 v[28:29], v[12:13], v[4:5], v[2:3] neg_lo:[0,0,1] neg_hi:[0,0,1]
	v_pk_fma_f32 v[2:3], v[12:13], v[4:5], v[2:3] op_sel_hi:[1,0,1]
	v_pk_mul_f32 v[4:5], v[14:15], v[22:23] op_sel:[1,0] op_sel_hi:[0,0]
	v_pk_fma_f32 v[12:13], v[16:17], v[8:9], v[24:25] neg_lo:[0,0,1] neg_hi:[0,0,1]
	v_pk_fma_f32 v[8:9], v[16:17], v[8:9], v[24:25] op_sel_hi:[1,0,1]
	v_pk_mul_f32 v[16:17], v[18:19], v[26:27] op_sel:[1,0] op_sel_hi:[0,0]
	v_mov_b32_e32 v29, v3
	v_pk_fma_f32 v[2:3], v[14:15], v[6:7], v[4:5] neg_lo:[0,0,1] neg_hi:[0,0,1]
	v_pk_fma_f32 v[4:5], v[14:15], v[6:7], v[4:5] op_sel_hi:[1,0,1]
	v_mov_b32_e32 v13, v9
	v_pk_fma_f32 v[6:7], v[18:19], v[10:11], v[16:17] neg_lo:[0,0,1] neg_hi:[0,0,1]
	v_pk_fma_f32 v[8:9], v[18:19], v[10:11], v[16:17] op_sel_hi:[1,0,1]
	v_pk_add_f32 v[10:11], v[28:29], 0 op_sel_hi:[1,0]
	v_mov_b32_e32 v3, v5
	v_pk_add_f32 v[2:3], v[10:11], v[2:3]
	v_mov_b32_e32 v7, v9
	v_pk_add_f32 v[2:3], v[2:3], v[12:13]
	s_nop 0
	v_pk_add_f32 v[2:3], v[2:3], v[6:7]
	s_waitcnt vmcnt(0)
	v_pk_add_f32 v[2:3], v[20:21], v[2:3] neg_lo:[0,1] neg_hi:[0,1]
	scratch_store_dwordx2 off, v[2:3], off offset:224
	s_and_saveexec_b64 s[0:1], vcc
	s_cbranch_execz .LBB32_157
; %bb.156:
	scratch_load_dwordx2 v[2:3], off, off offset:216
	v_mov_b32_e32 v4, 0
	v_mov_b32_e32 v5, v4
	scratch_store_dwordx2 off, v[4:5], off offset:216
	s_waitcnt vmcnt(1)
	ds_write_b64 v1, v[2:3]
.LBB32_157:
	s_or_b64 exec, exec, s[0:1]
	s_waitcnt lgkmcnt(0)
	; wave barrier
	scratch_load_dwordx4 v[4:7], off, off offset:224
	scratch_load_dwordx4 v[8:11], off, off offset:240
	scratch_load_dwordx2 v[20:21], off, off offset:256
	scratch_load_dwordx2 v[22:23], off, off offset:216
	v_mov_b32_e32 v2, 0
	ds_read_b128 v[12:15], v2 offset:496
	ds_read_b128 v[16:19], v2 offset:512
	ds_read_b64 v[24:25], v2 offset:528
	v_cmp_lt_u32_e32 vcc, 26, v0
	s_waitcnt vmcnt(3) lgkmcnt(2)
	v_pk_mul_f32 v[26:27], v[12:13], v[4:5] op_sel:[1,1] op_sel_hi:[0,1]
	v_mov_b32_e32 v28, v7
	v_pk_fma_f32 v[36:37], v[12:13], v[4:5], v[26:27] neg_lo:[0,0,1] neg_hi:[0,0,1]
	v_pk_fma_f32 v[4:5], v[12:13], v[4:5], v[26:27] op_sel_hi:[1,0,1]
	v_pk_mul_f32 v[12:13], v[14:15], v[28:29] op_sel:[1,0] op_sel_hi:[0,0]
	s_waitcnt vmcnt(2) lgkmcnt(1)
	v_pk_mul_f32 v[30:31], v[16:17], v[8:9] op_sel:[1,1] op_sel_hi:[0,1]
	v_mov_b32_e32 v32, v11
	v_mov_b32_e32 v37, v5
	v_pk_fma_f32 v[4:5], v[14:15], v[6:7], v[12:13] neg_lo:[0,0,1] neg_hi:[0,0,1]
	v_pk_fma_f32 v[6:7], v[14:15], v[6:7], v[12:13] op_sel_hi:[1,0,1]
	v_pk_fma_f32 v[26:27], v[16:17], v[8:9], v[30:31] neg_lo:[0,0,1] neg_hi:[0,0,1]
	v_pk_fma_f32 v[8:9], v[16:17], v[8:9], v[30:31] op_sel_hi:[1,0,1]
	v_pk_mul_f32 v[16:17], v[18:19], v[32:33] op_sel:[1,0] op_sel_hi:[0,0]
	v_pk_add_f32 v[12:13], v[36:37], 0 op_sel_hi:[1,0]
	v_mov_b32_e32 v5, v7
	s_waitcnt vmcnt(1) lgkmcnt(0)
	v_pk_mul_f32 v[34:35], v[24:25], v[20:21] op_sel:[1,1] op_sel_hi:[0,1]
	v_mov_b32_e32 v27, v9
	v_pk_fma_f32 v[8:9], v[18:19], v[10:11], v[16:17] neg_lo:[0,0,1] neg_hi:[0,0,1]
	v_pk_fma_f32 v[10:11], v[18:19], v[10:11], v[16:17] op_sel_hi:[1,0,1]
	v_pk_add_f32 v[4:5], v[12:13], v[4:5]
	v_pk_fma_f32 v[28:29], v[24:25], v[20:21], v[34:35] neg_lo:[0,0,1] neg_hi:[0,0,1]
	v_pk_fma_f32 v[20:21], v[24:25], v[20:21], v[34:35] op_sel_hi:[1,0,1]
	v_mov_b32_e32 v9, v11
	v_pk_add_f32 v[4:5], v[4:5], v[26:27]
	v_mov_b32_e32 v29, v21
	v_pk_add_f32 v[4:5], v[4:5], v[8:9]
	s_nop 0
	v_pk_add_f32 v[4:5], v[4:5], v[28:29]
	s_waitcnt vmcnt(0)
	v_pk_add_f32 v[4:5], v[22:23], v[4:5] neg_lo:[0,1] neg_hi:[0,1]
	scratch_store_dwordx2 off, v[4:5], off offset:216
	s_and_saveexec_b64 s[0:1], vcc
	s_cbranch_execz .LBB32_159
; %bb.158:
	scratch_load_dwordx2 v[4:5], off, off offset:208
	v_mov_b32_e32 v3, v2
	scratch_store_dwordx2 off, v[2:3], off offset:208
	s_waitcnt vmcnt(1)
	ds_write_b64 v1, v[4:5]
.LBB32_159:
	s_or_b64 exec, exec, s[0:1]
	s_waitcnt lgkmcnt(0)
	; wave barrier
	scratch_load_dwordx4 v[4:7], off, off offset:216
	scratch_load_dwordx4 v[8:11], off, off offset:232
	;; [unrolled: 1-line block ×3, first 2 shown]
	scratch_load_dwordx2 v[28:29], off, off offset:208
	ds_read2_b64 v[16:19], v2 offset0:61 offset1:62
	ds_read2_b64 v[20:23], v2 offset0:63 offset1:64
	;; [unrolled: 1-line block ×3, first 2 shown]
	v_cmp_lt_u32_e32 vcc, 25, v0
	s_waitcnt vmcnt(3) lgkmcnt(2)
	v_pk_mul_f32 v[2:3], v[16:17], v[4:5] op_sel:[1,1] op_sel_hi:[0,1]
	v_mov_b32_e32 v30, v7
	s_waitcnt vmcnt(2) lgkmcnt(1)
	v_pk_mul_f32 v[32:33], v[20:21], v[8:9] op_sel:[1,1] op_sel_hi:[0,1]
	v_mov_b32_e32 v34, v11
	;; [unrolled: 3-line block ×3, first 2 shown]
	v_pk_fma_f32 v[40:41], v[16:17], v[4:5], v[2:3] neg_lo:[0,0,1] neg_hi:[0,0,1]
	v_pk_fma_f32 v[2:3], v[16:17], v[4:5], v[2:3] op_sel_hi:[1,0,1]
	v_pk_mul_f32 v[4:5], v[18:19], v[30:31] op_sel:[1,0] op_sel_hi:[0,0]
	v_pk_fma_f32 v[16:17], v[20:21], v[8:9], v[32:33] neg_lo:[0,0,1] neg_hi:[0,0,1]
	v_pk_fma_f32 v[8:9], v[20:21], v[8:9], v[32:33] op_sel_hi:[1,0,1]
	v_pk_mul_f32 v[20:21], v[22:23], v[34:35] op_sel:[1,0] op_sel_hi:[0,0]
	;; [unrolled: 3-line block ×3, first 2 shown]
	v_mov_b32_e32 v41, v3
	v_pk_fma_f32 v[2:3], v[18:19], v[6:7], v[4:5] neg_lo:[0,0,1] neg_hi:[0,0,1]
	v_pk_fma_f32 v[4:5], v[18:19], v[6:7], v[4:5] op_sel_hi:[1,0,1]
	v_mov_b32_e32 v17, v9
	v_pk_fma_f32 v[6:7], v[22:23], v[10:11], v[20:21] neg_lo:[0,0,1] neg_hi:[0,0,1]
	v_pk_fma_f32 v[8:9], v[22:23], v[10:11], v[20:21] op_sel_hi:[1,0,1]
	;; [unrolled: 3-line block ×3, first 2 shown]
	v_pk_add_f32 v[14:15], v[40:41], 0 op_sel_hi:[1,0]
	v_mov_b32_e32 v3, v5
	v_pk_add_f32 v[2:3], v[14:15], v[2:3]
	v_mov_b32_e32 v7, v9
	v_pk_add_f32 v[2:3], v[2:3], v[16:17]
	v_mov_b32_e32 v11, v13
	v_pk_add_f32 v[2:3], v[2:3], v[6:7]
	s_nop 0
	v_pk_add_f32 v[2:3], v[2:3], v[30:31]
	s_nop 0
	v_pk_add_f32 v[2:3], v[2:3], v[10:11]
	s_waitcnt vmcnt(0)
	v_pk_add_f32 v[2:3], v[28:29], v[2:3] neg_lo:[0,1] neg_hi:[0,1]
	scratch_store_dwordx2 off, v[2:3], off offset:208
	s_and_saveexec_b64 s[0:1], vcc
	s_cbranch_execz .LBB32_161
; %bb.160:
	scratch_load_dwordx2 v[2:3], off, off offset:200
	v_mov_b32_e32 v4, 0
	v_mov_b32_e32 v5, v4
	scratch_store_dwordx2 off, v[4:5], off offset:200
	s_waitcnt vmcnt(1)
	ds_write_b64 v1, v[2:3]
.LBB32_161:
	s_or_b64 exec, exec, s[0:1]
	s_waitcnt lgkmcnt(0)
	; wave barrier
	scratch_load_dwordx4 v[4:7], off, off offset:208
	scratch_load_dwordx4 v[8:11], off, off offset:224
	;; [unrolled: 1-line block ×3, first 2 shown]
	scratch_load_dwordx2 v[28:29], off, off offset:256
	scratch_load_dwordx2 v[30:31], off, off offset:200
	v_mov_b32_e32 v2, 0
	ds_read_b128 v[16:19], v2 offset:480
	ds_read_b128 v[20:23], v2 offset:496
	ds_read_b128 v[24:27], v2 offset:512
	ds_read_b64 v[32:33], v2 offset:528
	v_cmp_lt_u32_e32 vcc, 24, v0
	s_waitcnt vmcnt(4) lgkmcnt(3)
	v_pk_mul_f32 v[34:35], v[16:17], v[4:5] op_sel:[1,1] op_sel_hi:[0,1]
	v_mov_b32_e32 v36, v7
	v_pk_fma_f32 v[48:49], v[16:17], v[4:5], v[34:35] neg_lo:[0,0,1] neg_hi:[0,0,1]
	v_pk_fma_f32 v[4:5], v[16:17], v[4:5], v[34:35] op_sel_hi:[1,0,1]
	v_pk_mul_f32 v[16:17], v[18:19], v[36:37] op_sel:[1,0] op_sel_hi:[0,0]
	s_waitcnt vmcnt(3) lgkmcnt(2)
	v_pk_mul_f32 v[38:39], v[20:21], v[8:9] op_sel:[1,1] op_sel_hi:[0,1]
	v_mov_b32_e32 v40, v11
	v_mov_b32_e32 v49, v5
	v_pk_fma_f32 v[4:5], v[18:19], v[6:7], v[16:17] neg_lo:[0,0,1] neg_hi:[0,0,1]
	v_pk_fma_f32 v[6:7], v[18:19], v[6:7], v[16:17] op_sel_hi:[1,0,1]
	v_pk_fma_f32 v[34:35], v[20:21], v[8:9], v[38:39] neg_lo:[0,0,1] neg_hi:[0,0,1]
	v_pk_fma_f32 v[8:9], v[20:21], v[8:9], v[38:39] op_sel_hi:[1,0,1]
	v_pk_mul_f32 v[20:21], v[22:23], v[40:41] op_sel:[1,0] op_sel_hi:[0,0]
	v_pk_add_f32 v[16:17], v[48:49], 0 op_sel_hi:[1,0]
	v_mov_b32_e32 v5, v7
	s_waitcnt vmcnt(2) lgkmcnt(1)
	v_pk_mul_f32 v[42:43], v[24:25], v[12:13] op_sel:[1,1] op_sel_hi:[0,1]
	v_mov_b32_e32 v44, v15
	v_mov_b32_e32 v35, v9
	v_pk_fma_f32 v[8:9], v[22:23], v[10:11], v[20:21] neg_lo:[0,0,1] neg_hi:[0,0,1]
	v_pk_fma_f32 v[10:11], v[22:23], v[10:11], v[20:21] op_sel_hi:[1,0,1]
	v_pk_add_f32 v[4:5], v[16:17], v[4:5]
	v_pk_fma_f32 v[36:37], v[24:25], v[12:13], v[42:43] neg_lo:[0,0,1] neg_hi:[0,0,1]
	v_pk_fma_f32 v[12:13], v[24:25], v[12:13], v[42:43] op_sel_hi:[1,0,1]
	v_pk_mul_f32 v[24:25], v[26:27], v[44:45] op_sel:[1,0] op_sel_hi:[0,0]
	v_mov_b32_e32 v9, v11
	v_pk_add_f32 v[4:5], v[4:5], v[34:35]
	s_waitcnt vmcnt(1) lgkmcnt(0)
	v_pk_mul_f32 v[46:47], v[32:33], v[28:29] op_sel:[1,1] op_sel_hi:[0,1]
	v_mov_b32_e32 v37, v13
	v_pk_fma_f32 v[12:13], v[26:27], v[14:15], v[24:25] neg_lo:[0,0,1] neg_hi:[0,0,1]
	v_pk_fma_f32 v[14:15], v[26:27], v[14:15], v[24:25] op_sel_hi:[1,0,1]
	v_pk_add_f32 v[4:5], v[4:5], v[8:9]
	v_pk_fma_f32 v[38:39], v[32:33], v[28:29], v[46:47] neg_lo:[0,0,1] neg_hi:[0,0,1]
	v_pk_fma_f32 v[28:29], v[32:33], v[28:29], v[46:47] op_sel_hi:[1,0,1]
	v_mov_b32_e32 v13, v15
	v_pk_add_f32 v[4:5], v[4:5], v[36:37]
	v_mov_b32_e32 v39, v29
	v_pk_add_f32 v[4:5], v[4:5], v[12:13]
	s_nop 0
	v_pk_add_f32 v[4:5], v[4:5], v[38:39]
	s_waitcnt vmcnt(0)
	v_pk_add_f32 v[4:5], v[30:31], v[4:5] neg_lo:[0,1] neg_hi:[0,1]
	scratch_store_dwordx2 off, v[4:5], off offset:200
	s_and_saveexec_b64 s[0:1], vcc
	s_cbranch_execz .LBB32_163
; %bb.162:
	scratch_load_dwordx2 v[4:5], off, off offset:192
	v_mov_b32_e32 v3, v2
	scratch_store_dwordx2 off, v[2:3], off offset:192
	s_waitcnt vmcnt(1)
	ds_write_b64 v1, v[4:5]
.LBB32_163:
	s_or_b64 exec, exec, s[0:1]
	s_waitcnt lgkmcnt(0)
	; wave barrier
	scratch_load_dwordx4 v[4:7], off, off offset:200
	scratch_load_dwordx4 v[8:11], off, off offset:216
	;; [unrolled: 1-line block ×4, first 2 shown]
	scratch_load_dwordx2 v[36:37], off, off offset:192
	ds_read2_b64 v[20:23], v2 offset0:59 offset1:60
	ds_read2_b64 v[24:27], v2 offset0:61 offset1:62
	;; [unrolled: 1-line block ×4, first 2 shown]
	v_cmp_lt_u32_e32 vcc, 23, v0
	s_waitcnt vmcnt(4) lgkmcnt(3)
	v_pk_mul_f32 v[2:3], v[20:21], v[4:5] op_sel:[1,1] op_sel_hi:[0,1]
	v_mov_b32_e32 v38, v7
	s_waitcnt vmcnt(3) lgkmcnt(2)
	v_pk_mul_f32 v[40:41], v[24:25], v[8:9] op_sel:[1,1] op_sel_hi:[0,1]
	v_mov_b32_e32 v42, v11
	;; [unrolled: 3-line block ×4, first 2 shown]
	v_pk_fma_f32 v[52:53], v[20:21], v[4:5], v[2:3] neg_lo:[0,0,1] neg_hi:[0,0,1]
	v_pk_fma_f32 v[2:3], v[20:21], v[4:5], v[2:3] op_sel_hi:[1,0,1]
	v_pk_mul_f32 v[4:5], v[22:23], v[38:39] op_sel:[1,0] op_sel_hi:[0,0]
	v_pk_fma_f32 v[20:21], v[24:25], v[8:9], v[40:41] neg_lo:[0,0,1] neg_hi:[0,0,1]
	v_pk_fma_f32 v[8:9], v[24:25], v[8:9], v[40:41] op_sel_hi:[1,0,1]
	v_pk_mul_f32 v[24:25], v[26:27], v[42:43] op_sel:[1,0] op_sel_hi:[0,0]
	v_pk_fma_f32 v[38:39], v[28:29], v[12:13], v[44:45] neg_lo:[0,0,1] neg_hi:[0,0,1]
	v_pk_fma_f32 v[12:13], v[28:29], v[12:13], v[44:45] op_sel_hi:[1,0,1]
	v_pk_mul_f32 v[28:29], v[30:31], v[46:47] op_sel:[1,0] op_sel_hi:[0,0]
	v_pk_fma_f32 v[40:41], v[32:33], v[16:17], v[48:49] neg_lo:[0,0,1] neg_hi:[0,0,1]
	v_pk_fma_f32 v[16:17], v[32:33], v[16:17], v[48:49] op_sel_hi:[1,0,1]
	v_pk_mul_f32 v[32:33], v[34:35], v[50:51] op_sel:[1,0] op_sel_hi:[0,0]
	v_mov_b32_e32 v53, v3
	v_pk_fma_f32 v[2:3], v[22:23], v[6:7], v[4:5] neg_lo:[0,0,1] neg_hi:[0,0,1]
	v_pk_fma_f32 v[4:5], v[22:23], v[6:7], v[4:5] op_sel_hi:[1,0,1]
	v_mov_b32_e32 v21, v9
	v_pk_fma_f32 v[6:7], v[26:27], v[10:11], v[24:25] neg_lo:[0,0,1] neg_hi:[0,0,1]
	v_pk_fma_f32 v[8:9], v[26:27], v[10:11], v[24:25] op_sel_hi:[1,0,1]
	;; [unrolled: 3-line block ×4, first 2 shown]
	v_pk_add_f32 v[18:19], v[52:53], 0 op_sel_hi:[1,0]
	v_mov_b32_e32 v3, v5
	v_pk_add_f32 v[2:3], v[18:19], v[2:3]
	v_mov_b32_e32 v7, v9
	v_pk_add_f32 v[2:3], v[2:3], v[20:21]
	v_mov_b32_e32 v11, v13
	v_pk_add_f32 v[2:3], v[2:3], v[6:7]
	v_mov_b32_e32 v15, v17
	v_pk_add_f32 v[2:3], v[2:3], v[38:39]
	s_nop 0
	v_pk_add_f32 v[2:3], v[2:3], v[10:11]
	s_nop 0
	v_pk_add_f32 v[2:3], v[2:3], v[40:41]
	;; [unrolled: 2-line block ×3, first 2 shown]
	s_waitcnt vmcnt(0)
	v_pk_add_f32 v[2:3], v[36:37], v[2:3] neg_lo:[0,1] neg_hi:[0,1]
	scratch_store_dwordx2 off, v[2:3], off offset:192
	s_and_saveexec_b64 s[0:1], vcc
	s_cbranch_execz .LBB32_165
; %bb.164:
	scratch_load_dwordx2 v[2:3], off, off offset:184
	v_mov_b32_e32 v4, 0
	v_mov_b32_e32 v5, v4
	scratch_store_dwordx2 off, v[4:5], off offset:184
	s_waitcnt vmcnt(1)
	ds_write_b64 v1, v[2:3]
.LBB32_165:
	s_or_b64 exec, exec, s[0:1]
	s_waitcnt lgkmcnt(0)
	; wave barrier
	scratch_load_dwordx4 v[4:7], off, off offset:192
	scratch_load_dwordx4 v[8:11], off, off offset:208
	;; [unrolled: 1-line block ×4, first 2 shown]
	scratch_load_dwordx2 v[36:37], off, off offset:256
	scratch_load_dwordx2 v[38:39], off, off offset:184
	v_mov_b32_e32 v2, 0
	ds_read_b128 v[20:23], v2 offset:464
	ds_read_b128 v[24:27], v2 offset:480
	;; [unrolled: 1-line block ×4, first 2 shown]
	ds_read_b64 v[40:41], v2 offset:528
	v_cmp_lt_u32_e32 vcc, 22, v0
	s_waitcnt vmcnt(5) lgkmcnt(4)
	v_mul_f32_e32 v43, v20, v5
	v_mul_f32_e32 v3, v21, v5
	v_mov_b32_e32 v44, v7
	s_waitcnt vmcnt(4) lgkmcnt(3)
	v_pk_mul_f32 v[46:47], v[24:25], v[8:9] op_sel:[1,1] op_sel_hi:[0,1]
	v_mov_b32_e32 v48, v11
	s_waitcnt vmcnt(1) lgkmcnt(0)
	v_pk_mul_f32 v[58:59], v[40:41], v[36:37] op_sel:[1,1] op_sel_hi:[0,1]
	v_fmac_f32_e32 v43, v21, v4
	v_fma_f32 v42, v20, v4, -v3
	v_pk_mul_f32 v[4:5], v[22:23], v[44:45] op_sel:[1,0] op_sel_hi:[0,0]
	v_pk_fma_f32 v[20:21], v[24:25], v[8:9], v[46:47] neg_lo:[0,0,1] neg_hi:[0,0,1]
	v_pk_fma_f32 v[8:9], v[24:25], v[8:9], v[46:47] op_sel_hi:[1,0,1]
	v_pk_mul_f32 v[24:25], v[26:27], v[48:49] op_sel:[1,0] op_sel_hi:[0,0]
	v_pk_fma_f32 v[48:49], v[40:41], v[36:37], v[58:59] neg_lo:[0,0,1] neg_hi:[0,0,1]
	v_pk_fma_f32 v[36:37], v[40:41], v[36:37], v[58:59] op_sel_hi:[1,0,1]
	v_pk_add_f32 v[40:41], v[42:43], 0 op_sel_hi:[1,0]
	v_pk_fma_f32 v[42:43], v[22:23], v[6:7], v[4:5] neg_lo:[0,0,1] neg_hi:[0,0,1]
	v_pk_fma_f32 v[4:5], v[22:23], v[6:7], v[4:5] op_sel_hi:[1,0,1]
	v_pk_mul_f32 v[50:51], v[28:29], v[12:13] op_sel:[1,1] op_sel_hi:[0,1]
	v_mov_b32_e32 v43, v5
	v_mov_b32_e32 v52, v15
	;; [unrolled: 1-line block ×3, first 2 shown]
	v_pk_fma_f32 v[6:7], v[26:27], v[10:11], v[24:25] neg_lo:[0,0,1] neg_hi:[0,0,1]
	v_pk_fma_f32 v[8:9], v[26:27], v[10:11], v[24:25] op_sel_hi:[1,0,1]
	v_pk_add_f32 v[4:5], v[40:41], v[42:43]
	v_pk_fma_f32 v[44:45], v[28:29], v[12:13], v[50:51] neg_lo:[0,0,1] neg_hi:[0,0,1]
	v_pk_fma_f32 v[12:13], v[28:29], v[12:13], v[50:51] op_sel_hi:[1,0,1]
	v_pk_mul_f32 v[28:29], v[30:31], v[52:53] op_sel:[1,0] op_sel_hi:[0,0]
	v_mov_b32_e32 v7, v9
	v_pk_add_f32 v[4:5], v[4:5], v[20:21]
	v_pk_mul_f32 v[54:55], v[32:33], v[16:17] op_sel:[1,1] op_sel_hi:[0,1]
	v_mov_b32_e32 v56, v19
	v_mov_b32_e32 v45, v13
	v_pk_fma_f32 v[10:11], v[30:31], v[14:15], v[28:29] neg_lo:[0,0,1] neg_hi:[0,0,1]
	v_pk_fma_f32 v[12:13], v[30:31], v[14:15], v[28:29] op_sel_hi:[1,0,1]
	v_pk_add_f32 v[4:5], v[4:5], v[6:7]
	v_pk_fma_f32 v[46:47], v[32:33], v[16:17], v[54:55] neg_lo:[0,0,1] neg_hi:[0,0,1]
	v_pk_fma_f32 v[16:17], v[32:33], v[16:17], v[54:55] op_sel_hi:[1,0,1]
	v_pk_mul_f32 v[32:33], v[34:35], v[56:57] op_sel:[1,0] op_sel_hi:[0,0]
	v_mov_b32_e32 v11, v13
	v_pk_add_f32 v[4:5], v[4:5], v[44:45]
	v_mov_b32_e32 v47, v17
	v_pk_fma_f32 v[14:15], v[34:35], v[18:19], v[32:33] neg_lo:[0,0,1] neg_hi:[0,0,1]
	v_pk_fma_f32 v[16:17], v[34:35], v[18:19], v[32:33] op_sel_hi:[1,0,1]
	v_pk_add_f32 v[4:5], v[4:5], v[10:11]
	v_mov_b32_e32 v15, v17
	v_pk_add_f32 v[4:5], v[4:5], v[46:47]
	v_mov_b32_e32 v49, v37
	v_pk_add_f32 v[4:5], v[4:5], v[14:15]
	s_nop 0
	v_pk_add_f32 v[4:5], v[4:5], v[48:49]
	s_waitcnt vmcnt(0)
	v_pk_add_f32 v[4:5], v[38:39], v[4:5] neg_lo:[0,1] neg_hi:[0,1]
	scratch_store_dwordx2 off, v[4:5], off offset:184
	s_and_saveexec_b64 s[0:1], vcc
	s_cbranch_execz .LBB32_167
; %bb.166:
	scratch_load_dwordx2 v[4:5], off, off offset:176
	v_mov_b32_e32 v3, v2
	scratch_store_dwordx2 off, v[2:3], off offset:176
	s_waitcnt vmcnt(1)
	ds_write_b64 v1, v[4:5]
.LBB32_167:
	s_or_b64 exec, exec, s[0:1]
	s_waitcnt lgkmcnt(0)
	; wave barrier
	scratch_load_dwordx4 v[4:7], off, off offset:184
	scratch_load_dwordx4 v[8:11], off, off offset:200
	;; [unrolled: 1-line block ×5, first 2 shown]
	scratch_load_dwordx2 v[44:45], off, off offset:176
	ds_read2_b64 v[24:27], v2 offset0:57 offset1:58
	ds_read2_b64 v[28:31], v2 offset0:59 offset1:60
	;; [unrolled: 1-line block ×5, first 2 shown]
	v_cmp_lt_u32_e32 vcc, 21, v0
	s_waitcnt vmcnt(5) lgkmcnt(4)
	v_mul_f32_e32 v3, v24, v5
	v_mul_f32_e32 v2, v25, v5
	;; [unrolled: 1-line block ×4, first 2 shown]
	s_waitcnt vmcnt(4) lgkmcnt(3)
	v_pk_mul_f32 v[48:49], v[28:29], v[8:9] op_sel:[1,1] op_sel_hi:[0,1]
	v_mov_b32_e32 v50, v11
	v_fmac_f32_e32 v3, v25, v4
	v_fma_f32 v2, v24, v4, -v2
	v_fmac_f32_e32 v47, v27, v6
	v_fma_f32 v46, v26, v6, -v5
	v_pk_fma_f32 v[4:5], v[28:29], v[8:9], v[48:49] neg_lo:[0,0,1] neg_hi:[0,0,1]
	v_pk_fma_f32 v[6:7], v[28:29], v[8:9], v[48:49] op_sel_hi:[1,0,1]
	v_pk_mul_f32 v[8:9], v[30:31], v[50:51] op_sel:[1,0] op_sel_hi:[0,0]
	v_pk_add_f32 v[2:3], v[2:3], 0 op_sel_hi:[1,0]
	s_waitcnt vmcnt(3) lgkmcnt(2)
	v_pk_mul_f32 v[52:53], v[32:33], v[12:13] op_sel:[1,1] op_sel_hi:[0,1]
	v_mov_b32_e32 v54, v15
	v_mov_b32_e32 v5, v7
	v_pk_fma_f32 v[6:7], v[30:31], v[10:11], v[8:9] neg_lo:[0,0,1] neg_hi:[0,0,1]
	v_pk_fma_f32 v[8:9], v[30:31], v[10:11], v[8:9] op_sel_hi:[1,0,1]
	v_pk_add_f32 v[2:3], v[2:3], v[46:47]
	v_pk_fma_f32 v[24:25], v[32:33], v[12:13], v[52:53] neg_lo:[0,0,1] neg_hi:[0,0,1]
	v_pk_fma_f32 v[12:13], v[32:33], v[12:13], v[52:53] op_sel_hi:[1,0,1]
	v_pk_mul_f32 v[26:27], v[34:35], v[54:55] op_sel:[1,0] op_sel_hi:[0,0]
	v_mov_b32_e32 v7, v9
	v_pk_add_f32 v[2:3], v[2:3], v[4:5]
	s_waitcnt vmcnt(2) lgkmcnt(1)
	v_pk_mul_f32 v[56:57], v[36:37], v[16:17] op_sel:[1,1] op_sel_hi:[0,1]
	v_mov_b32_e32 v58, v19
	v_mov_b32_e32 v25, v13
	v_pk_fma_f32 v[10:11], v[34:35], v[14:15], v[26:27] neg_lo:[0,0,1] neg_hi:[0,0,1]
	v_pk_fma_f32 v[12:13], v[34:35], v[14:15], v[26:27] op_sel_hi:[1,0,1]
	v_pk_add_f32 v[2:3], v[2:3], v[6:7]
	v_pk_fma_f32 v[28:29], v[36:37], v[16:17], v[56:57] neg_lo:[0,0,1] neg_hi:[0,0,1]
	v_pk_fma_f32 v[16:17], v[36:37], v[16:17], v[56:57] op_sel_hi:[1,0,1]
	v_pk_mul_f32 v[32:33], v[38:39], v[58:59] op_sel:[1,0] op_sel_hi:[0,0]
	v_mov_b32_e32 v11, v13
	v_pk_add_f32 v[2:3], v[2:3], v[24:25]
	;; [unrolled: 12-line block ×3, first 2 shown]
	v_mov_b32_e32 v37, v21
	v_pk_fma_f32 v[18:19], v[42:43], v[22:23], v[40:41] neg_lo:[0,0,1] neg_hi:[0,0,1]
	v_pk_fma_f32 v[20:21], v[42:43], v[22:23], v[40:41] op_sel_hi:[1,0,1]
	v_pk_add_f32 v[2:3], v[2:3], v[14:15]
	v_mov_b32_e32 v19, v21
	v_pk_add_f32 v[2:3], v[2:3], v[36:37]
	s_nop 0
	v_pk_add_f32 v[2:3], v[2:3], v[18:19]
	s_waitcnt vmcnt(0)
	v_pk_add_f32 v[2:3], v[44:45], v[2:3] neg_lo:[0,1] neg_hi:[0,1]
	scratch_store_dwordx2 off, v[2:3], off offset:176
	s_and_saveexec_b64 s[0:1], vcc
	s_cbranch_execz .LBB32_169
; %bb.168:
	scratch_load_dwordx2 v[2:3], off, off offset:168
	v_mov_b32_e32 v4, 0
	v_mov_b32_e32 v5, v4
	scratch_store_dwordx2 off, v[4:5], off offset:168
	s_waitcnt vmcnt(1)
	ds_write_b64 v1, v[2:3]
.LBB32_169:
	s_or_b64 exec, exec, s[0:1]
	v_mov_b32_e32 v2, 0
	s_waitcnt lgkmcnt(0)
	; wave barrier
	ds_read_b128 v[4:7], v2 offset:448
	ds_read_b128 v[8:11], v2 offset:464
	;; [unrolled: 1-line block ×4, first 2 shown]
	scratch_load_dwordx4 v[20:23], off, off offset:176
	scratch_load_dwordx4 v[24:27], off, off offset:192
	;; [unrolled: 1-line block ×5, first 2 shown]
	scratch_load_dwordx2 v[46:47], off, off offset:256
	v_cmp_lt_u32_e32 vcc, 20, v0
	s_waitcnt vmcnt(5) lgkmcnt(3)
	v_mul_f32_e32 v3, v4, v21
	v_fmac_f32_e32 v3, v5, v20
	v_add_f32_e32 v41, 0, v3
	v_mul_f32_e32 v3, v5, v21
	v_fma_f32 v3, v4, v20, -v3
	v_mul_f32_e32 v43, v6, v23
	v_add_f32_e32 v40, 0, v3
	v_mul_f32_e32 v3, v7, v23
	v_fmac_f32_e32 v43, v7, v22
	v_fma_f32 v42, v6, v22, -v3
	s_waitcnt vmcnt(4)
	v_mov_b32_e32 v22, v27
	s_waitcnt lgkmcnt(2)
	v_mul_f32_e32 v45, v8, v25
	v_mul_f32_e32 v3, v9, v25
	v_pk_mul_f32 v[22:23], v[10:11], v[22:23] op_sel:[1,0] op_sel_hi:[0,0]
	v_fmac_f32_e32 v45, v9, v24
	v_fma_f32 v44, v8, v24, -v3
	v_pk_add_f32 v[20:21], v[40:41], v[42:43]
	v_pk_fma_f32 v[24:25], v[10:11], v[26:27], v[22:23] neg_lo:[0,0,1] neg_hi:[0,0,1]
	v_pk_fma_f32 v[10:11], v[10:11], v[26:27], v[22:23] op_sel_hi:[1,0,1]
	v_pk_add_f32 v[20:21], v[20:21], v[44:45]
	v_mov_b32_e32 v25, v11
	v_pk_add_f32 v[10:11], v[20:21], v[24:25]
	s_waitcnt vmcnt(3) lgkmcnt(1)
	v_pk_mul_f32 v[20:21], v[12:13], v[28:29] op_sel:[1,1] op_sel_hi:[0,1]
	v_pk_fma_f32 v[22:23], v[12:13], v[28:29], v[20:21] neg_lo:[0,0,1] neg_hi:[0,0,1]
	v_pk_fma_f32 v[12:13], v[12:13], v[28:29], v[20:21] op_sel_hi:[1,0,1]
	ds_read_b128 v[4:7], v2 offset:512
	ds_read_b64 v[8:9], v2 offset:528
	v_mov_b32_e32 v12, v31
	v_mov_b32_e32 v23, v13
	v_pk_mul_f32 v[12:13], v[14:15], v[12:13] op_sel:[1,0] op_sel_hi:[0,0]
	v_pk_fma_f32 v[20:21], v[14:15], v[30:31], v[12:13] neg_lo:[0,0,1] neg_hi:[0,0,1]
	v_pk_fma_f32 v[12:13], v[14:15], v[30:31], v[12:13] op_sel_hi:[1,0,1]
	v_pk_add_f32 v[10:11], v[10:11], v[22:23]
	v_mov_b32_e32 v21, v13
	s_waitcnt vmcnt(2) lgkmcnt(2)
	v_pk_mul_f32 v[12:13], v[16:17], v[32:33] op_sel:[1,1] op_sel_hi:[0,1]
	v_pk_fma_f32 v[14:15], v[16:17], v[32:33], v[12:13] neg_lo:[0,0,1] neg_hi:[0,0,1]
	v_pk_fma_f32 v[12:13], v[16:17], v[32:33], v[12:13] op_sel_hi:[1,0,1]
	v_pk_add_f32 v[10:11], v[10:11], v[20:21]
	v_mov_b32_e32 v12, v35
	v_mov_b32_e32 v15, v13
	v_pk_mul_f32 v[12:13], v[18:19], v[12:13] op_sel:[1,0] op_sel_hi:[0,0]
	v_pk_add_f32 v[10:11], v[10:11], v[14:15]
	v_pk_fma_f32 v[14:15], v[18:19], v[34:35], v[12:13] neg_lo:[0,0,1] neg_hi:[0,0,1]
	v_pk_fma_f32 v[12:13], v[18:19], v[34:35], v[12:13] op_sel_hi:[1,0,1]
	s_nop 0
	v_mov_b32_e32 v15, v13
	s_waitcnt vmcnt(1) lgkmcnt(1)
	v_pk_mul_f32 v[12:13], v[4:5], v[36:37] op_sel:[1,1] op_sel_hi:[0,1]
	v_pk_add_f32 v[10:11], v[10:11], v[14:15]
	v_pk_fma_f32 v[14:15], v[4:5], v[36:37], v[12:13] neg_lo:[0,0,1] neg_hi:[0,0,1]
	v_pk_fma_f32 v[4:5], v[4:5], v[36:37], v[12:13] op_sel_hi:[1,0,1]
	s_nop 0
	v_mov_b32_e32 v15, v5
	v_pk_add_f32 v[4:5], v[10:11], v[14:15]
	v_mov_b32_e32 v10, v39
	v_pk_mul_f32 v[10:11], v[6:7], v[10:11] op_sel:[1,0] op_sel_hi:[0,0]
	v_pk_fma_f32 v[12:13], v[6:7], v[38:39], v[10:11] neg_lo:[0,0,1] neg_hi:[0,0,1]
	v_pk_fma_f32 v[6:7], v[6:7], v[38:39], v[10:11] op_sel_hi:[1,0,1]
	s_nop 0
	v_mov_b32_e32 v13, v7
	s_waitcnt vmcnt(0) lgkmcnt(0)
	v_pk_mul_f32 v[6:7], v[8:9], v[46:47] op_sel:[1,1] op_sel_hi:[0,1]
	v_pk_fma_f32 v[10:11], v[8:9], v[46:47], v[6:7] neg_lo:[0,0,1] neg_hi:[0,0,1]
	v_pk_fma_f32 v[6:7], v[8:9], v[46:47], v[6:7] op_sel_hi:[1,0,1]
	v_pk_add_f32 v[4:5], v[4:5], v[12:13]
	v_mov_b32_e32 v11, v7
	scratch_load_dwordx2 v[6:7], off, off offset:168
	v_pk_add_f32 v[4:5], v[4:5], v[10:11]
	s_waitcnt vmcnt(0)
	v_pk_add_f32 v[4:5], v[6:7], v[4:5] neg_lo:[0,1] neg_hi:[0,1]
	scratch_store_dwordx2 off, v[4:5], off offset:168
	s_and_saveexec_b64 s[0:1], vcc
	s_cbranch_execz .LBB32_171
; %bb.170:
	scratch_load_dwordx2 v[4:5], off, off offset:160
	v_mov_b32_e32 v3, v2
	scratch_store_dwordx2 off, v[2:3], off offset:160
	s_waitcnt vmcnt(1)
	ds_write_b64 v1, v[4:5]
.LBB32_171:
	s_or_b64 exec, exec, s[0:1]
	s_waitcnt lgkmcnt(0)
	; wave barrier
	scratch_load_dwordx4 v[8:11], off, off offset:168
	scratch_load_dwordx4 v[16:19], off, off offset:184
	ds_read2_b64 v[4:7], v2 offset0:55 offset1:56
	v_cmp_lt_u32_e32 vcc, 19, v0
	s_waitcnt vmcnt(1) lgkmcnt(0)
	v_mul_f32_e32 v3, v4, v9
	v_fmac_f32_e32 v3, v5, v8
	v_mul_f32_e32 v12, v6, v11
	v_add_f32_e32 v3, 0, v3
	v_fmac_f32_e32 v12, v7, v10
	v_add_f32_e32 v37, v3, v12
	ds_read2_b64 v[12:15], v2 offset0:57 offset1:58
	scratch_load_dwordx4 v[20:23], off, off offset:200
	scratch_load_dwordx4 v[24:27], off, off offset:216
	;; [unrolled: 1-line block ×4, first 2 shown]
	v_mul_f32_e32 v3, v5, v9
	v_fma_f32 v3, v4, v8, -v3
	v_mul_f32_e32 v4, v7, v11
	v_add_f32_e32 v3, 0, v3
	v_fma_f32 v4, v6, v10, -v4
	v_add_f32_e32 v36, v3, v4
	s_waitcnt vmcnt(4) lgkmcnt(0)
	v_mul_f32_e32 v3, v13, v17
	v_mul_f32_e32 v39, v12, v17
	;; [unrolled: 1-line block ×3, first 2 shown]
	v_fma_f32 v38, v12, v16, -v3
	v_mul_f32_e32 v3, v15, v19
	v_fmac_f32_e32 v39, v13, v16
	v_fmac_f32_e32 v41, v15, v18
	v_fma_f32 v40, v14, v18, -v3
	ds_read2_b64 v[4:7], v2 offset0:59 offset1:60
	ds_read2_b64 v[8:11], v2 offset0:61 offset1:62
	;; [unrolled: 1-line block ×4, first 2 shown]
	v_pk_add_f32 v[2:3], v[36:37], v[38:39]
	s_waitcnt vmcnt(3) lgkmcnt(3)
	v_pk_mul_f32 v[36:37], v[4:5], v[20:21] op_sel:[1,1] op_sel_hi:[0,1]
	v_pk_fma_f32 v[38:39], v[4:5], v[20:21], v[36:37] neg_lo:[0,0,1] neg_hi:[0,0,1]
	v_pk_fma_f32 v[4:5], v[4:5], v[20:21], v[36:37] op_sel_hi:[1,0,1]
	v_pk_add_f32 v[2:3], v[2:3], v[40:41]
	v_mov_b32_e32 v4, v23
	v_mov_b32_e32 v39, v5
	v_pk_mul_f32 v[4:5], v[6:7], v[4:5] op_sel:[1,0] op_sel_hi:[0,0]
	v_pk_fma_f32 v[20:21], v[6:7], v[22:23], v[4:5] neg_lo:[0,0,1] neg_hi:[0,0,1]
	v_pk_fma_f32 v[4:5], v[6:7], v[22:23], v[4:5] op_sel_hi:[1,0,1]
	v_pk_add_f32 v[2:3], v[2:3], v[38:39]
	v_mov_b32_e32 v21, v5
	s_waitcnt vmcnt(2) lgkmcnt(2)
	v_pk_mul_f32 v[4:5], v[8:9], v[24:25] op_sel:[1,1] op_sel_hi:[0,1]
	v_pk_fma_f32 v[6:7], v[8:9], v[24:25], v[4:5] neg_lo:[0,0,1] neg_hi:[0,0,1]
	v_pk_fma_f32 v[4:5], v[8:9], v[24:25], v[4:5] op_sel_hi:[1,0,1]
	v_pk_add_f32 v[2:3], v[2:3], v[20:21]
	v_mov_b32_e32 v4, v27
	v_mov_b32_e32 v7, v5
	v_pk_mul_f32 v[4:5], v[10:11], v[4:5] op_sel:[1,0] op_sel_hi:[0,0]
	v_pk_add_f32 v[2:3], v[2:3], v[6:7]
	v_pk_fma_f32 v[6:7], v[10:11], v[26:27], v[4:5] neg_lo:[0,0,1] neg_hi:[0,0,1]
	v_pk_fma_f32 v[4:5], v[10:11], v[26:27], v[4:5] op_sel_hi:[1,0,1]
	s_nop 0
	v_mov_b32_e32 v7, v5
	s_waitcnt vmcnt(1) lgkmcnt(1)
	v_pk_mul_f32 v[4:5], v[12:13], v[28:29] op_sel:[1,1] op_sel_hi:[0,1]
	v_pk_add_f32 v[2:3], v[2:3], v[6:7]
	v_pk_fma_f32 v[6:7], v[12:13], v[28:29], v[4:5] neg_lo:[0,0,1] neg_hi:[0,0,1]
	v_pk_fma_f32 v[4:5], v[12:13], v[28:29], v[4:5] op_sel_hi:[1,0,1]
	s_nop 0
	v_mov_b32_e32 v4, v31
	v_mov_b32_e32 v7, v5
	v_pk_mul_f32 v[4:5], v[14:15], v[4:5] op_sel:[1,0] op_sel_hi:[0,0]
	v_pk_add_f32 v[2:3], v[2:3], v[6:7]
	v_pk_fma_f32 v[6:7], v[14:15], v[30:31], v[4:5] neg_lo:[0,0,1] neg_hi:[0,0,1]
	v_pk_fma_f32 v[4:5], v[14:15], v[30:31], v[4:5] op_sel_hi:[1,0,1]
	s_nop 0
	v_mov_b32_e32 v7, v5
	s_waitcnt vmcnt(0) lgkmcnt(0)
	v_pk_mul_f32 v[4:5], v[16:17], v[32:33] op_sel:[1,1] op_sel_hi:[0,1]
	v_pk_add_f32 v[2:3], v[2:3], v[6:7]
	v_pk_fma_f32 v[6:7], v[16:17], v[32:33], v[4:5] neg_lo:[0,0,1] neg_hi:[0,0,1]
	v_pk_fma_f32 v[4:5], v[16:17], v[32:33], v[4:5] op_sel_hi:[1,0,1]
	s_nop 0
	v_mov_b32_e32 v4, v35
	v_mov_b32_e32 v7, v5
	v_pk_mul_f32 v[4:5], v[18:19], v[4:5] op_sel:[1,0] op_sel_hi:[0,0]
	v_pk_add_f32 v[2:3], v[2:3], v[6:7]
	v_pk_fma_f32 v[6:7], v[18:19], v[34:35], v[4:5] neg_lo:[0,0,1] neg_hi:[0,0,1]
	v_pk_fma_f32 v[4:5], v[18:19], v[34:35], v[4:5] op_sel_hi:[1,0,1]
	s_nop 0
	v_mov_b32_e32 v7, v5
	scratch_load_dwordx2 v[4:5], off, off offset:160
	v_pk_add_f32 v[2:3], v[2:3], v[6:7]
	s_waitcnt vmcnt(0)
	v_pk_add_f32 v[2:3], v[4:5], v[2:3] neg_lo:[0,1] neg_hi:[0,1]
	scratch_store_dwordx2 off, v[2:3], off offset:160
	s_and_saveexec_b64 s[0:1], vcc
	s_cbranch_execz .LBB32_173
; %bb.172:
	scratch_load_dwordx2 v[2:3], off, off offset:152
	v_mov_b32_e32 v4, 0
	v_mov_b32_e32 v5, v4
	scratch_store_dwordx2 off, v[4:5], off offset:152
	s_waitcnt vmcnt(1)
	ds_write_b64 v1, v[2:3]
.LBB32_173:
	s_or_b64 exec, exec, s[0:1]
	v_mov_b32_e32 v2, 0
	s_waitcnt lgkmcnt(0)
	; wave barrier
	ds_read_b128 v[4:7], v2 offset:432
	ds_read_b128 v[8:11], v2 offset:448
	;; [unrolled: 1-line block ×4, first 2 shown]
	scratch_load_dwordx4 v[20:23], off, off offset:160
	v_cmp_lt_u32_e32 vcc, 18, v0
	s_waitcnt vmcnt(0) lgkmcnt(3)
	v_mul_f32_e32 v3, v4, v21
	v_fmac_f32_e32 v3, v5, v20
	v_mul_f32_e32 v24, v6, v23
	v_add_f32_e32 v3, 0, v3
	v_fmac_f32_e32 v24, v7, v22
	v_add_f32_e32 v3, v3, v24
	scratch_load_dwordx4 v[24:27], off, off offset:176
	s_waitcnt vmcnt(0) lgkmcnt(2)
	v_mul_f32_e32 v28, v8, v25
	v_fmac_f32_e32 v28, v9, v24
	v_add_f32_e32 v45, v3, v28
	scratch_load_dwordx4 v[28:31], off, off offset:192
	scratch_load_dwordx4 v[32:35], off, off offset:208
	;; [unrolled: 1-line block ×4, first 2 shown]
	scratch_load_dwordx2 v[50:51], off, off offset:256
	v_mul_f32_e32 v3, v5, v21
	v_fma_f32 v3, v4, v20, -v3
	v_mul_f32_e32 v4, v7, v23
	v_add_f32_e32 v3, 0, v3
	v_fma_f32 v4, v6, v22, -v4
	v_add_f32_e32 v3, v3, v4
	v_mul_f32_e32 v4, v9, v25
	v_fma_f32 v4, v8, v24, -v4
	v_mul_f32_e32 v47, v10, v27
	v_add_f32_e32 v44, v3, v4
	v_mul_f32_e32 v3, v11, v27
	v_fmac_f32_e32 v47, v11, v26
	v_fma_f32 v46, v10, v26, -v3
	v_pk_add_f32 v[20:21], v[44:45], v[46:47]
	s_waitcnt vmcnt(4)
	v_mov_b32_e32 v22, v31
	s_waitcnt lgkmcnt(1)
	v_mul_f32_e32 v49, v12, v29
	v_mul_f32_e32 v3, v13, v29
	v_pk_mul_f32 v[22:23], v[14:15], v[22:23] op_sel:[1,0] op_sel_hi:[0,0]
	v_fmac_f32_e32 v49, v13, v28
	v_fma_f32 v48, v12, v28, -v3
	v_pk_fma_f32 v[24:25], v[14:15], v[30:31], v[22:23] neg_lo:[0,0,1] neg_hi:[0,0,1]
	v_pk_fma_f32 v[14:15], v[14:15], v[30:31], v[22:23] op_sel_hi:[1,0,1]
	v_pk_add_f32 v[20:21], v[20:21], v[48:49]
	v_mov_b32_e32 v25, v15
	v_pk_add_f32 v[14:15], v[20:21], v[24:25]
	s_waitcnt vmcnt(3) lgkmcnt(0)
	v_pk_mul_f32 v[20:21], v[16:17], v[32:33] op_sel:[1,1] op_sel_hi:[0,1]
	v_pk_fma_f32 v[22:23], v[16:17], v[32:33], v[20:21] neg_lo:[0,0,1] neg_hi:[0,0,1]
	v_pk_fma_f32 v[16:17], v[16:17], v[32:33], v[20:21] op_sel_hi:[1,0,1]
	ds_read_b128 v[4:7], v2 offset:496
	ds_read_b128 v[8:11], v2 offset:512
	ds_read_b64 v[12:13], v2 offset:528
	v_mov_b32_e32 v16, v35
	v_mov_b32_e32 v23, v17
	v_pk_mul_f32 v[16:17], v[18:19], v[16:17] op_sel:[1,0] op_sel_hi:[0,0]
	v_pk_fma_f32 v[20:21], v[18:19], v[34:35], v[16:17] neg_lo:[0,0,1] neg_hi:[0,0,1]
	v_pk_fma_f32 v[16:17], v[18:19], v[34:35], v[16:17] op_sel_hi:[1,0,1]
	v_pk_add_f32 v[14:15], v[14:15], v[22:23]
	v_mov_b32_e32 v21, v17
	s_waitcnt vmcnt(2) lgkmcnt(2)
	v_pk_mul_f32 v[16:17], v[4:5], v[36:37] op_sel:[1,1] op_sel_hi:[0,1]
	v_pk_fma_f32 v[18:19], v[4:5], v[36:37], v[16:17] neg_lo:[0,0,1] neg_hi:[0,0,1]
	v_pk_fma_f32 v[4:5], v[4:5], v[36:37], v[16:17] op_sel_hi:[1,0,1]
	v_pk_add_f32 v[14:15], v[14:15], v[20:21]
	v_mov_b32_e32 v19, v5
	v_pk_add_f32 v[4:5], v[14:15], v[18:19]
	v_mov_b32_e32 v14, v39
	v_pk_mul_f32 v[14:15], v[6:7], v[14:15] op_sel:[1,0] op_sel_hi:[0,0]
	v_pk_fma_f32 v[16:17], v[6:7], v[38:39], v[14:15] neg_lo:[0,0,1] neg_hi:[0,0,1]
	v_pk_fma_f32 v[6:7], v[6:7], v[38:39], v[14:15] op_sel_hi:[1,0,1]
	s_nop 0
	v_mov_b32_e32 v17, v7
	s_waitcnt vmcnt(1) lgkmcnt(1)
	v_pk_mul_f32 v[6:7], v[8:9], v[40:41] op_sel:[1,1] op_sel_hi:[0,1]
	v_pk_fma_f32 v[14:15], v[8:9], v[40:41], v[6:7] neg_lo:[0,0,1] neg_hi:[0,0,1]
	v_pk_fma_f32 v[6:7], v[8:9], v[40:41], v[6:7] op_sel_hi:[1,0,1]
	v_pk_add_f32 v[4:5], v[4:5], v[16:17]
	v_mov_b32_e32 v6, v43
	v_mov_b32_e32 v15, v7
	v_pk_mul_f32 v[6:7], v[10:11], v[6:7] op_sel:[1,0] op_sel_hi:[0,0]
	v_pk_fma_f32 v[8:9], v[10:11], v[42:43], v[6:7] neg_lo:[0,0,1] neg_hi:[0,0,1]
	v_pk_fma_f32 v[6:7], v[10:11], v[42:43], v[6:7] op_sel_hi:[1,0,1]
	v_pk_add_f32 v[4:5], v[4:5], v[14:15]
	v_mov_b32_e32 v9, v7
	s_waitcnt vmcnt(0) lgkmcnt(0)
	v_pk_mul_f32 v[6:7], v[12:13], v[50:51] op_sel:[1,1] op_sel_hi:[0,1]
	v_pk_add_f32 v[4:5], v[4:5], v[8:9]
	v_pk_fma_f32 v[8:9], v[12:13], v[50:51], v[6:7] neg_lo:[0,0,1] neg_hi:[0,0,1]
	v_pk_fma_f32 v[6:7], v[12:13], v[50:51], v[6:7] op_sel_hi:[1,0,1]
	s_nop 0
	v_mov_b32_e32 v9, v7
	scratch_load_dwordx2 v[6:7], off, off offset:152
	v_pk_add_f32 v[4:5], v[4:5], v[8:9]
	s_waitcnt vmcnt(0)
	v_pk_add_f32 v[4:5], v[6:7], v[4:5] neg_lo:[0,1] neg_hi:[0,1]
	scratch_store_dwordx2 off, v[4:5], off offset:152
	s_and_saveexec_b64 s[0:1], vcc
	s_cbranch_execz .LBB32_175
; %bb.174:
	scratch_load_dwordx2 v[4:5], off, off offset:144
	v_mov_b32_e32 v3, v2
	scratch_store_dwordx2 off, v[2:3], off offset:144
	s_waitcnt vmcnt(1)
	ds_write_b64 v1, v[4:5]
.LBB32_175:
	s_or_b64 exec, exec, s[0:1]
	s_waitcnt lgkmcnt(0)
	; wave barrier
	scratch_load_dwordx4 v[8:11], off, off offset:152
	scratch_load_dwordx4 v[16:19], off, off offset:168
	ds_read2_b64 v[4:7], v2 offset0:53 offset1:54
	scratch_load_dwordx4 v[24:27], off, off offset:184
	v_cmp_lt_u32_e32 vcc, 17, v0
	s_waitcnt vmcnt(2) lgkmcnt(0)
	v_mul_f32_e32 v3, v4, v9
	v_fmac_f32_e32 v3, v5, v8
	v_mul_f32_e32 v12, v6, v11
	v_add_f32_e32 v3, 0, v3
	v_fmac_f32_e32 v12, v7, v10
	v_add_f32_e32 v3, v3, v12
	ds_read2_b64 v[12:15], v2 offset0:55 offset1:56
	s_waitcnt vmcnt(1) lgkmcnt(0)
	v_mul_f32_e32 v20, v12, v17
	v_fmac_f32_e32 v20, v13, v16
	v_add_f32_e32 v3, v3, v20
	v_mul_f32_e32 v20, v14, v19
	v_fmac_f32_e32 v20, v15, v18
	v_add_f32_e32 v45, v3, v20
	ds_read2_b64 v[20:23], v2 offset0:57 offset1:58
	scratch_load_dwordx4 v[28:31], off, off offset:200
	scratch_load_dwordx4 v[32:35], off, off offset:216
	;; [unrolled: 1-line block ×4, first 2 shown]
	v_mul_f32_e32 v3, v5, v9
	v_fma_f32 v3, v4, v8, -v3
	v_mul_f32_e32 v4, v7, v11
	v_add_f32_e32 v3, 0, v3
	v_fma_f32 v4, v6, v10, -v4
	v_add_f32_e32 v3, v3, v4
	v_mul_f32_e32 v4, v13, v17
	v_fma_f32 v4, v12, v16, -v4
	v_add_f32_e32 v3, v3, v4
	v_mul_f32_e32 v4, v15, v19
	v_fma_f32 v4, v14, v18, -v4
	v_add_f32_e32 v44, v3, v4
	ds_read2_b64 v[4:7], v2 offset0:59 offset1:60
	ds_read2_b64 v[8:11], v2 offset0:61 offset1:62
	;; [unrolled: 1-line block ×4, first 2 shown]
	s_waitcnt vmcnt(4) lgkmcnt(4)
	v_mul_f32_e32 v47, v20, v25
	v_mul_f32_e32 v3, v21, v25
	v_fmac_f32_e32 v47, v21, v24
	v_mul_f32_e32 v49, v22, v27
	v_fma_f32 v46, v20, v24, -v3
	v_mul_f32_e32 v3, v23, v27
	v_fmac_f32_e32 v49, v23, v26
	v_fma_f32 v48, v22, v26, -v3
	v_pk_add_f32 v[2:3], v[44:45], v[46:47]
	s_waitcnt vmcnt(3) lgkmcnt(3)
	v_pk_mul_f32 v[20:21], v[4:5], v[28:29] op_sel:[1,1] op_sel_hi:[0,1]
	v_pk_fma_f32 v[22:23], v[4:5], v[28:29], v[20:21] neg_lo:[0,0,1] neg_hi:[0,0,1]
	v_pk_fma_f32 v[4:5], v[4:5], v[28:29], v[20:21] op_sel_hi:[1,0,1]
	v_pk_add_f32 v[2:3], v[2:3], v[48:49]
	v_mov_b32_e32 v4, v31
	v_mov_b32_e32 v23, v5
	v_pk_mul_f32 v[4:5], v[6:7], v[4:5] op_sel:[1,0] op_sel_hi:[0,0]
	v_pk_fma_f32 v[20:21], v[6:7], v[30:31], v[4:5] neg_lo:[0,0,1] neg_hi:[0,0,1]
	v_pk_fma_f32 v[4:5], v[6:7], v[30:31], v[4:5] op_sel_hi:[1,0,1]
	v_pk_add_f32 v[2:3], v[2:3], v[22:23]
	v_mov_b32_e32 v21, v5
	s_waitcnt vmcnt(2) lgkmcnt(2)
	v_pk_mul_f32 v[4:5], v[8:9], v[32:33] op_sel:[1,1] op_sel_hi:[0,1]
	v_pk_fma_f32 v[6:7], v[8:9], v[32:33], v[4:5] neg_lo:[0,0,1] neg_hi:[0,0,1]
	v_pk_fma_f32 v[4:5], v[8:9], v[32:33], v[4:5] op_sel_hi:[1,0,1]
	v_pk_add_f32 v[2:3], v[2:3], v[20:21]
	v_mov_b32_e32 v4, v35
	v_mov_b32_e32 v7, v5
	v_pk_mul_f32 v[4:5], v[10:11], v[4:5] op_sel:[1,0] op_sel_hi:[0,0]
	v_pk_add_f32 v[2:3], v[2:3], v[6:7]
	v_pk_fma_f32 v[6:7], v[10:11], v[34:35], v[4:5] neg_lo:[0,0,1] neg_hi:[0,0,1]
	v_pk_fma_f32 v[4:5], v[10:11], v[34:35], v[4:5] op_sel_hi:[1,0,1]
	s_nop 0
	v_mov_b32_e32 v7, v5
	s_waitcnt vmcnt(1) lgkmcnt(1)
	v_pk_mul_f32 v[4:5], v[12:13], v[36:37] op_sel:[1,1] op_sel_hi:[0,1]
	v_pk_add_f32 v[2:3], v[2:3], v[6:7]
	v_pk_fma_f32 v[6:7], v[12:13], v[36:37], v[4:5] neg_lo:[0,0,1] neg_hi:[0,0,1]
	v_pk_fma_f32 v[4:5], v[12:13], v[36:37], v[4:5] op_sel_hi:[1,0,1]
	s_nop 0
	v_mov_b32_e32 v4, v39
	v_mov_b32_e32 v7, v5
	v_pk_mul_f32 v[4:5], v[14:15], v[4:5] op_sel:[1,0] op_sel_hi:[0,0]
	v_pk_add_f32 v[2:3], v[2:3], v[6:7]
	v_pk_fma_f32 v[6:7], v[14:15], v[38:39], v[4:5] neg_lo:[0,0,1] neg_hi:[0,0,1]
	v_pk_fma_f32 v[4:5], v[14:15], v[38:39], v[4:5] op_sel_hi:[1,0,1]
	s_nop 0
	v_mov_b32_e32 v7, v5
	s_waitcnt vmcnt(0) lgkmcnt(0)
	v_pk_mul_f32 v[4:5], v[16:17], v[40:41] op_sel:[1,1] op_sel_hi:[0,1]
	v_pk_add_f32 v[2:3], v[2:3], v[6:7]
	v_pk_fma_f32 v[6:7], v[16:17], v[40:41], v[4:5] neg_lo:[0,0,1] neg_hi:[0,0,1]
	v_pk_fma_f32 v[4:5], v[16:17], v[40:41], v[4:5] op_sel_hi:[1,0,1]
	s_nop 0
	v_mov_b32_e32 v4, v43
	v_mov_b32_e32 v7, v5
	v_pk_mul_f32 v[4:5], v[18:19], v[4:5] op_sel:[1,0] op_sel_hi:[0,0]
	v_pk_add_f32 v[2:3], v[2:3], v[6:7]
	v_pk_fma_f32 v[6:7], v[18:19], v[42:43], v[4:5] neg_lo:[0,0,1] neg_hi:[0,0,1]
	v_pk_fma_f32 v[4:5], v[18:19], v[42:43], v[4:5] op_sel_hi:[1,0,1]
	s_nop 0
	v_mov_b32_e32 v7, v5
	scratch_load_dwordx2 v[4:5], off, off offset:144
	v_pk_add_f32 v[2:3], v[2:3], v[6:7]
	s_waitcnt vmcnt(0)
	v_pk_add_f32 v[2:3], v[4:5], v[2:3] neg_lo:[0,1] neg_hi:[0,1]
	scratch_store_dwordx2 off, v[2:3], off offset:144
	s_and_saveexec_b64 s[0:1], vcc
	s_cbranch_execz .LBB32_177
; %bb.176:
	scratch_load_dwordx2 v[2:3], off, off offset:136
	v_mov_b32_e32 v4, 0
	v_mov_b32_e32 v5, v4
	scratch_store_dwordx2 off, v[4:5], off offset:136
	s_waitcnt vmcnt(1)
	ds_write_b64 v1, v[2:3]
.LBB32_177:
	s_or_b64 exec, exec, s[0:1]
	v_mov_b32_e32 v2, 0
	s_waitcnt lgkmcnt(0)
	; wave barrier
	ds_read_b128 v[4:7], v2 offset:416
	ds_read_b128 v[8:11], v2 offset:432
	ds_read_b128 v[12:15], v2 offset:448
	ds_read_b128 v[16:19], v2 offset:464
	scratch_load_dwordx4 v[20:23], off, off offset:144
	v_cmp_lt_u32_e32 vcc, 16, v0
	s_waitcnt vmcnt(0) lgkmcnt(3)
	v_mul_f32_e32 v3, v4, v21
	v_fmac_f32_e32 v3, v5, v20
	v_mul_f32_e32 v24, v6, v23
	v_add_f32_e32 v3, 0, v3
	v_fmac_f32_e32 v24, v7, v22
	v_add_f32_e32 v3, v3, v24
	scratch_load_dwordx4 v[24:27], off, off offset:160
	s_waitcnt vmcnt(0) lgkmcnt(2)
	v_mul_f32_e32 v28, v8, v25
	v_fmac_f32_e32 v28, v9, v24
	v_add_f32_e32 v3, v3, v28
	v_mul_f32_e32 v28, v10, v27
	v_fmac_f32_e32 v28, v11, v26
	v_add_f32_e32 v3, v3, v28
	scratch_load_dwordx4 v[28:31], off, off offset:176
	s_waitcnt vmcnt(0) lgkmcnt(1)
	v_mul_f32_e32 v32, v12, v29
	v_fmac_f32_e32 v32, v13, v28
	v_add_f32_e32 v49, v3, v32
	scratch_load_dwordx4 v[32:35], off, off offset:192
	scratch_load_dwordx4 v[36:39], off, off offset:208
	;; [unrolled: 1-line block ×4, first 2 shown]
	scratch_load_dwordx2 v[54:55], off, off offset:256
	v_mul_f32_e32 v3, v5, v21
	v_fma_f32 v3, v4, v20, -v3
	v_mul_f32_e32 v4, v7, v23
	v_add_f32_e32 v3, 0, v3
	v_fma_f32 v4, v6, v22, -v4
	v_add_f32_e32 v3, v3, v4
	v_mul_f32_e32 v4, v9, v25
	v_fma_f32 v4, v8, v24, -v4
	v_add_f32_e32 v3, v3, v4
	v_mul_f32_e32 v4, v11, v27
	;; [unrolled: 3-line block ×3, first 2 shown]
	v_fma_f32 v4, v12, v28, -v4
	v_mul_f32_e32 v51, v14, v31
	v_add_f32_e32 v48, v3, v4
	v_mul_f32_e32 v3, v15, v31
	v_fmac_f32_e32 v51, v15, v30
	v_fma_f32 v50, v14, v30, -v3
	v_pk_add_f32 v[20:21], v[48:49], v[50:51]
	s_waitcnt vmcnt(4)
	v_mov_b32_e32 v22, v35
	s_waitcnt lgkmcnt(0)
	v_mul_f32_e32 v53, v16, v33
	v_mul_f32_e32 v3, v17, v33
	v_pk_mul_f32 v[22:23], v[18:19], v[22:23] op_sel:[1,0] op_sel_hi:[0,0]
	v_fmac_f32_e32 v53, v17, v32
	v_fma_f32 v52, v16, v32, -v3
	ds_read_b128 v[4:7], v2 offset:480
	ds_read_b128 v[8:11], v2 offset:496
	;; [unrolled: 1-line block ×3, first 2 shown]
	ds_read_b64 v[16:17], v2 offset:528
	v_pk_fma_f32 v[24:25], v[18:19], v[34:35], v[22:23] neg_lo:[0,0,1] neg_hi:[0,0,1]
	v_pk_fma_f32 v[18:19], v[18:19], v[34:35], v[22:23] op_sel_hi:[1,0,1]
	v_pk_add_f32 v[20:21], v[20:21], v[52:53]
	v_mov_b32_e32 v25, v19
	v_pk_add_f32 v[18:19], v[20:21], v[24:25]
	s_waitcnt vmcnt(3) lgkmcnt(3)
	v_pk_mul_f32 v[20:21], v[4:5], v[36:37] op_sel:[1,1] op_sel_hi:[0,1]
	v_pk_fma_f32 v[22:23], v[4:5], v[36:37], v[20:21] neg_lo:[0,0,1] neg_hi:[0,0,1]
	v_pk_fma_f32 v[4:5], v[4:5], v[36:37], v[20:21] op_sel_hi:[1,0,1]
	s_nop 0
	v_mov_b32_e32 v23, v5
	v_pk_add_f32 v[4:5], v[18:19], v[22:23]
	v_mov_b32_e32 v18, v39
	v_pk_mul_f32 v[18:19], v[6:7], v[18:19] op_sel:[1,0] op_sel_hi:[0,0]
	v_pk_fma_f32 v[20:21], v[6:7], v[38:39], v[18:19] neg_lo:[0,0,1] neg_hi:[0,0,1]
	v_pk_fma_f32 v[6:7], v[6:7], v[38:39], v[18:19] op_sel_hi:[1,0,1]
	s_nop 0
	v_mov_b32_e32 v21, v7
	s_waitcnt vmcnt(2) lgkmcnt(2)
	v_pk_mul_f32 v[6:7], v[8:9], v[40:41] op_sel:[1,1] op_sel_hi:[0,1]
	v_pk_fma_f32 v[18:19], v[8:9], v[40:41], v[6:7] neg_lo:[0,0,1] neg_hi:[0,0,1]
	v_pk_fma_f32 v[6:7], v[8:9], v[40:41], v[6:7] op_sel_hi:[1,0,1]
	v_pk_add_f32 v[4:5], v[4:5], v[20:21]
	v_mov_b32_e32 v6, v43
	v_mov_b32_e32 v19, v7
	v_pk_mul_f32 v[6:7], v[10:11], v[6:7] op_sel:[1,0] op_sel_hi:[0,0]
	v_pk_fma_f32 v[8:9], v[10:11], v[42:43], v[6:7] neg_lo:[0,0,1] neg_hi:[0,0,1]
	v_pk_fma_f32 v[6:7], v[10:11], v[42:43], v[6:7] op_sel_hi:[1,0,1]
	v_pk_add_f32 v[4:5], v[4:5], v[18:19]
	v_mov_b32_e32 v9, v7
	s_waitcnt vmcnt(1) lgkmcnt(1)
	v_pk_mul_f32 v[6:7], v[12:13], v[44:45] op_sel:[1,1] op_sel_hi:[0,1]
	v_pk_add_f32 v[4:5], v[4:5], v[8:9]
	v_pk_fma_f32 v[8:9], v[12:13], v[44:45], v[6:7] neg_lo:[0,0,1] neg_hi:[0,0,1]
	v_pk_fma_f32 v[6:7], v[12:13], v[44:45], v[6:7] op_sel_hi:[1,0,1]
	s_nop 0
	v_mov_b32_e32 v6, v47
	v_mov_b32_e32 v9, v7
	v_pk_mul_f32 v[6:7], v[14:15], v[6:7] op_sel:[1,0] op_sel_hi:[0,0]
	v_pk_add_f32 v[4:5], v[4:5], v[8:9]
	v_pk_fma_f32 v[8:9], v[14:15], v[46:47], v[6:7] neg_lo:[0,0,1] neg_hi:[0,0,1]
	v_pk_fma_f32 v[6:7], v[14:15], v[46:47], v[6:7] op_sel_hi:[1,0,1]
	s_nop 0
	v_mov_b32_e32 v9, v7
	s_waitcnt vmcnt(0) lgkmcnt(0)
	v_pk_mul_f32 v[6:7], v[16:17], v[54:55] op_sel:[1,1] op_sel_hi:[0,1]
	v_pk_add_f32 v[4:5], v[4:5], v[8:9]
	v_pk_fma_f32 v[8:9], v[16:17], v[54:55], v[6:7] neg_lo:[0,0,1] neg_hi:[0,0,1]
	v_pk_fma_f32 v[6:7], v[16:17], v[54:55], v[6:7] op_sel_hi:[1,0,1]
	s_nop 0
	v_mov_b32_e32 v9, v7
	scratch_load_dwordx2 v[6:7], off, off offset:136
	v_pk_add_f32 v[4:5], v[4:5], v[8:9]
	s_waitcnt vmcnt(0)
	v_pk_add_f32 v[4:5], v[6:7], v[4:5] neg_lo:[0,1] neg_hi:[0,1]
	scratch_store_dwordx2 off, v[4:5], off offset:136
	s_and_saveexec_b64 s[0:1], vcc
	s_cbranch_execz .LBB32_179
; %bb.178:
	scratch_load_dwordx2 v[4:5], off, off offset:128
	v_mov_b32_e32 v3, v2
	scratch_store_dwordx2 off, v[2:3], off offset:128
	s_waitcnt vmcnt(1)
	ds_write_b64 v1, v[4:5]
.LBB32_179:
	s_or_b64 exec, exec, s[0:1]
	s_waitcnt lgkmcnt(0)
	; wave barrier
	scratch_load_dwordx4 v[8:11], off, off offset:136
	scratch_load_dwordx4 v[16:19], off, off offset:152
	;; [unrolled: 1-line block ×4, first 2 shown]
	ds_read2_b64 v[4:7], v2 offset0:51 offset1:52
	v_cmp_lt_u32_e32 vcc, 15, v0
	s_waitcnt vmcnt(3) lgkmcnt(0)
	v_mul_f32_e32 v3, v4, v9
	v_fmac_f32_e32 v3, v5, v8
	v_mul_f32_e32 v12, v6, v11
	v_add_f32_e32 v3, 0, v3
	v_fmac_f32_e32 v12, v7, v10
	v_add_f32_e32 v3, v3, v12
	ds_read2_b64 v[12:15], v2 offset0:53 offset1:54
	s_waitcnt vmcnt(2) lgkmcnt(0)
	v_mul_f32_e32 v20, v12, v17
	v_fmac_f32_e32 v20, v13, v16
	v_add_f32_e32 v3, v3, v20
	v_mul_f32_e32 v20, v14, v19
	v_fmac_f32_e32 v20, v15, v18
	v_add_f32_e32 v3, v3, v20
	ds_read2_b64 v[20:23], v2 offset0:55 offset1:56
	s_waitcnt vmcnt(1) lgkmcnt(0)
	v_mul_f32_e32 v28, v20, v25
	v_fmac_f32_e32 v28, v21, v24
	v_add_f32_e32 v3, v3, v28
	v_mul_f32_e32 v28, v22, v27
	v_fmac_f32_e32 v28, v23, v26
	v_add_f32_e32 v53, v3, v28
	ds_read2_b64 v[28:31], v2 offset0:57 offset1:58
	scratch_load_dwordx4 v[36:39], off, off offset:200
	scratch_load_dwordx4 v[40:43], off, off offset:216
	;; [unrolled: 1-line block ×4, first 2 shown]
	v_mul_f32_e32 v3, v5, v9
	v_fma_f32 v3, v4, v8, -v3
	v_mul_f32_e32 v4, v7, v11
	v_add_f32_e32 v3, 0, v3
	v_fma_f32 v4, v6, v10, -v4
	v_add_f32_e32 v3, v3, v4
	v_mul_f32_e32 v4, v13, v17
	v_fma_f32 v4, v12, v16, -v4
	v_add_f32_e32 v3, v3, v4
	v_mul_f32_e32 v4, v15, v19
	;; [unrolled: 3-line block ×4, first 2 shown]
	v_fma_f32 v4, v22, v26, -v4
	v_add_f32_e32 v52, v3, v4
	ds_read2_b64 v[4:7], v2 offset0:59 offset1:60
	ds_read2_b64 v[8:11], v2 offset0:61 offset1:62
	;; [unrolled: 1-line block ×4, first 2 shown]
	s_waitcnt vmcnt(4) lgkmcnt(4)
	v_mul_f32_e32 v55, v28, v33
	v_mul_f32_e32 v3, v29, v33
	v_fmac_f32_e32 v55, v29, v32
	v_mul_f32_e32 v57, v30, v35
	v_fma_f32 v54, v28, v32, -v3
	v_mul_f32_e32 v3, v31, v35
	v_fmac_f32_e32 v57, v31, v34
	v_fma_f32 v56, v30, v34, -v3
	v_pk_add_f32 v[2:3], v[52:53], v[54:55]
	s_waitcnt vmcnt(3) lgkmcnt(3)
	v_pk_mul_f32 v[20:21], v[4:5], v[36:37] op_sel:[1,1] op_sel_hi:[0,1]
	v_pk_fma_f32 v[22:23], v[4:5], v[36:37], v[20:21] neg_lo:[0,0,1] neg_hi:[0,0,1]
	v_pk_fma_f32 v[4:5], v[4:5], v[36:37], v[20:21] op_sel_hi:[1,0,1]
	v_pk_add_f32 v[2:3], v[2:3], v[56:57]
	v_mov_b32_e32 v4, v39
	v_mov_b32_e32 v23, v5
	v_pk_mul_f32 v[4:5], v[6:7], v[4:5] op_sel:[1,0] op_sel_hi:[0,0]
	v_pk_fma_f32 v[20:21], v[6:7], v[38:39], v[4:5] neg_lo:[0,0,1] neg_hi:[0,0,1]
	v_pk_fma_f32 v[4:5], v[6:7], v[38:39], v[4:5] op_sel_hi:[1,0,1]
	v_pk_add_f32 v[2:3], v[2:3], v[22:23]
	v_mov_b32_e32 v21, v5
	s_waitcnt vmcnt(2) lgkmcnt(2)
	v_pk_mul_f32 v[4:5], v[8:9], v[40:41] op_sel:[1,1] op_sel_hi:[0,1]
	v_pk_fma_f32 v[6:7], v[8:9], v[40:41], v[4:5] neg_lo:[0,0,1] neg_hi:[0,0,1]
	v_pk_fma_f32 v[4:5], v[8:9], v[40:41], v[4:5] op_sel_hi:[1,0,1]
	v_pk_add_f32 v[2:3], v[2:3], v[20:21]
	v_mov_b32_e32 v4, v43
	v_mov_b32_e32 v7, v5
	v_pk_mul_f32 v[4:5], v[10:11], v[4:5] op_sel:[1,0] op_sel_hi:[0,0]
	v_pk_add_f32 v[2:3], v[2:3], v[6:7]
	v_pk_fma_f32 v[6:7], v[10:11], v[42:43], v[4:5] neg_lo:[0,0,1] neg_hi:[0,0,1]
	v_pk_fma_f32 v[4:5], v[10:11], v[42:43], v[4:5] op_sel_hi:[1,0,1]
	s_nop 0
	v_mov_b32_e32 v7, v5
	s_waitcnt vmcnt(1) lgkmcnt(1)
	v_pk_mul_f32 v[4:5], v[12:13], v[44:45] op_sel:[1,1] op_sel_hi:[0,1]
	v_pk_add_f32 v[2:3], v[2:3], v[6:7]
	v_pk_fma_f32 v[6:7], v[12:13], v[44:45], v[4:5] neg_lo:[0,0,1] neg_hi:[0,0,1]
	v_pk_fma_f32 v[4:5], v[12:13], v[44:45], v[4:5] op_sel_hi:[1,0,1]
	s_nop 0
	v_mov_b32_e32 v4, v47
	v_mov_b32_e32 v7, v5
	v_pk_mul_f32 v[4:5], v[14:15], v[4:5] op_sel:[1,0] op_sel_hi:[0,0]
	v_pk_add_f32 v[2:3], v[2:3], v[6:7]
	v_pk_fma_f32 v[6:7], v[14:15], v[46:47], v[4:5] neg_lo:[0,0,1] neg_hi:[0,0,1]
	v_pk_fma_f32 v[4:5], v[14:15], v[46:47], v[4:5] op_sel_hi:[1,0,1]
	s_nop 0
	v_mov_b32_e32 v7, v5
	s_waitcnt vmcnt(0) lgkmcnt(0)
	v_pk_mul_f32 v[4:5], v[16:17], v[48:49] op_sel:[1,1] op_sel_hi:[0,1]
	v_pk_add_f32 v[2:3], v[2:3], v[6:7]
	v_pk_fma_f32 v[6:7], v[16:17], v[48:49], v[4:5] neg_lo:[0,0,1] neg_hi:[0,0,1]
	v_pk_fma_f32 v[4:5], v[16:17], v[48:49], v[4:5] op_sel_hi:[1,0,1]
	s_nop 0
	v_mov_b32_e32 v4, v51
	v_mov_b32_e32 v7, v5
	v_pk_mul_f32 v[4:5], v[18:19], v[4:5] op_sel:[1,0] op_sel_hi:[0,0]
	v_pk_add_f32 v[2:3], v[2:3], v[6:7]
	v_pk_fma_f32 v[6:7], v[18:19], v[50:51], v[4:5] neg_lo:[0,0,1] neg_hi:[0,0,1]
	v_pk_fma_f32 v[4:5], v[18:19], v[50:51], v[4:5] op_sel_hi:[1,0,1]
	s_nop 0
	v_mov_b32_e32 v7, v5
	scratch_load_dwordx2 v[4:5], off, off offset:128
	v_pk_add_f32 v[2:3], v[2:3], v[6:7]
	s_waitcnt vmcnt(0)
	v_pk_add_f32 v[2:3], v[4:5], v[2:3] neg_lo:[0,1] neg_hi:[0,1]
	scratch_store_dwordx2 off, v[2:3], off offset:128
	s_and_saveexec_b64 s[0:1], vcc
	s_cbranch_execz .LBB32_181
; %bb.180:
	scratch_load_dwordx2 v[2:3], off, off offset:120
	v_mov_b32_e32 v4, 0
	v_mov_b32_e32 v5, v4
	scratch_store_dwordx2 off, v[4:5], off offset:120
	s_waitcnt vmcnt(1)
	ds_write_b64 v1, v[2:3]
.LBB32_181:
	s_or_b64 exec, exec, s[0:1]
	v_mov_b32_e32 v2, 0
	s_waitcnt lgkmcnt(0)
	; wave barrier
	ds_read_b128 v[4:7], v2 offset:400
	ds_read_b128 v[8:11], v2 offset:416
	;; [unrolled: 1-line block ×4, first 2 shown]
	scratch_load_dwordx4 v[20:23], off, off offset:128
	scratch_load_dwordx4 v[40:43], off, off offset:192
	v_cmp_lt_u32_e32 vcc, 14, v0
	s_waitcnt vmcnt(1) lgkmcnt(3)
	v_mul_f32_e32 v3, v4, v21
	v_fmac_f32_e32 v3, v5, v20
	v_mul_f32_e32 v24, v6, v23
	v_add_f32_e32 v3, 0, v3
	v_fmac_f32_e32 v24, v7, v22
	v_add_f32_e32 v3, v3, v24
	scratch_load_dwordx4 v[24:27], off, off offset:144
	s_waitcnt vmcnt(0) lgkmcnt(2)
	v_mul_f32_e32 v28, v8, v25
	v_fmac_f32_e32 v28, v9, v24
	v_add_f32_e32 v3, v3, v28
	v_mul_f32_e32 v28, v10, v27
	v_fmac_f32_e32 v28, v11, v26
	v_add_f32_e32 v3, v3, v28
	scratch_load_dwordx4 v[28:31], off, off offset:160
	s_waitcnt vmcnt(0) lgkmcnt(1)
	v_mul_f32_e32 v32, v12, v29
	v_fmac_f32_e32 v32, v13, v28
	v_add_f32_e32 v3, v3, v32
	v_mul_f32_e32 v32, v14, v31
	v_fmac_f32_e32 v32, v15, v30
	v_add_f32_e32 v3, v3, v32
	scratch_load_dwordx4 v[32:35], off, off offset:176
	s_waitcnt vmcnt(0) lgkmcnt(0)
	v_mul_f32_e32 v36, v16, v33
	v_fmac_f32_e32 v36, v17, v32
	v_add_f32_e32 v57, v3, v36
	ds_read_b128 v[36:39], v2 offset:464
	scratch_load_dwordx4 v[44:47], off, off offset:208
	scratch_load_dwordx4 v[48:51], off, off offset:224
	;; [unrolled: 1-line block ×3, first 2 shown]
	scratch_load_dwordx2 v[62:63], off, off offset:256
	v_mul_f32_e32 v3, v5, v21
	v_fma_f32 v3, v4, v20, -v3
	v_mul_f32_e32 v4, v7, v23
	v_add_f32_e32 v3, 0, v3
	v_fma_f32 v4, v6, v22, -v4
	v_add_f32_e32 v3, v3, v4
	v_mul_f32_e32 v4, v9, v25
	v_fma_f32 v4, v8, v24, -v4
	v_add_f32_e32 v3, v3, v4
	v_mul_f32_e32 v4, v11, v27
	;; [unrolled: 3-line block ×5, first 2 shown]
	v_fma_f32 v4, v16, v32, -v4
	v_mul_f32_e32 v59, v18, v35
	v_add_f32_e32 v56, v3, v4
	v_mul_f32_e32 v3, v19, v35
	v_mov_b32_e32 v20, v43
	v_fmac_f32_e32 v59, v19, v34
	s_waitcnt lgkmcnt(0)
	v_mul_f32_e32 v61, v36, v41
	v_fma_f32 v58, v18, v34, -v3
	v_mul_f32_e32 v3, v37, v41
	ds_read_b128 v[4:7], v2 offset:480
	ds_read_b128 v[8:11], v2 offset:496
	;; [unrolled: 1-line block ×3, first 2 shown]
	ds_read_b64 v[16:17], v2 offset:528
	v_pk_mul_f32 v[20:21], v[38:39], v[20:21] op_sel:[1,0] op_sel_hi:[0,0]
	v_fmac_f32_e32 v61, v37, v40
	v_fma_f32 v60, v36, v40, -v3
	v_pk_add_f32 v[18:19], v[56:57], v[58:59]
	v_pk_fma_f32 v[22:23], v[38:39], v[42:43], v[20:21] neg_lo:[0,0,1] neg_hi:[0,0,1]
	v_pk_fma_f32 v[20:21], v[38:39], v[42:43], v[20:21] op_sel_hi:[1,0,1]
	v_pk_add_f32 v[18:19], v[18:19], v[60:61]
	v_mov_b32_e32 v23, v21
	v_pk_add_f32 v[18:19], v[18:19], v[22:23]
	s_waitcnt vmcnt(3) lgkmcnt(3)
	v_pk_mul_f32 v[20:21], v[4:5], v[44:45] op_sel:[1,1] op_sel_hi:[0,1]
	v_pk_fma_f32 v[22:23], v[4:5], v[44:45], v[20:21] neg_lo:[0,0,1] neg_hi:[0,0,1]
	v_pk_fma_f32 v[4:5], v[4:5], v[44:45], v[20:21] op_sel_hi:[1,0,1]
	s_nop 0
	v_mov_b32_e32 v23, v5
	v_pk_add_f32 v[4:5], v[18:19], v[22:23]
	v_mov_b32_e32 v18, v47
	v_pk_mul_f32 v[18:19], v[6:7], v[18:19] op_sel:[1,0] op_sel_hi:[0,0]
	v_pk_fma_f32 v[20:21], v[6:7], v[46:47], v[18:19] neg_lo:[0,0,1] neg_hi:[0,0,1]
	v_pk_fma_f32 v[6:7], v[6:7], v[46:47], v[18:19] op_sel_hi:[1,0,1]
	s_nop 0
	v_mov_b32_e32 v21, v7
	s_waitcnt vmcnt(2) lgkmcnt(2)
	v_pk_mul_f32 v[6:7], v[8:9], v[48:49] op_sel:[1,1] op_sel_hi:[0,1]
	v_pk_fma_f32 v[18:19], v[8:9], v[48:49], v[6:7] neg_lo:[0,0,1] neg_hi:[0,0,1]
	v_pk_fma_f32 v[6:7], v[8:9], v[48:49], v[6:7] op_sel_hi:[1,0,1]
	v_pk_add_f32 v[4:5], v[4:5], v[20:21]
	v_mov_b32_e32 v6, v51
	v_mov_b32_e32 v19, v7
	v_pk_mul_f32 v[6:7], v[10:11], v[6:7] op_sel:[1,0] op_sel_hi:[0,0]
	v_pk_fma_f32 v[8:9], v[10:11], v[50:51], v[6:7] neg_lo:[0,0,1] neg_hi:[0,0,1]
	v_pk_fma_f32 v[6:7], v[10:11], v[50:51], v[6:7] op_sel_hi:[1,0,1]
	v_pk_add_f32 v[4:5], v[4:5], v[18:19]
	v_mov_b32_e32 v9, v7
	s_waitcnt vmcnt(1) lgkmcnt(1)
	v_pk_mul_f32 v[6:7], v[12:13], v[52:53] op_sel:[1,1] op_sel_hi:[0,1]
	v_pk_add_f32 v[4:5], v[4:5], v[8:9]
	v_pk_fma_f32 v[8:9], v[12:13], v[52:53], v[6:7] neg_lo:[0,0,1] neg_hi:[0,0,1]
	v_pk_fma_f32 v[6:7], v[12:13], v[52:53], v[6:7] op_sel_hi:[1,0,1]
	s_nop 0
	v_mov_b32_e32 v6, v55
	v_mov_b32_e32 v9, v7
	v_pk_mul_f32 v[6:7], v[14:15], v[6:7] op_sel:[1,0] op_sel_hi:[0,0]
	v_pk_add_f32 v[4:5], v[4:5], v[8:9]
	v_pk_fma_f32 v[8:9], v[14:15], v[54:55], v[6:7] neg_lo:[0,0,1] neg_hi:[0,0,1]
	v_pk_fma_f32 v[6:7], v[14:15], v[54:55], v[6:7] op_sel_hi:[1,0,1]
	s_nop 0
	v_mov_b32_e32 v9, v7
	s_waitcnt vmcnt(0) lgkmcnt(0)
	v_pk_mul_f32 v[6:7], v[16:17], v[62:63] op_sel:[1,1] op_sel_hi:[0,1]
	v_pk_add_f32 v[4:5], v[4:5], v[8:9]
	v_pk_fma_f32 v[8:9], v[16:17], v[62:63], v[6:7] neg_lo:[0,0,1] neg_hi:[0,0,1]
	v_pk_fma_f32 v[6:7], v[16:17], v[62:63], v[6:7] op_sel_hi:[1,0,1]
	s_nop 0
	v_mov_b32_e32 v9, v7
	scratch_load_dwordx2 v[6:7], off, off offset:120
	v_pk_add_f32 v[4:5], v[4:5], v[8:9]
	s_waitcnt vmcnt(0)
	v_pk_add_f32 v[4:5], v[6:7], v[4:5] neg_lo:[0,1] neg_hi:[0,1]
	scratch_store_dwordx2 off, v[4:5], off offset:120
	s_and_saveexec_b64 s[0:1], vcc
	s_cbranch_execz .LBB32_183
; %bb.182:
	scratch_load_dwordx2 v[4:5], off, off offset:112
	v_mov_b32_e32 v3, v2
	scratch_store_dwordx2 off, v[2:3], off offset:112
	s_waitcnt vmcnt(1)
	ds_write_b64 v1, v[4:5]
.LBB32_183:
	s_or_b64 exec, exec, s[0:1]
	s_waitcnt lgkmcnt(0)
	; wave barrier
	scratch_load_dwordx4 v[4:7], off, off offset:120
	scratch_load_dwordx4 v[8:11], off, off offset:136
	;; [unrolled: 1-line block ×7, first 2 shown]
	ds_read2_b64 v[32:35], v2 offset0:49 offset1:50
	ds_read2_b64 v[36:39], v2 offset0:51 offset1:52
	;; [unrolled: 1-line block ×4, first 2 shown]
	scratch_load_dwordx4 v[48:51], off, off offset:232
	scratch_load_dwordx4 v[52:55], off, off offset:248
	ds_read2_b64 v[56:59], v2 offset0:57 offset1:58
	ds_read2_b64 v[60:63], v2 offset0:59 offset1:60
	;; [unrolled: 1-line block ×5, first 2 shown]
	scratch_load_dwordx2 v[2:3], off, off offset:112
	v_cmp_lt_u32_e32 vcc, 13, v0
	s_waitcnt vmcnt(9) lgkmcnt(8)
	v_mul_f32_e32 v83, v32, v5
	v_mul_f32_e32 v86, v34, v7
	s_waitcnt vmcnt(8) lgkmcnt(7)
	v_mul_f32_e32 v87, v36, v9
	s_waitcnt vmcnt(7) lgkmcnt(6)
	v_mul_f32_e32 v89, v40, v13
	v_mul_f32_e32 v5, v33, v5
	v_mul_f32_e32 v7, v35, v7
	v_mul_f32_e32 v9, v37, v9
	v_mul_f32_e32 v13, v41, v13
	s_waitcnt vmcnt(4) lgkmcnt(3)
	v_pk_mul_f32 v[80:81], v[60:61], v[24:25] op_sel:[1,1] op_sel_hi:[0,1]
	v_mov_b32_e32 v82, v27
	s_waitcnt vmcnt(3) lgkmcnt(2)
	v_pk_mul_f32 v[84:85], v[64:65], v[28:29] op_sel:[1,1] op_sel_hi:[0,1]
	v_fmac_f32_e32 v83, v33, v4
	v_mul_f32_e32 v90, v42, v15
	v_mul_f32_e32 v91, v44, v17
	;; [unrolled: 1-line block ×4, first 2 shown]
	v_fmac_f32_e32 v86, v35, v6
	v_fmac_f32_e32 v87, v37, v8
	;; [unrolled: 1-line block ×3, first 2 shown]
	v_fma_f32 v32, v32, v4, -v5
	v_fma_f32 v33, v34, v6, -v7
	;; [unrolled: 1-line block ×4, first 2 shown]
	v_pk_fma_f32 v[4:5], v[60:61], v[24:25], v[80:81] neg_lo:[0,0,1] neg_hi:[0,0,1]
	v_pk_fma_f32 v[6:7], v[60:61], v[24:25], v[80:81] op_sel_hi:[1,0,1]
	v_pk_mul_f32 v[8:9], v[62:63], v[82:83] op_sel:[1,0] op_sel_hi:[0,0]
	v_pk_fma_f32 v[12:13], v[64:65], v[28:29], v[84:85] op_sel_hi:[1,0,1]
	v_fmac_f32_e32 v90, v43, v14
	v_fma_f32 v14, v42, v14, -v15
	v_fma_f32 v15, v44, v16, -v17
	v_add_f32_e32 v12, 0, v83
	v_add_f32_e32 v17, 0, v32
	v_mov_b32_e32 v5, v7
	v_pk_fma_f32 v[6:7], v[62:63], v[26:27], v[8:9] neg_lo:[0,0,1] neg_hi:[0,0,1]
	v_pk_fma_f32 v[8:9], v[62:63], v[26:27], v[8:9] op_sel_hi:[1,0,1]
	v_mul_f32_e32 v88, v38, v11
	v_mul_f32_e32 v11, v39, v11
	v_add_f32_e32 v8, v12, v86
	v_add_f32_e32 v12, v17, v33
	v_fmac_f32_e32 v88, v39, v10
	v_fma_f32 v35, v38, v10, -v11
	v_mov_b32_e32 v7, v9
	v_add_f32_e32 v8, v8, v87
	v_add_f32_e32 v9, v12, v34
	;; [unrolled: 1-line block ×6, first 2 shown]
	v_mul_f32_e32 v92, v46, v19
	v_mul_f32_e32 v19, v47, v19
	v_fmac_f32_e32 v91, v45, v16
	v_add_f32_e32 v8, v8, v90
	v_add_f32_e32 v9, v9, v14
	v_mul_f32_e32 v77, v56, v21
	v_mul_f32_e32 v21, v57, v21
	v_fmac_f32_e32 v92, v47, v18
	v_fma_f32 v16, v46, v18, -v19
	v_add_f32_e32 v8, v8, v91
	v_add_f32_e32 v12, v9, v15
	v_mul_f32_e32 v79, v58, v23
	v_mul_f32_e32 v23, v59, v23
	v_fmac_f32_e32 v77, v57, v20
	v_fma_f32 v76, v56, v20, -v21
	v_add_f32_e32 v9, v8, v92
	v_add_f32_e32 v8, v12, v16
	v_fmac_f32_e32 v79, v59, v22
	v_fma_f32 v78, v58, v22, -v23
	v_pk_add_f32 v[8:9], v[8:9], v[76:77]
	v_pk_fma_f32 v[10:11], v[64:65], v[28:29], v[84:85] neg_lo:[0,0,1] neg_hi:[0,0,1]
	v_pk_add_f32 v[8:9], v[8:9], v[78:79]
	v_mov_b32_e32 v11, v13
	v_pk_add_f32 v[4:5], v[8:9], v[4:5]
	s_nop 0
	v_pk_add_f32 v[4:5], v[4:5], v[6:7]
	v_mov_b32_e32 v6, v31
	v_pk_mul_f32 v[6:7], v[66:67], v[6:7] op_sel:[1,0] op_sel_hi:[0,0]
	v_pk_fma_f32 v[8:9], v[66:67], v[30:31], v[6:7] neg_lo:[0,0,1] neg_hi:[0,0,1]
	v_pk_fma_f32 v[6:7], v[66:67], v[30:31], v[6:7] op_sel_hi:[1,0,1]
	v_pk_add_f32 v[4:5], v[4:5], v[10:11]
	v_mov_b32_e32 v9, v7
	s_waitcnt vmcnt(2) lgkmcnt(1)
	v_pk_mul_f32 v[6:7], v[68:69], v[48:49] op_sel:[1,1] op_sel_hi:[0,1]
	v_pk_add_f32 v[4:5], v[4:5], v[8:9]
	v_pk_fma_f32 v[8:9], v[68:69], v[48:49], v[6:7] neg_lo:[0,0,1] neg_hi:[0,0,1]
	v_pk_fma_f32 v[6:7], v[68:69], v[48:49], v[6:7] op_sel_hi:[1,0,1]
	s_nop 0
	v_mov_b32_e32 v6, v51
	v_mov_b32_e32 v9, v7
	v_pk_mul_f32 v[6:7], v[70:71], v[6:7] op_sel:[1,0] op_sel_hi:[0,0]
	v_pk_add_f32 v[4:5], v[4:5], v[8:9]
	v_pk_fma_f32 v[8:9], v[70:71], v[50:51], v[6:7] neg_lo:[0,0,1] neg_hi:[0,0,1]
	v_pk_fma_f32 v[6:7], v[70:71], v[50:51], v[6:7] op_sel_hi:[1,0,1]
	s_nop 0
	v_mov_b32_e32 v9, v7
	s_waitcnt vmcnt(1) lgkmcnt(0)
	v_pk_mul_f32 v[6:7], v[72:73], v[52:53] op_sel:[1,1] op_sel_hi:[0,1]
	v_pk_add_f32 v[4:5], v[4:5], v[8:9]
	v_pk_fma_f32 v[8:9], v[72:73], v[52:53], v[6:7] neg_lo:[0,0,1] neg_hi:[0,0,1]
	v_pk_fma_f32 v[6:7], v[72:73], v[52:53], v[6:7] op_sel_hi:[1,0,1]
	s_nop 0
	v_mov_b32_e32 v6, v55
	v_mov_b32_e32 v9, v7
	v_pk_mul_f32 v[6:7], v[74:75], v[6:7] op_sel:[1,0] op_sel_hi:[0,0]
	v_pk_add_f32 v[4:5], v[4:5], v[8:9]
	v_pk_fma_f32 v[8:9], v[74:75], v[54:55], v[6:7] neg_lo:[0,0,1] neg_hi:[0,0,1]
	v_pk_fma_f32 v[6:7], v[74:75], v[54:55], v[6:7] op_sel_hi:[1,0,1]
	s_nop 0
	v_mov_b32_e32 v9, v7
	v_pk_add_f32 v[4:5], v[4:5], v[8:9]
	s_waitcnt vmcnt(0)
	v_pk_add_f32 v[2:3], v[2:3], v[4:5] neg_lo:[0,1] neg_hi:[0,1]
	scratch_store_dwordx2 off, v[2:3], off offset:112
	s_and_saveexec_b64 s[0:1], vcc
	s_cbranch_execz .LBB32_185
; %bb.184:
	scratch_load_dwordx2 v[2:3], off, off offset:104
	v_mov_b32_e32 v4, 0
	v_mov_b32_e32 v5, v4
	scratch_store_dwordx2 off, v[4:5], off offset:104
	s_waitcnt vmcnt(1)
	ds_write_b64 v1, v[2:3]
.LBB32_185:
	s_or_b64 exec, exec, s[0:1]
	s_waitcnt lgkmcnt(0)
	; wave barrier
	scratch_load_dwordx4 v[4:7], off, off offset:112
	scratch_load_dwordx4 v[8:11], off, off offset:128
	;; [unrolled: 1-line block ×9, first 2 shown]
	scratch_load_dwordx2 v[76:77], off, off offset:256
	scratch_load_dwordx2 v[78:79], off, off offset:104
	v_mov_b32_e32 v2, 0
	ds_read_b128 v[40:43], v2 offset:384
	ds_read_b128 v[44:47], v2 offset:400
	;; [unrolled: 1-line block ×9, first 2 shown]
	ds_read_b64 v[80:81], v2 offset:528
	v_cmp_lt_u32_e32 vcc, 12, v0
	s_waitcnt vmcnt(10) lgkmcnt(9)
	v_mul_f32_e32 v87, v42, v7
	v_mul_f32_e32 v3, v40, v5
	;; [unrolled: 1-line block ×3, first 2 shown]
	v_fmac_f32_e32 v87, v43, v6
	s_waitcnt vmcnt(9) lgkmcnt(8)
	v_mul_f32_e32 v88, v44, v9
	s_waitcnt vmcnt(5)
	v_mov_b32_e32 v86, v27
	v_mul_f32_e32 v89, v46, v11
	s_waitcnt lgkmcnt(7)
	v_mul_f32_e32 v91, v50, v15
	v_mul_f32_e32 v7, v43, v7
	;; [unrolled: 1-line block ×5, first 2 shown]
	v_fmac_f32_e32 v3, v41, v4
	v_fma_f32 v40, v40, v4, -v5
	s_waitcnt lgkmcnt(4)
	v_pk_mul_f32 v[4:5], v[62:63], v[86:87] op_sel:[1,0] op_sel_hi:[0,0]
	v_fmac_f32_e32 v88, v45, v8
	v_fma_f32 v41, v42, v6, -v7
	v_fma_f32 v8, v44, v8, -v9
	;; [unrolled: 1-line block ×4, first 2 shown]
	v_add_f32_e32 v3, 0, v3
	v_add_f32_e32 v15, 0, v40
	v_pk_fma_f32 v[6:7], v[62:63], v[26:27], v[4:5] neg_lo:[0,0,1] neg_hi:[0,0,1]
	v_pk_fma_f32 v[4:5], v[62:63], v[26:27], v[4:5] op_sel_hi:[1,0,1]
	v_add_f32_e32 v3, v3, v87
	v_add_f32_e32 v4, v15, v41
	v_mul_f32_e32 v90, v48, v13
	v_mul_f32_e32 v13, v49, v13
	v_fmac_f32_e32 v89, v47, v10
	v_add_f32_e32 v3, v3, v88
	v_add_f32_e32 v4, v4, v8
	v_fmac_f32_e32 v90, v49, v12
	v_fma_f32 v10, v48, v12, -v13
	v_add_f32_e32 v3, v3, v89
	v_add_f32_e32 v4, v4, v9
	v_mul_f32_e32 v92, v52, v17
	v_mul_f32_e32 v17, v53, v17
	v_fmac_f32_e32 v91, v51, v14
	v_add_f32_e32 v3, v3, v90
	v_add_f32_e32 v4, v4, v10
	v_mul_f32_e32 v93, v54, v19
	v_mul_f32_e32 v19, v55, v19
	v_fmac_f32_e32 v92, v53, v16
	v_fma_f32 v12, v52, v16, -v17
	v_add_f32_e32 v3, v3, v91
	v_add_f32_e32 v4, v4, v11
	v_mul_f32_e32 v94, v56, v21
	v_mul_f32_e32 v21, v57, v21
	v_fmac_f32_e32 v93, v55, v18
	v_fma_f32 v13, v54, v18, -v19
	;; [unrolled: 6-line block ×4, first 2 shown]
	v_mov_b32_e32 v7, v5
	v_add_f32_e32 v5, v3, v94
	v_add_f32_e32 v4, v4, v14
	v_fmac_f32_e32 v85, v61, v24
	v_fma_f32 v84, v60, v24, -v25
	v_pk_add_f32 v[4:5], v[4:5], v[82:83]
	s_nop 0
	v_pk_add_f32 v[4:5], v[4:5], v[84:85]
	s_nop 0
	v_pk_add_f32 v[4:5], v[4:5], v[6:7]
	s_waitcnt vmcnt(4) lgkmcnt(3)
	v_pk_mul_f32 v[6:7], v[64:65], v[28:29] op_sel:[1,1] op_sel_hi:[0,1]
	v_pk_fma_f32 v[8:9], v[64:65], v[28:29], v[6:7] neg_lo:[0,0,1] neg_hi:[0,0,1]
	v_pk_fma_f32 v[6:7], v[64:65], v[28:29], v[6:7] op_sel_hi:[1,0,1]
	s_nop 0
	v_mov_b32_e32 v6, v31
	v_mov_b32_e32 v9, v7
	v_pk_mul_f32 v[6:7], v[66:67], v[6:7] op_sel:[1,0] op_sel_hi:[0,0]
	v_pk_add_f32 v[4:5], v[4:5], v[8:9]
	v_pk_fma_f32 v[8:9], v[66:67], v[30:31], v[6:7] neg_lo:[0,0,1] neg_hi:[0,0,1]
	v_pk_fma_f32 v[6:7], v[66:67], v[30:31], v[6:7] op_sel_hi:[1,0,1]
	s_nop 0
	v_mov_b32_e32 v9, v7
	s_waitcnt vmcnt(3) lgkmcnt(2)
	v_pk_mul_f32 v[6:7], v[68:69], v[32:33] op_sel:[1,1] op_sel_hi:[0,1]
	v_pk_add_f32 v[4:5], v[4:5], v[8:9]
	v_pk_fma_f32 v[8:9], v[68:69], v[32:33], v[6:7] neg_lo:[0,0,1] neg_hi:[0,0,1]
	v_pk_fma_f32 v[6:7], v[68:69], v[32:33], v[6:7] op_sel_hi:[1,0,1]
	s_nop 0
	v_mov_b32_e32 v6, v35
	v_mov_b32_e32 v9, v7
	v_pk_mul_f32 v[6:7], v[70:71], v[6:7] op_sel:[1,0] op_sel_hi:[0,0]
	v_pk_add_f32 v[4:5], v[4:5], v[8:9]
	v_pk_fma_f32 v[8:9], v[70:71], v[34:35], v[6:7] neg_lo:[0,0,1] neg_hi:[0,0,1]
	v_pk_fma_f32 v[6:7], v[70:71], v[34:35], v[6:7] op_sel_hi:[1,0,1]
	s_nop 0
	v_mov_b32_e32 v9, v7
	s_waitcnt vmcnt(2) lgkmcnt(1)
	v_pk_mul_f32 v[6:7], v[72:73], v[36:37] op_sel:[1,1] op_sel_hi:[0,1]
	v_pk_add_f32 v[4:5], v[4:5], v[8:9]
	v_pk_fma_f32 v[8:9], v[72:73], v[36:37], v[6:7] neg_lo:[0,0,1] neg_hi:[0,0,1]
	v_pk_fma_f32 v[6:7], v[72:73], v[36:37], v[6:7] op_sel_hi:[1,0,1]
	s_nop 0
	v_mov_b32_e32 v6, v39
	v_mov_b32_e32 v9, v7
	v_pk_mul_f32 v[6:7], v[74:75], v[6:7] op_sel:[1,0] op_sel_hi:[0,0]
	v_pk_add_f32 v[4:5], v[4:5], v[8:9]
	v_pk_fma_f32 v[8:9], v[74:75], v[38:39], v[6:7] neg_lo:[0,0,1] neg_hi:[0,0,1]
	v_pk_fma_f32 v[6:7], v[74:75], v[38:39], v[6:7] op_sel_hi:[1,0,1]
	s_nop 0
	v_mov_b32_e32 v9, v7
	s_waitcnt vmcnt(1) lgkmcnt(0)
	v_pk_mul_f32 v[6:7], v[80:81], v[76:77] op_sel:[1,1] op_sel_hi:[0,1]
	v_pk_add_f32 v[4:5], v[4:5], v[8:9]
	v_pk_fma_f32 v[8:9], v[80:81], v[76:77], v[6:7] neg_lo:[0,0,1] neg_hi:[0,0,1]
	v_pk_fma_f32 v[6:7], v[80:81], v[76:77], v[6:7] op_sel_hi:[1,0,1]
	s_nop 0
	v_mov_b32_e32 v9, v7
	v_pk_add_f32 v[4:5], v[4:5], v[8:9]
	s_waitcnt vmcnt(0)
	v_pk_add_f32 v[4:5], v[78:79], v[4:5] neg_lo:[0,1] neg_hi:[0,1]
	scratch_store_dwordx2 off, v[4:5], off offset:104
	s_and_saveexec_b64 s[0:1], vcc
	s_cbranch_execz .LBB32_187
; %bb.186:
	scratch_load_dwordx2 v[4:5], off, off offset:96
	v_mov_b32_e32 v3, v2
	scratch_store_dwordx2 off, v[2:3], off offset:96
	s_waitcnt vmcnt(1)
	ds_write_b64 v1, v[4:5]
.LBB32_187:
	s_or_b64 exec, exec, s[0:1]
	s_waitcnt lgkmcnt(0)
	; wave barrier
	scratch_load_dwordx4 v[4:7], off, off offset:104
	scratch_load_dwordx4 v[8:11], off, off offset:120
	;; [unrolled: 1-line block ×7, first 2 shown]
	ds_read2_b64 v[32:35], v2 offset0:47 offset1:48
	ds_read2_b64 v[36:39], v2 offset0:49 offset1:50
	;; [unrolled: 1-line block ×6, first 2 shown]
	scratch_load_dwordx4 v[56:59], off, off offset:216
	scratch_load_dwordx4 v[60:63], off, off offset:232
	;; [unrolled: 1-line block ×3, first 2 shown]
	ds_read2_b64 v[68:71], v2 offset0:59 offset1:60
	ds_read2_b64 v[72:75], v2 offset0:61 offset1:62
	;; [unrolled: 1-line block ×4, first 2 shown]
	scratch_load_dwordx2 v[2:3], off, off offset:96
	v_cmp_lt_u32_e32 vcc, 11, v0
	s_waitcnt vmcnt(10) lgkmcnt(9)
	v_mul_f32_e32 v90, v32, v5
	v_mul_f32_e32 v5, v33, v5
	;; [unrolled: 1-line block ×3, first 2 shown]
	s_waitcnt vmcnt(9) lgkmcnt(8)
	v_mul_f32_e32 v92, v36, v9
	s_waitcnt vmcnt(8) lgkmcnt(7)
	v_mul_f32_e32 v95, v42, v15
	v_mul_f32_e32 v7, v35, v7
	;; [unrolled: 1-line block ×4, first 2 shown]
	v_fmac_f32_e32 v90, v33, v4
	v_fma_f32 v4, v32, v4, -v5
	v_fmac_f32_e32 v91, v35, v6
	v_fmac_f32_e32 v95, v43, v14
	v_fma_f32 v5, v34, v6, -v7
	v_fma_f32 v6, v36, v8, -v9
	;; [unrolled: 1-line block ×3, first 2 shown]
	v_add_f32_e32 v14, 0, v90
	v_add_f32_e32 v4, 0, v4
	v_mul_f32_e32 v93, v38, v11
	v_mul_f32_e32 v11, v39, v11
	v_fmac_f32_e32 v92, v37, v8
	v_add_f32_e32 v14, v14, v91
	v_add_f32_e32 v4, v4, v5
	v_mul_f32_e32 v94, v40, v13
	v_mul_f32_e32 v13, v41, v13
	v_fmac_f32_e32 v93, v39, v10
	v_fma_f32 v7, v38, v10, -v11
	v_add_f32_e32 v5, v14, v92
	v_add_f32_e32 v4, v4, v6
	v_fmac_f32_e32 v94, v41, v12
	v_fma_f32 v8, v40, v12, -v13
	v_add_f32_e32 v5, v5, v93
	v_add_f32_e32 v4, v4, v7
	s_waitcnt vmcnt(7) lgkmcnt(6)
	v_mul_f32_e32 v96, v44, v17
	v_mul_f32_e32 v17, v45, v17
	v_add_f32_e32 v5, v5, v94
	v_add_f32_e32 v4, v4, v8
	v_mul_f32_e32 v97, v46, v19
	v_mul_f32_e32 v19, v47, v19
	v_fmac_f32_e32 v96, v45, v16
	v_fma_f32 v10, v44, v16, -v17
	v_add_f32_e32 v5, v5, v95
	v_add_f32_e32 v4, v4, v9
	s_waitcnt vmcnt(6) lgkmcnt(5)
	v_mul_f32_e32 v98, v48, v21
	v_mul_f32_e32 v21, v49, v21
	v_fmac_f32_e32 v97, v47, v18
	v_fma_f32 v11, v46, v18, -v19
	v_add_f32_e32 v5, v5, v96
	v_add_f32_e32 v4, v4, v10
	v_mul_f32_e32 v99, v50, v23
	v_mul_f32_e32 v23, v51, v23
	v_fmac_f32_e32 v98, v49, v20
	v_fma_f32 v12, v48, v20, -v21
	v_add_f32_e32 v5, v5, v97
	v_add_f32_e32 v4, v4, v11
	s_waitcnt vmcnt(5) lgkmcnt(4)
	v_mul_f32_e32 v85, v52, v25
	v_mul_f32_e32 v25, v53, v25
	v_fmac_f32_e32 v99, v51, v22
	v_fma_f32 v13, v50, v22, -v23
	v_add_f32_e32 v5, v5, v98
	v_add_f32_e32 v4, v4, v12
	v_mul_f32_e32 v87, v54, v27
	v_mul_f32_e32 v27, v55, v27
	s_waitcnt vmcnt(4) lgkmcnt(3)
	v_pk_mul_f32 v[88:89], v[68:69], v[28:29] op_sel:[1,1] op_sel_hi:[0,1]
	v_fmac_f32_e32 v85, v53, v24
	v_fma_f32 v84, v52, v24, -v25
	v_add_f32_e32 v5, v5, v99
	v_add_f32_e32 v4, v4, v13
	v_fmac_f32_e32 v87, v55, v26
	v_fma_f32 v86, v54, v26, -v27
	v_pk_add_f32 v[4:5], v[4:5], v[84:85]
	v_pk_fma_f32 v[6:7], v[68:69], v[28:29], v[88:89] neg_lo:[0,0,1] neg_hi:[0,0,1]
	v_pk_fma_f32 v[8:9], v[68:69], v[28:29], v[88:89] op_sel_hi:[1,0,1]
	v_pk_add_f32 v[4:5], v[4:5], v[86:87]
	v_mov_b32_e32 v7, v9
	v_pk_add_f32 v[4:5], v[4:5], v[6:7]
	v_mov_b32_e32 v6, v31
	v_pk_mul_f32 v[6:7], v[70:71], v[6:7] op_sel:[1,0] op_sel_hi:[0,0]
	v_pk_fma_f32 v[8:9], v[70:71], v[30:31], v[6:7] neg_lo:[0,0,1] neg_hi:[0,0,1]
	v_pk_fma_f32 v[6:7], v[70:71], v[30:31], v[6:7] op_sel_hi:[1,0,1]
	s_nop 0
	v_mov_b32_e32 v9, v7
	s_waitcnt vmcnt(3) lgkmcnt(2)
	v_pk_mul_f32 v[6:7], v[72:73], v[56:57] op_sel:[1,1] op_sel_hi:[0,1]
	v_pk_add_f32 v[4:5], v[4:5], v[8:9]
	v_pk_fma_f32 v[8:9], v[72:73], v[56:57], v[6:7] neg_lo:[0,0,1] neg_hi:[0,0,1]
	v_pk_fma_f32 v[6:7], v[72:73], v[56:57], v[6:7] op_sel_hi:[1,0,1]
	s_nop 0
	v_mov_b32_e32 v6, v59
	v_mov_b32_e32 v9, v7
	v_pk_mul_f32 v[6:7], v[74:75], v[6:7] op_sel:[1,0] op_sel_hi:[0,0]
	v_pk_add_f32 v[4:5], v[4:5], v[8:9]
	v_pk_fma_f32 v[8:9], v[74:75], v[58:59], v[6:7] neg_lo:[0,0,1] neg_hi:[0,0,1]
	v_pk_fma_f32 v[6:7], v[74:75], v[58:59], v[6:7] op_sel_hi:[1,0,1]
	s_nop 0
	v_mov_b32_e32 v9, v7
	s_waitcnt vmcnt(2) lgkmcnt(1)
	v_pk_mul_f32 v[6:7], v[76:77], v[60:61] op_sel:[1,1] op_sel_hi:[0,1]
	v_pk_add_f32 v[4:5], v[4:5], v[8:9]
	v_pk_fma_f32 v[8:9], v[76:77], v[60:61], v[6:7] neg_lo:[0,0,1] neg_hi:[0,0,1]
	v_pk_fma_f32 v[6:7], v[76:77], v[60:61], v[6:7] op_sel_hi:[1,0,1]
	s_nop 0
	v_mov_b32_e32 v6, v63
	v_mov_b32_e32 v9, v7
	v_pk_mul_f32 v[6:7], v[78:79], v[6:7] op_sel:[1,0] op_sel_hi:[0,0]
	v_pk_add_f32 v[4:5], v[4:5], v[8:9]
	;; [unrolled: 14-line block ×3, first 2 shown]
	v_pk_fma_f32 v[8:9], v[82:83], v[66:67], v[6:7] neg_lo:[0,0,1] neg_hi:[0,0,1]
	v_pk_fma_f32 v[6:7], v[82:83], v[66:67], v[6:7] op_sel_hi:[1,0,1]
	s_nop 0
	v_mov_b32_e32 v9, v7
	v_pk_add_f32 v[4:5], v[4:5], v[8:9]
	s_waitcnt vmcnt(0)
	v_pk_add_f32 v[2:3], v[2:3], v[4:5] neg_lo:[0,1] neg_hi:[0,1]
	scratch_store_dwordx2 off, v[2:3], off offset:96
	s_and_saveexec_b64 s[0:1], vcc
	s_cbranch_execz .LBB32_189
; %bb.188:
	scratch_load_dwordx2 v[2:3], off, off offset:88
	v_mov_b32_e32 v4, 0
	v_mov_b32_e32 v5, v4
	scratch_store_dwordx2 off, v[4:5], off offset:88
	s_waitcnt vmcnt(1)
	ds_write_b64 v1, v[2:3]
.LBB32_189:
	s_or_b64 exec, exec, s[0:1]
	s_waitcnt lgkmcnt(0)
	; wave barrier
	scratch_load_dwordx4 v[2:5], off, off offset:96
	scratch_load_dwordx4 v[6:9], off, off offset:112
	;; [unrolled: 1-line block ×10, first 2 shown]
	scratch_load_dwordx2 v[76:77], off, off offset:256
	scratch_load_dwordx2 v[78:79], off, off offset:88
	v_mov_b32_e32 v10, 0
	ds_read_b128 v[44:47], v10 offset:368
	ds_read_b128 v[48:51], v10 offset:384
	;; [unrolled: 1-line block ×8, first 2 shown]
	v_cmp_lt_u32_e32 vcc, 10, v0
	s_waitcnt vmcnt(11) lgkmcnt(7)
	v_mul_f32_e32 v11, v44, v3
	v_mul_f32_e32 v3, v45, v3
	;; [unrolled: 1-line block ×4, first 2 shown]
	v_fmac_f32_e32 v11, v45, v2
	v_fma_f32 v2, v44, v2, -v3
	s_waitcnt vmcnt(10) lgkmcnt(6)
	v_mul_f32_e32 v82, v48, v7
	v_mul_f32_e32 v7, v49, v7
	v_fma_f32 v3, v46, v4, -v5
	v_add_f32_e32 v2, 0, v2
	v_mul_f32_e32 v84, v50, v9
	v_mul_f32_e32 v9, v51, v9
	v_fmac_f32_e32 v80, v47, v4
	v_fma_f32 v4, v48, v6, -v7
	v_add_f32_e32 v11, 0, v11
	v_add_f32_e32 v2, v2, v3
	s_waitcnt vmcnt(9) lgkmcnt(5)
	v_mul_f32_e32 v85, v52, v13
	v_mul_f32_e32 v13, v53, v13
	v_fmac_f32_e32 v82, v49, v6
	v_fma_f32 v5, v50, v8, -v9
	v_add_f32_e32 v11, v11, v80
	v_add_f32_e32 v2, v2, v4
	v_mul_f32_e32 v86, v54, v15
	v_mul_f32_e32 v15, v55, v15
	v_fmac_f32_e32 v84, v51, v8
	v_fma_f32 v6, v52, v12, -v13
	v_add_f32_e32 v3, v11, v82
	v_add_f32_e32 v2, v2, v5
	s_waitcnt vmcnt(8) lgkmcnt(4)
	v_mul_f32_e32 v87, v56, v17
	v_mul_f32_e32 v17, v57, v17
	v_fmac_f32_e32 v85, v53, v12
	v_fma_f32 v7, v54, v14, -v15
	v_add_f32_e32 v3, v3, v84
	;; [unrolled: 13-line block ×4, first 2 shown]
	v_add_f32_e32 v2, v2, v12
	v_fmac_f32_e32 v90, v63, v22
	v_fma_f32 v14, v64, v24, -v25
	v_add_f32_e32 v3, v3, v89
	v_add_f32_e32 v2, v2, v13
	v_mul_f32_e32 v81, v66, v27
	v_fmac_f32_e32 v91, v65, v24
	v_add_f32_e32 v3, v3, v90
	v_add_f32_e32 v12, v2, v14
	v_mul_f32_e32 v2, v67, v27
	s_waitcnt vmcnt(5)
	v_mov_b32_e32 v16, v31
	s_waitcnt lgkmcnt(1)
	v_mul_f32_e32 v83, v68, v29
	v_fmac_f32_e32 v81, v67, v26
	v_add_f32_e32 v13, v3, v91
	v_fma_f32 v80, v66, v26, -v2
	v_mul_f32_e32 v2, v69, v29
	v_pk_mul_f32 v[16:17], v[70:71], v[16:17] op_sel:[1,0] op_sel_hi:[0,0]
	v_fmac_f32_e32 v83, v69, v28
	v_fma_f32 v82, v68, v28, -v2
	v_pk_add_f32 v[12:13], v[12:13], v[80:81]
	v_pk_fma_f32 v[18:19], v[70:71], v[30:31], v[16:17] neg_lo:[0,0,1] neg_hi:[0,0,1]
	v_pk_fma_f32 v[16:17], v[70:71], v[30:31], v[16:17] op_sel_hi:[1,0,1]
	v_pk_add_f32 v[12:13], v[12:13], v[82:83]
	v_mov_b32_e32 v19, v17
	s_waitcnt vmcnt(4) lgkmcnt(0)
	v_pk_mul_f32 v[16:17], v[72:73], v[32:33] op_sel:[1,1] op_sel_hi:[0,1]
	v_pk_add_f32 v[12:13], v[12:13], v[18:19]
	v_pk_fma_f32 v[18:19], v[72:73], v[32:33], v[16:17] neg_lo:[0,0,1] neg_hi:[0,0,1]
	v_pk_fma_f32 v[16:17], v[72:73], v[32:33], v[16:17] op_sel_hi:[1,0,1]
	ds_read_b128 v[2:5], v10 offset:496
	ds_read_b128 v[6:9], v10 offset:512
	ds_read_b64 v[14:15], v10 offset:528
	v_mov_b32_e32 v16, v35
	v_mov_b32_e32 v19, v17
	v_pk_mul_f32 v[16:17], v[74:75], v[16:17] op_sel:[1,0] op_sel_hi:[0,0]
	v_pk_add_f32 v[12:13], v[12:13], v[18:19]
	v_pk_fma_f32 v[18:19], v[74:75], v[34:35], v[16:17] neg_lo:[0,0,1] neg_hi:[0,0,1]
	v_pk_fma_f32 v[16:17], v[74:75], v[34:35], v[16:17] op_sel_hi:[1,0,1]
	s_nop 0
	v_mov_b32_e32 v19, v17
	s_waitcnt vmcnt(3) lgkmcnt(2)
	v_pk_mul_f32 v[16:17], v[2:3], v[36:37] op_sel:[1,1] op_sel_hi:[0,1]
	v_pk_add_f32 v[12:13], v[12:13], v[18:19]
	v_pk_fma_f32 v[18:19], v[2:3], v[36:37], v[16:17] neg_lo:[0,0,1] neg_hi:[0,0,1]
	v_pk_fma_f32 v[2:3], v[2:3], v[36:37], v[16:17] op_sel_hi:[1,0,1]
	s_nop 0
	v_mov_b32_e32 v19, v3
	v_pk_add_f32 v[2:3], v[12:13], v[18:19]
	v_mov_b32_e32 v12, v39
	v_pk_mul_f32 v[12:13], v[4:5], v[12:13] op_sel:[1,0] op_sel_hi:[0,0]
	v_pk_fma_f32 v[16:17], v[4:5], v[38:39], v[12:13] neg_lo:[0,0,1] neg_hi:[0,0,1]
	v_pk_fma_f32 v[4:5], v[4:5], v[38:39], v[12:13] op_sel_hi:[1,0,1]
	s_nop 0
	v_mov_b32_e32 v17, v5
	s_waitcnt vmcnt(2) lgkmcnt(1)
	v_pk_mul_f32 v[4:5], v[6:7], v[40:41] op_sel:[1,1] op_sel_hi:[0,1]
	v_pk_fma_f32 v[12:13], v[6:7], v[40:41], v[4:5] neg_lo:[0,0,1] neg_hi:[0,0,1]
	v_pk_fma_f32 v[4:5], v[6:7], v[40:41], v[4:5] op_sel_hi:[1,0,1]
	v_pk_add_f32 v[2:3], v[2:3], v[16:17]
	v_mov_b32_e32 v4, v43
	v_mov_b32_e32 v13, v5
	v_pk_mul_f32 v[4:5], v[8:9], v[4:5] op_sel:[1,0] op_sel_hi:[0,0]
	v_pk_fma_f32 v[6:7], v[8:9], v[42:43], v[4:5] neg_lo:[0,0,1] neg_hi:[0,0,1]
	v_pk_fma_f32 v[4:5], v[8:9], v[42:43], v[4:5] op_sel_hi:[1,0,1]
	v_pk_add_f32 v[2:3], v[2:3], v[12:13]
	v_mov_b32_e32 v7, v5
	s_waitcnt vmcnt(1) lgkmcnt(0)
	v_pk_mul_f32 v[4:5], v[14:15], v[76:77] op_sel:[1,1] op_sel_hi:[0,1]
	v_pk_add_f32 v[2:3], v[2:3], v[6:7]
	v_pk_fma_f32 v[6:7], v[14:15], v[76:77], v[4:5] neg_lo:[0,0,1] neg_hi:[0,0,1]
	v_pk_fma_f32 v[4:5], v[14:15], v[76:77], v[4:5] op_sel_hi:[1,0,1]
	s_nop 0
	v_mov_b32_e32 v7, v5
	v_pk_add_f32 v[2:3], v[2:3], v[6:7]
	s_waitcnt vmcnt(0)
	v_pk_add_f32 v[2:3], v[78:79], v[2:3] neg_lo:[0,1] neg_hi:[0,1]
	scratch_store_dwordx2 off, v[2:3], off offset:88
	s_and_saveexec_b64 s[0:1], vcc
	s_cbranch_execz .LBB32_191
; %bb.190:
	scratch_load_dwordx2 v[2:3], off, off offset:80
	v_mov_b32_e32 v11, v10
	scratch_store_dwordx2 off, v[10:11], off offset:80
	s_waitcnt vmcnt(1)
	ds_write_b64 v1, v[2:3]
.LBB32_191:
	s_or_b64 exec, exec, s[0:1]
	s_waitcnt lgkmcnt(0)
	; wave barrier
	scratch_load_dwordx4 v[6:9], off, off offset:88
	scratch_load_dwordx4 v[12:15], off, off offset:104
	;; [unrolled: 1-line block ×7, first 2 shown]
	ds_read2_b64 v[36:39], v10 offset0:45 offset1:46
	ds_read2_b64 v[40:43], v10 offset0:47 offset1:48
	;; [unrolled: 1-line block ×6, first 2 shown]
	scratch_load_dwordx4 v[60:63], off, off offset:200
	scratch_load_dwordx4 v[64:67], off, off offset:216
	;; [unrolled: 1-line block ×4, first 2 shown]
	ds_read2_b64 v[72:75], v10 offset0:57 offset1:58
	ds_read2_b64 v[76:79], v10 offset0:59 offset1:60
	scratch_load_dwordx2 v[80:81], off, off offset:80
	v_cmp_lt_u32_e32 vcc, 9, v0
	s_waitcnt vmcnt(11) lgkmcnt(7)
	v_mul_f32_e32 v11, v36, v7
	v_mul_f32_e32 v82, v38, v9
	;; [unrolled: 1-line block ×3, first 2 shown]
	v_fmac_f32_e32 v11, v37, v6
	s_waitcnt vmcnt(10) lgkmcnt(6)
	v_mul_f32_e32 v84, v40, v13
	v_mul_f32_e32 v9, v39, v9
	v_fmac_f32_e32 v82, v39, v8
	v_fma_f32 v6, v36, v6, -v7
	v_add_f32_e32 v11, 0, v11
	v_mul_f32_e32 v86, v42, v15
	v_fmac_f32_e32 v84, v41, v12
	v_fma_f32 v7, v38, v8, -v9
	v_add_f32_e32 v6, 0, v6
	v_add_f32_e32 v11, v11, v82
	s_waitcnt vmcnt(9) lgkmcnt(5)
	v_mul_f32_e32 v87, v44, v17
	v_mul_f32_e32 v13, v41, v13
	v_fmac_f32_e32 v86, v43, v14
	v_add_f32_e32 v6, v6, v7
	v_add_f32_e32 v7, v11, v84
	v_mul_f32_e32 v88, v46, v19
	v_mul_f32_e32 v15, v43, v15
	v_fmac_f32_e32 v87, v45, v16
	v_fma_f32 v8, v40, v12, -v13
	v_add_f32_e32 v7, v7, v86
	s_waitcnt vmcnt(8) lgkmcnt(4)
	v_mul_f32_e32 v89, v48, v21
	v_mul_f32_e32 v17, v45, v17
	v_fmac_f32_e32 v88, v47, v18
	v_fma_f32 v9, v42, v14, -v15
	v_add_f32_e32 v6, v6, v8
	v_add_f32_e32 v7, v7, v87
	v_mul_f32_e32 v90, v50, v23
	v_mul_f32_e32 v19, v47, v19
	v_fmac_f32_e32 v89, v49, v20
	v_fma_f32 v12, v44, v16, -v17
	v_add_f32_e32 v6, v6, v9
	v_add_f32_e32 v7, v7, v88
	s_waitcnt vmcnt(7) lgkmcnt(3)
	v_mul_f32_e32 v91, v52, v25
	v_mul_f32_e32 v21, v49, v21
	v_fmac_f32_e32 v90, v51, v22
	v_fma_f32 v13, v46, v18, -v19
	v_add_f32_e32 v6, v6, v12
	v_add_f32_e32 v7, v7, v89
	v_mul_f32_e32 v92, v54, v27
	v_mul_f32_e32 v23, v51, v23
	v_fmac_f32_e32 v91, v53, v24
	v_fma_f32 v14, v48, v20, -v21
	v_add_f32_e32 v6, v6, v13
	;; [unrolled: 13-line block ×3, first 2 shown]
	v_add_f32_e32 v7, v7, v92
	v_mul_f32_e32 v29, v57, v29
	v_fmac_f32_e32 v94, v59, v30
	v_fma_f32 v17, v54, v26, -v27
	v_add_f32_e32 v6, v6, v16
	v_add_f32_e32 v7, v7, v93
	v_fma_f32 v18, v56, v28, -v29
	v_add_f32_e32 v6, v6, v17
	v_add_f32_e32 v21, v7, v94
	v_mul_f32_e32 v7, v59, v31
	v_add_f32_e32 v6, v6, v18
	v_fma_f32 v7, v58, v30, -v7
	s_waitcnt vmcnt(5) lgkmcnt(1)
	v_mul_f32_e32 v83, v72, v33
	v_add_f32_e32 v20, v6, v7
	v_mul_f32_e32 v6, v73, v33
	v_fmac_f32_e32 v83, v73, v32
	v_fma_f32 v82, v72, v32, -v6
	v_mul_f32_e32 v6, v75, v35
	v_fma_f32 v84, v74, v34, -v6
	ds_read2_b64 v[6:9], v10 offset0:61 offset1:62
	ds_read2_b64 v[12:15], v10 offset0:63 offset1:64
	;; [unrolled: 1-line block ×3, first 2 shown]
	v_pk_add_f32 v[10:11], v[20:21], v[82:83]
	s_waitcnt vmcnt(4) lgkmcnt(3)
	v_pk_mul_f32 v[20:21], v[76:77], v[60:61] op_sel:[1,1] op_sel_hi:[0,1]
	v_mul_f32_e32 v85, v74, v35
	v_pk_fma_f32 v[22:23], v[76:77], v[60:61], v[20:21] neg_lo:[0,0,1] neg_hi:[0,0,1]
	v_pk_fma_f32 v[20:21], v[76:77], v[60:61], v[20:21] op_sel_hi:[1,0,1]
	v_fmac_f32_e32 v85, v75, v34
	v_mov_b32_e32 v20, v63
	v_pk_add_f32 v[10:11], v[10:11], v[84:85]
	v_mov_b32_e32 v23, v21
	v_pk_mul_f32 v[20:21], v[78:79], v[20:21] op_sel:[1,0] op_sel_hi:[0,0]
	v_pk_add_f32 v[10:11], v[10:11], v[22:23]
	v_pk_fma_f32 v[22:23], v[78:79], v[62:63], v[20:21] neg_lo:[0,0,1] neg_hi:[0,0,1]
	v_pk_fma_f32 v[20:21], v[78:79], v[62:63], v[20:21] op_sel_hi:[1,0,1]
	s_nop 0
	v_mov_b32_e32 v23, v21
	s_waitcnt vmcnt(3) lgkmcnt(2)
	v_pk_mul_f32 v[20:21], v[6:7], v[64:65] op_sel:[1,1] op_sel_hi:[0,1]
	v_pk_add_f32 v[10:11], v[10:11], v[22:23]
	v_pk_fma_f32 v[22:23], v[6:7], v[64:65], v[20:21] neg_lo:[0,0,1] neg_hi:[0,0,1]
	v_pk_fma_f32 v[6:7], v[6:7], v[64:65], v[20:21] op_sel_hi:[1,0,1]
	s_nop 0
	v_mov_b32_e32 v23, v7
	v_pk_add_f32 v[6:7], v[10:11], v[22:23]
	v_mov_b32_e32 v10, v67
	v_pk_mul_f32 v[10:11], v[8:9], v[10:11] op_sel:[1,0] op_sel_hi:[0,0]
	v_pk_fma_f32 v[20:21], v[8:9], v[66:67], v[10:11] neg_lo:[0,0,1] neg_hi:[0,0,1]
	v_pk_fma_f32 v[8:9], v[8:9], v[66:67], v[10:11] op_sel_hi:[1,0,1]
	s_nop 0
	v_mov_b32_e32 v21, v9
	s_waitcnt vmcnt(2) lgkmcnt(1)
	v_pk_mul_f32 v[8:9], v[12:13], v[68:69] op_sel:[1,1] op_sel_hi:[0,1]
	v_pk_fma_f32 v[10:11], v[12:13], v[68:69], v[8:9] neg_lo:[0,0,1] neg_hi:[0,0,1]
	v_pk_fma_f32 v[8:9], v[12:13], v[68:69], v[8:9] op_sel_hi:[1,0,1]
	v_pk_add_f32 v[6:7], v[6:7], v[20:21]
	v_mov_b32_e32 v8, v71
	v_mov_b32_e32 v11, v9
	v_pk_mul_f32 v[8:9], v[14:15], v[8:9] op_sel:[1,0] op_sel_hi:[0,0]
	v_pk_add_f32 v[6:7], v[6:7], v[10:11]
	v_pk_fma_f32 v[10:11], v[14:15], v[70:71], v[8:9] neg_lo:[0,0,1] neg_hi:[0,0,1]
	v_pk_fma_f32 v[8:9], v[14:15], v[70:71], v[8:9] op_sel_hi:[1,0,1]
	s_nop 0
	v_mov_b32_e32 v11, v9
	s_waitcnt vmcnt(1) lgkmcnt(0)
	v_pk_mul_f32 v[8:9], v[16:17], v[2:3] op_sel:[1,1] op_sel_hi:[0,1]
	v_pk_add_f32 v[6:7], v[6:7], v[10:11]
	v_pk_fma_f32 v[10:11], v[16:17], v[2:3], v[8:9] neg_lo:[0,0,1] neg_hi:[0,0,1]
	v_pk_fma_f32 v[2:3], v[16:17], v[2:3], v[8:9] op_sel_hi:[1,0,1]
	s_nop 0
	v_mov_b32_e32 v11, v3
	v_pk_add_f32 v[2:3], v[6:7], v[10:11]
	v_mov_b32_e32 v6, v5
	v_pk_mul_f32 v[6:7], v[18:19], v[6:7] op_sel:[1,0] op_sel_hi:[0,0]
	v_pk_fma_f32 v[8:9], v[18:19], v[4:5], v[6:7] neg_lo:[0,0,1] neg_hi:[0,0,1]
	v_pk_fma_f32 v[4:5], v[18:19], v[4:5], v[6:7] op_sel_hi:[1,0,1]
	s_nop 0
	v_mov_b32_e32 v9, v5
	v_pk_add_f32 v[2:3], v[2:3], v[8:9]
	s_waitcnt vmcnt(0)
	v_pk_add_f32 v[2:3], v[80:81], v[2:3] neg_lo:[0,1] neg_hi:[0,1]
	scratch_store_dwordx2 off, v[2:3], off offset:80
	s_and_saveexec_b64 s[0:1], vcc
	s_cbranch_execz .LBB32_193
; %bb.192:
	scratch_load_dwordx2 v[2:3], off, off offset:72
	v_mov_b32_e32 v4, 0
	v_mov_b32_e32 v5, v4
	scratch_store_dwordx2 off, v[4:5], off offset:72
	s_waitcnt vmcnt(1)
	ds_write_b64 v1, v[2:3]
.LBB32_193:
	s_or_b64 exec, exec, s[0:1]
	s_waitcnt lgkmcnt(0)
	; wave barrier
	scratch_load_dwordx4 v[6:9], off, off offset:80
	scratch_load_dwordx4 v[14:17], off, off offset:96
	;; [unrolled: 1-line block ×11, first 2 shown]
	scratch_load_dwordx2 v[22:23], off, off offset:256
	scratch_load_dwordx2 v[36:37], off, off offset:72
	v_mov_b32_e32 v38, 0
	ds_read_b128 v[52:55], v38 offset:352
	ds_read_b128 v[56:59], v38 offset:368
	;; [unrolled: 1-line block ×8, first 2 shown]
	v_cmp_lt_u32_e32 vcc, 8, v0
	s_waitcnt vmcnt(12) lgkmcnt(7)
	v_mul_f32_e32 v39, v52, v7
	v_mul_f32_e32 v84, v54, v9
	;; [unrolled: 1-line block ×3, first 2 shown]
	v_fmac_f32_e32 v39, v53, v6
	s_waitcnt vmcnt(8) lgkmcnt(3)
	v_mul_f32_e32 v93, v68, v19
	v_mul_f32_e32 v19, v69, v19
	;; [unrolled: 1-line block ×4, first 2 shown]
	v_fmac_f32_e32 v84, v55, v8
	v_fmac_f32_e32 v93, v69, v18
	v_fma_f32 v6, v52, v6, -v7
	v_fma_f32 v18, v68, v18, -v19
	v_add_f32_e32 v19, 0, v39
	v_mul_f32_e32 v88, v58, v17
	v_fmac_f32_e32 v86, v57, v14
	v_fma_f32 v7, v54, v8, -v9
	v_add_f32_e32 v6, 0, v6
	v_add_f32_e32 v19, v19, v84
	v_mul_f32_e32 v89, v60, v25
	v_fmac_f32_e32 v88, v59, v16
	v_add_f32_e32 v6, v6, v7
	v_add_f32_e32 v7, v19, v86
	v_mul_f32_e32 v90, v62, v27
	v_fmac_f32_e32 v89, v61, v24
	v_add_f32_e32 v7, v7, v88
	v_mul_f32_e32 v91, v64, v29
	v_mul_f32_e32 v15, v57, v15
	v_fmac_f32_e32 v90, v63, v26
	v_add_f32_e32 v7, v7, v89
	v_mul_f32_e32 v92, v66, v31
	v_mul_f32_e32 v17, v59, v17
	v_fmac_f32_e32 v91, v65, v28
	v_fma_f32 v8, v56, v14, -v15
	v_add_f32_e32 v7, v7, v90
	v_mul_f32_e32 v25, v61, v25
	v_fmac_f32_e32 v92, v67, v30
	v_fma_f32 v9, v58, v16, -v17
	v_add_f32_e32 v6, v6, v8
	v_add_f32_e32 v7, v7, v91
	v_mul_f32_e32 v94, v70, v21
	v_mul_f32_e32 v27, v63, v27
	v_fma_f32 v14, v60, v24, -v25
	v_add_f32_e32 v6, v6, v9
	v_add_f32_e32 v7, v7, v92
	s_waitcnt vmcnt(7) lgkmcnt(2)
	v_mul_f32_e32 v95, v72, v33
	v_mul_f32_e32 v29, v65, v29
	v_fmac_f32_e32 v94, v71, v20
	v_fma_f32 v15, v62, v26, -v27
	v_add_f32_e32 v6, v6, v14
	v_add_f32_e32 v7, v7, v93
	v_mul_f32_e32 v96, v74, v35
	v_mul_f32_e32 v31, v67, v31
	v_fmac_f32_e32 v95, v73, v32
	v_fma_f32 v16, v64, v28, -v29
	v_add_f32_e32 v6, v6, v15
	v_add_f32_e32 v7, v7, v94
	s_waitcnt vmcnt(6) lgkmcnt(1)
	v_mul_f32_e32 v97, v76, v41
	v_fmac_f32_e32 v96, v75, v34
	v_fma_f32 v17, v66, v30, -v31
	v_add_f32_e32 v6, v6, v16
	v_add_f32_e32 v7, v7, v95
	v_mul_f32_e32 v21, v71, v21
	v_fmac_f32_e32 v97, v77, v40
	v_add_f32_e32 v6, v6, v17
	v_add_f32_e32 v7, v7, v96
	;; [unrolled: 1-line block ×4, first 2 shown]
	v_fma_f32 v7, v70, v20, -v21
	v_add_f32_e32 v6, v6, v7
	v_mul_f32_e32 v7, v73, v33
	v_fma_f32 v7, v72, v32, -v7
	v_add_f32_e32 v6, v6, v7
	v_mul_f32_e32 v7, v75, v35
	;; [unrolled: 3-line block ×4, first 2 shown]
	v_mul_f32_e32 v85, v78, v43
	v_fma_f32 v84, v78, v42, -v6
	s_waitcnt vmcnt(5) lgkmcnt(0)
	v_mul_f32_e32 v6, v81, v45
	v_mov_b32_e32 v28, v47
	v_mul_f32_e32 v87, v80, v45
	v_fmac_f32_e32 v85, v79, v42
	v_fma_f32 v86, v80, v44, -v6
	ds_read_b128 v[6:9], v38 offset:480
	ds_read_b128 v[14:17], v38 offset:496
	ds_read_b128 v[18:21], v38 offset:512
	ds_read_b64 v[26:27], v38 offset:528
	v_pk_mul_f32 v[28:29], v[82:83], v[28:29] op_sel:[1,0] op_sel_hi:[0,0]
	v_fmac_f32_e32 v87, v81, v44
	v_pk_add_f32 v[24:25], v[24:25], v[84:85]
	v_pk_fma_f32 v[30:31], v[82:83], v[46:47], v[28:29] neg_lo:[0,0,1] neg_hi:[0,0,1]
	v_pk_fma_f32 v[28:29], v[82:83], v[46:47], v[28:29] op_sel_hi:[1,0,1]
	v_pk_add_f32 v[24:25], v[24:25], v[86:87]
	v_mov_b32_e32 v31, v29
	s_waitcnt vmcnt(4) lgkmcnt(3)
	v_pk_mul_f32 v[28:29], v[6:7], v[48:49] op_sel:[1,1] op_sel_hi:[0,1]
	v_pk_add_f32 v[24:25], v[24:25], v[30:31]
	v_pk_fma_f32 v[30:31], v[6:7], v[48:49], v[28:29] neg_lo:[0,0,1] neg_hi:[0,0,1]
	v_pk_fma_f32 v[6:7], v[6:7], v[48:49], v[28:29] op_sel_hi:[1,0,1]
	s_nop 0
	v_mov_b32_e32 v31, v7
	v_pk_add_f32 v[6:7], v[24:25], v[30:31]
	v_mov_b32_e32 v24, v51
	v_pk_mul_f32 v[24:25], v[8:9], v[24:25] op_sel:[1,0] op_sel_hi:[0,0]
	v_pk_fma_f32 v[28:29], v[8:9], v[50:51], v[24:25] neg_lo:[0,0,1] neg_hi:[0,0,1]
	v_pk_fma_f32 v[8:9], v[8:9], v[50:51], v[24:25] op_sel_hi:[1,0,1]
	s_nop 0
	v_mov_b32_e32 v29, v9
	s_waitcnt vmcnt(3) lgkmcnt(2)
	v_pk_mul_f32 v[8:9], v[14:15], v[10:11] op_sel:[1,1] op_sel_hi:[0,1]
	v_pk_fma_f32 v[24:25], v[14:15], v[10:11], v[8:9] neg_lo:[0,0,1] neg_hi:[0,0,1]
	v_pk_fma_f32 v[8:9], v[14:15], v[10:11], v[8:9] op_sel_hi:[1,0,1]
	v_pk_add_f32 v[6:7], v[6:7], v[28:29]
	v_mov_b32_e32 v8, v13
	v_mov_b32_e32 v25, v9
	v_pk_mul_f32 v[8:9], v[16:17], v[8:9] op_sel:[1,0] op_sel_hi:[0,0]
	v_pk_fma_f32 v[10:11], v[16:17], v[12:13], v[8:9] neg_lo:[0,0,1] neg_hi:[0,0,1]
	v_pk_fma_f32 v[8:9], v[16:17], v[12:13], v[8:9] op_sel_hi:[1,0,1]
	v_pk_add_f32 v[6:7], v[6:7], v[24:25]
	v_mov_b32_e32 v11, v9
	s_waitcnt vmcnt(2) lgkmcnt(1)
	v_pk_mul_f32 v[8:9], v[18:19], v[2:3] op_sel:[1,1] op_sel_hi:[0,1]
	v_pk_add_f32 v[6:7], v[6:7], v[10:11]
	v_pk_fma_f32 v[10:11], v[18:19], v[2:3], v[8:9] neg_lo:[0,0,1] neg_hi:[0,0,1]
	v_pk_fma_f32 v[2:3], v[18:19], v[2:3], v[8:9] op_sel_hi:[1,0,1]
	s_nop 0
	v_mov_b32_e32 v11, v3
	v_pk_add_f32 v[2:3], v[6:7], v[10:11]
	v_mov_b32_e32 v6, v5
	v_pk_mul_f32 v[6:7], v[20:21], v[6:7] op_sel:[1,0] op_sel_hi:[0,0]
	v_pk_fma_f32 v[8:9], v[20:21], v[4:5], v[6:7] neg_lo:[0,0,1] neg_hi:[0,0,1]
	v_pk_fma_f32 v[4:5], v[20:21], v[4:5], v[6:7] op_sel_hi:[1,0,1]
	s_nop 0
	v_mov_b32_e32 v9, v5
	s_waitcnt vmcnt(1) lgkmcnt(0)
	v_pk_mul_f32 v[4:5], v[26:27], v[22:23] op_sel:[1,1] op_sel_hi:[0,1]
	v_pk_fma_f32 v[6:7], v[26:27], v[22:23], v[4:5] neg_lo:[0,0,1] neg_hi:[0,0,1]
	v_pk_fma_f32 v[4:5], v[26:27], v[22:23], v[4:5] op_sel_hi:[1,0,1]
	v_pk_add_f32 v[2:3], v[2:3], v[8:9]
	v_mov_b32_e32 v7, v5
	v_pk_add_f32 v[2:3], v[2:3], v[6:7]
	s_waitcnt vmcnt(0)
	v_pk_add_f32 v[2:3], v[36:37], v[2:3] neg_lo:[0,1] neg_hi:[0,1]
	scratch_store_dwordx2 off, v[2:3], off offset:72
	s_and_saveexec_b64 s[0:1], vcc
	s_cbranch_execz .LBB32_195
; %bb.194:
	scratch_load_dwordx2 v[2:3], off, off offset:64
	v_mov_b32_e32 v39, v38
	scratch_store_dwordx2 off, v[38:39], off offset:64
	s_waitcnt vmcnt(1)
	ds_write_b64 v1, v[2:3]
.LBB32_195:
	s_or_b64 exec, exec, s[0:1]
	s_waitcnt lgkmcnt(0)
	; wave barrier
	scratch_load_dwordx4 v[2:5], off, off offset:72
	scratch_load_dwordx4 v[14:17], off, off offset:88
	;; [unrolled: 1-line block ×8, first 2 shown]
	ds_read2_b64 v[48:51], v38 offset0:43 offset1:44
	ds_read2_b64 v[52:55], v38 offset0:45 offset1:46
	;; [unrolled: 1-line block ×8, first 2 shown]
	scratch_load_dwordx4 v[80:83], off, off offset:200
	scratch_load_dwordx4 v[26:29], off, off offset:216
	;; [unrolled: 1-line block ×4, first 2 shown]
	scratch_load_dwordx2 v[84:85], off, off offset:64
	v_cmp_lt_u32_e32 vcc, 7, v0
	s_waitcnt vmcnt(12) lgkmcnt(7)
	v_mul_f32_e32 v39, v48, v3
	v_mul_f32_e32 v86, v50, v5
	;; [unrolled: 1-line block ×3, first 2 shown]
	v_fmac_f32_e32 v39, v49, v2
	s_waitcnt vmcnt(8) lgkmcnt(3)
	v_mul_f32_e32 v95, v64, v19
	v_mul_f32_e32 v19, v65, v19
	;; [unrolled: 1-line block ×4, first 2 shown]
	v_fmac_f32_e32 v86, v51, v4
	v_fmac_f32_e32 v95, v65, v18
	v_fma_f32 v2, v48, v2, -v3
	v_fma_f32 v18, v64, v18, -v19
	v_add_f32_e32 v19, 0, v39
	v_mul_f32_e32 v90, v54, v17
	v_fmac_f32_e32 v88, v53, v14
	v_fma_f32 v3, v50, v4, -v5
	v_add_f32_e32 v2, 0, v2
	v_add_f32_e32 v19, v19, v86
	v_mul_f32_e32 v91, v56, v31
	v_fmac_f32_e32 v90, v55, v16
	v_add_f32_e32 v2, v2, v3
	v_add_f32_e32 v3, v19, v88
	v_mul_f32_e32 v92, v58, v33
	v_fmac_f32_e32 v91, v57, v30
	v_add_f32_e32 v3, v3, v90
	v_mul_f32_e32 v93, v60, v41
	v_fmac_f32_e32 v92, v59, v32
	;; [unrolled: 3-line block ×4, first 2 shown]
	v_add_f32_e32 v3, v3, v93
	v_mul_f32_e32 v96, v66, v21
	v_mul_f32_e32 v17, v55, v17
	v_fma_f32 v4, v52, v14, -v15
	v_add_f32_e32 v3, v3, v94
	s_waitcnt vmcnt(7) lgkmcnt(2)
	v_mul_f32_e32 v97, v68, v23
	v_mul_f32_e32 v31, v57, v31
	v_fmac_f32_e32 v96, v67, v20
	v_fma_f32 v5, v54, v16, -v17
	v_add_f32_e32 v2, v2, v4
	v_add_f32_e32 v3, v3, v95
	v_mul_f32_e32 v98, v70, v25
	v_mul_f32_e32 v33, v59, v33
	v_fmac_f32_e32 v97, v69, v22
	v_fma_f32 v14, v56, v30, -v31
	v_add_f32_e32 v2, v2, v5
	v_add_f32_e32 v3, v3, v96
	s_waitcnt vmcnt(6) lgkmcnt(1)
	v_mul_f32_e32 v99, v72, v35
	v_mul_f32_e32 v41, v61, v41
	v_fmac_f32_e32 v98, v71, v24
	v_fma_f32 v15, v58, v32, -v33
	v_add_f32_e32 v2, v2, v14
	v_add_f32_e32 v3, v3, v97
	v_mul_f32_e32 v100, v74, v37
	v_mul_f32_e32 v43, v63, v43
	v_fmac_f32_e32 v99, v73, v34
	v_fma_f32 v16, v60, v40, -v41
	v_add_f32_e32 v2, v2, v15
	v_add_f32_e32 v3, v3, v98
	v_fmac_f32_e32 v100, v75, v36
	v_fma_f32 v17, v62, v42, -v43
	v_add_f32_e32 v2, v2, v16
	v_add_f32_e32 v3, v3, v99
	;; [unrolled: 1-line block ×4, first 2 shown]
	v_mul_f32_e32 v3, v67, v21
	v_add_f32_e32 v2, v2, v18
	v_fma_f32 v3, v66, v20, -v3
	v_add_f32_e32 v2, v2, v3
	v_mul_f32_e32 v3, v69, v23
	v_fma_f32 v3, v68, v22, -v3
	v_add_f32_e32 v2, v2, v3
	v_mul_f32_e32 v3, v71, v25
	;; [unrolled: 3-line block ×4, first 2 shown]
	v_fma_f32 v3, v74, v36, -v3
	v_add_f32_e32 v30, v2, v3
	s_waitcnt vmcnt(5) lgkmcnt(0)
	v_mul_f32_e32 v2, v77, v45
	v_fma_f32 v86, v76, v44, -v2
	v_mul_f32_e32 v2, v79, v47
	v_fma_f32 v88, v78, v46, -v2
	ds_read2_b64 v[2:5], v38 offset0:59 offset1:60
	ds_read2_b64 v[14:17], v38 offset0:61 offset1:62
	;; [unrolled: 1-line block ×4, first 2 shown]
	v_mul_f32_e32 v87, v76, v45
	v_mul_f32_e32 v89, v78, v47
	v_fmac_f32_e32 v87, v77, v44
	s_waitcnt vmcnt(4) lgkmcnt(3)
	v_pk_mul_f32 v[32:33], v[2:3], v[80:81] op_sel:[1,1] op_sel_hi:[0,1]
	v_fmac_f32_e32 v89, v79, v46
	v_pk_add_f32 v[30:31], v[30:31], v[86:87]
	v_pk_fma_f32 v[34:35], v[2:3], v[80:81], v[32:33] neg_lo:[0,0,1] neg_hi:[0,0,1]
	v_pk_fma_f32 v[2:3], v[2:3], v[80:81], v[32:33] op_sel_hi:[1,0,1]
	v_pk_add_f32 v[30:31], v[30:31], v[88:89]
	v_mov_b32_e32 v35, v3
	v_pk_add_f32 v[2:3], v[30:31], v[34:35]
	v_mov_b32_e32 v30, v83
	v_pk_mul_f32 v[30:31], v[4:5], v[30:31] op_sel:[1,0] op_sel_hi:[0,0]
	v_pk_fma_f32 v[32:33], v[4:5], v[82:83], v[30:31] neg_lo:[0,0,1] neg_hi:[0,0,1]
	v_pk_fma_f32 v[4:5], v[4:5], v[82:83], v[30:31] op_sel_hi:[1,0,1]
	s_nop 0
	v_mov_b32_e32 v33, v5
	s_waitcnt vmcnt(3) lgkmcnt(2)
	v_pk_mul_f32 v[4:5], v[14:15], v[26:27] op_sel:[1,1] op_sel_hi:[0,1]
	v_pk_fma_f32 v[30:31], v[14:15], v[26:27], v[4:5] neg_lo:[0,0,1] neg_hi:[0,0,1]
	v_pk_fma_f32 v[4:5], v[14:15], v[26:27], v[4:5] op_sel_hi:[1,0,1]
	v_pk_add_f32 v[2:3], v[2:3], v[32:33]
	v_mov_b32_e32 v4, v29
	v_mov_b32_e32 v31, v5
	v_pk_mul_f32 v[4:5], v[16:17], v[4:5] op_sel:[1,0] op_sel_hi:[0,0]
	v_pk_fma_f32 v[14:15], v[16:17], v[28:29], v[4:5] neg_lo:[0,0,1] neg_hi:[0,0,1]
	v_pk_fma_f32 v[4:5], v[16:17], v[28:29], v[4:5] op_sel_hi:[1,0,1]
	v_pk_add_f32 v[2:3], v[2:3], v[30:31]
	v_mov_b32_e32 v15, v5
	s_waitcnt vmcnt(2) lgkmcnt(1)
	v_pk_mul_f32 v[4:5], v[18:19], v[10:11] op_sel:[1,1] op_sel_hi:[0,1]
	v_pk_add_f32 v[2:3], v[2:3], v[14:15]
	v_pk_fma_f32 v[14:15], v[18:19], v[10:11], v[4:5] neg_lo:[0,0,1] neg_hi:[0,0,1]
	v_pk_fma_f32 v[4:5], v[18:19], v[10:11], v[4:5] op_sel_hi:[1,0,1]
	s_nop 0
	v_mov_b32_e32 v4, v13
	v_mov_b32_e32 v15, v5
	v_pk_mul_f32 v[4:5], v[20:21], v[4:5] op_sel:[1,0] op_sel_hi:[0,0]
	v_pk_fma_f32 v[10:11], v[20:21], v[12:13], v[4:5] neg_lo:[0,0,1] neg_hi:[0,0,1]
	v_pk_fma_f32 v[4:5], v[20:21], v[12:13], v[4:5] op_sel_hi:[1,0,1]
	v_pk_add_f32 v[2:3], v[2:3], v[14:15]
	v_mov_b32_e32 v11, v5
	s_waitcnt vmcnt(1) lgkmcnt(0)
	v_pk_mul_f32 v[4:5], v[22:23], v[6:7] op_sel:[1,1] op_sel_hi:[0,1]
	v_pk_add_f32 v[2:3], v[2:3], v[10:11]
	v_pk_fma_f32 v[10:11], v[22:23], v[6:7], v[4:5] neg_lo:[0,0,1] neg_hi:[0,0,1]
	v_pk_fma_f32 v[4:5], v[22:23], v[6:7], v[4:5] op_sel_hi:[1,0,1]
	s_nop 0
	v_mov_b32_e32 v4, v9
	v_mov_b32_e32 v11, v5
	v_pk_mul_f32 v[4:5], v[24:25], v[4:5] op_sel:[1,0] op_sel_hi:[0,0]
	v_pk_fma_f32 v[6:7], v[24:25], v[8:9], v[4:5] neg_lo:[0,0,1] neg_hi:[0,0,1]
	v_pk_fma_f32 v[4:5], v[24:25], v[8:9], v[4:5] op_sel_hi:[1,0,1]
	v_pk_add_f32 v[2:3], v[2:3], v[10:11]
	v_mov_b32_e32 v7, v5
	v_pk_add_f32 v[2:3], v[2:3], v[6:7]
	s_waitcnt vmcnt(0)
	v_pk_add_f32 v[2:3], v[84:85], v[2:3] neg_lo:[0,1] neg_hi:[0,1]
	scratch_store_dwordx2 off, v[2:3], off offset:64
	s_and_saveexec_b64 s[0:1], vcc
	s_cbranch_execz .LBB32_197
; %bb.196:
	scratch_load_dwordx2 v[2:3], off, off offset:56
	v_mov_b32_e32 v4, 0
	v_mov_b32_e32 v5, v4
	scratch_store_dwordx2 off, v[4:5], off offset:56
	s_waitcnt vmcnt(1)
	ds_write_b64 v1, v[2:3]
.LBB32_197:
	s_or_b64 exec, exec, s[0:1]
	v_mov_b32_e32 v2, 0
	s_waitcnt lgkmcnt(0)
	; wave barrier
	ds_read_b128 v[4:7], v2 offset:336
	ds_read_b128 v[8:11], v2 offset:352
	ds_read_b128 v[12:15], v2 offset:368
	ds_read_b128 v[16:19], v2 offset:384
	scratch_load_dwordx4 v[20:23], off, off offset:64
	scratch_load_dwordx4 v[40:43], off, off offset:128
	;; [unrolled: 1-line block ×3, first 2 shown]
	v_cmp_lt_u32_e32 vcc, 6, v0
	scratch_load_dwordx4 v[48:51], off, off offset:144
	scratch_load_dwordx4 v[56:59], off, off offset:160
	;; [unrolled: 1-line block ×3, first 2 shown]
	s_waitcnt vmcnt(5) lgkmcnt(3)
	v_mul_f32_e32 v3, v4, v21
	v_fmac_f32_e32 v3, v5, v20
	v_mul_f32_e32 v24, v6, v23
	v_add_f32_e32 v3, 0, v3
	v_fmac_f32_e32 v24, v7, v22
	v_add_f32_e32 v3, v3, v24
	scratch_load_dwordx4 v[24:27], off, off offset:80
	s_waitcnt vmcnt(0) lgkmcnt(2)
	v_mul_f32_e32 v28, v8, v25
	v_fmac_f32_e32 v28, v9, v24
	v_add_f32_e32 v3, v3, v28
	v_mul_f32_e32 v28, v10, v27
	v_fmac_f32_e32 v28, v11, v26
	v_add_f32_e32 v3, v3, v28
	scratch_load_dwordx4 v[28:31], off, off offset:96
	s_waitcnt vmcnt(0) lgkmcnt(1)
	v_mul_f32_e32 v32, v12, v29
	v_fmac_f32_e32 v32, v13, v28
	v_add_f32_e32 v3, v3, v32
	v_mul_f32_e32 v32, v14, v31
	;; [unrolled: 8-line block ×3, first 2 shown]
	v_fmac_f32_e32 v36, v19, v34
	v_add_f32_e32 v3, v3, v36
	ds_read_b128 v[36:39], v2 offset:400
	s_waitcnt lgkmcnt(0)
	v_mul_f32_e32 v44, v36, v41
	v_fmac_f32_e32 v44, v37, v40
	v_add_f32_e32 v3, v3, v44
	v_mul_f32_e32 v44, v38, v43
	v_fmac_f32_e32 v44, v39, v42
	v_add_f32_e32 v3, v3, v44
	ds_read_b128 v[44:47], v2 offset:416
	s_waitcnt lgkmcnt(0)
	v_mul_f32_e32 v52, v44, v49
	v_fmac_f32_e32 v52, v45, v48
	v_add_f32_e32 v3, v3, v52
	v_mul_f32_e32 v52, v46, v51
	;; [unrolled: 8-line block ×3, first 2 shown]
	v_fmac_f32_e32 v60, v55, v58
	v_add_f32_e32 v3, v3, v60
	ds_read_b128 v[60:63], v2 offset:448
	s_waitcnt lgkmcnt(0)
	v_mul_f32_e32 v68, v60, v65
	v_fmac_f32_e32 v68, v61, v64
	v_add_f32_e32 v89, v3, v68
	ds_read_b128 v[68:71], v2 offset:464
	scratch_load_dwordx4 v[76:79], off, off offset:208
	scratch_load_dwordx4 v[80:83], off, off offset:224
	;; [unrolled: 1-line block ×3, first 2 shown]
	scratch_load_dwordx2 v[94:95], off, off offset:256
	v_mul_f32_e32 v3, v5, v21
	v_fma_f32 v3, v4, v20, -v3
	v_mul_f32_e32 v4, v7, v23
	v_add_f32_e32 v3, 0, v3
	v_fma_f32 v4, v6, v22, -v4
	v_add_f32_e32 v3, v3, v4
	v_mul_f32_e32 v4, v9, v25
	v_fma_f32 v4, v8, v24, -v4
	v_add_f32_e32 v3, v3, v4
	v_mul_f32_e32 v4, v11, v27
	v_fma_f32 v4, v10, v26, -v4
	v_add_f32_e32 v3, v3, v4
	v_mul_f32_e32 v4, v13, v29
	v_fma_f32 v4, v12, v28, -v4
	v_add_f32_e32 v3, v3, v4
	v_mul_f32_e32 v4, v15, v31
	v_fma_f32 v4, v14, v30, -v4
	v_add_f32_e32 v3, v3, v4
	v_mul_f32_e32 v4, v17, v33
	v_fma_f32 v4, v16, v32, -v4
	v_add_f32_e32 v3, v3, v4
	v_mul_f32_e32 v4, v19, v35
	v_fma_f32 v4, v18, v34, -v4
	v_add_f32_e32 v3, v3, v4
	v_mul_f32_e32 v4, v37, v41
	v_fma_f32 v4, v36, v40, -v4
	v_add_f32_e32 v3, v3, v4
	v_mul_f32_e32 v4, v39, v43
	v_fma_f32 v4, v38, v42, -v4
	v_add_f32_e32 v3, v3, v4
	v_mul_f32_e32 v4, v45, v49
	v_fma_f32 v4, v44, v48, -v4
	v_add_f32_e32 v3, v3, v4
	v_mul_f32_e32 v4, v47, v51
	v_fma_f32 v4, v46, v50, -v4
	v_add_f32_e32 v3, v3, v4
	v_mul_f32_e32 v4, v53, v57
	v_fma_f32 v4, v52, v56, -v4
	v_add_f32_e32 v3, v3, v4
	v_mul_f32_e32 v4, v55, v59
	v_fma_f32 v4, v54, v58, -v4
	v_add_f32_e32 v3, v3, v4
	v_mul_f32_e32 v4, v61, v65
	v_fma_f32 v4, v60, v64, -v4
	v_mul_f32_e32 v91, v62, v67
	v_add_f32_e32 v88, v3, v4
	v_mul_f32_e32 v3, v63, v67
	v_mov_b32_e32 v20, v75
	v_fmac_f32_e32 v91, v63, v66
	s_waitcnt lgkmcnt(0)
	v_mul_f32_e32 v93, v68, v73
	v_fma_f32 v90, v62, v66, -v3
	v_mul_f32_e32 v3, v69, v73
	ds_read_b128 v[4:7], v2 offset:480
	ds_read_b128 v[8:11], v2 offset:496
	;; [unrolled: 1-line block ×3, first 2 shown]
	ds_read_b64 v[16:17], v2 offset:528
	v_pk_mul_f32 v[20:21], v[70:71], v[20:21] op_sel:[1,0] op_sel_hi:[0,0]
	v_fmac_f32_e32 v93, v69, v72
	v_fma_f32 v92, v68, v72, -v3
	v_pk_add_f32 v[18:19], v[88:89], v[90:91]
	v_pk_fma_f32 v[22:23], v[70:71], v[74:75], v[20:21] neg_lo:[0,0,1] neg_hi:[0,0,1]
	v_pk_fma_f32 v[20:21], v[70:71], v[74:75], v[20:21] op_sel_hi:[1,0,1]
	v_pk_add_f32 v[18:19], v[18:19], v[92:93]
	v_mov_b32_e32 v23, v21
	v_pk_add_f32 v[18:19], v[18:19], v[22:23]
	s_waitcnt vmcnt(3) lgkmcnt(3)
	v_pk_mul_f32 v[20:21], v[4:5], v[76:77] op_sel:[1,1] op_sel_hi:[0,1]
	v_pk_fma_f32 v[22:23], v[4:5], v[76:77], v[20:21] neg_lo:[0,0,1] neg_hi:[0,0,1]
	v_pk_fma_f32 v[4:5], v[4:5], v[76:77], v[20:21] op_sel_hi:[1,0,1]
	s_nop 0
	v_mov_b32_e32 v23, v5
	v_pk_add_f32 v[4:5], v[18:19], v[22:23]
	v_mov_b32_e32 v18, v79
	v_pk_mul_f32 v[18:19], v[6:7], v[18:19] op_sel:[1,0] op_sel_hi:[0,0]
	v_pk_fma_f32 v[20:21], v[6:7], v[78:79], v[18:19] neg_lo:[0,0,1] neg_hi:[0,0,1]
	v_pk_fma_f32 v[6:7], v[6:7], v[78:79], v[18:19] op_sel_hi:[1,0,1]
	s_nop 0
	v_mov_b32_e32 v21, v7
	s_waitcnt vmcnt(2) lgkmcnt(2)
	v_pk_mul_f32 v[6:7], v[8:9], v[80:81] op_sel:[1,1] op_sel_hi:[0,1]
	v_pk_fma_f32 v[18:19], v[8:9], v[80:81], v[6:7] neg_lo:[0,0,1] neg_hi:[0,0,1]
	v_pk_fma_f32 v[6:7], v[8:9], v[80:81], v[6:7] op_sel_hi:[1,0,1]
	v_pk_add_f32 v[4:5], v[4:5], v[20:21]
	v_mov_b32_e32 v6, v83
	v_mov_b32_e32 v19, v7
	v_pk_mul_f32 v[6:7], v[10:11], v[6:7] op_sel:[1,0] op_sel_hi:[0,0]
	v_pk_fma_f32 v[8:9], v[10:11], v[82:83], v[6:7] neg_lo:[0,0,1] neg_hi:[0,0,1]
	v_pk_fma_f32 v[6:7], v[10:11], v[82:83], v[6:7] op_sel_hi:[1,0,1]
	v_pk_add_f32 v[4:5], v[4:5], v[18:19]
	v_mov_b32_e32 v9, v7
	s_waitcnt vmcnt(1) lgkmcnt(1)
	v_pk_mul_f32 v[6:7], v[12:13], v[84:85] op_sel:[1,1] op_sel_hi:[0,1]
	v_pk_add_f32 v[4:5], v[4:5], v[8:9]
	v_pk_fma_f32 v[8:9], v[12:13], v[84:85], v[6:7] neg_lo:[0,0,1] neg_hi:[0,0,1]
	v_pk_fma_f32 v[6:7], v[12:13], v[84:85], v[6:7] op_sel_hi:[1,0,1]
	s_nop 0
	v_mov_b32_e32 v6, v87
	v_mov_b32_e32 v9, v7
	v_pk_mul_f32 v[6:7], v[14:15], v[6:7] op_sel:[1,0] op_sel_hi:[0,0]
	v_pk_add_f32 v[4:5], v[4:5], v[8:9]
	v_pk_fma_f32 v[8:9], v[14:15], v[86:87], v[6:7] neg_lo:[0,0,1] neg_hi:[0,0,1]
	v_pk_fma_f32 v[6:7], v[14:15], v[86:87], v[6:7] op_sel_hi:[1,0,1]
	s_nop 0
	v_mov_b32_e32 v9, v7
	s_waitcnt vmcnt(0) lgkmcnt(0)
	v_pk_mul_f32 v[6:7], v[16:17], v[94:95] op_sel:[1,1] op_sel_hi:[0,1]
	v_pk_add_f32 v[4:5], v[4:5], v[8:9]
	v_pk_fma_f32 v[8:9], v[16:17], v[94:95], v[6:7] neg_lo:[0,0,1] neg_hi:[0,0,1]
	v_pk_fma_f32 v[6:7], v[16:17], v[94:95], v[6:7] op_sel_hi:[1,0,1]
	s_nop 0
	v_mov_b32_e32 v9, v7
	scratch_load_dwordx2 v[6:7], off, off offset:56
	v_pk_add_f32 v[4:5], v[4:5], v[8:9]
	s_waitcnt vmcnt(0)
	v_pk_add_f32 v[4:5], v[6:7], v[4:5] neg_lo:[0,1] neg_hi:[0,1]
	scratch_store_dwordx2 off, v[4:5], off offset:56
	s_and_saveexec_b64 s[0:1], vcc
	s_cbranch_execz .LBB32_199
; %bb.198:
	scratch_load_dwordx2 v[4:5], off, off offset:48
	v_mov_b32_e32 v3, v2
	scratch_store_dwordx2 off, v[2:3], off offset:48
	s_waitcnt vmcnt(1)
	ds_write_b64 v1, v[4:5]
.LBB32_199:
	s_or_b64 exec, exec, s[0:1]
	s_waitcnt lgkmcnt(0)
	; wave barrier
	scratch_load_dwordx4 v[8:11], off, off offset:56
	scratch_load_dwordx4 v[16:19], off, off offset:72
	;; [unrolled: 1-line block ×8, first 2 shown]
	ds_read2_b64 v[4:7], v2 offset0:41 offset1:42
	scratch_load_dwordx4 v[72:75], off, off offset:184
	v_cmp_lt_u32_e32 vcc, 5, v0
	s_waitcnt vmcnt(8) lgkmcnt(0)
	v_mul_f32_e32 v3, v4, v9
	v_fmac_f32_e32 v3, v5, v8
	v_mul_f32_e32 v12, v6, v11
	v_add_f32_e32 v3, 0, v3
	v_fmac_f32_e32 v12, v7, v10
	v_add_f32_e32 v3, v3, v12
	ds_read2_b64 v[12:15], v2 offset0:43 offset1:44
	s_waitcnt vmcnt(7) lgkmcnt(0)
	v_mul_f32_e32 v20, v12, v17
	v_fmac_f32_e32 v20, v13, v16
	v_add_f32_e32 v3, v3, v20
	v_mul_f32_e32 v20, v14, v19
	v_fmac_f32_e32 v20, v15, v18
	v_add_f32_e32 v3, v3, v20
	ds_read2_b64 v[20:23], v2 offset0:45 offset1:46
	s_waitcnt vmcnt(6) lgkmcnt(0)
	v_mul_f32_e32 v28, v20, v25
	v_fmac_f32_e32 v28, v21, v24
	v_add_f32_e32 v3, v3, v28
	v_mul_f32_e32 v28, v22, v27
	;; [unrolled: 8-line block ×7, first 2 shown]
	v_fmac_f32_e32 v68, v63, v66
	v_add_f32_e32 v93, v3, v68
	ds_read2_b64 v[68:71], v2 offset0:57 offset1:58
	scratch_load_dwordx4 v[76:79], off, off offset:200
	scratch_load_dwordx4 v[80:83], off, off offset:216
	;; [unrolled: 1-line block ×4, first 2 shown]
	v_mul_f32_e32 v3, v5, v9
	v_fma_f32 v3, v4, v8, -v3
	v_mul_f32_e32 v4, v7, v11
	v_add_f32_e32 v3, 0, v3
	v_fma_f32 v4, v6, v10, -v4
	v_add_f32_e32 v3, v3, v4
	v_mul_f32_e32 v4, v13, v17
	v_fma_f32 v4, v12, v16, -v4
	v_add_f32_e32 v3, v3, v4
	v_mul_f32_e32 v4, v15, v19
	;; [unrolled: 3-line block ×14, first 2 shown]
	v_fma_f32 v4, v62, v66, -v4
	v_add_f32_e32 v92, v3, v4
	ds_read2_b64 v[4:7], v2 offset0:59 offset1:60
	ds_read2_b64 v[8:11], v2 offset0:61 offset1:62
	;; [unrolled: 1-line block ×4, first 2 shown]
	s_waitcnt vmcnt(4) lgkmcnt(4)
	v_mul_f32_e32 v95, v68, v73
	v_mul_f32_e32 v3, v69, v73
	v_fmac_f32_e32 v95, v69, v72
	v_mul_f32_e32 v97, v70, v75
	v_fma_f32 v94, v68, v72, -v3
	v_mul_f32_e32 v3, v71, v75
	v_fmac_f32_e32 v97, v71, v74
	v_fma_f32 v96, v70, v74, -v3
	v_pk_add_f32 v[2:3], v[92:93], v[94:95]
	s_waitcnt vmcnt(3) lgkmcnt(3)
	v_pk_mul_f32 v[20:21], v[4:5], v[76:77] op_sel:[1,1] op_sel_hi:[0,1]
	v_pk_fma_f32 v[22:23], v[4:5], v[76:77], v[20:21] neg_lo:[0,0,1] neg_hi:[0,0,1]
	v_pk_fma_f32 v[4:5], v[4:5], v[76:77], v[20:21] op_sel_hi:[1,0,1]
	v_pk_add_f32 v[2:3], v[2:3], v[96:97]
	v_mov_b32_e32 v4, v79
	v_mov_b32_e32 v23, v5
	v_pk_mul_f32 v[4:5], v[6:7], v[4:5] op_sel:[1,0] op_sel_hi:[0,0]
	v_pk_fma_f32 v[20:21], v[6:7], v[78:79], v[4:5] neg_lo:[0,0,1] neg_hi:[0,0,1]
	v_pk_fma_f32 v[4:5], v[6:7], v[78:79], v[4:5] op_sel_hi:[1,0,1]
	v_pk_add_f32 v[2:3], v[2:3], v[22:23]
	v_mov_b32_e32 v21, v5
	s_waitcnt vmcnt(2) lgkmcnt(2)
	v_pk_mul_f32 v[4:5], v[8:9], v[80:81] op_sel:[1,1] op_sel_hi:[0,1]
	v_pk_fma_f32 v[6:7], v[8:9], v[80:81], v[4:5] neg_lo:[0,0,1] neg_hi:[0,0,1]
	v_pk_fma_f32 v[4:5], v[8:9], v[80:81], v[4:5] op_sel_hi:[1,0,1]
	v_pk_add_f32 v[2:3], v[2:3], v[20:21]
	v_mov_b32_e32 v4, v83
	v_mov_b32_e32 v7, v5
	v_pk_mul_f32 v[4:5], v[10:11], v[4:5] op_sel:[1,0] op_sel_hi:[0,0]
	v_pk_add_f32 v[2:3], v[2:3], v[6:7]
	v_pk_fma_f32 v[6:7], v[10:11], v[82:83], v[4:5] neg_lo:[0,0,1] neg_hi:[0,0,1]
	v_pk_fma_f32 v[4:5], v[10:11], v[82:83], v[4:5] op_sel_hi:[1,0,1]
	s_nop 0
	v_mov_b32_e32 v7, v5
	s_waitcnt vmcnt(1) lgkmcnt(1)
	v_pk_mul_f32 v[4:5], v[12:13], v[84:85] op_sel:[1,1] op_sel_hi:[0,1]
	v_pk_add_f32 v[2:3], v[2:3], v[6:7]
	v_pk_fma_f32 v[6:7], v[12:13], v[84:85], v[4:5] neg_lo:[0,0,1] neg_hi:[0,0,1]
	v_pk_fma_f32 v[4:5], v[12:13], v[84:85], v[4:5] op_sel_hi:[1,0,1]
	s_nop 0
	v_mov_b32_e32 v4, v87
	v_mov_b32_e32 v7, v5
	v_pk_mul_f32 v[4:5], v[14:15], v[4:5] op_sel:[1,0] op_sel_hi:[0,0]
	v_pk_add_f32 v[2:3], v[2:3], v[6:7]
	v_pk_fma_f32 v[6:7], v[14:15], v[86:87], v[4:5] neg_lo:[0,0,1] neg_hi:[0,0,1]
	v_pk_fma_f32 v[4:5], v[14:15], v[86:87], v[4:5] op_sel_hi:[1,0,1]
	s_nop 0
	v_mov_b32_e32 v7, v5
	s_waitcnt vmcnt(0) lgkmcnt(0)
	v_pk_mul_f32 v[4:5], v[16:17], v[88:89] op_sel:[1,1] op_sel_hi:[0,1]
	v_pk_add_f32 v[2:3], v[2:3], v[6:7]
	v_pk_fma_f32 v[6:7], v[16:17], v[88:89], v[4:5] neg_lo:[0,0,1] neg_hi:[0,0,1]
	v_pk_fma_f32 v[4:5], v[16:17], v[88:89], v[4:5] op_sel_hi:[1,0,1]
	s_nop 0
	v_mov_b32_e32 v4, v91
	v_mov_b32_e32 v7, v5
	v_pk_mul_f32 v[4:5], v[18:19], v[4:5] op_sel:[1,0] op_sel_hi:[0,0]
	v_pk_add_f32 v[2:3], v[2:3], v[6:7]
	v_pk_fma_f32 v[6:7], v[18:19], v[90:91], v[4:5] neg_lo:[0,0,1] neg_hi:[0,0,1]
	v_pk_fma_f32 v[4:5], v[18:19], v[90:91], v[4:5] op_sel_hi:[1,0,1]
	s_nop 0
	v_mov_b32_e32 v7, v5
	scratch_load_dwordx2 v[4:5], off, off offset:48
	v_pk_add_f32 v[2:3], v[2:3], v[6:7]
	s_waitcnt vmcnt(0)
	v_pk_add_f32 v[2:3], v[4:5], v[2:3] neg_lo:[0,1] neg_hi:[0,1]
	scratch_store_dwordx2 off, v[2:3], off offset:48
	s_and_saveexec_b64 s[0:1], vcc
	s_cbranch_execz .LBB32_201
; %bb.200:
	scratch_load_dwordx2 v[2:3], off, off offset:40
	v_mov_b32_e32 v4, 0
	v_mov_b32_e32 v5, v4
	scratch_store_dwordx2 off, v[4:5], off offset:40
	s_waitcnt vmcnt(1)
	ds_write_b64 v1, v[2:3]
.LBB32_201:
	s_or_b64 exec, exec, s[0:1]
	v_mov_b32_e32 v82, 0
	s_waitcnt lgkmcnt(0)
	; wave barrier
	ds_read_b128 v[2:5], v82 offset:320
	ds_read_b128 v[6:9], v82 offset:336
	;; [unrolled: 1-line block ×4, first 2 shown]
	scratch_load_dwordx4 v[18:21], off, off offset:48
	scratch_load_dwordx4 v[38:41], off, off offset:112
	;; [unrolled: 1-line block ×4, first 2 shown]
	v_cmp_lt_u32_e32 vcc, 4, v0
	scratch_load_dwordx4 v[46:49], off, off offset:128
	scratch_load_dwordx4 v[54:57], off, off offset:144
	;; [unrolled: 1-line block ×3, first 2 shown]
	s_waitcnt vmcnt(6) lgkmcnt(3)
	v_mul_f32_e32 v22, v2, v19
	v_fmac_f32_e32 v22, v3, v18
	v_mul_f32_e32 v23, v4, v21
	v_add_f32_e32 v22, 0, v22
	v_fmac_f32_e32 v23, v5, v20
	v_add_f32_e32 v26, v22, v23
	scratch_load_dwordx4 v[22:25], off, off offset:64
	v_mul_f32_e32 v3, v3, v19
	v_fma_f32 v2, v2, v18, -v3
	v_mul_f32_e32 v3, v5, v21
	v_add_f32_e32 v2, 0, v2
	v_fma_f32 v3, v4, v20, -v3
	v_add_f32_e32 v2, v2, v3
	s_waitcnt vmcnt(4)
	v_mov_b32_e32 v18, v81
	s_waitcnt vmcnt(0) lgkmcnt(2)
	v_mul_f32_e32 v27, v6, v23
	v_fmac_f32_e32 v27, v7, v22
	v_add_f32_e32 v26, v26, v27
	v_mul_f32_e32 v27, v8, v25
	v_fmac_f32_e32 v27, v9, v24
	v_add_f32_e32 v30, v26, v27
	scratch_load_dwordx4 v[26:29], off, off offset:80
	v_mul_f32_e32 v3, v7, v23
	v_fma_f32 v3, v6, v22, -v3
	v_add_f32_e32 v2, v2, v3
	v_mul_f32_e32 v3, v9, v25
	v_fma_f32 v3, v8, v24, -v3
	v_add_f32_e32 v2, v2, v3
	s_waitcnt vmcnt(0) lgkmcnt(1)
	v_mul_f32_e32 v31, v10, v27
	v_fmac_f32_e32 v31, v11, v26
	v_add_f32_e32 v30, v30, v31
	v_mul_f32_e32 v31, v12, v29
	v_fmac_f32_e32 v31, v13, v28
	v_add_f32_e32 v34, v30, v31
	scratch_load_dwordx4 v[30:33], off, off offset:96
	v_mul_f32_e32 v3, v11, v27
	v_fma_f32 v3, v10, v26, -v3
	v_add_f32_e32 v2, v2, v3
	v_mul_f32_e32 v3, v13, v29
	v_fma_f32 v3, v12, v28, -v3
	v_add_f32_e32 v2, v2, v3
	s_waitcnt vmcnt(0) lgkmcnt(0)
	v_mul_f32_e32 v35, v14, v31
	v_fmac_f32_e32 v35, v15, v30
	v_add_f32_e32 v34, v34, v35
	v_mul_f32_e32 v35, v16, v33
	v_fmac_f32_e32 v35, v17, v32
	v_add_f32_e32 v42, v34, v35
	ds_read_b128 v[34:37], v82 offset:384
	v_mul_f32_e32 v3, v15, v31
	v_fma_f32 v3, v14, v30, -v3
	v_add_f32_e32 v2, v2, v3
	v_mul_f32_e32 v3, v17, v33
	s_waitcnt lgkmcnt(0)
	v_mul_f32_e32 v43, v34, v39
	v_fmac_f32_e32 v43, v35, v38
	v_add_f32_e32 v42, v42, v43
	v_mul_f32_e32 v43, v36, v41
	v_fmac_f32_e32 v43, v37, v40
	v_add_f32_e32 v50, v42, v43
	ds_read_b128 v[42:45], v82 offset:400
	v_fma_f32 v3, v16, v32, -v3
	v_add_f32_e32 v2, v2, v3
	v_mul_f32_e32 v3, v35, v39
	v_fma_f32 v3, v34, v38, -v3
	s_waitcnt lgkmcnt(0)
	v_mul_f32_e32 v51, v42, v47
	v_fmac_f32_e32 v51, v43, v46
	v_add_f32_e32 v50, v50, v51
	v_mul_f32_e32 v51, v44, v49
	v_fmac_f32_e32 v51, v45, v48
	v_add_f32_e32 v58, v50, v51
	ds_read_b128 v[50:53], v82 offset:416
	v_add_f32_e32 v2, v2, v3
	v_mul_f32_e32 v3, v37, v41
	v_fma_f32 v3, v36, v40, -v3
	v_add_f32_e32 v2, v2, v3
	s_waitcnt lgkmcnt(0)
	v_mul_f32_e32 v59, v50, v55
	v_fmac_f32_e32 v59, v51, v54
	v_add_f32_e32 v58, v58, v59
	v_mul_f32_e32 v59, v52, v57
	v_fmac_f32_e32 v59, v53, v56
	v_add_f32_e32 v66, v58, v59
	ds_read_b128 v[58:61], v82 offset:432
	v_mul_f32_e32 v3, v43, v47
	v_fma_f32 v3, v42, v46, -v3
	v_add_f32_e32 v2, v2, v3
	v_mul_f32_e32 v3, v45, v49
	s_waitcnt lgkmcnt(0)
	v_mul_f32_e32 v67, v58, v63
	v_fmac_f32_e32 v67, v59, v62
	v_add_f32_e32 v66, v66, v67
	v_mul_f32_e32 v67, v60, v65
	v_fmac_f32_e32 v67, v61, v64
	v_add_f32_e32 v74, v66, v67
	ds_read_b128 v[66:69], v82 offset:448
	v_fma_f32 v3, v44, v48, -v3
	v_add_f32_e32 v2, v2, v3
	v_mul_f32_e32 v3, v51, v55
	v_fma_f32 v3, v50, v54, -v3
	s_waitcnt lgkmcnt(0)
	v_mul_f32_e32 v75, v66, v71
	v_fmac_f32_e32 v75, v67, v70
	v_add_f32_e32 v97, v74, v75
	ds_read_b128 v[74:77], v82 offset:464
	scratch_load_dwordx4 v[84:87], off, off offset:208
	scratch_load_dwordx4 v[88:91], off, off offset:224
	;; [unrolled: 1-line block ×3, first 2 shown]
	scratch_load_dwordx2 v[102:103], off, off offset:256
	v_add_f32_e32 v2, v2, v3
	v_mul_f32_e32 v3, v53, v57
	v_fma_f32 v3, v52, v56, -v3
	v_add_f32_e32 v2, v2, v3
	v_mul_f32_e32 v3, v59, v63
	v_fma_f32 v3, v58, v62, -v3
	;; [unrolled: 3-line block ×4, first 2 shown]
	v_add_f32_e32 v96, v2, v3
	v_mul_f32_e32 v2, v69, v73
	v_mul_f32_e32 v99, v68, v73
	v_fma_f32 v98, v68, v72, -v2
	s_waitcnt lgkmcnt(0)
	v_mul_f32_e32 v2, v75, v79
	v_fmac_f32_e32 v99, v69, v72
	v_mul_f32_e32 v101, v74, v79
	v_fma_f32 v100, v74, v78, -v2
	ds_read_b128 v[2:5], v82 offset:480
	ds_read_b128 v[6:9], v82 offset:496
	;; [unrolled: 1-line block ×3, first 2 shown]
	ds_read_b64 v[14:15], v82 offset:528
	v_pk_mul_f32 v[18:19], v[76:77], v[18:19] op_sel:[1,0] op_sel_hi:[0,0]
	v_fmac_f32_e32 v101, v75, v78
	v_pk_add_f32 v[16:17], v[96:97], v[98:99]
	v_pk_fma_f32 v[20:21], v[76:77], v[80:81], v[18:19] neg_lo:[0,0,1] neg_hi:[0,0,1]
	v_pk_fma_f32 v[18:19], v[76:77], v[80:81], v[18:19] op_sel_hi:[1,0,1]
	v_pk_add_f32 v[16:17], v[16:17], v[100:101]
	v_mov_b32_e32 v21, v19
	v_pk_add_f32 v[16:17], v[16:17], v[20:21]
	s_waitcnt vmcnt(3) lgkmcnt(3)
	v_pk_mul_f32 v[18:19], v[2:3], v[84:85] op_sel:[1,1] op_sel_hi:[0,1]
	v_pk_fma_f32 v[20:21], v[2:3], v[84:85], v[18:19] neg_lo:[0,0,1] neg_hi:[0,0,1]
	v_pk_fma_f32 v[2:3], v[2:3], v[84:85], v[18:19] op_sel_hi:[1,0,1]
	s_nop 0
	v_mov_b32_e32 v21, v3
	v_pk_add_f32 v[2:3], v[16:17], v[20:21]
	v_mov_b32_e32 v16, v87
	v_pk_mul_f32 v[16:17], v[4:5], v[16:17] op_sel:[1,0] op_sel_hi:[0,0]
	v_pk_fma_f32 v[18:19], v[4:5], v[86:87], v[16:17] neg_lo:[0,0,1] neg_hi:[0,0,1]
	v_pk_fma_f32 v[4:5], v[4:5], v[86:87], v[16:17] op_sel_hi:[1,0,1]
	s_nop 0
	v_mov_b32_e32 v19, v5
	s_waitcnt vmcnt(2) lgkmcnt(2)
	v_pk_mul_f32 v[4:5], v[6:7], v[88:89] op_sel:[1,1] op_sel_hi:[0,1]
	v_pk_fma_f32 v[16:17], v[6:7], v[88:89], v[4:5] neg_lo:[0,0,1] neg_hi:[0,0,1]
	v_pk_fma_f32 v[4:5], v[6:7], v[88:89], v[4:5] op_sel_hi:[1,0,1]
	v_pk_add_f32 v[2:3], v[2:3], v[18:19]
	v_mov_b32_e32 v4, v91
	v_mov_b32_e32 v17, v5
	v_pk_mul_f32 v[4:5], v[8:9], v[4:5] op_sel:[1,0] op_sel_hi:[0,0]
	v_pk_fma_f32 v[6:7], v[8:9], v[90:91], v[4:5] neg_lo:[0,0,1] neg_hi:[0,0,1]
	v_pk_fma_f32 v[4:5], v[8:9], v[90:91], v[4:5] op_sel_hi:[1,0,1]
	v_pk_add_f32 v[2:3], v[2:3], v[16:17]
	v_mov_b32_e32 v7, v5
	s_waitcnt vmcnt(1) lgkmcnt(1)
	v_pk_mul_f32 v[4:5], v[10:11], v[92:93] op_sel:[1,1] op_sel_hi:[0,1]
	v_pk_add_f32 v[2:3], v[2:3], v[6:7]
	v_pk_fma_f32 v[6:7], v[10:11], v[92:93], v[4:5] neg_lo:[0,0,1] neg_hi:[0,0,1]
	v_pk_fma_f32 v[4:5], v[10:11], v[92:93], v[4:5] op_sel_hi:[1,0,1]
	s_nop 0
	v_mov_b32_e32 v4, v95
	v_mov_b32_e32 v7, v5
	v_pk_mul_f32 v[4:5], v[12:13], v[4:5] op_sel:[1,0] op_sel_hi:[0,0]
	v_pk_add_f32 v[2:3], v[2:3], v[6:7]
	v_pk_fma_f32 v[6:7], v[12:13], v[94:95], v[4:5] neg_lo:[0,0,1] neg_hi:[0,0,1]
	v_pk_fma_f32 v[4:5], v[12:13], v[94:95], v[4:5] op_sel_hi:[1,0,1]
	s_nop 0
	v_mov_b32_e32 v7, v5
	s_waitcnt vmcnt(0) lgkmcnt(0)
	v_pk_mul_f32 v[4:5], v[14:15], v[102:103] op_sel:[1,1] op_sel_hi:[0,1]
	v_pk_add_f32 v[2:3], v[2:3], v[6:7]
	v_pk_fma_f32 v[6:7], v[14:15], v[102:103], v[4:5] neg_lo:[0,0,1] neg_hi:[0,0,1]
	v_pk_fma_f32 v[4:5], v[14:15], v[102:103], v[4:5] op_sel_hi:[1,0,1]
	s_nop 0
	v_mov_b32_e32 v7, v5
	scratch_load_dwordx2 v[4:5], off, off offset:40
	v_pk_add_f32 v[2:3], v[2:3], v[6:7]
	s_waitcnt vmcnt(0)
	v_pk_add_f32 v[2:3], v[4:5], v[2:3] neg_lo:[0,1] neg_hi:[0,1]
	scratch_store_dwordx2 off, v[2:3], off offset:40
	s_and_saveexec_b64 s[0:1], vcc
	s_cbranch_execz .LBB32_203
; %bb.202:
	scratch_load_dwordx2 v[2:3], off, off offset:32
	v_mov_b32_e32 v83, v82
	scratch_store_dwordx2 off, v[82:83], off offset:32
	s_waitcnt vmcnt(1)
	ds_write_b64 v1, v[2:3]
.LBB32_203:
	s_or_b64 exec, exec, s[0:1]
	s_waitcnt lgkmcnt(0)
	; wave barrier
	scratch_load_dwordx4 v[10:13], off, off offset:40
	scratch_load_dwordx4 v[26:29], off, off offset:56
	;; [unrolled: 1-line block ×10, first 2 shown]
	ds_read2_b64 v[84:87], v82 offset0:39 offset1:40
	ds_read2_b64 v[88:91], v82 offset0:41 offset1:42
	;; [unrolled: 1-line block ×10, first 2 shown]
	scratch_load_dwordx4 v[54:57], off, off offset:200
	scratch_load_dwordx4 v[46:49], off, off offset:216
	;; [unrolled: 1-line block ×4, first 2 shown]
	scratch_load_dwordx2 v[100:101], off, off offset:32
	v_cmp_lt_u32_e32 vcc, 3, v0
	s_waitcnt vmcnt(14) lgkmcnt(9)
	v_mul_f32_e32 v83, v84, v11
	v_mul_f32_e32 v102, v86, v13
	s_waitcnt vmcnt(12) lgkmcnt(7)
	v_mul_f32_e32 v107, v92, v3
	v_mul_f32_e32 v3, v93, v3
	v_fmac_f32_e32 v83, v85, v10
	v_mul_f32_e32 v104, v88, v27
	v_fmac_f32_e32 v102, v87, v12
	v_fmac_f32_e32 v107, v93, v2
	v_fma_f32 v2, v92, v2, -v3
	v_add_f32_e32 v3, 0, v83
	v_mul_f32_e32 v106, v90, v29
	v_fmac_f32_e32 v104, v89, v26
	v_add_f32_e32 v3, v3, v102
	v_fmac_f32_e32 v106, v91, v28
	v_add_f32_e32 v3, v3, v104
	v_mul_f32_e32 v108, v94, v5
	v_add_f32_e32 v3, v3, v106
	s_waitcnt vmcnt(11) lgkmcnt(6)
	v_mul_f32_e32 v109, v96, v7
	v_fmac_f32_e32 v108, v95, v4
	v_add_f32_e32 v3, v3, v107
	v_mul_f32_e32 v110, v98, v9
	v_fmac_f32_e32 v109, v97, v6
	v_add_f32_e32 v3, v3, v108
	s_waitcnt vmcnt(10) lgkmcnt(5)
	v_mul_f32_e32 v111, v78, v15
	v_fmac_f32_e32 v110, v99, v8
	v_add_f32_e32 v3, v3, v109
	v_mul_f32_e32 v178, v80, v17
	v_fmac_f32_e32 v111, v79, v14
	v_add_f32_e32 v3, v3, v110
	s_waitcnt vmcnt(9) lgkmcnt(4)
	v_mul_f32_e32 v179, v74, v23
	v_fmac_f32_e32 v178, v81, v16
	v_add_f32_e32 v3, v3, v111
	v_mul_f32_e32 v180, v76, v25
	v_fmac_f32_e32 v179, v75, v22
	v_add_f32_e32 v3, v3, v178
	s_waitcnt vmcnt(8) lgkmcnt(3)
	v_mul_f32_e32 v181, v70, v31
	v_fmac_f32_e32 v180, v77, v24
	v_add_f32_e32 v3, v3, v179
	v_mul_f32_e32 v182, v72, v33
	v_fmac_f32_e32 v181, v71, v30
	v_add_f32_e32 v3, v3, v180
	s_waitcnt vmcnt(7) lgkmcnt(2)
	v_mul_f32_e32 v183, v66, v39
	v_mul_f32_e32 v11, v85, v11
	v_fmac_f32_e32 v182, v73, v32
	v_add_f32_e32 v3, v3, v181
	v_mul_f32_e32 v184, v68, v41
	v_mul_f32_e32 v13, v87, v13
	v_fmac_f32_e32 v183, v67, v38
	v_fma_f32 v10, v84, v10, -v11
	v_add_f32_e32 v3, v3, v182
	s_waitcnt vmcnt(6) lgkmcnt(1)
	v_mul_f32_e32 v185, v62, v43
	v_mul_f32_e32 v27, v89, v27
	v_fmac_f32_e32 v184, v69, v40
	v_fma_f32 v11, v86, v12, -v13
	v_add_f32_e32 v10, 0, v10
	v_add_f32_e32 v3, v3, v183
	v_mul_f32_e32 v186, v64, v45
	v_mul_f32_e32 v29, v91, v29
	v_fmac_f32_e32 v185, v63, v42
	v_fma_f32 v12, v88, v26, -v27
	v_add_f32_e32 v10, v10, v11
	v_add_f32_e32 v3, v3, v184
	v_fmac_f32_e32 v186, v65, v44
	v_fma_f32 v13, v90, v28, -v29
	v_add_f32_e32 v10, v10, v12
	v_add_f32_e32 v3, v3, v185
	v_add_f32_e32 v10, v10, v13
	v_add_f32_e32 v27, v3, v186
	v_mul_f32_e32 v3, v95, v5
	v_add_f32_e32 v2, v10, v2
	v_fma_f32 v3, v94, v4, -v3
	v_add_f32_e32 v2, v2, v3
	v_mul_f32_e32 v3, v97, v7
	v_fma_f32 v3, v96, v6, -v3
	v_add_f32_e32 v2, v2, v3
	v_mul_f32_e32 v3, v99, v9
	;; [unrolled: 3-line block ×12, first 2 shown]
	v_fma_f32 v3, v64, v44, -v3
	v_add_f32_e32 v26, v2, v3
	s_waitcnt vmcnt(5) lgkmcnt(0)
	v_mul_f32_e32 v2, v59, v51
	v_fma_f32 v102, v58, v50, -v2
	v_mul_f32_e32 v2, v61, v53
	v_fma_f32 v104, v60, v52, -v2
	ds_read2_b64 v[2:5], v82 offset0:59 offset1:60
	ds_read2_b64 v[6:9], v82 offset0:61 offset1:62
	;; [unrolled: 1-line block ×4, first 2 shown]
	v_mul_f32_e32 v103, v58, v51
	v_mul_f32_e32 v105, v60, v53
	v_fmac_f32_e32 v103, v59, v50
	s_waitcnt vmcnt(4) lgkmcnt(3)
	v_pk_mul_f32 v[24:25], v[2:3], v[54:55] op_sel:[1,1] op_sel_hi:[0,1]
	v_fmac_f32_e32 v105, v61, v52
	v_pk_add_f32 v[22:23], v[26:27], v[102:103]
	v_pk_fma_f32 v[26:27], v[2:3], v[54:55], v[24:25] neg_lo:[0,0,1] neg_hi:[0,0,1]
	v_pk_fma_f32 v[2:3], v[2:3], v[54:55], v[24:25] op_sel_hi:[1,0,1]
	v_pk_add_f32 v[22:23], v[22:23], v[104:105]
	v_mov_b32_e32 v27, v3
	v_pk_add_f32 v[2:3], v[22:23], v[26:27]
	v_mov_b32_e32 v22, v57
	v_pk_mul_f32 v[22:23], v[4:5], v[22:23] op_sel:[1,0] op_sel_hi:[0,0]
	v_pk_fma_f32 v[24:25], v[4:5], v[56:57], v[22:23] neg_lo:[0,0,1] neg_hi:[0,0,1]
	v_pk_fma_f32 v[4:5], v[4:5], v[56:57], v[22:23] op_sel_hi:[1,0,1]
	s_nop 0
	v_mov_b32_e32 v25, v5
	s_waitcnt vmcnt(3) lgkmcnt(2)
	v_pk_mul_f32 v[4:5], v[6:7], v[46:47] op_sel:[1,1] op_sel_hi:[0,1]
	v_pk_fma_f32 v[22:23], v[6:7], v[46:47], v[4:5] neg_lo:[0,0,1] neg_hi:[0,0,1]
	v_pk_fma_f32 v[4:5], v[6:7], v[46:47], v[4:5] op_sel_hi:[1,0,1]
	v_pk_add_f32 v[2:3], v[2:3], v[24:25]
	v_mov_b32_e32 v4, v49
	v_mov_b32_e32 v23, v5
	v_pk_mul_f32 v[4:5], v[8:9], v[4:5] op_sel:[1,0] op_sel_hi:[0,0]
	v_pk_fma_f32 v[6:7], v[8:9], v[48:49], v[4:5] neg_lo:[0,0,1] neg_hi:[0,0,1]
	v_pk_fma_f32 v[4:5], v[8:9], v[48:49], v[4:5] op_sel_hi:[1,0,1]
	v_pk_add_f32 v[2:3], v[2:3], v[22:23]
	v_mov_b32_e32 v7, v5
	s_waitcnt vmcnt(2) lgkmcnt(1)
	v_pk_mul_f32 v[4:5], v[10:11], v[34:35] op_sel:[1,1] op_sel_hi:[0,1]
	v_pk_add_f32 v[2:3], v[2:3], v[6:7]
	v_pk_fma_f32 v[6:7], v[10:11], v[34:35], v[4:5] neg_lo:[0,0,1] neg_hi:[0,0,1]
	v_pk_fma_f32 v[4:5], v[10:11], v[34:35], v[4:5] op_sel_hi:[1,0,1]
	s_nop 0
	v_mov_b32_e32 v4, v37
	v_mov_b32_e32 v7, v5
	v_pk_mul_f32 v[4:5], v[12:13], v[4:5] op_sel:[1,0] op_sel_hi:[0,0]
	v_pk_add_f32 v[2:3], v[2:3], v[6:7]
	v_pk_fma_f32 v[6:7], v[12:13], v[36:37], v[4:5] neg_lo:[0,0,1] neg_hi:[0,0,1]
	v_pk_fma_f32 v[4:5], v[12:13], v[36:37], v[4:5] op_sel_hi:[1,0,1]
	s_nop 0
	v_mov_b32_e32 v7, v5
	s_waitcnt vmcnt(1) lgkmcnt(0)
	v_pk_mul_f32 v[4:5], v[14:15], v[18:19] op_sel:[1,1] op_sel_hi:[0,1]
	v_pk_add_f32 v[2:3], v[2:3], v[6:7]
	v_pk_fma_f32 v[6:7], v[14:15], v[18:19], v[4:5] neg_lo:[0,0,1] neg_hi:[0,0,1]
	v_pk_fma_f32 v[4:5], v[14:15], v[18:19], v[4:5] op_sel_hi:[1,0,1]
	s_nop 0
	v_mov_b32_e32 v4, v21
	v_mov_b32_e32 v7, v5
	v_pk_mul_f32 v[4:5], v[16:17], v[4:5] op_sel:[1,0] op_sel_hi:[0,0]
	v_pk_add_f32 v[2:3], v[2:3], v[6:7]
	v_pk_fma_f32 v[6:7], v[16:17], v[20:21], v[4:5] neg_lo:[0,0,1] neg_hi:[0,0,1]
	v_pk_fma_f32 v[4:5], v[16:17], v[20:21], v[4:5] op_sel_hi:[1,0,1]
	s_nop 0
	v_mov_b32_e32 v7, v5
	v_pk_add_f32 v[2:3], v[2:3], v[6:7]
	s_waitcnt vmcnt(0)
	v_pk_add_f32 v[2:3], v[100:101], v[2:3] neg_lo:[0,1] neg_hi:[0,1]
	scratch_store_dwordx2 off, v[2:3], off offset:32
	s_and_saveexec_b64 s[0:1], vcc
	s_cbranch_execz .LBB32_205
; %bb.204:
	scratch_load_dwordx2 v[2:3], off, off offset:24
	v_mov_b32_e32 v4, 0
	v_mov_b32_e32 v5, v4
	scratch_store_dwordx2 off, v[4:5], off offset:24
	s_waitcnt vmcnt(1)
	ds_write_b64 v1, v[2:3]
.LBB32_205:
	s_or_b64 exec, exec, s[0:1]
	s_waitcnt lgkmcnt(0)
	; wave barrier
	scratch_load_dwordx4 v[26:29], off, off offset:32
	scratch_load_dwordx4 v[2:5], off, off offset:48
	;; [unrolled: 1-line block ×14, first 2 shown]
	scratch_load_dwordx2 v[58:59], off, off offset:256
	scratch_load_dwordx2 v[100:101], off, off offset:24
	v_mov_b32_e32 v102, 0
	ds_read_b128 v[60:63], v102 offset:304
	ds_read_b128 v[64:67], v102 offset:320
	;; [unrolled: 1-line block ×12, first 2 shown]
	v_cmp_lt_u32_e32 vcc, 2, v0
	s_waitcnt vmcnt(15) lgkmcnt(11)
	v_mul_f32_e32 v103, v60, v27
	v_mul_f32_e32 v178, v62, v29
	s_waitcnt vmcnt(14) lgkmcnt(10)
	v_mul_f32_e32 v180, v64, v3
	v_mul_f32_e32 v3, v65, v3
	v_fmac_f32_e32 v103, v61, v26
	v_fmac_f32_e32 v178, v63, v28
	;; [unrolled: 1-line block ×3, first 2 shown]
	v_fma_f32 v2, v64, v2, -v3
	v_add_f32_e32 v3, 0, v103
	v_mul_f32_e32 v182, v66, v5
	v_add_f32_e32 v3, v3, v178
	s_waitcnt vmcnt(13) lgkmcnt(9)
	v_mul_f32_e32 v183, v68, v7
	v_fmac_f32_e32 v182, v67, v4
	v_add_f32_e32 v3, v3, v180
	v_mul_f32_e32 v184, v70, v9
	v_fmac_f32_e32 v183, v69, v6
	v_add_f32_e32 v3, v3, v182
	s_waitcnt vmcnt(12) lgkmcnt(8)
	v_mul_f32_e32 v185, v72, v11
	v_fmac_f32_e32 v184, v71, v8
	v_add_f32_e32 v3, v3, v183
	v_mul_f32_e32 v186, v74, v13
	v_fmac_f32_e32 v185, v73, v10
	;; [unrolled: 7-line block ×6, first 2 shown]
	v_add_f32_e32 v3, v3, v192
	s_waitcnt vmcnt(7) lgkmcnt(3)
	v_mul_f32_e32 v195, v92, v43
	v_fmac_f32_e32 v194, v91, v40
	v_add_f32_e32 v3, v3, v193
	v_mul_f32_e32 v196, v94, v45
	v_mul_f32_e32 v27, v61, v27
	v_fmac_f32_e32 v195, v93, v42
	v_add_f32_e32 v3, v3, v194
	s_waitcnt vmcnt(6) lgkmcnt(2)
	v_mul_f32_e32 v197, v96, v51
	v_mul_f32_e32 v29, v63, v29
	v_fmac_f32_e32 v196, v95, v44
	v_fma_f32 v26, v60, v26, -v27
	v_add_f32_e32 v3, v3, v195
	v_fmac_f32_e32 v197, v97, v50
	v_fma_f32 v27, v62, v28, -v29
	v_add_f32_e32 v26, 0, v26
	v_add_f32_e32 v3, v3, v196
	;; [unrolled: 1-line block ×4, first 2 shown]
	v_mul_f32_e32 v3, v67, v5
	v_add_f32_e32 v2, v26, v2
	v_fma_f32 v3, v66, v4, -v3
	v_add_f32_e32 v2, v2, v3
	v_mul_f32_e32 v3, v69, v7
	v_fma_f32 v3, v68, v6, -v3
	v_add_f32_e32 v2, v2, v3
	v_mul_f32_e32 v3, v71, v9
	v_fma_f32 v3, v70, v8, -v3
	v_add_f32_e32 v2, v2, v3
	v_mul_f32_e32 v3, v73, v11
	v_fma_f32 v3, v72, v10, -v3
	v_add_f32_e32 v2, v2, v3
	v_mul_f32_e32 v3, v75, v13
	v_fma_f32 v3, v74, v12, -v3
	v_add_f32_e32 v2, v2, v3
	v_mul_f32_e32 v3, v77, v15
	v_fma_f32 v3, v76, v14, -v3
	v_add_f32_e32 v2, v2, v3
	v_mul_f32_e32 v3, v79, v17
	v_fma_f32 v3, v78, v16, -v3
	v_add_f32_e32 v2, v2, v3
	v_mul_f32_e32 v3, v81, v23
	v_fma_f32 v3, v80, v22, -v3
	v_add_f32_e32 v2, v2, v3
	v_mul_f32_e32 v3, v83, v25
	v_fma_f32 v3, v82, v24, -v3
	v_add_f32_e32 v2, v2, v3
	v_mul_f32_e32 v3, v85, v31
	v_fma_f32 v3, v84, v30, -v3
	v_add_f32_e32 v2, v2, v3
	v_mul_f32_e32 v3, v87, v33
	v_fma_f32 v3, v86, v32, -v3
	v_add_f32_e32 v2, v2, v3
	v_mul_f32_e32 v3, v89, v39
	v_fma_f32 v3, v88, v38, -v3
	v_add_f32_e32 v2, v2, v3
	v_mul_f32_e32 v3, v91, v41
	v_fma_f32 v3, v90, v40, -v3
	v_add_f32_e32 v2, v2, v3
	v_mul_f32_e32 v3, v93, v43
	v_fma_f32 v3, v92, v42, -v3
	v_add_f32_e32 v2, v2, v3
	v_mul_f32_e32 v3, v95, v45
	v_fma_f32 v3, v94, v44, -v3
	v_add_f32_e32 v2, v2, v3
	v_mul_f32_e32 v3, v97, v51
	v_fma_f32 v3, v96, v50, -v3
	v_mul_f32_e32 v179, v98, v53
	v_add_f32_e32 v26, v2, v3
	v_mul_f32_e32 v2, v99, v53
	s_waitcnt vmcnt(5)
	v_mov_b32_e32 v14, v57
	s_waitcnt lgkmcnt(1)
	v_mul_f32_e32 v181, v104, v55
	v_fmac_f32_e32 v179, v99, v52
	v_fma_f32 v178, v98, v52, -v2
	v_mul_f32_e32 v2, v105, v55
	v_pk_mul_f32 v[14:15], v[106:107], v[14:15] op_sel:[1,0] op_sel_hi:[0,0]
	v_fmac_f32_e32 v181, v105, v54
	v_fma_f32 v180, v104, v54, -v2
	v_pk_add_f32 v[12:13], v[26:27], v[178:179]
	v_pk_fma_f32 v[16:17], v[106:107], v[56:57], v[14:15] neg_lo:[0,0,1] neg_hi:[0,0,1]
	v_pk_fma_f32 v[14:15], v[106:107], v[56:57], v[14:15] op_sel_hi:[1,0,1]
	v_pk_add_f32 v[12:13], v[12:13], v[180:181]
	v_mov_b32_e32 v17, v15
	s_waitcnt vmcnt(4) lgkmcnt(0)
	v_pk_mul_f32 v[14:15], v[108:109], v[46:47] op_sel:[1,1] op_sel_hi:[0,1]
	v_pk_add_f32 v[12:13], v[12:13], v[16:17]
	v_pk_fma_f32 v[16:17], v[108:109], v[46:47], v[14:15] neg_lo:[0,0,1] neg_hi:[0,0,1]
	v_pk_fma_f32 v[14:15], v[108:109], v[46:47], v[14:15] op_sel_hi:[1,0,1]
	ds_read_b128 v[2:5], v102 offset:496
	ds_read_b128 v[6:9], v102 offset:512
	ds_read_b64 v[10:11], v102 offset:528
	v_mov_b32_e32 v14, v49
	v_mov_b32_e32 v17, v15
	v_pk_mul_f32 v[14:15], v[110:111], v[14:15] op_sel:[1,0] op_sel_hi:[0,0]
	v_pk_add_f32 v[12:13], v[12:13], v[16:17]
	v_pk_fma_f32 v[16:17], v[110:111], v[48:49], v[14:15] neg_lo:[0,0,1] neg_hi:[0,0,1]
	v_pk_fma_f32 v[14:15], v[110:111], v[48:49], v[14:15] op_sel_hi:[1,0,1]
	s_nop 0
	v_mov_b32_e32 v17, v15
	s_waitcnt vmcnt(3) lgkmcnt(2)
	v_pk_mul_f32 v[14:15], v[2:3], v[34:35] op_sel:[1,1] op_sel_hi:[0,1]
	v_pk_add_f32 v[12:13], v[12:13], v[16:17]
	v_pk_fma_f32 v[16:17], v[2:3], v[34:35], v[14:15] neg_lo:[0,0,1] neg_hi:[0,0,1]
	v_pk_fma_f32 v[2:3], v[2:3], v[34:35], v[14:15] op_sel_hi:[1,0,1]
	s_nop 0
	v_mov_b32_e32 v17, v3
	v_pk_add_f32 v[2:3], v[12:13], v[16:17]
	v_mov_b32_e32 v12, v37
	v_pk_mul_f32 v[12:13], v[4:5], v[12:13] op_sel:[1,0] op_sel_hi:[0,0]
	v_pk_fma_f32 v[14:15], v[4:5], v[36:37], v[12:13] neg_lo:[0,0,1] neg_hi:[0,0,1]
	v_pk_fma_f32 v[4:5], v[4:5], v[36:37], v[12:13] op_sel_hi:[1,0,1]
	s_nop 0
	v_mov_b32_e32 v15, v5
	s_waitcnt vmcnt(2) lgkmcnt(1)
	v_pk_mul_f32 v[4:5], v[6:7], v[18:19] op_sel:[1,1] op_sel_hi:[0,1]
	v_pk_fma_f32 v[12:13], v[6:7], v[18:19], v[4:5] neg_lo:[0,0,1] neg_hi:[0,0,1]
	v_pk_fma_f32 v[4:5], v[6:7], v[18:19], v[4:5] op_sel_hi:[1,0,1]
	v_pk_add_f32 v[2:3], v[2:3], v[14:15]
	v_mov_b32_e32 v4, v21
	v_mov_b32_e32 v13, v5
	v_pk_mul_f32 v[4:5], v[8:9], v[4:5] op_sel:[1,0] op_sel_hi:[0,0]
	v_pk_fma_f32 v[6:7], v[8:9], v[20:21], v[4:5] neg_lo:[0,0,1] neg_hi:[0,0,1]
	v_pk_fma_f32 v[4:5], v[8:9], v[20:21], v[4:5] op_sel_hi:[1,0,1]
	v_pk_add_f32 v[2:3], v[2:3], v[12:13]
	v_mov_b32_e32 v7, v5
	s_waitcnt vmcnt(1) lgkmcnt(0)
	v_pk_mul_f32 v[4:5], v[10:11], v[58:59] op_sel:[1,1] op_sel_hi:[0,1]
	v_pk_add_f32 v[2:3], v[2:3], v[6:7]
	v_pk_fma_f32 v[6:7], v[10:11], v[58:59], v[4:5] neg_lo:[0,0,1] neg_hi:[0,0,1]
	v_pk_fma_f32 v[4:5], v[10:11], v[58:59], v[4:5] op_sel_hi:[1,0,1]
	s_nop 0
	v_mov_b32_e32 v7, v5
	v_pk_add_f32 v[2:3], v[2:3], v[6:7]
	s_waitcnt vmcnt(0)
	v_pk_add_f32 v[2:3], v[100:101], v[2:3] neg_lo:[0,1] neg_hi:[0,1]
	scratch_store_dwordx2 off, v[2:3], off offset:24
	s_and_saveexec_b64 s[0:1], vcc
	s_cbranch_execz .LBB32_207
; %bb.206:
	scratch_load_dwordx2 v[2:3], off, off offset:16
	v_mov_b32_e32 v103, v102
	scratch_store_dwordx2 off, v[102:103], off offset:16
	s_waitcnt vmcnt(1)
	ds_write_b64 v1, v[2:3]
.LBB32_207:
	s_or_b64 exec, exec, s[0:1]
	s_waitcnt lgkmcnt(0)
	; wave barrier
	scratch_load_dwordx4 v[18:21], off, off offset:24
	scratch_load_dwordx4 v[2:5], off, off offset:40
	;; [unrolled: 1-line block ×11, first 2 shown]
	ds_read2_b64 v[104:107], v102 offset0:37 offset1:38
	ds_read2_b64 v[98:101], v102 offset0:39 offset1:40
	;; [unrolled: 1-line block ×10, first 2 shown]
	scratch_load_dwordx4 v[58:61], off, off offset:200
	scratch_load_dwordx4 v[50:53], off, off offset:216
	;; [unrolled: 1-line block ×4, first 2 shown]
	ds_read2_b64 v[78:81], v102 offset0:57 offset1:58
	ds_read2_b64 v[108:111], v102 offset0:59 offset1:60
	scratch_load_dwordx2 v[178:179], off, off offset:16
	v_cmp_lt_u32_e32 vcc, 1, v0
	s_waitcnt vmcnt(15) lgkmcnt(11)
	v_mul_f32_e32 v103, v104, v19
	v_mul_f32_e32 v180, v106, v21
	s_waitcnt vmcnt(14) lgkmcnt(10)
	v_mul_f32_e32 v182, v98, v3
	v_mul_f32_e32 v3, v99, v3
	v_fmac_f32_e32 v103, v105, v18
	v_fmac_f32_e32 v180, v107, v20
	;; [unrolled: 1-line block ×3, first 2 shown]
	v_fma_f32 v2, v98, v2, -v3
	v_add_f32_e32 v3, 0, v103
	v_mul_f32_e32 v184, v100, v5
	v_add_f32_e32 v3, v3, v180
	s_waitcnt vmcnt(13) lgkmcnt(9)
	v_mul_f32_e32 v185, v94, v7
	v_fmac_f32_e32 v184, v101, v4
	v_add_f32_e32 v3, v3, v182
	v_mul_f32_e32 v186, v96, v9
	v_fmac_f32_e32 v185, v95, v6
	v_add_f32_e32 v3, v3, v184
	s_waitcnt vmcnt(12) lgkmcnt(8)
	v_mul_f32_e32 v187, v90, v11
	v_fmac_f32_e32 v186, v97, v8
	v_add_f32_e32 v3, v3, v185
	v_mul_f32_e32 v188, v92, v13
	v_fmac_f32_e32 v187, v91, v10
	;; [unrolled: 7-line block ×7, first 2 shown]
	v_add_f32_e32 v3, v3, v196
	s_waitcnt vmcnt(6) lgkmcnt(2)
	v_mul_f32_e32 v199, v62, v47
	v_mul_f32_e32 v19, v105, v19
	v_fmac_f32_e32 v198, v69, v44
	v_add_f32_e32 v3, v3, v197
	v_mul_f32_e32 v200, v64, v49
	v_mul_f32_e32 v21, v107, v21
	v_fmac_f32_e32 v199, v63, v46
	v_fma_f32 v18, v104, v18, -v19
	v_add_f32_e32 v3, v3, v198
	v_fmac_f32_e32 v200, v65, v48
	v_fma_f32 v19, v106, v20, -v21
	v_add_f32_e32 v18, 0, v18
	v_add_f32_e32 v3, v3, v199
	;; [unrolled: 1-line block ×4, first 2 shown]
	v_mul_f32_e32 v3, v101, v5
	v_add_f32_e32 v2, v18, v2
	v_fma_f32 v3, v100, v4, -v3
	v_add_f32_e32 v2, v2, v3
	v_mul_f32_e32 v3, v95, v7
	v_fma_f32 v3, v94, v6, -v3
	v_add_f32_e32 v2, v2, v3
	v_mul_f32_e32 v3, v97, v9
	;; [unrolled: 3-line block ×16, first 2 shown]
	v_fma_f32 v3, v64, v48, -v3
	s_waitcnt vmcnt(5) lgkmcnt(1)
	v_mul_f32_e32 v181, v78, v55
	v_add_f32_e32 v18, v2, v3
	v_mul_f32_e32 v2, v79, v55
	v_fmac_f32_e32 v181, v79, v54
	v_fma_f32 v180, v78, v54, -v2
	s_waitcnt vmcnt(4) lgkmcnt(0)
	v_pk_mul_f32 v[16:17], v[108:109], v[58:59] op_sel:[1,1] op_sel_hi:[0,1]
	v_mul_f32_e32 v183, v80, v57
	v_mul_f32_e32 v2, v81, v57
	v_pk_add_f32 v[14:15], v[18:19], v[180:181]
	v_pk_fma_f32 v[18:19], v[108:109], v[58:59], v[16:17] neg_lo:[0,0,1] neg_hi:[0,0,1]
	v_pk_fma_f32 v[16:17], v[108:109], v[58:59], v[16:17] op_sel_hi:[1,0,1]
	v_fmac_f32_e32 v183, v81, v56
	v_fma_f32 v182, v80, v56, -v2
	ds_read2_b64 v[2:5], v102 offset0:61 offset1:62
	ds_read2_b64 v[6:9], v102 offset0:63 offset1:64
	;; [unrolled: 1-line block ×3, first 2 shown]
	v_mov_b32_e32 v16, v61
	v_pk_add_f32 v[14:15], v[14:15], v[182:183]
	v_mov_b32_e32 v19, v17
	v_pk_mul_f32 v[16:17], v[110:111], v[16:17] op_sel:[1,0] op_sel_hi:[0,0]
	v_pk_add_f32 v[14:15], v[14:15], v[18:19]
	v_pk_fma_f32 v[18:19], v[110:111], v[60:61], v[16:17] neg_lo:[0,0,1] neg_hi:[0,0,1]
	v_pk_fma_f32 v[16:17], v[110:111], v[60:61], v[16:17] op_sel_hi:[1,0,1]
	s_nop 0
	v_mov_b32_e32 v19, v17
	s_waitcnt vmcnt(3) lgkmcnt(2)
	v_pk_mul_f32 v[16:17], v[2:3], v[50:51] op_sel:[1,1] op_sel_hi:[0,1]
	v_pk_add_f32 v[14:15], v[14:15], v[18:19]
	v_pk_fma_f32 v[18:19], v[2:3], v[50:51], v[16:17] neg_lo:[0,0,1] neg_hi:[0,0,1]
	v_pk_fma_f32 v[2:3], v[2:3], v[50:51], v[16:17] op_sel_hi:[1,0,1]
	s_nop 0
	v_mov_b32_e32 v19, v3
	v_pk_add_f32 v[2:3], v[14:15], v[18:19]
	v_mov_b32_e32 v14, v53
	v_pk_mul_f32 v[14:15], v[4:5], v[14:15] op_sel:[1,0] op_sel_hi:[0,0]
	v_pk_fma_f32 v[16:17], v[4:5], v[52:53], v[14:15] neg_lo:[0,0,1] neg_hi:[0,0,1]
	v_pk_fma_f32 v[4:5], v[4:5], v[52:53], v[14:15] op_sel_hi:[1,0,1]
	s_nop 0
	v_mov_b32_e32 v17, v5
	s_waitcnt vmcnt(2) lgkmcnt(1)
	v_pk_mul_f32 v[4:5], v[6:7], v[38:39] op_sel:[1,1] op_sel_hi:[0,1]
	v_pk_fma_f32 v[14:15], v[6:7], v[38:39], v[4:5] neg_lo:[0,0,1] neg_hi:[0,0,1]
	v_pk_fma_f32 v[4:5], v[6:7], v[38:39], v[4:5] op_sel_hi:[1,0,1]
	v_pk_add_f32 v[2:3], v[2:3], v[16:17]
	v_mov_b32_e32 v4, v41
	v_mov_b32_e32 v15, v5
	v_pk_mul_f32 v[4:5], v[8:9], v[4:5] op_sel:[1,0] op_sel_hi:[0,0]
	v_pk_fma_f32 v[6:7], v[8:9], v[40:41], v[4:5] neg_lo:[0,0,1] neg_hi:[0,0,1]
	v_pk_fma_f32 v[4:5], v[8:9], v[40:41], v[4:5] op_sel_hi:[1,0,1]
	v_pk_add_f32 v[2:3], v[2:3], v[14:15]
	v_mov_b32_e32 v7, v5
	s_waitcnt vmcnt(1) lgkmcnt(0)
	v_pk_mul_f32 v[4:5], v[10:11], v[26:27] op_sel:[1,1] op_sel_hi:[0,1]
	v_pk_add_f32 v[2:3], v[2:3], v[6:7]
	v_pk_fma_f32 v[6:7], v[10:11], v[26:27], v[4:5] neg_lo:[0,0,1] neg_hi:[0,0,1]
	v_pk_fma_f32 v[4:5], v[10:11], v[26:27], v[4:5] op_sel_hi:[1,0,1]
	s_nop 0
	v_mov_b32_e32 v4, v29
	v_mov_b32_e32 v7, v5
	v_pk_mul_f32 v[4:5], v[12:13], v[4:5] op_sel:[1,0] op_sel_hi:[0,0]
	v_pk_add_f32 v[2:3], v[2:3], v[6:7]
	v_pk_fma_f32 v[6:7], v[12:13], v[28:29], v[4:5] neg_lo:[0,0,1] neg_hi:[0,0,1]
	v_pk_fma_f32 v[4:5], v[12:13], v[28:29], v[4:5] op_sel_hi:[1,0,1]
	s_nop 0
	v_mov_b32_e32 v7, v5
	v_pk_add_f32 v[2:3], v[2:3], v[6:7]
	s_waitcnt vmcnt(0)
	v_pk_add_f32 v[2:3], v[178:179], v[2:3] neg_lo:[0,1] neg_hi:[0,1]
	scratch_store_dwordx2 off, v[2:3], off offset:16
	s_and_saveexec_b64 s[0:1], vcc
	s_cbranch_execz .LBB32_209
; %bb.208:
	scratch_load_dwordx2 v[2:3], off, off offset:8
	v_mov_b32_e32 v4, 0
	v_mov_b32_e32 v5, v4
	scratch_store_dwordx2 off, v[4:5], off offset:8
	s_waitcnt vmcnt(1)
	ds_write_b64 v1, v[2:3]
.LBB32_209:
	s_or_b64 exec, exec, s[0:1]
	s_waitcnt lgkmcnt(0)
	; wave barrier
	scratch_load_dwordx4 v[2:5], off, off offset:16
	scratch_load_dwordx4 v[6:9], off, off offset:32
	;; [unrolled: 1-line block ×15, first 2 shown]
	scratch_load_dwordx2 v[62:63], off, off offset:256
	scratch_load_dwordx2 v[180:181], off, off offset:8
	v_mov_b32_e32 v178, 0
	ds_read_b128 v[64:67], v178 offset:288
	ds_read_b128 v[68:71], v178 offset:304
	;; [unrolled: 1-line block ×12, first 2 shown]
	v_cmp_ne_u32_e32 vcc, 0, v0
	s_waitcnt vmcnt(16) lgkmcnt(11)
	v_mul_f32_e32 v179, v64, v3
	v_mul_f32_e32 v182, v66, v5
	;; [unrolled: 1-line block ×3, first 2 shown]
	v_fmac_f32_e32 v179, v65, v2
	s_waitcnt vmcnt(15) lgkmcnt(10)
	v_mul_f32_e32 v184, v68, v7
	v_fmac_f32_e32 v182, v67, v4
	v_fma_f32 v2, v64, v2, -v3
	v_add_f32_e32 v3, 0, v179
	v_mul_f32_e32 v186, v70, v9
	v_fmac_f32_e32 v184, v69, v6
	v_add_f32_e32 v3, v3, v182
	s_waitcnt vmcnt(14) lgkmcnt(9)
	v_mul_f32_e32 v187, v72, v11
	v_fmac_f32_e32 v186, v71, v8
	v_add_f32_e32 v3, v3, v184
	v_mul_f32_e32 v188, v74, v13
	v_fmac_f32_e32 v187, v73, v10
	v_add_f32_e32 v3, v3, v186
	s_waitcnt vmcnt(13) lgkmcnt(8)
	v_mul_f32_e32 v189, v76, v15
	v_fmac_f32_e32 v188, v75, v12
	;; [unrolled: 7-line block ×9, first 2 shown]
	v_add_f32_e32 v3, v3, v201
	v_mul_f32_e32 v5, v67, v5
	v_fmac_f32_e32 v203, v105, v58
	v_add_f32_e32 v3, v3, v202
	v_add_f32_e32 v2, 0, v2
	;; [unrolled: 1-line block ×3, first 2 shown]
	v_fma_f32 v3, v66, v4, -v5
	v_add_f32_e32 v2, v2, v3
	v_mul_f32_e32 v3, v69, v7
	v_fma_f32 v3, v68, v6, -v3
	v_add_f32_e32 v2, v2, v3
	v_mul_f32_e32 v3, v71, v9
	;; [unrolled: 3-line block ×20, first 2 shown]
	v_mul_f32_e32 v183, v106, v61
	v_fma_f32 v182, v106, v60, -v2
	s_waitcnt vmcnt(5) lgkmcnt(0)
	v_mul_f32_e32 v2, v109, v55
	v_mov_b32_e32 v18, v57
	v_mul_f32_e32 v185, v108, v55
	v_fmac_f32_e32 v183, v107, v60
	v_fma_f32 v184, v108, v54, -v2
	ds_read_b128 v[2:5], v178 offset:480
	ds_read_b128 v[6:9], v178 offset:496
	;; [unrolled: 1-line block ×3, first 2 shown]
	ds_read_b64 v[14:15], v178 offset:528
	v_pk_mul_f32 v[18:19], v[110:111], v[18:19] op_sel:[1,0] op_sel_hi:[0,0]
	v_fmac_f32_e32 v185, v109, v54
	v_pk_add_f32 v[16:17], v[64:65], v[182:183]
	v_pk_fma_f32 v[20:21], v[110:111], v[56:57], v[18:19] neg_lo:[0,0,1] neg_hi:[0,0,1]
	v_pk_fma_f32 v[18:19], v[110:111], v[56:57], v[18:19] op_sel_hi:[1,0,1]
	v_pk_add_f32 v[16:17], v[16:17], v[184:185]
	v_mov_b32_e32 v21, v19
	s_waitcnt vmcnt(4) lgkmcnt(3)
	v_pk_mul_f32 v[18:19], v[2:3], v[50:51] op_sel:[1,1] op_sel_hi:[0,1]
	v_pk_add_f32 v[16:17], v[16:17], v[20:21]
	v_pk_fma_f32 v[20:21], v[2:3], v[50:51], v[18:19] neg_lo:[0,0,1] neg_hi:[0,0,1]
	v_pk_fma_f32 v[2:3], v[2:3], v[50:51], v[18:19] op_sel_hi:[1,0,1]
	s_nop 0
	v_mov_b32_e32 v21, v3
	v_pk_add_f32 v[2:3], v[16:17], v[20:21]
	v_mov_b32_e32 v16, v53
	v_pk_mul_f32 v[16:17], v[4:5], v[16:17] op_sel:[1,0] op_sel_hi:[0,0]
	v_pk_fma_f32 v[18:19], v[4:5], v[52:53], v[16:17] neg_lo:[0,0,1] neg_hi:[0,0,1]
	v_pk_fma_f32 v[4:5], v[4:5], v[52:53], v[16:17] op_sel_hi:[1,0,1]
	s_nop 0
	v_mov_b32_e32 v19, v5
	s_waitcnt vmcnt(3) lgkmcnt(2)
	v_pk_mul_f32 v[4:5], v[6:7], v[38:39] op_sel:[1,1] op_sel_hi:[0,1]
	v_pk_fma_f32 v[16:17], v[6:7], v[38:39], v[4:5] neg_lo:[0,0,1] neg_hi:[0,0,1]
	v_pk_fma_f32 v[4:5], v[6:7], v[38:39], v[4:5] op_sel_hi:[1,0,1]
	v_pk_add_f32 v[2:3], v[2:3], v[18:19]
	v_mov_b32_e32 v4, v41
	v_mov_b32_e32 v17, v5
	v_pk_mul_f32 v[4:5], v[8:9], v[4:5] op_sel:[1,0] op_sel_hi:[0,0]
	v_pk_fma_f32 v[6:7], v[8:9], v[40:41], v[4:5] neg_lo:[0,0,1] neg_hi:[0,0,1]
	v_pk_fma_f32 v[4:5], v[8:9], v[40:41], v[4:5] op_sel_hi:[1,0,1]
	v_pk_add_f32 v[2:3], v[2:3], v[16:17]
	v_mov_b32_e32 v7, v5
	s_waitcnt vmcnt(2) lgkmcnt(1)
	v_pk_mul_f32 v[4:5], v[10:11], v[26:27] op_sel:[1,1] op_sel_hi:[0,1]
	v_pk_add_f32 v[2:3], v[2:3], v[6:7]
	v_pk_fma_f32 v[6:7], v[10:11], v[26:27], v[4:5] neg_lo:[0,0,1] neg_hi:[0,0,1]
	v_pk_fma_f32 v[4:5], v[10:11], v[26:27], v[4:5] op_sel_hi:[1,0,1]
	s_nop 0
	v_mov_b32_e32 v4, v29
	v_mov_b32_e32 v7, v5
	v_pk_mul_f32 v[4:5], v[12:13], v[4:5] op_sel:[1,0] op_sel_hi:[0,0]
	v_pk_add_f32 v[2:3], v[2:3], v[6:7]
	v_pk_fma_f32 v[6:7], v[12:13], v[28:29], v[4:5] neg_lo:[0,0,1] neg_hi:[0,0,1]
	v_pk_fma_f32 v[4:5], v[12:13], v[28:29], v[4:5] op_sel_hi:[1,0,1]
	s_nop 0
	v_mov_b32_e32 v7, v5
	s_waitcnt vmcnt(1) lgkmcnt(0)
	v_pk_mul_f32 v[4:5], v[14:15], v[62:63] op_sel:[1,1] op_sel_hi:[0,1]
	v_pk_add_f32 v[2:3], v[2:3], v[6:7]
	v_pk_fma_f32 v[6:7], v[14:15], v[62:63], v[4:5] neg_lo:[0,0,1] neg_hi:[0,0,1]
	v_pk_fma_f32 v[4:5], v[14:15], v[62:63], v[4:5] op_sel_hi:[1,0,1]
	s_nop 0
	v_mov_b32_e32 v7, v5
	v_pk_add_f32 v[2:3], v[2:3], v[6:7]
	s_waitcnt vmcnt(0)
	v_pk_add_f32 v[2:3], v[180:181], v[2:3] neg_lo:[0,1] neg_hi:[0,1]
	scratch_store_dwordx2 off, v[2:3], off offset:8
	s_and_saveexec_b64 s[0:1], vcc
	s_cbranch_execz .LBB32_211
; %bb.210:
	scratch_load_dwordx2 v[2:3], off, off
	v_mov_b32_e32 v179, v178
	scratch_store_dwordx2 off, v[178:179], off
	s_waitcnt vmcnt(1)
	ds_write_b64 v1, v[2:3]
.LBB32_211:
	s_or_b64 exec, exec, s[0:1]
	s_waitcnt lgkmcnt(0)
	; wave barrier
	scratch_load_dwordx4 v[0:3], off, off offset:8
	scratch_load_dwordx4 v[4:7], off, off offset:24
	;; [unrolled: 1-line block ×12, first 2 shown]
	ds_read2_b64 v[108:111], v178 offset0:35 offset1:36
	ds_read2_b64 v[104:107], v178 offset0:37 offset1:38
	ds_read2_b64 v[100:103], v178 offset0:39 offset1:40
	ds_read2_b64 v[96:99], v178 offset0:41 offset1:42
	ds_read2_b64 v[92:95], v178 offset0:43 offset1:44
	ds_read2_b64 v[88:91], v178 offset0:45 offset1:46
	ds_read2_b64 v[84:87], v178 offset0:47 offset1:48
	ds_read2_b64 v[80:83], v178 offset0:49 offset1:50
	ds_read2_b64 v[76:79], v178 offset0:51 offset1:52
	ds_read2_b64 v[72:75], v178 offset0:53 offset1:54
	ds_read2_b64 v[68:71], v178 offset0:55 offset1:56
	ds_read2_b64 v[64:67], v178 offset0:57 offset1:58
	scratch_load_dwordx4 v[60:63], off, off offset:200
	scratch_load_dwordx4 v[52:55], off, off offset:216
	;; [unrolled: 1-line block ×4, first 2 shown]
	scratch_load_dwordx2 v[180:181], off, off
	s_and_b64 vcc, exec, s[18:19]
	s_waitcnt vmcnt(16) lgkmcnt(11)
	v_mul_f32_e32 v179, v108, v1
	v_mul_f32_e32 v182, v110, v3
	v_mul_f32_e32 v1, v109, v1
	v_fmac_f32_e32 v179, v109, v0
	s_waitcnt vmcnt(15) lgkmcnt(10)
	v_mul_f32_e32 v184, v104, v5
	v_fmac_f32_e32 v182, v111, v2
	v_fma_f32 v0, v108, v0, -v1
	v_add_f32_e32 v1, 0, v179
	v_mul_f32_e32 v186, v106, v7
	v_fmac_f32_e32 v184, v105, v4
	v_add_f32_e32 v1, v1, v182
	s_waitcnt vmcnt(14) lgkmcnt(9)
	v_mul_f32_e32 v187, v100, v9
	v_fmac_f32_e32 v186, v107, v6
	v_add_f32_e32 v1, v1, v184
	v_mul_f32_e32 v188, v102, v11
	v_fmac_f32_e32 v187, v101, v8
	v_add_f32_e32 v1, v1, v186
	s_waitcnt vmcnt(13) lgkmcnt(8)
	v_mul_f32_e32 v189, v96, v13
	v_fmac_f32_e32 v188, v103, v10
	v_add_f32_e32 v1, v1, v187
	v_mul_f32_e32 v190, v98, v15
	v_fmac_f32_e32 v189, v97, v12
	v_add_f32_e32 v1, v1, v188
	s_waitcnt vmcnt(12) lgkmcnt(7)
	v_mul_f32_e32 v191, v92, v17
	v_fmac_f32_e32 v190, v99, v14
	v_add_f32_e32 v1, v1, v189
	v_mul_f32_e32 v192, v94, v19
	v_fmac_f32_e32 v191, v93, v16
	v_add_f32_e32 v1, v1, v190
	s_waitcnt vmcnt(11) lgkmcnt(6)
	v_mul_f32_e32 v193, v88, v21
	v_fmac_f32_e32 v192, v95, v18
	v_add_f32_e32 v1, v1, v191
	v_mul_f32_e32 v194, v90, v23
	v_fmac_f32_e32 v193, v89, v20
	v_add_f32_e32 v1, v1, v192
	s_waitcnt vmcnt(10) lgkmcnt(5)
	v_mul_f32_e32 v195, v84, v25
	v_fmac_f32_e32 v194, v91, v22
	v_add_f32_e32 v1, v1, v193
	v_mul_f32_e32 v196, v86, v27
	v_fmac_f32_e32 v195, v85, v24
	v_add_f32_e32 v1, v1, v194
	s_waitcnt vmcnt(9) lgkmcnt(4)
	v_mul_f32_e32 v197, v80, v29
	v_fmac_f32_e32 v196, v87, v26
	v_add_f32_e32 v1, v1, v195
	v_mul_f32_e32 v198, v82, v31
	v_fmac_f32_e32 v197, v81, v28
	v_add_f32_e32 v1, v1, v196
	s_waitcnt vmcnt(8) lgkmcnt(3)
	v_mul_f32_e32 v199, v76, v37
	v_fmac_f32_e32 v198, v83, v30
	v_add_f32_e32 v1, v1, v197
	v_mul_f32_e32 v200, v78, v39
	v_fmac_f32_e32 v199, v77, v36
	v_add_f32_e32 v1, v1, v198
	s_waitcnt vmcnt(7) lgkmcnt(2)
	v_mul_f32_e32 v201, v72, v45
	v_fmac_f32_e32 v200, v79, v38
	v_add_f32_e32 v1, v1, v199
	v_mul_f32_e32 v202, v74, v47
	v_fmac_f32_e32 v201, v73, v44
	v_add_f32_e32 v1, v1, v200
	s_waitcnt vmcnt(6) lgkmcnt(1)
	v_mul_f32_e32 v203, v68, v49
	v_fmac_f32_e32 v202, v75, v46
	v_add_f32_e32 v1, v1, v201
	v_mul_f32_e32 v204, v70, v51
	v_fmac_f32_e32 v203, v69, v48
	v_add_f32_e32 v1, v1, v202
	v_fmac_f32_e32 v204, v71, v50
	v_add_f32_e32 v1, v1, v203
	v_add_f32_e32 v109, v1, v204
	v_mul_f32_e32 v1, v111, v3
	v_add_f32_e32 v0, 0, v0
	v_fma_f32 v1, v110, v2, -v1
	v_add_f32_e32 v0, v0, v1
	v_mul_f32_e32 v1, v105, v5
	v_fma_f32 v1, v104, v4, -v1
	v_add_f32_e32 v0, v0, v1
	v_mul_f32_e32 v1, v107, v7
	;; [unrolled: 3-line block ×20, first 2 shown]
	v_fma_f32 v1, v70, v50, -v1
	v_add_f32_e32 v108, v0, v1
	s_waitcnt vmcnt(5) lgkmcnt(0)
	v_mul_f32_e32 v0, v65, v57
	v_fma_f32 v182, v64, v56, -v0
	v_mul_f32_e32 v0, v67, v59
	v_fma_f32 v184, v66, v58, -v0
	ds_read2_b64 v[0:3], v178 offset0:59 offset1:60
	ds_read2_b64 v[4:7], v178 offset0:61 offset1:62
	;; [unrolled: 1-line block ×4, first 2 shown]
	v_mul_f32_e32 v183, v64, v57
	v_mul_f32_e32 v185, v66, v59
	v_fmac_f32_e32 v183, v65, v56
	s_waitcnt vmcnt(4) lgkmcnt(3)
	v_pk_mul_f32 v[18:19], v[0:1], v[60:61] op_sel:[1,1] op_sel_hi:[0,1]
	v_fmac_f32_e32 v185, v67, v58
	v_pk_add_f32 v[16:17], v[108:109], v[182:183]
	v_pk_fma_f32 v[20:21], v[0:1], v[60:61], v[18:19] neg_lo:[0,0,1] neg_hi:[0,0,1]
	v_pk_fma_f32 v[0:1], v[0:1], v[60:61], v[18:19] op_sel_hi:[1,0,1]
	v_pk_add_f32 v[16:17], v[16:17], v[184:185]
	v_mov_b32_e32 v21, v1
	v_pk_add_f32 v[0:1], v[16:17], v[20:21]
	v_mov_b32_e32 v16, v63
	v_pk_mul_f32 v[16:17], v[2:3], v[16:17] op_sel:[1,0] op_sel_hi:[0,0]
	v_pk_fma_f32 v[18:19], v[2:3], v[62:63], v[16:17] neg_lo:[0,0,1] neg_hi:[0,0,1]
	v_pk_fma_f32 v[2:3], v[2:3], v[62:63], v[16:17] op_sel_hi:[1,0,1]
	s_nop 0
	v_mov_b32_e32 v19, v3
	s_waitcnt vmcnt(3) lgkmcnt(2)
	v_pk_mul_f32 v[2:3], v[4:5], v[52:53] op_sel:[1,1] op_sel_hi:[0,1]
	v_pk_fma_f32 v[16:17], v[4:5], v[52:53], v[2:3] neg_lo:[0,0,1] neg_hi:[0,0,1]
	v_pk_fma_f32 v[2:3], v[4:5], v[52:53], v[2:3] op_sel_hi:[1,0,1]
	v_pk_add_f32 v[0:1], v[0:1], v[18:19]
	v_mov_b32_e32 v2, v55
	v_mov_b32_e32 v17, v3
	v_pk_mul_f32 v[2:3], v[6:7], v[2:3] op_sel:[1,0] op_sel_hi:[0,0]
	v_pk_fma_f32 v[4:5], v[6:7], v[54:55], v[2:3] neg_lo:[0,0,1] neg_hi:[0,0,1]
	v_pk_fma_f32 v[2:3], v[6:7], v[54:55], v[2:3] op_sel_hi:[1,0,1]
	v_pk_add_f32 v[0:1], v[0:1], v[16:17]
	v_mov_b32_e32 v5, v3
	s_waitcnt vmcnt(2) lgkmcnt(1)
	v_pk_mul_f32 v[2:3], v[8:9], v[40:41] op_sel:[1,1] op_sel_hi:[0,1]
	v_pk_add_f32 v[0:1], v[0:1], v[4:5]
	v_pk_fma_f32 v[4:5], v[8:9], v[40:41], v[2:3] neg_lo:[0,0,1] neg_hi:[0,0,1]
	v_pk_fma_f32 v[2:3], v[8:9], v[40:41], v[2:3] op_sel_hi:[1,0,1]
	s_nop 0
	v_mov_b32_e32 v2, v43
	v_mov_b32_e32 v5, v3
	v_pk_mul_f32 v[2:3], v[10:11], v[2:3] op_sel:[1,0] op_sel_hi:[0,0]
	v_pk_add_f32 v[0:1], v[0:1], v[4:5]
	v_pk_fma_f32 v[4:5], v[10:11], v[42:43], v[2:3] neg_lo:[0,0,1] neg_hi:[0,0,1]
	v_pk_fma_f32 v[2:3], v[10:11], v[42:43], v[2:3] op_sel_hi:[1,0,1]
	s_nop 0
	v_mov_b32_e32 v5, v3
	s_waitcnt vmcnt(1) lgkmcnt(0)
	v_pk_mul_f32 v[2:3], v[12:13], v[32:33] op_sel:[1,1] op_sel_hi:[0,1]
	v_pk_add_f32 v[0:1], v[0:1], v[4:5]
	v_pk_fma_f32 v[4:5], v[12:13], v[32:33], v[2:3] neg_lo:[0,0,1] neg_hi:[0,0,1]
	v_pk_fma_f32 v[2:3], v[12:13], v[32:33], v[2:3] op_sel_hi:[1,0,1]
	s_nop 0
	v_mov_b32_e32 v2, v35
	v_mov_b32_e32 v5, v3
	v_pk_mul_f32 v[2:3], v[14:15], v[2:3] op_sel:[1,0] op_sel_hi:[0,0]
	v_pk_add_f32 v[0:1], v[0:1], v[4:5]
	v_pk_fma_f32 v[4:5], v[14:15], v[34:35], v[2:3] neg_lo:[0,0,1] neg_hi:[0,0,1]
	v_pk_fma_f32 v[2:3], v[14:15], v[34:35], v[2:3] op_sel_hi:[1,0,1]
	s_nop 0
	v_mov_b32_e32 v5, v3
	v_pk_add_f32 v[0:1], v[0:1], v[4:5]
	s_waitcnt vmcnt(0)
	v_pk_add_f32 v[0:1], v[180:181], v[0:1] neg_lo:[0,1] neg_hi:[0,1]
	scratch_store_dwordx2 off, v[0:1], off
	s_cbranch_vccz .LBB32_276
; %bb.212:
	v_mov_b32_e32 v0, 0
	global_load_dword v1, v0, s[16:17] offset:124
	s_waitcnt vmcnt(0)
	v_readfirstlane_b32 s0, v1
	s_add_i32 s0, s0, -1
	s_cmp_lg_u32 s0, 31
	s_cbranch_scc0 .LBB32_214
; %bb.213:
	s_lshl_b32 s0, s0, 3
	s_nop 0
	scratch_load_dwordx2 v[2:3], off, s0
	scratch_load_dwordx2 v[4:5], off, off offset:248
	s_waitcnt vmcnt(1)
	scratch_store_dwordx2 off, v[2:3], off offset:248
	s_waitcnt vmcnt(1)
	scratch_store_dwordx2 off, v[4:5], s0
.LBB32_214:
	global_load_dword v0, v0, s[16:17] offset:120
	s_waitcnt vmcnt(0)
	v_readfirstlane_b32 s0, v0
	s_add_i32 s0, s0, -1
	s_cmp_eq_u32 s0, 30
	s_cbranch_scc1 .LBB32_216
; %bb.215:
	s_lshl_b32 s0, s0, 3
	s_nop 0
	scratch_load_dwordx2 v[0:1], off, s0
	scratch_load_dwordx2 v[2:3], off, off offset:240
	s_waitcnt vmcnt(1)
	scratch_store_dwordx2 off, v[0:1], off offset:240
	s_waitcnt vmcnt(1)
	scratch_store_dwordx2 off, v[2:3], s0
.LBB32_216:
	v_mov_b32_e32 v0, 0
	global_load_dword v1, v0, s[16:17] offset:116
	s_waitcnt vmcnt(0)
	v_readfirstlane_b32 s0, v1
	s_add_i32 s0, s0, -1
	s_cmp_eq_u32 s0, 29
	s_cbranch_scc1 .LBB32_218
; %bb.217:
	s_lshl_b32 s0, s0, 3
	s_nop 0
	scratch_load_dwordx2 v[2:3], off, s0
	scratch_load_dwordx2 v[4:5], off, off offset:232
	s_waitcnt vmcnt(1)
	scratch_store_dwordx2 off, v[2:3], off offset:232
	s_waitcnt vmcnt(1)
	scratch_store_dwordx2 off, v[4:5], s0
.LBB32_218:
	global_load_dword v0, v0, s[16:17] offset:112
	s_waitcnt vmcnt(0)
	v_readfirstlane_b32 s0, v0
	s_add_i32 s0, s0, -1
	s_cmp_eq_u32 s0, 28
	s_cbranch_scc1 .LBB32_220
; %bb.219:
	s_lshl_b32 s0, s0, 3
	s_nop 0
	scratch_load_dwordx2 v[0:1], off, s0
	scratch_load_dwordx2 v[2:3], off, off offset:224
	s_waitcnt vmcnt(1)
	scratch_store_dwordx2 off, v[0:1], off offset:224
	s_waitcnt vmcnt(1)
	scratch_store_dwordx2 off, v[2:3], s0
.LBB32_220:
	v_mov_b32_e32 v0, 0
	global_load_dword v1, v0, s[16:17] offset:108
	s_waitcnt vmcnt(0)
	v_readfirstlane_b32 s0, v1
	s_add_i32 s0, s0, -1
	s_cmp_eq_u32 s0, 27
	s_cbranch_scc1 .LBB32_222
; %bb.221:
	s_lshl_b32 s0, s0, 3
	s_nop 0
	scratch_load_dwordx2 v[2:3], off, s0
	scratch_load_dwordx2 v[4:5], off, off offset:216
	s_waitcnt vmcnt(1)
	scratch_store_dwordx2 off, v[2:3], off offset:216
	s_waitcnt vmcnt(1)
	scratch_store_dwordx2 off, v[4:5], s0
.LBB32_222:
	;; [unrolled: 33-line block ×15, first 2 shown]
	global_load_dword v2, v0, s[16:17]
	s_nop 0
	scratch_load_dwordx2 v[0:1], off, off
	s_waitcnt vmcnt(1)
	v_readfirstlane_b32 s0, v2
	s_add_i32 s0, s0, -1
	s_cmp_eq_u32 s0, 0
	s_cbranch_scc1 .LBB32_276
; %bb.275:
	s_lshl_b32 s0, s0, 3
	s_nop 0
	scratch_load_dwordx2 v[2:3], off, s0
	s_waitcnt vmcnt(0)
	scratch_store_dwordx2 off, v[2:3], off
	scratch_store_dwordx2 off, v[0:1], s0
	scratch_load_dwordx2 v[0:1], off, off
.LBB32_276:
	s_nop 0
	scratch_load_dwordx4 v[2:5], off, off offset:8
	scratch_load_dwordx4 v[6:9], off, off offset:24
	;; [unrolled: 1-line block ×16, first 2 shown]
	s_waitcnt vmcnt(16)
	global_store_dwordx2 v[112:113], v[0:1], off
	s_waitcnt vmcnt(16)
	global_store_dwordx2 v[114:115], v[2:3], off
	global_store_dwordx2 v[116:117], v[4:5], off
	s_waitcnt vmcnt(17)
	global_store_dwordx2 v[118:119], v[6:7], off
	;; [unrolled: 3-line block ×16, first 2 shown]
	global_store_dwordx2 v[176:177], v[64:65], off
	s_endpgm
	.section	.rodata,"a",@progbits
	.p2align	6, 0x0
	.amdhsa_kernel _ZN9rocsolver6v33100L18getri_kernel_smallILi33E19rocblas_complex_numIfEPS3_EEvT1_iilPiilS6_bb
		.amdhsa_group_segment_fixed_size 536
		.amdhsa_private_segment_fixed_size 272
		.amdhsa_kernarg_size 60
		.amdhsa_user_sgpr_count 2
		.amdhsa_user_sgpr_dispatch_ptr 0
		.amdhsa_user_sgpr_queue_ptr 0
		.amdhsa_user_sgpr_kernarg_segment_ptr 1
		.amdhsa_user_sgpr_dispatch_id 0
		.amdhsa_user_sgpr_kernarg_preload_length 0
		.amdhsa_user_sgpr_kernarg_preload_offset 0
		.amdhsa_user_sgpr_private_segment_size 0
		.amdhsa_uses_dynamic_stack 0
		.amdhsa_enable_private_segment 1
		.amdhsa_system_sgpr_workgroup_id_x 1
		.amdhsa_system_sgpr_workgroup_id_y 0
		.amdhsa_system_sgpr_workgroup_id_z 0
		.amdhsa_system_sgpr_workgroup_info 0
		.amdhsa_system_vgpr_workitem_id 0
		.amdhsa_next_free_vgpr 205
		.amdhsa_next_free_sgpr 20
		.amdhsa_accum_offset 208
		.amdhsa_reserve_vcc 1
		.amdhsa_float_round_mode_32 0
		.amdhsa_float_round_mode_16_64 0
		.amdhsa_float_denorm_mode_32 3
		.amdhsa_float_denorm_mode_16_64 3
		.amdhsa_dx10_clamp 1
		.amdhsa_ieee_mode 1
		.amdhsa_fp16_overflow 0
		.amdhsa_tg_split 0
		.amdhsa_exception_fp_ieee_invalid_op 0
		.amdhsa_exception_fp_denorm_src 0
		.amdhsa_exception_fp_ieee_div_zero 0
		.amdhsa_exception_fp_ieee_overflow 0
		.amdhsa_exception_fp_ieee_underflow 0
		.amdhsa_exception_fp_ieee_inexact 0
		.amdhsa_exception_int_div_zero 0
	.end_amdhsa_kernel
	.section	.text._ZN9rocsolver6v33100L18getri_kernel_smallILi33E19rocblas_complex_numIfEPS3_EEvT1_iilPiilS6_bb,"axG",@progbits,_ZN9rocsolver6v33100L18getri_kernel_smallILi33E19rocblas_complex_numIfEPS3_EEvT1_iilPiilS6_bb,comdat
.Lfunc_end32:
	.size	_ZN9rocsolver6v33100L18getri_kernel_smallILi33E19rocblas_complex_numIfEPS3_EEvT1_iilPiilS6_bb, .Lfunc_end32-_ZN9rocsolver6v33100L18getri_kernel_smallILi33E19rocblas_complex_numIfEPS3_EEvT1_iilPiilS6_bb
                                        ; -- End function
	.set _ZN9rocsolver6v33100L18getri_kernel_smallILi33E19rocblas_complex_numIfEPS3_EEvT1_iilPiilS6_bb.num_vgpr, 205
	.set _ZN9rocsolver6v33100L18getri_kernel_smallILi33E19rocblas_complex_numIfEPS3_EEvT1_iilPiilS6_bb.num_agpr, 0
	.set _ZN9rocsolver6v33100L18getri_kernel_smallILi33E19rocblas_complex_numIfEPS3_EEvT1_iilPiilS6_bb.numbered_sgpr, 20
	.set _ZN9rocsolver6v33100L18getri_kernel_smallILi33E19rocblas_complex_numIfEPS3_EEvT1_iilPiilS6_bb.num_named_barrier, 0
	.set _ZN9rocsolver6v33100L18getri_kernel_smallILi33E19rocblas_complex_numIfEPS3_EEvT1_iilPiilS6_bb.private_seg_size, 272
	.set _ZN9rocsolver6v33100L18getri_kernel_smallILi33E19rocblas_complex_numIfEPS3_EEvT1_iilPiilS6_bb.uses_vcc, 1
	.set _ZN9rocsolver6v33100L18getri_kernel_smallILi33E19rocblas_complex_numIfEPS3_EEvT1_iilPiilS6_bb.uses_flat_scratch, 0
	.set _ZN9rocsolver6v33100L18getri_kernel_smallILi33E19rocblas_complex_numIfEPS3_EEvT1_iilPiilS6_bb.has_dyn_sized_stack, 0
	.set _ZN9rocsolver6v33100L18getri_kernel_smallILi33E19rocblas_complex_numIfEPS3_EEvT1_iilPiilS6_bb.has_recursion, 0
	.set _ZN9rocsolver6v33100L18getri_kernel_smallILi33E19rocblas_complex_numIfEPS3_EEvT1_iilPiilS6_bb.has_indirect_call, 0
	.section	.AMDGPU.csdata,"",@progbits
; Kernel info:
; codeLenInByte = 37408
; TotalNumSgprs: 26
; NumVgprs: 205
; NumAgprs: 0
; TotalNumVgprs: 205
; ScratchSize: 272
; MemoryBound: 0
; FloatMode: 240
; IeeeMode: 1
; LDSByteSize: 536 bytes/workgroup (compile time only)
; SGPRBlocks: 3
; VGPRBlocks: 25
; NumSGPRsForWavesPerEU: 26
; NumVGPRsForWavesPerEU: 205
; AccumOffset: 208
; Occupancy: 2
; WaveLimiterHint : 1
; COMPUTE_PGM_RSRC2:SCRATCH_EN: 1
; COMPUTE_PGM_RSRC2:USER_SGPR: 2
; COMPUTE_PGM_RSRC2:TRAP_HANDLER: 0
; COMPUTE_PGM_RSRC2:TGID_X_EN: 1
; COMPUTE_PGM_RSRC2:TGID_Y_EN: 0
; COMPUTE_PGM_RSRC2:TGID_Z_EN: 0
; COMPUTE_PGM_RSRC2:TIDIG_COMP_CNT: 0
; COMPUTE_PGM_RSRC3_GFX90A:ACCUM_OFFSET: 51
; COMPUTE_PGM_RSRC3_GFX90A:TG_SPLIT: 0
	.section	.text._ZN9rocsolver6v33100L18getri_kernel_smallILi34E19rocblas_complex_numIfEPS3_EEvT1_iilPiilS6_bb,"axG",@progbits,_ZN9rocsolver6v33100L18getri_kernel_smallILi34E19rocblas_complex_numIfEPS3_EEvT1_iilPiilS6_bb,comdat
	.globl	_ZN9rocsolver6v33100L18getri_kernel_smallILi34E19rocblas_complex_numIfEPS3_EEvT1_iilPiilS6_bb ; -- Begin function _ZN9rocsolver6v33100L18getri_kernel_smallILi34E19rocblas_complex_numIfEPS3_EEvT1_iilPiilS6_bb
	.p2align	8
	.type	_ZN9rocsolver6v33100L18getri_kernel_smallILi34E19rocblas_complex_numIfEPS3_EEvT1_iilPiilS6_bb,@function
_ZN9rocsolver6v33100L18getri_kernel_smallILi34E19rocblas_complex_numIfEPS3_EEvT1_iilPiilS6_bb: ; @_ZN9rocsolver6v33100L18getri_kernel_smallILi34E19rocblas_complex_numIfEPS3_EEvT1_iilPiilS6_bb
; %bb.0:
	v_cmp_gt_u32_e32 vcc, 34, v0
	s_and_saveexec_b64 s[4:5], vcc
	s_cbranch_execz .LBB33_150
; %bb.1:
	s_load_dword s8, s[0:1], 0x38
	s_load_dwordx4 s[12:15], s[0:1], 0x10
	s_load_dwordx4 s[4:7], s[0:1], 0x28
                                        ; implicit-def: $sgpr16_sgpr17
	s_waitcnt lgkmcnt(0)
	s_bitcmp1_b32 s8, 8
	s_cselect_b64 s[18:19], -1, 0
	s_ashr_i32 s3, s2, 31
	s_bfe_u32 s8, s8, 0x10008
	s_cmp_eq_u32 s8, 0
	s_cbranch_scc1 .LBB33_3
; %bb.2:
	s_load_dword s8, s[0:1], 0x20
	s_mul_i32 s9, s4, s3
	s_mul_hi_u32 s10, s4, s2
	s_mul_i32 s5, s5, s2
	s_add_i32 s10, s10, s9
	s_add_i32 s5, s10, s5
	s_mul_i32 s4, s4, s2
	s_waitcnt lgkmcnt(0)
	s_ashr_i32 s9, s8, 31
	s_lshl_b64 s[4:5], s[4:5], 2
	s_add_u32 s10, s14, s4
	s_addc_u32 s11, s15, s5
	s_lshl_b64 s[4:5], s[8:9], 2
	s_add_u32 s16, s10, s4
	s_addc_u32 s17, s11, s5
.LBB33_3:
	s_load_dwordx4 s[8:11], s[0:1], 0x0
	s_load_dword s4, s[0:1], 0x38
	s_mul_i32 s5, s12, s3
	s_mul_hi_u32 s14, s12, s2
	s_add_i32 s5, s14, s5
	s_waitcnt lgkmcnt(0)
	s_ashr_i32 s1, s10, 31
	s_mov_b32 s0, s10
	s_mul_i32 s10, s13, s2
	s_add_i32 s13, s5, s10
	s_mul_i32 s12, s12, s2
	s_lshl_b64 s[12:13], s[12:13], 3
	s_add_u32 s5, s8, s12
	s_addc_u32 s8, s9, s13
	s_lshl_b64 s[0:1], s[0:1], 3
	s_add_u32 s0, s5, s0
	s_addc_u32 s1, s8, s1
	s_add_i32 s5, s11, s11
	v_add_u32_e32 v4, s5, v0
	v_ashrrev_i32_e32 v5, 31, v4
	v_lshl_add_u64 v[118:119], v[4:5], 3, s[0:1]
	v_add_u32_e32 v4, s11, v4
	v_ashrrev_i32_e32 v5, 31, v4
	v_lshl_add_u64 v[120:121], v[4:5], 3, s[0:1]
	;; [unrolled: 3-line block ×29, first 2 shown]
	v_add_u32_e32 v4, s11, v4
	v_lshlrev_b32_e32 v2, 3, v0
	v_mov_b32_e32 v3, 0
	v_ashrrev_i32_e32 v5, 31, v4
	v_lshl_add_u64 v[114:115], s[0:1], 0, v[2:3]
	s_ashr_i32 s9, s11, 31
	s_mov_b32 s8, s11
	v_lshl_add_u64 v[176:177], v[4:5], 3, s[0:1]
	v_add_u32_e32 v4, s11, v4
	v_lshl_add_u64 v[116:117], s[8:9], 3, v[114:115]
	v_ashrrev_i32_e32 v5, 31, v4
	global_load_dwordx2 v[6:7], v2, s[0:1]
	global_load_dwordx2 v[8:9], v[116:117], off
	global_load_dwordx2 v[10:11], v[118:119], off
	;; [unrolled: 1-line block ×28, first 2 shown]
	v_lshl_add_u64 v[178:179], v[4:5], 3, s[0:1]
	global_load_dwordx2 v[64:65], v[172:173], off
	global_load_dwordx2 v[66:67], v[174:175], off
	global_load_dwordx2 v[68:69], v[176:177], off
	global_load_dwordx2 v[70:71], v[178:179], off
	v_add_u32_e32 v4, s11, v4
	v_ashrrev_i32_e32 v5, 31, v4
	v_lshl_add_u64 v[180:181], v[4:5], 3, s[0:1]
	global_load_dwordx2 v[72:73], v[180:181], off
	s_bitcmp0_b32 s4, 0
	s_mov_b64 s[4:5], -1
	s_waitcnt vmcnt(32)
	scratch_store_dwordx4 off, v[6:9], off
	s_waitcnt vmcnt(31)
	scratch_store_dwordx4 off, v[10:13], off offset:16
	s_waitcnt vmcnt(30)
	scratch_store_dwordx4 off, v[14:17], off offset:32
	;; [unrolled: 2-line block ×16, first 2 shown]
	s_cbranch_scc1 .LBB33_148
; %bb.4:
	v_cmp_eq_u32_e64 s[0:1], 0, v0
	s_and_saveexec_b64 s[4:5], s[0:1]
; %bb.5:
	v_mov_b32_e32 v1, 0
	ds_write_b32 v1, v1 offset:544
; %bb.6:
	s_or_b64 exec, exec, s[4:5]
	s_waitcnt lgkmcnt(0)
	; wave barrier
	scratch_load_dwordx2 v[4:5], v2, off
	s_waitcnt vmcnt(0)
	v_cmp_eq_f32_e32 vcc, 0, v4
	v_cmp_eq_f32_e64 s[4:5], 0, v5
	s_and_b64 s[4:5], vcc, s[4:5]
	s_and_saveexec_b64 s[8:9], s[4:5]
	s_cbranch_execz .LBB33_10
; %bb.7:
	v_mov_b32_e32 v1, 0
	ds_read_b32 v4, v1 offset:544
	v_add_u32_e32 v3, 1, v0
	s_waitcnt lgkmcnt(0)
	v_readfirstlane_b32 s4, v4
	s_cmp_eq_u32 s4, 0
	s_cselect_b64 s[10:11], -1, 0
	v_cmp_gt_i32_e32 vcc, s4, v3
	s_or_b64 s[10:11], s[10:11], vcc
	s_and_b64 exec, exec, s[10:11]
	s_cbranch_execz .LBB33_10
; %bb.8:
	s_mov_b64 s[10:11], 0
	v_mov_b32_e32 v4, s4
.LBB33_9:                               ; =>This Inner Loop Header: Depth=1
	ds_cmpst_rtn_b32 v4, v1, v4, v3 offset:544
	s_waitcnt lgkmcnt(0)
	v_cmp_ne_u32_e32 vcc, 0, v4
	v_cmp_le_i32_e64 s[4:5], v4, v3
	s_and_b64 s[4:5], vcc, s[4:5]
	s_and_b64 s[4:5], exec, s[4:5]
	s_or_b64 s[10:11], s[4:5], s[10:11]
	s_andn2_b64 exec, exec, s[10:11]
	s_cbranch_execnz .LBB33_9
.LBB33_10:
	s_or_b64 exec, exec, s[8:9]
	v_mov_b32_e32 v3, 0
	; wave barrier
	ds_read_b32 v1, v3 offset:544
	s_and_saveexec_b64 s[4:5], s[0:1]
	s_cbranch_execz .LBB33_12
; %bb.11:
	s_lshl_b64 s[8:9], s[2:3], 2
	s_add_u32 s8, s6, s8
	s_addc_u32 s9, s7, s9
	s_waitcnt lgkmcnt(0)
	global_store_dword v3, v1, s[8:9]
.LBB33_12:
	s_or_b64 exec, exec, s[4:5]
	s_waitcnt lgkmcnt(0)
	v_cmp_ne_u32_e32 vcc, 0, v1
	s_mov_b64 s[4:5], 0
	s_cbranch_vccnz .LBB33_148
; %bb.13:
	v_mov_b32_e32 v3, v2
	scratch_load_dwordx2 v[4:5], v3, off
                                        ; implicit-def: $vgpr7
                                        ; implicit-def: $vgpr8
	s_waitcnt vmcnt(0)
	v_cmp_ngt_f32_e64 s[4:5], |v4|, |v5|
	s_and_saveexec_b64 s[8:9], s[4:5]
	s_xor_b64 s[4:5], exec, s[8:9]
	s_cbranch_execz .LBB33_15
; %bb.14:
	v_div_scale_f32 v1, s[8:9], v5, v5, v4
	v_rcp_f32_e32 v6, v1
	v_div_scale_f32 v7, vcc, v4, v5, v4
	v_fma_f32 v8, -v1, v6, 1.0
	v_fmac_f32_e32 v6, v8, v6
	v_mul_f32_e32 v8, v7, v6
	v_fma_f32 v9, -v1, v8, v7
	v_fmac_f32_e32 v8, v9, v6
	v_fma_f32 v1, -v1, v8, v7
	v_div_fmas_f32 v1, v1, v6, v8
	v_div_fixup_f32 v1, v1, v5, v4
	v_fmac_f32_e32 v5, v4, v1
	v_div_scale_f32 v4, s[8:9], v5, v5, -1.0
	v_rcp_f32_e32 v6, v4
	s_nop 0
	v_fma_f32 v7, -v4, v6, 1.0
	v_fmac_f32_e32 v6, v7, v6
	v_div_scale_f32 v7, vcc, -1.0, v5, -1.0
	v_mul_f32_e32 v8, v7, v6
	v_fma_f32 v9, -v4, v8, v7
	v_fmac_f32_e32 v8, v9, v6
	v_fma_f32 v4, -v4, v8, v7
	v_div_fmas_f32 v4, v4, v6, v8
	v_div_fixup_f32 v7, v4, v5, -1.0
	v_mul_f32_e32 v8, v1, v7
	v_xor_b32_e32 v6, 0x80000000, v8
                                        ; implicit-def: $vgpr4_vgpr5
.LBB33_15:
	s_andn2_saveexec_b64 s[4:5], s[4:5]
	s_cbranch_execz .LBB33_17
; %bb.16:
	v_div_scale_f32 v1, s[8:9], v4, v4, v5
	v_rcp_f32_e32 v6, v1
	v_div_scale_f32 v7, vcc, v5, v4, v5
	v_fma_f32 v8, -v1, v6, 1.0
	v_fmac_f32_e32 v6, v8, v6
	v_mul_f32_e32 v8, v7, v6
	v_fma_f32 v9, -v1, v8, v7
	v_fmac_f32_e32 v8, v9, v6
	v_fma_f32 v1, -v1, v8, v7
	v_div_fmas_f32 v1, v1, v6, v8
	v_div_fixup_f32 v1, v1, v4, v5
	v_fmac_f32_e32 v4, v5, v1
	v_div_scale_f32 v5, s[8:9], v4, v4, 1.0
	v_rcp_f32_e32 v6, v5
	s_nop 0
	v_fma_f32 v7, -v5, v6, 1.0
	v_fmac_f32_e32 v6, v7, v6
	v_div_scale_f32 v7, vcc, 1.0, v4, 1.0
	v_mul_f32_e32 v8, v7, v6
	v_fma_f32 v9, -v5, v8, v7
	v_fmac_f32_e32 v8, v9, v6
	v_fma_f32 v5, -v5, v8, v7
	v_div_fmas_f32 v5, v5, v6, v8
	v_div_fixup_f32 v6, v5, v4, 1.0
	v_xor_b32_e32 v8, 0x80000000, v6
	v_mul_f32_e64 v7, v1, -v6
.LBB33_17:
	s_or_b64 exec, exec, s[4:5]
	scratch_store_dwordx2 v3, v[6:7], off
	scratch_load_dwordx2 v[4:5], off, off offset:8
	v_xor_b32_e32 v9, 0x80000000, v7
	v_add_u32_e32 v1, 0x110, v2
	s_waitcnt vmcnt(0)
	ds_write2_b64 v2, v[8:9], v[4:5] offset1:34
	s_waitcnt lgkmcnt(0)
	; wave barrier
	s_and_saveexec_b64 s[4:5], s[0:1]
	s_cbranch_execz .LBB33_19
; %bb.18:
	scratch_load_dwordx2 v[4:5], v3, off
	ds_read_b64 v[6:7], v1
	v_mov_b32_e32 v8, 0
	ds_read_b64 v[8:9], v8 offset:8
	s_waitcnt vmcnt(0) lgkmcnt(1)
	v_pk_mul_f32 v[10:11], v[6:7], v[4:5] op_sel:[1,1] op_sel_hi:[0,1]
	v_pk_fma_f32 v[12:13], v[6:7], v[4:5], v[10:11] neg_lo:[0,0,1] neg_hi:[0,0,1]
	v_pk_fma_f32 v[4:5], v[6:7], v[4:5], v[10:11] op_sel_hi:[1,0,1]
	s_nop 0
	v_mov_b32_e32 v13, v5
	v_pk_add_f32 v[4:5], v[12:13], 0 op_sel_hi:[1,0]
	s_waitcnt lgkmcnt(0)
	v_pk_mul_f32 v[6:7], v[4:5], v[8:9] op_sel:[1,1] op_sel_hi:[0,1]
	v_pk_fma_f32 v[10:11], v[4:5], v[8:9], v[6:7] neg_lo:[0,0,1] neg_hi:[0,0,1]
	v_pk_fma_f32 v[4:5], v[4:5], v[8:9], v[6:7] op_sel_hi:[1,0,1]
	s_nop 0
	v_mov_b32_e32 v11, v5
	scratch_store_dwordx2 off, v[10:11], off offset:8
.LBB33_19:
	s_or_b64 exec, exec, s[4:5]
	; wave barrier
	scratch_load_dwordx2 v[4:5], off, off offset:16
	v_cmp_gt_u32_e32 vcc, 2, v0
	s_waitcnt vmcnt(0)
	ds_write_b64 v1, v[4:5]
	s_waitcnt lgkmcnt(0)
	; wave barrier
	s_and_saveexec_b64 s[4:5], vcc
	s_cbranch_execz .LBB33_23
; %bb.20:
	scratch_load_dwordx2 v[4:5], v3, off
	ds_read_b64 v[6:7], v1
	s_waitcnt vmcnt(0) lgkmcnt(0)
	v_pk_mul_f32 v[8:9], v[6:7], v[4:5] op_sel:[1,1] op_sel_hi:[0,1]
	v_pk_fma_f32 v[10:11], v[6:7], v[4:5], v[8:9] neg_lo:[0,0,1] neg_hi:[0,0,1]
	v_pk_fma_f32 v[4:5], v[6:7], v[4:5], v[8:9] op_sel_hi:[1,0,1]
	s_nop 0
	v_mov_b32_e32 v11, v5
	v_pk_add_f32 v[4:5], v[10:11], 0 op_sel_hi:[1,0]
	s_and_saveexec_b64 s[8:9], s[0:1]
	s_cbranch_execz .LBB33_22
; %bb.21:
	scratch_load_dwordx2 v[6:7], off, off offset:8
	v_mov_b32_e32 v3, 0
	ds_read_b64 v[8:9], v3 offset:280
	s_waitcnt vmcnt(0) lgkmcnt(0)
	v_pk_mul_f32 v[10:11], v[8:9], v[6:7] op_sel:[1,1] op_sel_hi:[0,1]
	v_pk_fma_f32 v[12:13], v[8:9], v[6:7], v[10:11] neg_lo:[0,0,1] neg_hi:[0,0,1]
	v_pk_fma_f32 v[6:7], v[8:9], v[6:7], v[10:11] op_sel_hi:[1,0,1]
	s_nop 0
	v_mov_b32_e32 v13, v7
	v_pk_add_f32 v[4:5], v[4:5], v[12:13]
.LBB33_22:
	s_or_b64 exec, exec, s[8:9]
	v_mov_b32_e32 v3, 0
	ds_read_b64 v[6:7], v3 offset:16
	s_waitcnt lgkmcnt(0)
	v_pk_mul_f32 v[8:9], v[4:5], v[6:7] op_sel:[1,1] op_sel_hi:[0,1]
	v_pk_fma_f32 v[10:11], v[4:5], v[6:7], v[8:9] neg_lo:[0,0,1] neg_hi:[0,0,1]
	v_pk_fma_f32 v[4:5], v[4:5], v[6:7], v[8:9] op_sel_hi:[1,0,1]
	s_nop 0
	v_mov_b32_e32 v11, v5
	scratch_store_dwordx2 off, v[10:11], off offset:16
.LBB33_23:
	s_or_b64 exec, exec, s[4:5]
	; wave barrier
	scratch_load_dwordx2 v[4:5], off, off offset:24
	v_cmp_gt_u32_e32 vcc, 3, v0
	v_add_u32_e32 v6, -1, v0
	s_waitcnt vmcnt(0)
	ds_write_b64 v1, v[4:5]
	s_waitcnt lgkmcnt(0)
	; wave barrier
	s_and_saveexec_b64 s[0:1], vcc
	s_cbranch_execz .LBB33_27
; %bb.24:
	v_mov_b32_e32 v4, 0
	v_add_u32_e32 v3, -1, v0
	v_add_u32_e32 v7, 0x110, v2
	v_mov_b32_e32 v8, v2
	s_mov_b64 s[4:5], 0
	v_mov_b32_e32 v5, v4
.LBB33_25:                              ; =>This Inner Loop Header: Depth=1
	scratch_load_dwordx2 v[10:11], v8, off
	ds_read_b64 v[12:13], v7
	v_add_u32_e32 v3, 1, v3
	v_cmp_lt_u32_e32 vcc, 1, v3
	v_add_u32_e32 v7, 8, v7
	v_add_u32_e32 v8, 8, v8
	s_or_b64 s[4:5], vcc, s[4:5]
	s_waitcnt vmcnt(0) lgkmcnt(0)
	v_pk_mul_f32 v[14:15], v[12:13], v[10:11] op_sel:[1,1] op_sel_hi:[0,1]
	v_pk_fma_f32 v[16:17], v[12:13], v[10:11], v[14:15] neg_lo:[0,0,1] neg_hi:[0,0,1]
	v_pk_fma_f32 v[10:11], v[12:13], v[10:11], v[14:15] op_sel_hi:[1,0,1]
	s_nop 0
	v_mov_b32_e32 v17, v11
	v_pk_add_f32 v[4:5], v[4:5], v[16:17]
	s_andn2_b64 exec, exec, s[4:5]
	s_cbranch_execnz .LBB33_25
; %bb.26:
	s_or_b64 exec, exec, s[4:5]
	v_mov_b32_e32 v3, 0
	ds_read_b64 v[8:9], v3 offset:24
	s_waitcnt lgkmcnt(0)
	v_pk_mul_f32 v[10:11], v[4:5], v[8:9] op_sel:[1,1] op_sel_hi:[0,1]
	v_pk_fma_f32 v[12:13], v[4:5], v[8:9], v[10:11] neg_lo:[0,0,1] neg_hi:[0,0,1]
	v_pk_fma_f32 v[4:5], v[4:5], v[8:9], v[10:11] op_sel_hi:[1,0,1]
	s_nop 0
	v_mov_b32_e32 v13, v5
	scratch_store_dwordx2 off, v[12:13], off offset:24
.LBB33_27:
	s_or_b64 exec, exec, s[0:1]
	; wave barrier
	scratch_load_dwordx2 v[4:5], off, off offset:32
	v_cmp_gt_u32_e32 vcc, 4, v0
	s_waitcnt vmcnt(0)
	ds_write_b64 v1, v[4:5]
	s_waitcnt lgkmcnt(0)
	; wave barrier
	s_and_saveexec_b64 s[0:1], vcc
	s_cbranch_execz .LBB33_31
; %bb.28:
	v_mov_b32_e32 v4, 0
	v_add_u32_e32 v3, -1, v0
	v_add_u32_e32 v7, 0x110, v2
	v_mov_b32_e32 v8, v2
	s_mov_b64 s[4:5], 0
	v_mov_b32_e32 v5, v4
.LBB33_29:                              ; =>This Inner Loop Header: Depth=1
	scratch_load_dwordx2 v[10:11], v8, off
	ds_read_b64 v[12:13], v7
	v_add_u32_e32 v3, 1, v3
	v_cmp_lt_u32_e32 vcc, 2, v3
	v_add_u32_e32 v7, 8, v7
	v_add_u32_e32 v8, 8, v8
	s_or_b64 s[4:5], vcc, s[4:5]
	s_waitcnt vmcnt(0) lgkmcnt(0)
	v_pk_mul_f32 v[14:15], v[12:13], v[10:11] op_sel:[1,1] op_sel_hi:[0,1]
	v_pk_fma_f32 v[16:17], v[12:13], v[10:11], v[14:15] neg_lo:[0,0,1] neg_hi:[0,0,1]
	v_pk_fma_f32 v[10:11], v[12:13], v[10:11], v[14:15] op_sel_hi:[1,0,1]
	s_nop 0
	v_mov_b32_e32 v17, v11
	v_pk_add_f32 v[4:5], v[4:5], v[16:17]
	s_andn2_b64 exec, exec, s[4:5]
	s_cbranch_execnz .LBB33_29
; %bb.30:
	s_or_b64 exec, exec, s[4:5]
	v_mov_b32_e32 v3, 0
	ds_read_b64 v[8:9], v3 offset:32
	s_waitcnt lgkmcnt(0)
	v_pk_mul_f32 v[10:11], v[4:5], v[8:9] op_sel:[1,1] op_sel_hi:[0,1]
	v_pk_fma_f32 v[12:13], v[4:5], v[8:9], v[10:11] neg_lo:[0,0,1] neg_hi:[0,0,1]
	v_pk_fma_f32 v[4:5], v[4:5], v[8:9], v[10:11] op_sel_hi:[1,0,1]
	s_nop 0
	v_mov_b32_e32 v13, v5
	scratch_store_dwordx2 off, v[12:13], off offset:32
.LBB33_31:
	s_or_b64 exec, exec, s[0:1]
	; wave barrier
	scratch_load_dwordx2 v[4:5], off, off offset:40
	v_cmp_gt_u32_e32 vcc, 5, v0
	;; [unrolled: 46-line block ×19, first 2 shown]
	s_waitcnt vmcnt(0)
	ds_write_b64 v1, v[4:5]
	s_waitcnt lgkmcnt(0)
	; wave barrier
	s_and_saveexec_b64 s[0:1], vcc
	s_cbranch_execz .LBB33_103
; %bb.100:
	v_mov_b32_e32 v4, 0
	v_add_u32_e32 v3, -1, v0
	v_add_u32_e32 v7, 0x110, v2
	v_mov_b32_e32 v8, v2
	s_mov_b64 s[4:5], 0
	v_mov_b32_e32 v5, v4
.LBB33_101:                             ; =>This Inner Loop Header: Depth=1
	scratch_load_dwordx2 v[10:11], v8, off
	ds_read_b64 v[12:13], v7
	v_add_u32_e32 v3, 1, v3
	v_cmp_lt_u32_e32 vcc, 20, v3
	v_add_u32_e32 v7, 8, v7
	v_add_u32_e32 v8, 8, v8
	s_or_b64 s[4:5], vcc, s[4:5]
	s_waitcnt vmcnt(0) lgkmcnt(0)
	v_pk_mul_f32 v[14:15], v[12:13], v[10:11] op_sel:[1,1] op_sel_hi:[0,1]
	v_pk_fma_f32 v[16:17], v[12:13], v[10:11], v[14:15] neg_lo:[0,0,1] neg_hi:[0,0,1]
	v_pk_fma_f32 v[10:11], v[12:13], v[10:11], v[14:15] op_sel_hi:[1,0,1]
	s_nop 0
	v_mov_b32_e32 v17, v11
	v_pk_add_f32 v[4:5], v[4:5], v[16:17]
	s_andn2_b64 exec, exec, s[4:5]
	s_cbranch_execnz .LBB33_101
; %bb.102:
	s_or_b64 exec, exec, s[4:5]
	v_mov_b32_e32 v3, 0
	ds_read_b64 v[8:9], v3 offset:176
	s_waitcnt lgkmcnt(0)
	v_pk_mul_f32 v[10:11], v[4:5], v[8:9] op_sel:[1,1] op_sel_hi:[0,1]
	v_pk_fma_f32 v[12:13], v[4:5], v[8:9], v[10:11] neg_lo:[0,0,1] neg_hi:[0,0,1]
	v_pk_fma_f32 v[4:5], v[4:5], v[8:9], v[10:11] op_sel_hi:[1,0,1]
	s_nop 0
	v_mov_b32_e32 v13, v5
	scratch_store_dwordx2 off, v[12:13], off offset:176
.LBB33_103:
	s_or_b64 exec, exec, s[0:1]
	; wave barrier
	scratch_load_dwordx2 v[4:5], off, off offset:184
	v_cmp_gt_u32_e32 vcc, 23, v0
	s_waitcnt vmcnt(0)
	ds_write_b64 v1, v[4:5]
	s_waitcnt lgkmcnt(0)
	; wave barrier
	s_and_saveexec_b64 s[0:1], vcc
	s_cbranch_execz .LBB33_107
; %bb.104:
	v_mov_b32_e32 v4, 0
	v_add_u32_e32 v3, -1, v0
	v_add_u32_e32 v7, 0x110, v2
	v_mov_b32_e32 v8, v2
	s_mov_b64 s[4:5], 0
	v_mov_b32_e32 v5, v4
.LBB33_105:                             ; =>This Inner Loop Header: Depth=1
	scratch_load_dwordx2 v[10:11], v8, off
	ds_read_b64 v[12:13], v7
	v_add_u32_e32 v3, 1, v3
	v_cmp_lt_u32_e32 vcc, 21, v3
	v_add_u32_e32 v7, 8, v7
	v_add_u32_e32 v8, 8, v8
	s_or_b64 s[4:5], vcc, s[4:5]
	s_waitcnt vmcnt(0) lgkmcnt(0)
	v_pk_mul_f32 v[14:15], v[12:13], v[10:11] op_sel:[1,1] op_sel_hi:[0,1]
	v_pk_fma_f32 v[16:17], v[12:13], v[10:11], v[14:15] neg_lo:[0,0,1] neg_hi:[0,0,1]
	v_pk_fma_f32 v[10:11], v[12:13], v[10:11], v[14:15] op_sel_hi:[1,0,1]
	s_nop 0
	v_mov_b32_e32 v17, v11
	v_pk_add_f32 v[4:5], v[4:5], v[16:17]
	s_andn2_b64 exec, exec, s[4:5]
	s_cbranch_execnz .LBB33_105
; %bb.106:
	s_or_b64 exec, exec, s[4:5]
	v_mov_b32_e32 v3, 0
	ds_read_b64 v[8:9], v3 offset:184
	s_waitcnt lgkmcnt(0)
	v_pk_mul_f32 v[10:11], v[4:5], v[8:9] op_sel:[1,1] op_sel_hi:[0,1]
	v_pk_fma_f32 v[12:13], v[4:5], v[8:9], v[10:11] neg_lo:[0,0,1] neg_hi:[0,0,1]
	v_pk_fma_f32 v[4:5], v[4:5], v[8:9], v[10:11] op_sel_hi:[1,0,1]
	s_nop 0
	v_mov_b32_e32 v13, v5
	scratch_store_dwordx2 off, v[12:13], off offset:184
.LBB33_107:
	s_or_b64 exec, exec, s[0:1]
	; wave barrier
	scratch_load_dwordx2 v[4:5], off, off offset:192
	v_cmp_gt_u32_e32 vcc, 24, v0
	;; [unrolled: 46-line block ×10, first 2 shown]
	s_waitcnt vmcnt(0)
	ds_write_b64 v1, v[4:5]
	s_waitcnt lgkmcnt(0)
	; wave barrier
	s_and_saveexec_b64 s[0:1], vcc
	s_cbranch_execz .LBB33_143
; %bb.140:
	v_mov_b32_e32 v4, 0
	v_add_u32_e32 v3, -1, v0
	v_add_u32_e32 v7, 0x110, v2
	v_mov_b32_e32 v8, v2
	s_mov_b64 s[4:5], 0
	v_mov_b32_e32 v5, v4
.LBB33_141:                             ; =>This Inner Loop Header: Depth=1
	scratch_load_dwordx2 v[10:11], v8, off
	ds_read_b64 v[12:13], v7
	v_add_u32_e32 v3, 1, v3
	v_cmp_lt_u32_e32 vcc, 30, v3
	v_add_u32_e32 v7, 8, v7
	v_add_u32_e32 v8, 8, v8
	s_or_b64 s[4:5], vcc, s[4:5]
	s_waitcnt vmcnt(0) lgkmcnt(0)
	v_pk_mul_f32 v[14:15], v[12:13], v[10:11] op_sel:[1,1] op_sel_hi:[0,1]
	v_pk_fma_f32 v[16:17], v[12:13], v[10:11], v[14:15] neg_lo:[0,0,1] neg_hi:[0,0,1]
	v_pk_fma_f32 v[10:11], v[12:13], v[10:11], v[14:15] op_sel_hi:[1,0,1]
	s_nop 0
	v_mov_b32_e32 v17, v11
	v_pk_add_f32 v[4:5], v[4:5], v[16:17]
	s_andn2_b64 exec, exec, s[4:5]
	s_cbranch_execnz .LBB33_141
; %bb.142:
	s_or_b64 exec, exec, s[4:5]
	v_mov_b32_e32 v3, 0
	ds_read_b64 v[8:9], v3 offset:256
	s_waitcnt lgkmcnt(0)
	v_pk_mul_f32 v[10:11], v[4:5], v[8:9] op_sel:[1,1] op_sel_hi:[0,1]
	v_pk_fma_f32 v[12:13], v[4:5], v[8:9], v[10:11] neg_lo:[0,0,1] neg_hi:[0,0,1]
	v_pk_fma_f32 v[4:5], v[4:5], v[8:9], v[10:11] op_sel_hi:[1,0,1]
	s_nop 0
	v_mov_b32_e32 v13, v5
	scratch_store_dwordx2 off, v[12:13], off offset:256
.LBB33_143:
	s_or_b64 exec, exec, s[0:1]
	; wave barrier
	scratch_load_dwordx2 v[4:5], off, off offset:264
	v_cmp_ne_u32_e32 vcc, 33, v0
	s_waitcnt vmcnt(0)
	ds_write_b64 v1, v[4:5]
	s_waitcnt lgkmcnt(0)
	; wave barrier
	s_and_saveexec_b64 s[0:1], vcc
	s_cbranch_execz .LBB33_147
; %bb.144:
	v_add_u32_e32 v1, 0x110, v2
	v_mov_b32_e32 v4, v2
	v_mov_b32_e32 v2, 0
	s_mov_b64 s[4:5], 0
	v_mov_b32_e32 v3, v2
.LBB33_145:                             ; =>This Inner Loop Header: Depth=1
	scratch_load_dwordx2 v[8:9], v4, off
	ds_read_b64 v[10:11], v1
	v_add_u32_e32 v6, 1, v6
	v_cmp_lt_u32_e32 vcc, 31, v6
	v_add_u32_e32 v1, 8, v1
	v_add_u32_e32 v4, 8, v4
	s_or_b64 s[4:5], vcc, s[4:5]
	s_waitcnt vmcnt(0) lgkmcnt(0)
	v_pk_mul_f32 v[12:13], v[10:11], v[8:9] op_sel:[1,1] op_sel_hi:[0,1]
	v_pk_fma_f32 v[14:15], v[10:11], v[8:9], v[12:13] neg_lo:[0,0,1] neg_hi:[0,0,1]
	v_pk_fma_f32 v[8:9], v[10:11], v[8:9], v[12:13] op_sel_hi:[1,0,1]
	s_nop 0
	v_mov_b32_e32 v15, v9
	v_pk_add_f32 v[2:3], v[2:3], v[14:15]
	s_andn2_b64 exec, exec, s[4:5]
	s_cbranch_execnz .LBB33_145
; %bb.146:
	s_or_b64 exec, exec, s[4:5]
	v_mov_b32_e32 v1, 0
	ds_read_b64 v[4:5], v1 offset:264
	s_waitcnt lgkmcnt(0)
	v_pk_mul_f32 v[6:7], v[2:3], v[4:5] op_sel:[1,1] op_sel_hi:[0,1]
	v_pk_fma_f32 v[8:9], v[2:3], v[4:5], v[6:7] neg_lo:[0,0,1] neg_hi:[0,0,1]
	v_pk_fma_f32 v[2:3], v[2:3], v[4:5], v[6:7] op_sel_hi:[1,0,1]
	s_nop 0
	v_mov_b32_e32 v9, v3
	scratch_store_dwordx2 off, v[8:9], off offset:264
.LBB33_147:
	s_or_b64 exec, exec, s[0:1]
	s_mov_b64 s[4:5], -1
	; wave barrier
.LBB33_148:
	s_and_b64 vcc, exec, s[4:5]
	s_cbranch_vccz .LBB33_150
; %bb.149:
	s_lshl_b64 s[0:1], s[2:3], 2
	s_add_u32 s0, s6, s0
	s_addc_u32 s1, s7, s1
	v_mov_b32_e32 v1, 0
	global_load_dword v1, v1, s[0:1]
	s_waitcnt vmcnt(0)
	v_cmp_ne_u32_e32 vcc, 0, v1
	s_cbranch_vccz .LBB33_151
.LBB33_150:
	s_endpgm
.LBB33_151:
	v_mov_b32_e32 v1, 0x110
	v_lshl_add_u32 v1, v0, 3, v1
	v_cmp_eq_u32_e32 vcc, 33, v0
	s_and_saveexec_b64 s[0:1], vcc
	s_cbranch_execz .LBB33_153
; %bb.152:
	scratch_load_dwordx2 v[2:3], off, off offset:256
	v_mov_b32_e32 v4, 0
	v_mov_b32_e32 v5, v4
	scratch_store_dwordx2 off, v[4:5], off offset:256
	s_waitcnt vmcnt(1)
	ds_write_b64 v1, v[2:3]
.LBB33_153:
	s_or_b64 exec, exec, s[0:1]
	s_waitcnt lgkmcnt(0)
	; wave barrier
	scratch_load_dwordx2 v[4:5], off, off offset:264
	scratch_load_dwordx2 v[6:7], off, off offset:256
	v_mov_b32_e32 v2, 0
	ds_read_b64 v[8:9], v2 offset:536
	v_cmp_lt_u32_e32 vcc, 31, v0
	s_waitcnt vmcnt(1) lgkmcnt(0)
	v_pk_mul_f32 v[10:11], v[8:9], v[4:5] op_sel:[1,1] op_sel_hi:[0,1]
	v_pk_fma_f32 v[12:13], v[8:9], v[4:5], v[10:11] neg_lo:[0,0,1] neg_hi:[0,0,1]
	v_pk_fma_f32 v[4:5], v[8:9], v[4:5], v[10:11] op_sel_hi:[1,0,1]
	s_nop 0
	v_mov_b32_e32 v13, v5
	v_pk_add_f32 v[4:5], v[12:13], 0 op_sel_hi:[1,0]
	s_waitcnt vmcnt(0)
	v_pk_add_f32 v[4:5], v[6:7], v[4:5] neg_lo:[0,1] neg_hi:[0,1]
	scratch_store_dwordx2 off, v[4:5], off offset:256
	s_and_saveexec_b64 s[0:1], vcc
	s_cbranch_execz .LBB33_155
; %bb.154:
	scratch_load_dwordx2 v[4:5], off, off offset:248
	v_mov_b32_e32 v3, v2
	scratch_store_dwordx2 off, v[2:3], off offset:248
	s_waitcnt vmcnt(1)
	ds_write_b64 v1, v[4:5]
.LBB33_155:
	s_or_b64 exec, exec, s[0:1]
	s_waitcnt lgkmcnt(0)
	; wave barrier
	scratch_load_dwordx4 v[4:7], off, off offset:256
	scratch_load_dwordx2 v[12:13], off, off offset:248
	ds_read_b128 v[8:11], v2 offset:528
	v_cmp_lt_u32_e32 vcc, 30, v0
	s_waitcnt vmcnt(1) lgkmcnt(0)
	v_pk_mul_f32 v[2:3], v[8:9], v[4:5] op_sel:[1,1] op_sel_hi:[0,1]
	v_mov_b32_e32 v14, v7
	v_pk_fma_f32 v[16:17], v[8:9], v[4:5], v[2:3] neg_lo:[0,0,1] neg_hi:[0,0,1]
	v_pk_fma_f32 v[2:3], v[8:9], v[4:5], v[2:3] op_sel_hi:[1,0,1]
	v_pk_mul_f32 v[4:5], v[10:11], v[14:15] op_sel:[1,0] op_sel_hi:[0,0]
	v_mov_b32_e32 v17, v3
	v_pk_fma_f32 v[2:3], v[10:11], v[6:7], v[4:5] neg_lo:[0,0,1] neg_hi:[0,0,1]
	v_pk_fma_f32 v[4:5], v[10:11], v[6:7], v[4:5] op_sel_hi:[1,0,1]
	v_pk_add_f32 v[6:7], v[16:17], 0 op_sel_hi:[1,0]
	v_mov_b32_e32 v3, v5
	v_pk_add_f32 v[2:3], v[6:7], v[2:3]
	s_waitcnt vmcnt(0)
	v_pk_add_f32 v[2:3], v[12:13], v[2:3] neg_lo:[0,1] neg_hi:[0,1]
	scratch_store_dwordx2 off, v[2:3], off offset:248
	s_and_saveexec_b64 s[0:1], vcc
	s_cbranch_execz .LBB33_157
; %bb.156:
	scratch_load_dwordx2 v[2:3], off, off offset:240
	v_mov_b32_e32 v4, 0
	v_mov_b32_e32 v5, v4
	scratch_store_dwordx2 off, v[4:5], off offset:240
	s_waitcnt vmcnt(1)
	ds_write_b64 v1, v[2:3]
.LBB33_157:
	s_or_b64 exec, exec, s[0:1]
	s_waitcnt lgkmcnt(0)
	; wave barrier
	scratch_load_dwordx4 v[4:7], off, off offset:248
	scratch_load_dwordx2 v[12:13], off, off offset:264
	scratch_load_dwordx2 v[14:15], off, off offset:240
	v_mov_b32_e32 v2, 0
	ds_read2_b64 v[8:11], v2 offset0:65 offset1:66
	ds_read_b64 v[16:17], v2 offset:536
	v_cmp_lt_u32_e32 vcc, 29, v0
	s_waitcnt vmcnt(2) lgkmcnt(1)
	v_pk_mul_f32 v[18:19], v[8:9], v[4:5] op_sel:[1,1] op_sel_hi:[0,1]
	v_mov_b32_e32 v20, v7
	v_pk_fma_f32 v[24:25], v[8:9], v[4:5], v[18:19] neg_lo:[0,0,1] neg_hi:[0,0,1]
	v_pk_fma_f32 v[4:5], v[8:9], v[4:5], v[18:19] op_sel_hi:[1,0,1]
	v_pk_mul_f32 v[8:9], v[10:11], v[20:21] op_sel:[1,0] op_sel_hi:[0,0]
	s_waitcnt vmcnt(1) lgkmcnt(0)
	v_pk_mul_f32 v[22:23], v[16:17], v[12:13] op_sel:[1,1] op_sel_hi:[0,1]
	v_mov_b32_e32 v25, v5
	v_pk_fma_f32 v[4:5], v[10:11], v[6:7], v[8:9] neg_lo:[0,0,1] neg_hi:[0,0,1]
	v_pk_fma_f32 v[6:7], v[10:11], v[6:7], v[8:9] op_sel_hi:[1,0,1]
	v_pk_fma_f32 v[18:19], v[16:17], v[12:13], v[22:23] neg_lo:[0,0,1] neg_hi:[0,0,1]
	v_pk_fma_f32 v[12:13], v[16:17], v[12:13], v[22:23] op_sel_hi:[1,0,1]
	v_pk_add_f32 v[8:9], v[24:25], 0 op_sel_hi:[1,0]
	v_mov_b32_e32 v5, v7
	v_mov_b32_e32 v19, v13
	v_pk_add_f32 v[4:5], v[8:9], v[4:5]
	s_nop 0
	v_pk_add_f32 v[4:5], v[4:5], v[18:19]
	s_waitcnt vmcnt(0)
	v_pk_add_f32 v[4:5], v[14:15], v[4:5] neg_lo:[0,1] neg_hi:[0,1]
	scratch_store_dwordx2 off, v[4:5], off offset:240
	s_and_saveexec_b64 s[0:1], vcc
	s_cbranch_execz .LBB33_159
; %bb.158:
	scratch_load_dwordx2 v[4:5], off, off offset:232
	v_mov_b32_e32 v3, v2
	scratch_store_dwordx2 off, v[2:3], off offset:232
	s_waitcnt vmcnt(1)
	ds_write_b64 v1, v[4:5]
.LBB33_159:
	s_or_b64 exec, exec, s[0:1]
	s_waitcnt lgkmcnt(0)
	; wave barrier
	scratch_load_dwordx4 v[4:7], off, off offset:240
	scratch_load_dwordx4 v[8:11], off, off offset:256
	scratch_load_dwordx2 v[20:21], off, off offset:232
	ds_read_b128 v[12:15], v2 offset:512
	ds_read_b128 v[16:19], v2 offset:528
	v_cmp_lt_u32_e32 vcc, 28, v0
	s_waitcnt vmcnt(2) lgkmcnt(1)
	v_pk_mul_f32 v[2:3], v[12:13], v[4:5] op_sel:[1,1] op_sel_hi:[0,1]
	v_mov_b32_e32 v22, v7
	s_waitcnt vmcnt(1) lgkmcnt(0)
	v_pk_mul_f32 v[24:25], v[16:17], v[8:9] op_sel:[1,1] op_sel_hi:[0,1]
	v_mov_b32_e32 v26, v11
	v_pk_fma_f32 v[28:29], v[12:13], v[4:5], v[2:3] neg_lo:[0,0,1] neg_hi:[0,0,1]
	v_pk_fma_f32 v[2:3], v[12:13], v[4:5], v[2:3] op_sel_hi:[1,0,1]
	v_pk_mul_f32 v[4:5], v[14:15], v[22:23] op_sel:[1,0] op_sel_hi:[0,0]
	v_pk_fma_f32 v[12:13], v[16:17], v[8:9], v[24:25] neg_lo:[0,0,1] neg_hi:[0,0,1]
	v_pk_fma_f32 v[8:9], v[16:17], v[8:9], v[24:25] op_sel_hi:[1,0,1]
	v_pk_mul_f32 v[16:17], v[18:19], v[26:27] op_sel:[1,0] op_sel_hi:[0,0]
	v_mov_b32_e32 v29, v3
	v_pk_fma_f32 v[2:3], v[14:15], v[6:7], v[4:5] neg_lo:[0,0,1] neg_hi:[0,0,1]
	v_pk_fma_f32 v[4:5], v[14:15], v[6:7], v[4:5] op_sel_hi:[1,0,1]
	v_mov_b32_e32 v13, v9
	v_pk_fma_f32 v[6:7], v[18:19], v[10:11], v[16:17] neg_lo:[0,0,1] neg_hi:[0,0,1]
	v_pk_fma_f32 v[8:9], v[18:19], v[10:11], v[16:17] op_sel_hi:[1,0,1]
	v_pk_add_f32 v[10:11], v[28:29], 0 op_sel_hi:[1,0]
	v_mov_b32_e32 v3, v5
	v_pk_add_f32 v[2:3], v[10:11], v[2:3]
	v_mov_b32_e32 v7, v9
	v_pk_add_f32 v[2:3], v[2:3], v[12:13]
	s_nop 0
	v_pk_add_f32 v[2:3], v[2:3], v[6:7]
	s_waitcnt vmcnt(0)
	v_pk_add_f32 v[2:3], v[20:21], v[2:3] neg_lo:[0,1] neg_hi:[0,1]
	scratch_store_dwordx2 off, v[2:3], off offset:232
	s_and_saveexec_b64 s[0:1], vcc
	s_cbranch_execz .LBB33_161
; %bb.160:
	scratch_load_dwordx2 v[2:3], off, off offset:224
	v_mov_b32_e32 v4, 0
	v_mov_b32_e32 v5, v4
	scratch_store_dwordx2 off, v[4:5], off offset:224
	s_waitcnt vmcnt(1)
	ds_write_b64 v1, v[2:3]
.LBB33_161:
	s_or_b64 exec, exec, s[0:1]
	s_waitcnt lgkmcnt(0)
	; wave barrier
	scratch_load_dwordx4 v[4:7], off, off offset:232
	scratch_load_dwordx4 v[8:11], off, off offset:248
	scratch_load_dwordx2 v[20:21], off, off offset:264
	scratch_load_dwordx2 v[22:23], off, off offset:224
	v_mov_b32_e32 v2, 0
	ds_read2_b64 v[12:15], v2 offset0:63 offset1:64
	ds_read2_b64 v[16:19], v2 offset0:65 offset1:66
	ds_read_b64 v[24:25], v2 offset:536
	v_cmp_lt_u32_e32 vcc, 27, v0
	s_waitcnt vmcnt(3) lgkmcnt(2)
	v_pk_mul_f32 v[26:27], v[12:13], v[4:5] op_sel:[1,1] op_sel_hi:[0,1]
	v_mov_b32_e32 v28, v7
	v_pk_fma_f32 v[36:37], v[12:13], v[4:5], v[26:27] neg_lo:[0,0,1] neg_hi:[0,0,1]
	v_pk_fma_f32 v[4:5], v[12:13], v[4:5], v[26:27] op_sel_hi:[1,0,1]
	v_pk_mul_f32 v[12:13], v[14:15], v[28:29] op_sel:[1,0] op_sel_hi:[0,0]
	s_waitcnt vmcnt(2) lgkmcnt(1)
	v_pk_mul_f32 v[30:31], v[16:17], v[8:9] op_sel:[1,1] op_sel_hi:[0,1]
	v_mov_b32_e32 v32, v11
	v_mov_b32_e32 v37, v5
	v_pk_fma_f32 v[4:5], v[14:15], v[6:7], v[12:13] neg_lo:[0,0,1] neg_hi:[0,0,1]
	v_pk_fma_f32 v[6:7], v[14:15], v[6:7], v[12:13] op_sel_hi:[1,0,1]
	v_pk_fma_f32 v[26:27], v[16:17], v[8:9], v[30:31] neg_lo:[0,0,1] neg_hi:[0,0,1]
	v_pk_fma_f32 v[8:9], v[16:17], v[8:9], v[30:31] op_sel_hi:[1,0,1]
	v_pk_mul_f32 v[16:17], v[18:19], v[32:33] op_sel:[1,0] op_sel_hi:[0,0]
	v_pk_add_f32 v[12:13], v[36:37], 0 op_sel_hi:[1,0]
	v_mov_b32_e32 v5, v7
	s_waitcnt vmcnt(1) lgkmcnt(0)
	v_pk_mul_f32 v[34:35], v[24:25], v[20:21] op_sel:[1,1] op_sel_hi:[0,1]
	v_mov_b32_e32 v27, v9
	v_pk_fma_f32 v[8:9], v[18:19], v[10:11], v[16:17] neg_lo:[0,0,1] neg_hi:[0,0,1]
	v_pk_fma_f32 v[10:11], v[18:19], v[10:11], v[16:17] op_sel_hi:[1,0,1]
	v_pk_add_f32 v[4:5], v[12:13], v[4:5]
	v_pk_fma_f32 v[28:29], v[24:25], v[20:21], v[34:35] neg_lo:[0,0,1] neg_hi:[0,0,1]
	v_pk_fma_f32 v[20:21], v[24:25], v[20:21], v[34:35] op_sel_hi:[1,0,1]
	v_mov_b32_e32 v9, v11
	v_pk_add_f32 v[4:5], v[4:5], v[26:27]
	v_mov_b32_e32 v29, v21
	v_pk_add_f32 v[4:5], v[4:5], v[8:9]
	s_nop 0
	v_pk_add_f32 v[4:5], v[4:5], v[28:29]
	s_waitcnt vmcnt(0)
	v_pk_add_f32 v[4:5], v[22:23], v[4:5] neg_lo:[0,1] neg_hi:[0,1]
	scratch_store_dwordx2 off, v[4:5], off offset:224
	s_and_saveexec_b64 s[0:1], vcc
	s_cbranch_execz .LBB33_163
; %bb.162:
	scratch_load_dwordx2 v[4:5], off, off offset:216
	v_mov_b32_e32 v3, v2
	scratch_store_dwordx2 off, v[2:3], off offset:216
	s_waitcnt vmcnt(1)
	ds_write_b64 v1, v[4:5]
.LBB33_163:
	s_or_b64 exec, exec, s[0:1]
	s_waitcnt lgkmcnt(0)
	; wave barrier
	scratch_load_dwordx4 v[4:7], off, off offset:224
	scratch_load_dwordx4 v[8:11], off, off offset:240
	;; [unrolled: 1-line block ×3, first 2 shown]
	scratch_load_dwordx2 v[28:29], off, off offset:216
	ds_read_b128 v[16:19], v2 offset:496
	ds_read_b128 v[20:23], v2 offset:512
	;; [unrolled: 1-line block ×3, first 2 shown]
	v_cmp_lt_u32_e32 vcc, 26, v0
	s_waitcnt vmcnt(3) lgkmcnt(2)
	v_pk_mul_f32 v[2:3], v[16:17], v[4:5] op_sel:[1,1] op_sel_hi:[0,1]
	v_mov_b32_e32 v30, v7
	s_waitcnt vmcnt(2) lgkmcnt(1)
	v_pk_mul_f32 v[32:33], v[20:21], v[8:9] op_sel:[1,1] op_sel_hi:[0,1]
	v_mov_b32_e32 v34, v11
	;; [unrolled: 3-line block ×3, first 2 shown]
	v_pk_fma_f32 v[40:41], v[16:17], v[4:5], v[2:3] neg_lo:[0,0,1] neg_hi:[0,0,1]
	v_pk_fma_f32 v[2:3], v[16:17], v[4:5], v[2:3] op_sel_hi:[1,0,1]
	v_pk_mul_f32 v[4:5], v[18:19], v[30:31] op_sel:[1,0] op_sel_hi:[0,0]
	v_pk_fma_f32 v[16:17], v[20:21], v[8:9], v[32:33] neg_lo:[0,0,1] neg_hi:[0,0,1]
	v_pk_fma_f32 v[8:9], v[20:21], v[8:9], v[32:33] op_sel_hi:[1,0,1]
	v_pk_mul_f32 v[20:21], v[22:23], v[34:35] op_sel:[1,0] op_sel_hi:[0,0]
	;; [unrolled: 3-line block ×3, first 2 shown]
	v_mov_b32_e32 v41, v3
	v_pk_fma_f32 v[2:3], v[18:19], v[6:7], v[4:5] neg_lo:[0,0,1] neg_hi:[0,0,1]
	v_pk_fma_f32 v[4:5], v[18:19], v[6:7], v[4:5] op_sel_hi:[1,0,1]
	v_mov_b32_e32 v17, v9
	v_pk_fma_f32 v[6:7], v[22:23], v[10:11], v[20:21] neg_lo:[0,0,1] neg_hi:[0,0,1]
	v_pk_fma_f32 v[8:9], v[22:23], v[10:11], v[20:21] op_sel_hi:[1,0,1]
	;; [unrolled: 3-line block ×3, first 2 shown]
	v_pk_add_f32 v[14:15], v[40:41], 0 op_sel_hi:[1,0]
	v_mov_b32_e32 v3, v5
	v_pk_add_f32 v[2:3], v[14:15], v[2:3]
	v_mov_b32_e32 v7, v9
	v_pk_add_f32 v[2:3], v[2:3], v[16:17]
	;; [unrolled: 2-line block ×3, first 2 shown]
	s_nop 0
	v_pk_add_f32 v[2:3], v[2:3], v[30:31]
	s_nop 0
	v_pk_add_f32 v[2:3], v[2:3], v[10:11]
	s_waitcnt vmcnt(0)
	v_pk_add_f32 v[2:3], v[28:29], v[2:3] neg_lo:[0,1] neg_hi:[0,1]
	scratch_store_dwordx2 off, v[2:3], off offset:216
	s_and_saveexec_b64 s[0:1], vcc
	s_cbranch_execz .LBB33_165
; %bb.164:
	scratch_load_dwordx2 v[2:3], off, off offset:208
	v_mov_b32_e32 v4, 0
	v_mov_b32_e32 v5, v4
	scratch_store_dwordx2 off, v[4:5], off offset:208
	s_waitcnt vmcnt(1)
	ds_write_b64 v1, v[2:3]
.LBB33_165:
	s_or_b64 exec, exec, s[0:1]
	s_waitcnt lgkmcnt(0)
	; wave barrier
	scratch_load_dwordx4 v[4:7], off, off offset:216
	scratch_load_dwordx4 v[8:11], off, off offset:232
	;; [unrolled: 1-line block ×3, first 2 shown]
	scratch_load_dwordx2 v[28:29], off, off offset:264
	scratch_load_dwordx2 v[30:31], off, off offset:208
	v_mov_b32_e32 v2, 0
	ds_read2_b64 v[16:19], v2 offset0:61 offset1:62
	ds_read2_b64 v[20:23], v2 offset0:63 offset1:64
	;; [unrolled: 1-line block ×3, first 2 shown]
	ds_read_b64 v[32:33], v2 offset:536
	v_cmp_lt_u32_e32 vcc, 25, v0
	s_waitcnt vmcnt(4) lgkmcnt(3)
	v_pk_mul_f32 v[34:35], v[16:17], v[4:5] op_sel:[1,1] op_sel_hi:[0,1]
	v_mov_b32_e32 v36, v7
	v_pk_fma_f32 v[48:49], v[16:17], v[4:5], v[34:35] neg_lo:[0,0,1] neg_hi:[0,0,1]
	v_pk_fma_f32 v[4:5], v[16:17], v[4:5], v[34:35] op_sel_hi:[1,0,1]
	v_pk_mul_f32 v[16:17], v[18:19], v[36:37] op_sel:[1,0] op_sel_hi:[0,0]
	s_waitcnt vmcnt(3) lgkmcnt(2)
	v_pk_mul_f32 v[38:39], v[20:21], v[8:9] op_sel:[1,1] op_sel_hi:[0,1]
	v_mov_b32_e32 v40, v11
	v_mov_b32_e32 v49, v5
	v_pk_fma_f32 v[4:5], v[18:19], v[6:7], v[16:17] neg_lo:[0,0,1] neg_hi:[0,0,1]
	v_pk_fma_f32 v[6:7], v[18:19], v[6:7], v[16:17] op_sel_hi:[1,0,1]
	v_pk_fma_f32 v[34:35], v[20:21], v[8:9], v[38:39] neg_lo:[0,0,1] neg_hi:[0,0,1]
	v_pk_fma_f32 v[8:9], v[20:21], v[8:9], v[38:39] op_sel_hi:[1,0,1]
	v_pk_mul_f32 v[20:21], v[22:23], v[40:41] op_sel:[1,0] op_sel_hi:[0,0]
	v_pk_add_f32 v[16:17], v[48:49], 0 op_sel_hi:[1,0]
	v_mov_b32_e32 v5, v7
	s_waitcnt vmcnt(2) lgkmcnt(1)
	v_pk_mul_f32 v[42:43], v[24:25], v[12:13] op_sel:[1,1] op_sel_hi:[0,1]
	v_mov_b32_e32 v44, v15
	v_mov_b32_e32 v35, v9
	v_pk_fma_f32 v[8:9], v[22:23], v[10:11], v[20:21] neg_lo:[0,0,1] neg_hi:[0,0,1]
	v_pk_fma_f32 v[10:11], v[22:23], v[10:11], v[20:21] op_sel_hi:[1,0,1]
	v_pk_add_f32 v[4:5], v[16:17], v[4:5]
	v_pk_fma_f32 v[36:37], v[24:25], v[12:13], v[42:43] neg_lo:[0,0,1] neg_hi:[0,0,1]
	v_pk_fma_f32 v[12:13], v[24:25], v[12:13], v[42:43] op_sel_hi:[1,0,1]
	v_pk_mul_f32 v[24:25], v[26:27], v[44:45] op_sel:[1,0] op_sel_hi:[0,0]
	v_mov_b32_e32 v9, v11
	v_pk_add_f32 v[4:5], v[4:5], v[34:35]
	s_waitcnt vmcnt(1) lgkmcnt(0)
	v_pk_mul_f32 v[46:47], v[32:33], v[28:29] op_sel:[1,1] op_sel_hi:[0,1]
	v_mov_b32_e32 v37, v13
	v_pk_fma_f32 v[12:13], v[26:27], v[14:15], v[24:25] neg_lo:[0,0,1] neg_hi:[0,0,1]
	v_pk_fma_f32 v[14:15], v[26:27], v[14:15], v[24:25] op_sel_hi:[1,0,1]
	v_pk_add_f32 v[4:5], v[4:5], v[8:9]
	v_pk_fma_f32 v[38:39], v[32:33], v[28:29], v[46:47] neg_lo:[0,0,1] neg_hi:[0,0,1]
	v_pk_fma_f32 v[28:29], v[32:33], v[28:29], v[46:47] op_sel_hi:[1,0,1]
	v_mov_b32_e32 v13, v15
	v_pk_add_f32 v[4:5], v[4:5], v[36:37]
	v_mov_b32_e32 v39, v29
	v_pk_add_f32 v[4:5], v[4:5], v[12:13]
	s_nop 0
	v_pk_add_f32 v[4:5], v[4:5], v[38:39]
	s_waitcnt vmcnt(0)
	v_pk_add_f32 v[4:5], v[30:31], v[4:5] neg_lo:[0,1] neg_hi:[0,1]
	scratch_store_dwordx2 off, v[4:5], off offset:208
	s_and_saveexec_b64 s[0:1], vcc
	s_cbranch_execz .LBB33_167
; %bb.166:
	scratch_load_dwordx2 v[4:5], off, off offset:200
	v_mov_b32_e32 v3, v2
	scratch_store_dwordx2 off, v[2:3], off offset:200
	s_waitcnt vmcnt(1)
	ds_write_b64 v1, v[4:5]
.LBB33_167:
	s_or_b64 exec, exec, s[0:1]
	s_waitcnt lgkmcnt(0)
	; wave barrier
	scratch_load_dwordx4 v[4:7], off, off offset:208
	scratch_load_dwordx4 v[8:11], off, off offset:224
	;; [unrolled: 1-line block ×4, first 2 shown]
	scratch_load_dwordx2 v[36:37], off, off offset:200
	ds_read_b128 v[20:23], v2 offset:480
	ds_read_b128 v[24:27], v2 offset:496
	;; [unrolled: 1-line block ×4, first 2 shown]
	v_cmp_lt_u32_e32 vcc, 24, v0
	s_waitcnt vmcnt(4) lgkmcnt(3)
	v_pk_mul_f32 v[2:3], v[20:21], v[4:5] op_sel:[1,1] op_sel_hi:[0,1]
	v_mov_b32_e32 v38, v7
	s_waitcnt vmcnt(3) lgkmcnt(2)
	v_pk_mul_f32 v[40:41], v[24:25], v[8:9] op_sel:[1,1] op_sel_hi:[0,1]
	v_mov_b32_e32 v42, v11
	;; [unrolled: 3-line block ×4, first 2 shown]
	v_pk_fma_f32 v[52:53], v[20:21], v[4:5], v[2:3] neg_lo:[0,0,1] neg_hi:[0,0,1]
	v_pk_fma_f32 v[2:3], v[20:21], v[4:5], v[2:3] op_sel_hi:[1,0,1]
	v_pk_mul_f32 v[4:5], v[22:23], v[38:39] op_sel:[1,0] op_sel_hi:[0,0]
	v_pk_fma_f32 v[20:21], v[24:25], v[8:9], v[40:41] neg_lo:[0,0,1] neg_hi:[0,0,1]
	v_pk_fma_f32 v[8:9], v[24:25], v[8:9], v[40:41] op_sel_hi:[1,0,1]
	v_pk_mul_f32 v[24:25], v[26:27], v[42:43] op_sel:[1,0] op_sel_hi:[0,0]
	v_pk_fma_f32 v[38:39], v[28:29], v[12:13], v[44:45] neg_lo:[0,0,1] neg_hi:[0,0,1]
	v_pk_fma_f32 v[12:13], v[28:29], v[12:13], v[44:45] op_sel_hi:[1,0,1]
	v_pk_mul_f32 v[28:29], v[30:31], v[46:47] op_sel:[1,0] op_sel_hi:[0,0]
	v_pk_fma_f32 v[40:41], v[32:33], v[16:17], v[48:49] neg_lo:[0,0,1] neg_hi:[0,0,1]
	v_pk_fma_f32 v[16:17], v[32:33], v[16:17], v[48:49] op_sel_hi:[1,0,1]
	v_pk_mul_f32 v[32:33], v[34:35], v[50:51] op_sel:[1,0] op_sel_hi:[0,0]
	v_mov_b32_e32 v53, v3
	v_pk_fma_f32 v[2:3], v[22:23], v[6:7], v[4:5] neg_lo:[0,0,1] neg_hi:[0,0,1]
	v_pk_fma_f32 v[4:5], v[22:23], v[6:7], v[4:5] op_sel_hi:[1,0,1]
	v_mov_b32_e32 v21, v9
	v_pk_fma_f32 v[6:7], v[26:27], v[10:11], v[24:25] neg_lo:[0,0,1] neg_hi:[0,0,1]
	v_pk_fma_f32 v[8:9], v[26:27], v[10:11], v[24:25] op_sel_hi:[1,0,1]
	;; [unrolled: 3-line block ×4, first 2 shown]
	v_pk_add_f32 v[18:19], v[52:53], 0 op_sel_hi:[1,0]
	v_mov_b32_e32 v3, v5
	v_pk_add_f32 v[2:3], v[18:19], v[2:3]
	v_mov_b32_e32 v7, v9
	v_pk_add_f32 v[2:3], v[2:3], v[20:21]
	;; [unrolled: 2-line block ×4, first 2 shown]
	s_nop 0
	v_pk_add_f32 v[2:3], v[2:3], v[10:11]
	s_nop 0
	v_pk_add_f32 v[2:3], v[2:3], v[40:41]
	;; [unrolled: 2-line block ×3, first 2 shown]
	s_waitcnt vmcnt(0)
	v_pk_add_f32 v[2:3], v[36:37], v[2:3] neg_lo:[0,1] neg_hi:[0,1]
	scratch_store_dwordx2 off, v[2:3], off offset:200
	s_and_saveexec_b64 s[0:1], vcc
	s_cbranch_execz .LBB33_169
; %bb.168:
	scratch_load_dwordx2 v[2:3], off, off offset:192
	v_mov_b32_e32 v4, 0
	v_mov_b32_e32 v5, v4
	scratch_store_dwordx2 off, v[4:5], off offset:192
	s_waitcnt vmcnt(1)
	ds_write_b64 v1, v[2:3]
.LBB33_169:
	s_or_b64 exec, exec, s[0:1]
	s_waitcnt lgkmcnt(0)
	; wave barrier
	scratch_load_dwordx4 v[4:7], off, off offset:200
	scratch_load_dwordx4 v[8:11], off, off offset:216
	;; [unrolled: 1-line block ×4, first 2 shown]
	scratch_load_dwordx2 v[36:37], off, off offset:264
	scratch_load_dwordx2 v[38:39], off, off offset:192
	v_mov_b32_e32 v2, 0
	ds_read2_b64 v[20:23], v2 offset0:59 offset1:60
	ds_read2_b64 v[24:27], v2 offset0:61 offset1:62
	;; [unrolled: 1-line block ×4, first 2 shown]
	ds_read_b64 v[40:41], v2 offset:536
	v_cmp_lt_u32_e32 vcc, 23, v0
	s_waitcnt vmcnt(5) lgkmcnt(4)
	v_mul_f32_e32 v43, v20, v5
	v_mul_f32_e32 v3, v21, v5
	v_mov_b32_e32 v44, v7
	s_waitcnt vmcnt(4) lgkmcnt(3)
	v_pk_mul_f32 v[46:47], v[24:25], v[8:9] op_sel:[1,1] op_sel_hi:[0,1]
	v_mov_b32_e32 v48, v11
	s_waitcnt vmcnt(1) lgkmcnt(0)
	v_pk_mul_f32 v[58:59], v[40:41], v[36:37] op_sel:[1,1] op_sel_hi:[0,1]
	v_fmac_f32_e32 v43, v21, v4
	v_fma_f32 v42, v20, v4, -v3
	v_pk_mul_f32 v[4:5], v[22:23], v[44:45] op_sel:[1,0] op_sel_hi:[0,0]
	v_pk_fma_f32 v[20:21], v[24:25], v[8:9], v[46:47] neg_lo:[0,0,1] neg_hi:[0,0,1]
	v_pk_fma_f32 v[8:9], v[24:25], v[8:9], v[46:47] op_sel_hi:[1,0,1]
	v_pk_mul_f32 v[24:25], v[26:27], v[48:49] op_sel:[1,0] op_sel_hi:[0,0]
	v_pk_fma_f32 v[48:49], v[40:41], v[36:37], v[58:59] neg_lo:[0,0,1] neg_hi:[0,0,1]
	v_pk_fma_f32 v[36:37], v[40:41], v[36:37], v[58:59] op_sel_hi:[1,0,1]
	v_pk_add_f32 v[40:41], v[42:43], 0 op_sel_hi:[1,0]
	v_pk_fma_f32 v[42:43], v[22:23], v[6:7], v[4:5] neg_lo:[0,0,1] neg_hi:[0,0,1]
	v_pk_fma_f32 v[4:5], v[22:23], v[6:7], v[4:5] op_sel_hi:[1,0,1]
	v_pk_mul_f32 v[50:51], v[28:29], v[12:13] op_sel:[1,1] op_sel_hi:[0,1]
	v_mov_b32_e32 v43, v5
	v_mov_b32_e32 v52, v15
	;; [unrolled: 1-line block ×3, first 2 shown]
	v_pk_fma_f32 v[6:7], v[26:27], v[10:11], v[24:25] neg_lo:[0,0,1] neg_hi:[0,0,1]
	v_pk_fma_f32 v[8:9], v[26:27], v[10:11], v[24:25] op_sel_hi:[1,0,1]
	v_pk_add_f32 v[4:5], v[40:41], v[42:43]
	v_pk_fma_f32 v[44:45], v[28:29], v[12:13], v[50:51] neg_lo:[0,0,1] neg_hi:[0,0,1]
	v_pk_fma_f32 v[12:13], v[28:29], v[12:13], v[50:51] op_sel_hi:[1,0,1]
	v_pk_mul_f32 v[28:29], v[30:31], v[52:53] op_sel:[1,0] op_sel_hi:[0,0]
	v_mov_b32_e32 v7, v9
	v_pk_add_f32 v[4:5], v[4:5], v[20:21]
	v_pk_mul_f32 v[54:55], v[32:33], v[16:17] op_sel:[1,1] op_sel_hi:[0,1]
	v_mov_b32_e32 v56, v19
	v_mov_b32_e32 v45, v13
	v_pk_fma_f32 v[10:11], v[30:31], v[14:15], v[28:29] neg_lo:[0,0,1] neg_hi:[0,0,1]
	v_pk_fma_f32 v[12:13], v[30:31], v[14:15], v[28:29] op_sel_hi:[1,0,1]
	v_pk_add_f32 v[4:5], v[4:5], v[6:7]
	v_pk_fma_f32 v[46:47], v[32:33], v[16:17], v[54:55] neg_lo:[0,0,1] neg_hi:[0,0,1]
	v_pk_fma_f32 v[16:17], v[32:33], v[16:17], v[54:55] op_sel_hi:[1,0,1]
	v_pk_mul_f32 v[32:33], v[34:35], v[56:57] op_sel:[1,0] op_sel_hi:[0,0]
	v_mov_b32_e32 v11, v13
	v_pk_add_f32 v[4:5], v[4:5], v[44:45]
	v_mov_b32_e32 v47, v17
	v_pk_fma_f32 v[14:15], v[34:35], v[18:19], v[32:33] neg_lo:[0,0,1] neg_hi:[0,0,1]
	v_pk_fma_f32 v[16:17], v[34:35], v[18:19], v[32:33] op_sel_hi:[1,0,1]
	v_pk_add_f32 v[4:5], v[4:5], v[10:11]
	v_mov_b32_e32 v15, v17
	v_pk_add_f32 v[4:5], v[4:5], v[46:47]
	v_mov_b32_e32 v49, v37
	v_pk_add_f32 v[4:5], v[4:5], v[14:15]
	s_nop 0
	v_pk_add_f32 v[4:5], v[4:5], v[48:49]
	s_waitcnt vmcnt(0)
	v_pk_add_f32 v[4:5], v[38:39], v[4:5] neg_lo:[0,1] neg_hi:[0,1]
	scratch_store_dwordx2 off, v[4:5], off offset:192
	s_and_saveexec_b64 s[0:1], vcc
	s_cbranch_execz .LBB33_171
; %bb.170:
	scratch_load_dwordx2 v[4:5], off, off offset:184
	v_mov_b32_e32 v3, v2
	scratch_store_dwordx2 off, v[2:3], off offset:184
	s_waitcnt vmcnt(1)
	ds_write_b64 v1, v[4:5]
.LBB33_171:
	s_or_b64 exec, exec, s[0:1]
	s_waitcnt lgkmcnt(0)
	; wave barrier
	scratch_load_dwordx4 v[4:7], off, off offset:192
	scratch_load_dwordx4 v[8:11], off, off offset:208
	;; [unrolled: 1-line block ×5, first 2 shown]
	scratch_load_dwordx2 v[44:45], off, off offset:184
	ds_read_b128 v[24:27], v2 offset:464
	ds_read_b128 v[28:31], v2 offset:480
	;; [unrolled: 1-line block ×5, first 2 shown]
	v_cmp_lt_u32_e32 vcc, 22, v0
	s_waitcnt vmcnt(5) lgkmcnt(4)
	v_mul_f32_e32 v3, v24, v5
	v_mul_f32_e32 v2, v25, v5
	;; [unrolled: 1-line block ×4, first 2 shown]
	s_waitcnt vmcnt(4) lgkmcnt(3)
	v_pk_mul_f32 v[48:49], v[28:29], v[8:9] op_sel:[1,1] op_sel_hi:[0,1]
	v_mov_b32_e32 v50, v11
	v_fmac_f32_e32 v3, v25, v4
	v_fma_f32 v2, v24, v4, -v2
	v_fmac_f32_e32 v47, v27, v6
	v_fma_f32 v46, v26, v6, -v5
	v_pk_fma_f32 v[4:5], v[28:29], v[8:9], v[48:49] neg_lo:[0,0,1] neg_hi:[0,0,1]
	v_pk_fma_f32 v[6:7], v[28:29], v[8:9], v[48:49] op_sel_hi:[1,0,1]
	v_pk_mul_f32 v[8:9], v[30:31], v[50:51] op_sel:[1,0] op_sel_hi:[0,0]
	v_pk_add_f32 v[2:3], v[2:3], 0 op_sel_hi:[1,0]
	s_waitcnt vmcnt(3) lgkmcnt(2)
	v_pk_mul_f32 v[52:53], v[32:33], v[12:13] op_sel:[1,1] op_sel_hi:[0,1]
	v_mov_b32_e32 v54, v15
	v_mov_b32_e32 v5, v7
	v_pk_fma_f32 v[6:7], v[30:31], v[10:11], v[8:9] neg_lo:[0,0,1] neg_hi:[0,0,1]
	v_pk_fma_f32 v[8:9], v[30:31], v[10:11], v[8:9] op_sel_hi:[1,0,1]
	v_pk_add_f32 v[2:3], v[2:3], v[46:47]
	v_pk_fma_f32 v[24:25], v[32:33], v[12:13], v[52:53] neg_lo:[0,0,1] neg_hi:[0,0,1]
	v_pk_fma_f32 v[12:13], v[32:33], v[12:13], v[52:53] op_sel_hi:[1,0,1]
	v_pk_mul_f32 v[26:27], v[34:35], v[54:55] op_sel:[1,0] op_sel_hi:[0,0]
	v_mov_b32_e32 v7, v9
	v_pk_add_f32 v[2:3], v[2:3], v[4:5]
	s_waitcnt vmcnt(2) lgkmcnt(1)
	v_pk_mul_f32 v[56:57], v[36:37], v[16:17] op_sel:[1,1] op_sel_hi:[0,1]
	v_mov_b32_e32 v58, v19
	v_mov_b32_e32 v25, v13
	v_pk_fma_f32 v[10:11], v[34:35], v[14:15], v[26:27] neg_lo:[0,0,1] neg_hi:[0,0,1]
	v_pk_fma_f32 v[12:13], v[34:35], v[14:15], v[26:27] op_sel_hi:[1,0,1]
	v_pk_add_f32 v[2:3], v[2:3], v[6:7]
	v_pk_fma_f32 v[28:29], v[36:37], v[16:17], v[56:57] neg_lo:[0,0,1] neg_hi:[0,0,1]
	v_pk_fma_f32 v[16:17], v[36:37], v[16:17], v[56:57] op_sel_hi:[1,0,1]
	v_pk_mul_f32 v[32:33], v[38:39], v[58:59] op_sel:[1,0] op_sel_hi:[0,0]
	v_mov_b32_e32 v11, v13
	v_pk_add_f32 v[2:3], v[2:3], v[24:25]
	s_waitcnt vmcnt(1) lgkmcnt(0)
	v_pk_mul_f32 v[60:61], v[40:41], v[20:21] op_sel:[1,1] op_sel_hi:[0,1]
	v_mov_b32_e32 v62, v23
	v_mov_b32_e32 v29, v17
	v_pk_fma_f32 v[14:15], v[38:39], v[18:19], v[32:33] neg_lo:[0,0,1] neg_hi:[0,0,1]
	v_pk_fma_f32 v[16:17], v[38:39], v[18:19], v[32:33] op_sel_hi:[1,0,1]
	v_pk_add_f32 v[2:3], v[2:3], v[10:11]
	v_pk_fma_f32 v[36:37], v[40:41], v[20:21], v[60:61] neg_lo:[0,0,1] neg_hi:[0,0,1]
	v_pk_fma_f32 v[20:21], v[40:41], v[20:21], v[60:61] op_sel_hi:[1,0,1]
	v_pk_mul_f32 v[40:41], v[42:43], v[62:63] op_sel:[1,0] op_sel_hi:[0,0]
	v_mov_b32_e32 v15, v17
	v_pk_add_f32 v[2:3], v[2:3], v[28:29]
	v_mov_b32_e32 v37, v21
	v_pk_fma_f32 v[18:19], v[42:43], v[22:23], v[40:41] neg_lo:[0,0,1] neg_hi:[0,0,1]
	v_pk_fma_f32 v[20:21], v[42:43], v[22:23], v[40:41] op_sel_hi:[1,0,1]
	v_pk_add_f32 v[2:3], v[2:3], v[14:15]
	v_mov_b32_e32 v19, v21
	v_pk_add_f32 v[2:3], v[2:3], v[36:37]
	s_nop 0
	v_pk_add_f32 v[2:3], v[2:3], v[18:19]
	s_waitcnt vmcnt(0)
	v_pk_add_f32 v[2:3], v[44:45], v[2:3] neg_lo:[0,1] neg_hi:[0,1]
	scratch_store_dwordx2 off, v[2:3], off offset:184
	s_and_saveexec_b64 s[0:1], vcc
	s_cbranch_execz .LBB33_173
; %bb.172:
	scratch_load_dwordx2 v[2:3], off, off offset:176
	v_mov_b32_e32 v4, 0
	v_mov_b32_e32 v5, v4
	scratch_store_dwordx2 off, v[4:5], off offset:176
	s_waitcnt vmcnt(1)
	ds_write_b64 v1, v[2:3]
.LBB33_173:
	s_or_b64 exec, exec, s[0:1]
	s_waitcnt lgkmcnt(0)
	; wave barrier
	scratch_load_dwordx4 v[8:11], off, off offset:184
	scratch_load_dwordx4 v[16:19], off, off offset:200
	v_mov_b32_e32 v2, 0
	ds_read2_b64 v[4:7], v2 offset0:57 offset1:58
	ds_read2_b64 v[12:15], v2 offset0:59 offset1:60
	scratch_load_dwordx4 v[20:23], off, off offset:216
	scratch_load_dwordx4 v[24:27], off, off offset:232
	;; [unrolled: 1-line block ×3, first 2 shown]
	scratch_load_dwordx2 v[42:43], off, off offset:264
	v_cmp_lt_u32_e32 vcc, 21, v0
	s_waitcnt vmcnt(5) lgkmcnt(1)
	v_mul_f32_e32 v3, v4, v9
	v_fmac_f32_e32 v3, v5, v8
	v_add_f32_e32 v37, 0, v3
	v_mul_f32_e32 v3, v5, v9
	v_fma_f32 v3, v4, v8, -v3
	v_mul_f32_e32 v39, v6, v11
	v_add_f32_e32 v36, 0, v3
	v_mul_f32_e32 v3, v7, v11
	v_fmac_f32_e32 v39, v7, v10
	s_waitcnt vmcnt(4) lgkmcnt(0)
	v_mul_f32_e32 v41, v12, v17
	v_fma_f32 v38, v6, v10, -v3
	v_mul_f32_e32 v3, v13, v17
	v_fmac_f32_e32 v41, v13, v16
	v_fma_f32 v40, v12, v16, -v3
	v_pk_add_f32 v[16:17], v[36:37], v[38:39]
	v_mov_b32_e32 v36, v19
	v_pk_mul_f32 v[36:37], v[14:15], v[36:37] op_sel:[1,0] op_sel_hi:[0,0]
	ds_read2_b64 v[4:7], v2 offset0:61 offset1:62
	ds_read2_b64 v[8:11], v2 offset0:63 offset1:64
	;; [unrolled: 1-line block ×3, first 2 shown]
	ds_read_b64 v[12:13], v2 offset:536
	v_pk_fma_f32 v[38:39], v[14:15], v[18:19], v[36:37] neg_lo:[0,0,1] neg_hi:[0,0,1]
	v_pk_fma_f32 v[14:15], v[14:15], v[18:19], v[36:37] op_sel_hi:[1,0,1]
	v_pk_add_f32 v[16:17], v[16:17], v[40:41]
	v_mov_b32_e32 v39, v15
	v_pk_add_f32 v[14:15], v[16:17], v[38:39]
	s_waitcnt vmcnt(3) lgkmcnt(3)
	v_pk_mul_f32 v[16:17], v[4:5], v[20:21] op_sel:[1,1] op_sel_hi:[0,1]
	v_pk_fma_f32 v[18:19], v[4:5], v[20:21], v[16:17] neg_lo:[0,0,1] neg_hi:[0,0,1]
	v_pk_fma_f32 v[4:5], v[4:5], v[20:21], v[16:17] op_sel_hi:[1,0,1]
	s_nop 0
	v_mov_b32_e32 v19, v5
	v_pk_add_f32 v[4:5], v[14:15], v[18:19]
	v_mov_b32_e32 v14, v23
	v_pk_mul_f32 v[14:15], v[6:7], v[14:15] op_sel:[1,0] op_sel_hi:[0,0]
	v_pk_fma_f32 v[16:17], v[6:7], v[22:23], v[14:15] neg_lo:[0,0,1] neg_hi:[0,0,1]
	v_pk_fma_f32 v[6:7], v[6:7], v[22:23], v[14:15] op_sel_hi:[1,0,1]
	s_nop 0
	v_mov_b32_e32 v17, v7
	s_waitcnt vmcnt(2) lgkmcnt(2)
	v_pk_mul_f32 v[6:7], v[8:9], v[24:25] op_sel:[1,1] op_sel_hi:[0,1]
	v_pk_fma_f32 v[14:15], v[8:9], v[24:25], v[6:7] neg_lo:[0,0,1] neg_hi:[0,0,1]
	v_pk_fma_f32 v[6:7], v[8:9], v[24:25], v[6:7] op_sel_hi:[1,0,1]
	v_pk_add_f32 v[4:5], v[4:5], v[16:17]
	v_mov_b32_e32 v6, v27
	v_mov_b32_e32 v15, v7
	v_pk_mul_f32 v[6:7], v[10:11], v[6:7] op_sel:[1,0] op_sel_hi:[0,0]
	v_pk_fma_f32 v[8:9], v[10:11], v[26:27], v[6:7] neg_lo:[0,0,1] neg_hi:[0,0,1]
	v_pk_fma_f32 v[6:7], v[10:11], v[26:27], v[6:7] op_sel_hi:[1,0,1]
	v_pk_add_f32 v[4:5], v[4:5], v[14:15]
	v_mov_b32_e32 v9, v7
	s_waitcnt vmcnt(1) lgkmcnt(1)
	v_pk_mul_f32 v[6:7], v[32:33], v[28:29] op_sel:[1,1] op_sel_hi:[0,1]
	v_pk_add_f32 v[4:5], v[4:5], v[8:9]
	v_pk_fma_f32 v[8:9], v[32:33], v[28:29], v[6:7] neg_lo:[0,0,1] neg_hi:[0,0,1]
	v_pk_fma_f32 v[6:7], v[32:33], v[28:29], v[6:7] op_sel_hi:[1,0,1]
	s_nop 0
	v_mov_b32_e32 v6, v31
	v_mov_b32_e32 v9, v7
	v_pk_mul_f32 v[6:7], v[34:35], v[6:7] op_sel:[1,0] op_sel_hi:[0,0]
	v_pk_add_f32 v[4:5], v[4:5], v[8:9]
	v_pk_fma_f32 v[8:9], v[34:35], v[30:31], v[6:7] neg_lo:[0,0,1] neg_hi:[0,0,1]
	v_pk_fma_f32 v[6:7], v[34:35], v[30:31], v[6:7] op_sel_hi:[1,0,1]
	s_nop 0
	v_mov_b32_e32 v9, v7
	s_waitcnt vmcnt(0) lgkmcnt(0)
	v_pk_mul_f32 v[6:7], v[12:13], v[42:43] op_sel:[1,1] op_sel_hi:[0,1]
	v_pk_add_f32 v[4:5], v[4:5], v[8:9]
	v_pk_fma_f32 v[8:9], v[12:13], v[42:43], v[6:7] neg_lo:[0,0,1] neg_hi:[0,0,1]
	v_pk_fma_f32 v[6:7], v[12:13], v[42:43], v[6:7] op_sel_hi:[1,0,1]
	s_nop 0
	v_mov_b32_e32 v9, v7
	scratch_load_dwordx2 v[6:7], off, off offset:176
	v_pk_add_f32 v[4:5], v[4:5], v[8:9]
	s_waitcnt vmcnt(0)
	v_pk_add_f32 v[4:5], v[6:7], v[4:5] neg_lo:[0,1] neg_hi:[0,1]
	scratch_store_dwordx2 off, v[4:5], off offset:176
	s_and_saveexec_b64 s[0:1], vcc
	s_cbranch_execz .LBB33_175
; %bb.174:
	scratch_load_dwordx2 v[4:5], off, off offset:168
	v_mov_b32_e32 v3, v2
	scratch_store_dwordx2 off, v[2:3], off offset:168
	s_waitcnt vmcnt(1)
	ds_write_b64 v1, v[4:5]
.LBB33_175:
	s_or_b64 exec, exec, s[0:1]
	s_waitcnt lgkmcnt(0)
	; wave barrier
	ds_read_b128 v[4:7], v2 offset:448
	ds_read_b128 v[8:11], v2 offset:464
	;; [unrolled: 1-line block ×4, first 2 shown]
	scratch_load_dwordx4 v[20:23], off, off offset:176
	v_cmp_lt_u32_e32 vcc, 20, v0
	s_waitcnt vmcnt(0) lgkmcnt(3)
	v_mul_f32_e32 v3, v4, v21
	v_fmac_f32_e32 v3, v5, v20
	v_mul_f32_e32 v24, v6, v23
	v_add_f32_e32 v3, 0, v3
	v_fmac_f32_e32 v24, v7, v22
	v_add_f32_e32 v45, v3, v24
	scratch_load_dwordx4 v[24:27], off, off offset:192
	scratch_load_dwordx4 v[28:31], off, off offset:208
	;; [unrolled: 1-line block ×5, first 2 shown]
	v_mul_f32_e32 v3, v5, v21
	v_fma_f32 v3, v4, v20, -v3
	v_mul_f32_e32 v4, v7, v23
	v_fma_f32 v4, v6, v22, -v4
	v_add_f32_e32 v3, 0, v3
	v_add_f32_e32 v44, v3, v4
	s_waitcnt vmcnt(3) lgkmcnt(1)
	v_pk_mul_f32 v[20:21], v[12:13], v[28:29] op_sel:[1,1] op_sel_hi:[0,1]
	v_pk_fma_f32 v[22:23], v[12:13], v[28:29], v[20:21] neg_lo:[0,0,1] neg_hi:[0,0,1]
	v_pk_fma_f32 v[12:13], v[12:13], v[28:29], v[20:21] op_sel_hi:[1,0,1]
	v_mul_f32_e32 v47, v8, v25
	v_mov_b32_e32 v12, v31
	v_mul_f32_e32 v3, v9, v25
	v_mov_b32_e32 v23, v13
	v_pk_mul_f32 v[12:13], v[14:15], v[12:13] op_sel:[1,0] op_sel_hi:[0,0]
	v_fmac_f32_e32 v47, v9, v24
	v_mul_f32_e32 v49, v10, v27
	v_fma_f32 v46, v8, v24, -v3
	v_mul_f32_e32 v3, v11, v27
	v_pk_fma_f32 v[20:21], v[14:15], v[30:31], v[12:13] neg_lo:[0,0,1] neg_hi:[0,0,1]
	v_pk_fma_f32 v[12:13], v[14:15], v[30:31], v[12:13] op_sel_hi:[1,0,1]
	v_fmac_f32_e32 v49, v11, v26
	v_fma_f32 v48, v10, v26, -v3
	ds_read_b128 v[4:7], v2 offset:512
	ds_read_b128 v[8:11], v2 offset:528
	v_pk_add_f32 v[2:3], v[44:45], v[46:47]
	v_mov_b32_e32 v21, v13
	s_waitcnt vmcnt(2) lgkmcnt(2)
	v_pk_mul_f32 v[12:13], v[16:17], v[32:33] op_sel:[1,1] op_sel_hi:[0,1]
	v_pk_add_f32 v[2:3], v[2:3], v[48:49]
	v_pk_fma_f32 v[14:15], v[16:17], v[32:33], v[12:13] neg_lo:[0,0,1] neg_hi:[0,0,1]
	v_pk_fma_f32 v[12:13], v[16:17], v[32:33], v[12:13] op_sel_hi:[1,0,1]
	v_pk_add_f32 v[2:3], v[2:3], v[22:23]
	v_mov_b32_e32 v12, v35
	v_pk_add_f32 v[2:3], v[2:3], v[20:21]
	v_mov_b32_e32 v15, v13
	v_pk_mul_f32 v[12:13], v[18:19], v[12:13] op_sel:[1,0] op_sel_hi:[0,0]
	v_pk_add_f32 v[2:3], v[2:3], v[14:15]
	v_pk_fma_f32 v[14:15], v[18:19], v[34:35], v[12:13] neg_lo:[0,0,1] neg_hi:[0,0,1]
	v_pk_fma_f32 v[12:13], v[18:19], v[34:35], v[12:13] op_sel_hi:[1,0,1]
	s_nop 0
	v_mov_b32_e32 v15, v13
	s_waitcnt vmcnt(1) lgkmcnt(1)
	v_pk_mul_f32 v[12:13], v[4:5], v[36:37] op_sel:[1,1] op_sel_hi:[0,1]
	v_pk_add_f32 v[2:3], v[2:3], v[14:15]
	v_pk_fma_f32 v[14:15], v[4:5], v[36:37], v[12:13] neg_lo:[0,0,1] neg_hi:[0,0,1]
	v_pk_fma_f32 v[4:5], v[4:5], v[36:37], v[12:13] op_sel_hi:[1,0,1]
	s_nop 0
	v_mov_b32_e32 v4, v39
	v_mov_b32_e32 v15, v5
	v_pk_mul_f32 v[4:5], v[6:7], v[4:5] op_sel:[1,0] op_sel_hi:[0,0]
	v_pk_fma_f32 v[12:13], v[6:7], v[38:39], v[4:5] neg_lo:[0,0,1] neg_hi:[0,0,1]
	v_pk_fma_f32 v[4:5], v[6:7], v[38:39], v[4:5] op_sel_hi:[1,0,1]
	v_pk_add_f32 v[2:3], v[2:3], v[14:15]
	v_mov_b32_e32 v13, v5
	s_waitcnt vmcnt(0) lgkmcnt(0)
	v_pk_mul_f32 v[4:5], v[8:9], v[40:41] op_sel:[1,1] op_sel_hi:[0,1]
	v_pk_fma_f32 v[6:7], v[8:9], v[40:41], v[4:5] neg_lo:[0,0,1] neg_hi:[0,0,1]
	v_pk_fma_f32 v[4:5], v[8:9], v[40:41], v[4:5] op_sel_hi:[1,0,1]
	v_pk_add_f32 v[2:3], v[2:3], v[12:13]
	v_mov_b32_e32 v4, v43
	v_mov_b32_e32 v7, v5
	v_pk_mul_f32 v[4:5], v[10:11], v[4:5] op_sel:[1,0] op_sel_hi:[0,0]
	v_pk_add_f32 v[2:3], v[2:3], v[6:7]
	v_pk_fma_f32 v[6:7], v[10:11], v[42:43], v[4:5] neg_lo:[0,0,1] neg_hi:[0,0,1]
	v_pk_fma_f32 v[4:5], v[10:11], v[42:43], v[4:5] op_sel_hi:[1,0,1]
	s_nop 0
	v_mov_b32_e32 v7, v5
	scratch_load_dwordx2 v[4:5], off, off offset:168
	v_pk_add_f32 v[2:3], v[2:3], v[6:7]
	s_waitcnt vmcnt(0)
	v_pk_add_f32 v[2:3], v[4:5], v[2:3] neg_lo:[0,1] neg_hi:[0,1]
	scratch_store_dwordx2 off, v[2:3], off offset:168
	s_and_saveexec_b64 s[0:1], vcc
	s_cbranch_execz .LBB33_177
; %bb.176:
	scratch_load_dwordx2 v[2:3], off, off offset:160
	v_mov_b32_e32 v4, 0
	v_mov_b32_e32 v5, v4
	scratch_store_dwordx2 off, v[4:5], off offset:160
	s_waitcnt vmcnt(1)
	ds_write_b64 v1, v[2:3]
.LBB33_177:
	s_or_b64 exec, exec, s[0:1]
	s_waitcnt lgkmcnt(0)
	; wave barrier
	scratch_load_dwordx4 v[8:11], off, off offset:168
	scratch_load_dwordx4 v[16:19], off, off offset:184
	v_mov_b32_e32 v2, 0
	ds_read2_b64 v[4:7], v2 offset0:55 offset1:56
	scratch_load_dwordx4 v[24:27], off, off offset:200
	v_cmp_lt_u32_e32 vcc, 19, v0
	s_waitcnt vmcnt(2) lgkmcnt(0)
	v_mul_f32_e32 v3, v4, v9
	v_fmac_f32_e32 v3, v5, v8
	v_mul_f32_e32 v12, v6, v11
	v_add_f32_e32 v3, 0, v3
	v_fmac_f32_e32 v12, v7, v10
	v_add_f32_e32 v3, v3, v12
	ds_read2_b64 v[12:15], v2 offset0:57 offset1:58
	s_waitcnt vmcnt(1) lgkmcnt(0)
	v_mul_f32_e32 v20, v12, v17
	v_fmac_f32_e32 v20, v13, v16
	v_add_f32_e32 v41, v3, v20
	ds_read2_b64 v[20:23], v2 offset0:59 offset1:60
	scratch_load_dwordx4 v[28:31], off, off offset:216
	scratch_load_dwordx4 v[32:35], off, off offset:232
	;; [unrolled: 1-line block ×3, first 2 shown]
	scratch_load_dwordx2 v[46:47], off, off offset:264
	v_mul_f32_e32 v3, v5, v9
	v_fma_f32 v3, v4, v8, -v3
	v_mul_f32_e32 v4, v7, v11
	v_add_f32_e32 v3, 0, v3
	v_fma_f32 v4, v6, v10, -v4
	v_add_f32_e32 v3, v3, v4
	v_mul_f32_e32 v4, v13, v17
	v_fma_f32 v4, v12, v16, -v4
	v_add_f32_e32 v40, v3, v4
	v_mul_f32_e32 v3, v15, v19
	v_fma_f32 v42, v14, v18, -v3
	s_waitcnt vmcnt(4) lgkmcnt(0)
	v_mul_f32_e32 v3, v21, v25
	v_mul_f32_e32 v43, v14, v19
	;; [unrolled: 1-line block ×3, first 2 shown]
	v_fma_f32 v44, v20, v24, -v3
	v_mov_b32_e32 v20, v27
	v_fmac_f32_e32 v43, v15, v18
	v_fmac_f32_e32 v45, v21, v24
	ds_read2_b64 v[4:7], v2 offset0:61 offset1:62
	ds_read2_b64 v[8:11], v2 offset0:63 offset1:64
	;; [unrolled: 1-line block ×3, first 2 shown]
	ds_read_b64 v[16:17], v2 offset:536
	v_pk_mul_f32 v[20:21], v[22:23], v[20:21] op_sel:[1,0] op_sel_hi:[0,0]
	v_pk_fma_f32 v[24:25], v[22:23], v[26:27], v[20:21] neg_lo:[0,0,1] neg_hi:[0,0,1]
	v_pk_fma_f32 v[20:21], v[22:23], v[26:27], v[20:21] op_sel_hi:[1,0,1]
	v_pk_add_f32 v[18:19], v[40:41], v[42:43]
	v_mov_b32_e32 v25, v21
	v_pk_add_f32 v[18:19], v[18:19], v[44:45]
	s_waitcnt vmcnt(3) lgkmcnt(3)
	v_pk_mul_f32 v[20:21], v[4:5], v[28:29] op_sel:[1,1] op_sel_hi:[0,1]
	v_pk_fma_f32 v[22:23], v[4:5], v[28:29], v[20:21] neg_lo:[0,0,1] neg_hi:[0,0,1]
	v_pk_fma_f32 v[4:5], v[4:5], v[28:29], v[20:21] op_sel_hi:[1,0,1]
	v_pk_add_f32 v[18:19], v[18:19], v[24:25]
	v_mov_b32_e32 v23, v5
	v_pk_add_f32 v[4:5], v[18:19], v[22:23]
	v_mov_b32_e32 v18, v31
	v_pk_mul_f32 v[18:19], v[6:7], v[18:19] op_sel:[1,0] op_sel_hi:[0,0]
	v_pk_fma_f32 v[20:21], v[6:7], v[30:31], v[18:19] neg_lo:[0,0,1] neg_hi:[0,0,1]
	v_pk_fma_f32 v[6:7], v[6:7], v[30:31], v[18:19] op_sel_hi:[1,0,1]
	s_nop 0
	v_mov_b32_e32 v21, v7
	s_waitcnt vmcnt(2) lgkmcnt(2)
	v_pk_mul_f32 v[6:7], v[8:9], v[32:33] op_sel:[1,1] op_sel_hi:[0,1]
	v_pk_fma_f32 v[18:19], v[8:9], v[32:33], v[6:7] neg_lo:[0,0,1] neg_hi:[0,0,1]
	v_pk_fma_f32 v[6:7], v[8:9], v[32:33], v[6:7] op_sel_hi:[1,0,1]
	v_pk_add_f32 v[4:5], v[4:5], v[20:21]
	v_mov_b32_e32 v6, v35
	v_mov_b32_e32 v19, v7
	v_pk_mul_f32 v[6:7], v[10:11], v[6:7] op_sel:[1,0] op_sel_hi:[0,0]
	v_pk_fma_f32 v[8:9], v[10:11], v[34:35], v[6:7] neg_lo:[0,0,1] neg_hi:[0,0,1]
	v_pk_fma_f32 v[6:7], v[10:11], v[34:35], v[6:7] op_sel_hi:[1,0,1]
	v_pk_add_f32 v[4:5], v[4:5], v[18:19]
	v_mov_b32_e32 v9, v7
	s_waitcnt vmcnt(1) lgkmcnt(1)
	v_pk_mul_f32 v[6:7], v[12:13], v[36:37] op_sel:[1,1] op_sel_hi:[0,1]
	v_pk_add_f32 v[4:5], v[4:5], v[8:9]
	v_pk_fma_f32 v[8:9], v[12:13], v[36:37], v[6:7] neg_lo:[0,0,1] neg_hi:[0,0,1]
	v_pk_fma_f32 v[6:7], v[12:13], v[36:37], v[6:7] op_sel_hi:[1,0,1]
	s_nop 0
	v_mov_b32_e32 v6, v39
	v_mov_b32_e32 v9, v7
	v_pk_mul_f32 v[6:7], v[14:15], v[6:7] op_sel:[1,0] op_sel_hi:[0,0]
	v_pk_add_f32 v[4:5], v[4:5], v[8:9]
	v_pk_fma_f32 v[8:9], v[14:15], v[38:39], v[6:7] neg_lo:[0,0,1] neg_hi:[0,0,1]
	v_pk_fma_f32 v[6:7], v[14:15], v[38:39], v[6:7] op_sel_hi:[1,0,1]
	s_nop 0
	v_mov_b32_e32 v9, v7
	s_waitcnt vmcnt(0) lgkmcnt(0)
	v_pk_mul_f32 v[6:7], v[16:17], v[46:47] op_sel:[1,1] op_sel_hi:[0,1]
	v_pk_add_f32 v[4:5], v[4:5], v[8:9]
	v_pk_fma_f32 v[8:9], v[16:17], v[46:47], v[6:7] neg_lo:[0,0,1] neg_hi:[0,0,1]
	v_pk_fma_f32 v[6:7], v[16:17], v[46:47], v[6:7] op_sel_hi:[1,0,1]
	s_nop 0
	v_mov_b32_e32 v9, v7
	scratch_load_dwordx2 v[6:7], off, off offset:160
	v_pk_add_f32 v[4:5], v[4:5], v[8:9]
	s_waitcnt vmcnt(0)
	v_pk_add_f32 v[4:5], v[6:7], v[4:5] neg_lo:[0,1] neg_hi:[0,1]
	scratch_store_dwordx2 off, v[4:5], off offset:160
	s_and_saveexec_b64 s[0:1], vcc
	s_cbranch_execz .LBB33_179
; %bb.178:
	scratch_load_dwordx2 v[4:5], off, off offset:152
	v_mov_b32_e32 v3, v2
	scratch_store_dwordx2 off, v[2:3], off offset:152
	s_waitcnt vmcnt(1)
	ds_write_b64 v1, v[4:5]
.LBB33_179:
	s_or_b64 exec, exec, s[0:1]
	s_waitcnt lgkmcnt(0)
	; wave barrier
	ds_read_b128 v[4:7], v2 offset:432
	ds_read_b128 v[8:11], v2 offset:448
	;; [unrolled: 1-line block ×4, first 2 shown]
	scratch_load_dwordx4 v[20:23], off, off offset:160
	v_cmp_lt_u32_e32 vcc, 18, v0
	s_waitcnt vmcnt(0) lgkmcnt(3)
	v_mul_f32_e32 v3, v4, v21
	v_fmac_f32_e32 v3, v5, v20
	v_mul_f32_e32 v24, v6, v23
	v_add_f32_e32 v3, 0, v3
	v_fmac_f32_e32 v24, v7, v22
	v_add_f32_e32 v3, v3, v24
	scratch_load_dwordx4 v[24:27], off, off offset:176
	s_waitcnt vmcnt(0) lgkmcnt(2)
	v_mul_f32_e32 v28, v8, v25
	v_fmac_f32_e32 v28, v9, v24
	v_add_f32_e32 v3, v3, v28
	v_mul_f32_e32 v28, v10, v27
	v_fmac_f32_e32 v28, v11, v26
	v_add_f32_e32 v49, v3, v28
	scratch_load_dwordx4 v[28:31], off, off offset:192
	scratch_load_dwordx4 v[32:35], off, off offset:208
	;; [unrolled: 1-line block ×5, first 2 shown]
	v_mul_f32_e32 v3, v5, v21
	v_fma_f32 v3, v4, v20, -v3
	v_mul_f32_e32 v4, v7, v23
	v_add_f32_e32 v3, 0, v3
	v_fma_f32 v4, v6, v22, -v4
	v_add_f32_e32 v3, v3, v4
	v_mul_f32_e32 v4, v9, v25
	v_fma_f32 v4, v8, v24, -v4
	v_add_f32_e32 v3, v3, v4
	v_mul_f32_e32 v4, v11, v27
	v_fma_f32 v4, v10, v26, -v4
	v_add_f32_e32 v48, v3, v4
	s_waitcnt vmcnt(3) lgkmcnt(0)
	v_pk_mul_f32 v[20:21], v[16:17], v[32:33] op_sel:[1,1] op_sel_hi:[0,1]
	v_pk_fma_f32 v[22:23], v[16:17], v[32:33], v[20:21] neg_lo:[0,0,1] neg_hi:[0,0,1]
	v_mul_f32_e32 v3, v13, v29
	v_mul_f32_e32 v51, v12, v29
	;; [unrolled: 1-line block ×3, first 2 shown]
	v_fma_f32 v50, v12, v28, -v3
	v_mul_f32_e32 v3, v15, v31
	v_pk_fma_f32 v[16:17], v[16:17], v[32:33], v[20:21] op_sel_hi:[1,0,1]
	v_fmac_f32_e32 v51, v13, v28
	v_fmac_f32_e32 v53, v15, v30
	v_fma_f32 v52, v14, v30, -v3
	ds_read_b128 v[4:7], v2 offset:496
	ds_read_b128 v[8:11], v2 offset:512
	ds_read_b128 v[12:15], v2 offset:528
	v_mov_b32_e32 v16, v35
	v_mov_b32_e32 v23, v17
	v_pk_mul_f32 v[16:17], v[18:19], v[16:17] op_sel:[1,0] op_sel_hi:[0,0]
	v_pk_fma_f32 v[20:21], v[18:19], v[34:35], v[16:17] neg_lo:[0,0,1] neg_hi:[0,0,1]
	v_pk_fma_f32 v[16:17], v[18:19], v[34:35], v[16:17] op_sel_hi:[1,0,1]
	v_pk_add_f32 v[2:3], v[48:49], v[50:51]
	v_mov_b32_e32 v21, v17
	s_waitcnt vmcnt(2) lgkmcnt(2)
	v_pk_mul_f32 v[16:17], v[4:5], v[36:37] op_sel:[1,1] op_sel_hi:[0,1]
	v_pk_fma_f32 v[18:19], v[4:5], v[36:37], v[16:17] neg_lo:[0,0,1] neg_hi:[0,0,1]
	v_pk_fma_f32 v[4:5], v[4:5], v[36:37], v[16:17] op_sel_hi:[1,0,1]
	v_pk_add_f32 v[2:3], v[2:3], v[52:53]
	v_mov_b32_e32 v4, v39
	v_mov_b32_e32 v19, v5
	v_pk_mul_f32 v[4:5], v[6:7], v[4:5] op_sel:[1,0] op_sel_hi:[0,0]
	v_pk_fma_f32 v[16:17], v[6:7], v[38:39], v[4:5] neg_lo:[0,0,1] neg_hi:[0,0,1]
	v_pk_fma_f32 v[4:5], v[6:7], v[38:39], v[4:5] op_sel_hi:[1,0,1]
	v_pk_add_f32 v[2:3], v[2:3], v[22:23]
	v_mov_b32_e32 v17, v5
	s_waitcnt vmcnt(1) lgkmcnt(1)
	v_pk_mul_f32 v[4:5], v[8:9], v[40:41] op_sel:[1,1] op_sel_hi:[0,1]
	v_pk_add_f32 v[2:3], v[2:3], v[20:21]
	v_pk_fma_f32 v[6:7], v[8:9], v[40:41], v[4:5] neg_lo:[0,0,1] neg_hi:[0,0,1]
	v_pk_fma_f32 v[4:5], v[8:9], v[40:41], v[4:5] op_sel_hi:[1,0,1]
	v_pk_add_f32 v[2:3], v[2:3], v[18:19]
	v_mov_b32_e32 v4, v43
	v_pk_add_f32 v[2:3], v[2:3], v[16:17]
	v_mov_b32_e32 v7, v5
	v_pk_mul_f32 v[4:5], v[10:11], v[4:5] op_sel:[1,0] op_sel_hi:[0,0]
	v_pk_add_f32 v[2:3], v[2:3], v[6:7]
	v_pk_fma_f32 v[6:7], v[10:11], v[42:43], v[4:5] neg_lo:[0,0,1] neg_hi:[0,0,1]
	v_pk_fma_f32 v[4:5], v[10:11], v[42:43], v[4:5] op_sel_hi:[1,0,1]
	s_nop 0
	v_mov_b32_e32 v7, v5
	s_waitcnt vmcnt(0) lgkmcnt(0)
	v_pk_mul_f32 v[4:5], v[12:13], v[44:45] op_sel:[1,1] op_sel_hi:[0,1]
	v_pk_add_f32 v[2:3], v[2:3], v[6:7]
	v_pk_fma_f32 v[6:7], v[12:13], v[44:45], v[4:5] neg_lo:[0,0,1] neg_hi:[0,0,1]
	v_pk_fma_f32 v[4:5], v[12:13], v[44:45], v[4:5] op_sel_hi:[1,0,1]
	s_nop 0
	v_mov_b32_e32 v4, v47
	v_mov_b32_e32 v7, v5
	v_pk_mul_f32 v[4:5], v[14:15], v[4:5] op_sel:[1,0] op_sel_hi:[0,0]
	v_pk_add_f32 v[2:3], v[2:3], v[6:7]
	v_pk_fma_f32 v[6:7], v[14:15], v[46:47], v[4:5] neg_lo:[0,0,1] neg_hi:[0,0,1]
	v_pk_fma_f32 v[4:5], v[14:15], v[46:47], v[4:5] op_sel_hi:[1,0,1]
	s_nop 0
	v_mov_b32_e32 v7, v5
	scratch_load_dwordx2 v[4:5], off, off offset:152
	v_pk_add_f32 v[2:3], v[2:3], v[6:7]
	s_waitcnt vmcnt(0)
	v_pk_add_f32 v[2:3], v[4:5], v[2:3] neg_lo:[0,1] neg_hi:[0,1]
	scratch_store_dwordx2 off, v[2:3], off offset:152
	s_and_saveexec_b64 s[0:1], vcc
	s_cbranch_execz .LBB33_181
; %bb.180:
	scratch_load_dwordx2 v[2:3], off, off offset:144
	v_mov_b32_e32 v4, 0
	v_mov_b32_e32 v5, v4
	scratch_store_dwordx2 off, v[4:5], off offset:144
	s_waitcnt vmcnt(1)
	ds_write_b64 v1, v[2:3]
.LBB33_181:
	s_or_b64 exec, exec, s[0:1]
	s_waitcnt lgkmcnt(0)
	; wave barrier
	scratch_load_dwordx4 v[8:11], off, off offset:152
	scratch_load_dwordx4 v[16:19], off, off offset:168
	;; [unrolled: 1-line block ×4, first 2 shown]
	v_mov_b32_e32 v2, 0
	ds_read2_b64 v[4:7], v2 offset0:53 offset1:54
	v_cmp_lt_u32_e32 vcc, 17, v0
	s_waitcnt vmcnt(3) lgkmcnt(0)
	v_mul_f32_e32 v3, v4, v9
	v_fmac_f32_e32 v3, v5, v8
	v_mul_f32_e32 v12, v6, v11
	v_add_f32_e32 v3, 0, v3
	v_fmac_f32_e32 v12, v7, v10
	v_add_f32_e32 v3, v3, v12
	ds_read2_b64 v[12:15], v2 offset0:55 offset1:56
	s_waitcnt vmcnt(2) lgkmcnt(0)
	v_mul_f32_e32 v20, v12, v17
	v_fmac_f32_e32 v20, v13, v16
	v_add_f32_e32 v3, v3, v20
	v_mul_f32_e32 v20, v14, v19
	v_fmac_f32_e32 v20, v15, v18
	v_add_f32_e32 v3, v3, v20
	ds_read2_b64 v[20:23], v2 offset0:57 offset1:58
	s_waitcnt vmcnt(1) lgkmcnt(0)
	v_mul_f32_e32 v28, v20, v25
	v_fmac_f32_e32 v28, v21, v24
	v_add_f32_e32 v49, v3, v28
	ds_read2_b64 v[28:31], v2 offset0:59 offset1:60
	scratch_load_dwordx4 v[36:39], off, off offset:216
	scratch_load_dwordx4 v[40:43], off, off offset:232
	;; [unrolled: 1-line block ×3, first 2 shown]
	scratch_load_dwordx2 v[54:55], off, off offset:264
	v_mul_f32_e32 v3, v5, v9
	v_fma_f32 v3, v4, v8, -v3
	v_mul_f32_e32 v4, v7, v11
	v_add_f32_e32 v3, 0, v3
	v_fma_f32 v4, v6, v10, -v4
	v_add_f32_e32 v3, v3, v4
	v_mul_f32_e32 v4, v13, v17
	v_fma_f32 v4, v12, v16, -v4
	v_add_f32_e32 v3, v3, v4
	v_mul_f32_e32 v4, v15, v19
	;; [unrolled: 3-line block ×3, first 2 shown]
	v_fma_f32 v4, v20, v24, -v4
	v_mul_f32_e32 v51, v22, v27
	v_add_f32_e32 v48, v3, v4
	v_mul_f32_e32 v3, v23, v27
	s_waitcnt vmcnt(4)
	v_mov_b32_e32 v20, v35
	v_fmac_f32_e32 v51, v23, v26
	s_waitcnt lgkmcnt(0)
	v_mul_f32_e32 v53, v28, v33
	v_fma_f32 v50, v22, v26, -v3
	v_mul_f32_e32 v3, v29, v33
	ds_read2_b64 v[4:7], v2 offset0:61 offset1:62
	ds_read2_b64 v[8:11], v2 offset0:63 offset1:64
	ds_read2_b64 v[12:15], v2 offset0:65 offset1:66
	ds_read_b64 v[16:17], v2 offset:536
	v_pk_mul_f32 v[20:21], v[30:31], v[20:21] op_sel:[1,0] op_sel_hi:[0,0]
	v_fmac_f32_e32 v53, v29, v32
	v_fma_f32 v52, v28, v32, -v3
	v_pk_add_f32 v[18:19], v[48:49], v[50:51]
	v_pk_fma_f32 v[22:23], v[30:31], v[34:35], v[20:21] neg_lo:[0,0,1] neg_hi:[0,0,1]
	v_pk_fma_f32 v[20:21], v[30:31], v[34:35], v[20:21] op_sel_hi:[1,0,1]
	v_pk_add_f32 v[18:19], v[18:19], v[52:53]
	v_mov_b32_e32 v23, v21
	v_pk_add_f32 v[18:19], v[18:19], v[22:23]
	s_waitcnt vmcnt(3) lgkmcnt(3)
	v_pk_mul_f32 v[20:21], v[4:5], v[36:37] op_sel:[1,1] op_sel_hi:[0,1]
	v_pk_fma_f32 v[22:23], v[4:5], v[36:37], v[20:21] neg_lo:[0,0,1] neg_hi:[0,0,1]
	v_pk_fma_f32 v[4:5], v[4:5], v[36:37], v[20:21] op_sel_hi:[1,0,1]
	s_nop 0
	v_mov_b32_e32 v23, v5
	v_pk_add_f32 v[4:5], v[18:19], v[22:23]
	v_mov_b32_e32 v18, v39
	v_pk_mul_f32 v[18:19], v[6:7], v[18:19] op_sel:[1,0] op_sel_hi:[0,0]
	v_pk_fma_f32 v[20:21], v[6:7], v[38:39], v[18:19] neg_lo:[0,0,1] neg_hi:[0,0,1]
	v_pk_fma_f32 v[6:7], v[6:7], v[38:39], v[18:19] op_sel_hi:[1,0,1]
	s_nop 0
	v_mov_b32_e32 v21, v7
	s_waitcnt vmcnt(2) lgkmcnt(2)
	v_pk_mul_f32 v[6:7], v[8:9], v[40:41] op_sel:[1,1] op_sel_hi:[0,1]
	v_pk_fma_f32 v[18:19], v[8:9], v[40:41], v[6:7] neg_lo:[0,0,1] neg_hi:[0,0,1]
	v_pk_fma_f32 v[6:7], v[8:9], v[40:41], v[6:7] op_sel_hi:[1,0,1]
	v_pk_add_f32 v[4:5], v[4:5], v[20:21]
	v_mov_b32_e32 v6, v43
	v_mov_b32_e32 v19, v7
	v_pk_mul_f32 v[6:7], v[10:11], v[6:7] op_sel:[1,0] op_sel_hi:[0,0]
	v_pk_fma_f32 v[8:9], v[10:11], v[42:43], v[6:7] neg_lo:[0,0,1] neg_hi:[0,0,1]
	v_pk_fma_f32 v[6:7], v[10:11], v[42:43], v[6:7] op_sel_hi:[1,0,1]
	v_pk_add_f32 v[4:5], v[4:5], v[18:19]
	v_mov_b32_e32 v9, v7
	s_waitcnt vmcnt(1) lgkmcnt(1)
	v_pk_mul_f32 v[6:7], v[12:13], v[44:45] op_sel:[1,1] op_sel_hi:[0,1]
	v_pk_add_f32 v[4:5], v[4:5], v[8:9]
	v_pk_fma_f32 v[8:9], v[12:13], v[44:45], v[6:7] neg_lo:[0,0,1] neg_hi:[0,0,1]
	v_pk_fma_f32 v[6:7], v[12:13], v[44:45], v[6:7] op_sel_hi:[1,0,1]
	s_nop 0
	v_mov_b32_e32 v6, v47
	v_mov_b32_e32 v9, v7
	v_pk_mul_f32 v[6:7], v[14:15], v[6:7] op_sel:[1,0] op_sel_hi:[0,0]
	v_pk_add_f32 v[4:5], v[4:5], v[8:9]
	v_pk_fma_f32 v[8:9], v[14:15], v[46:47], v[6:7] neg_lo:[0,0,1] neg_hi:[0,0,1]
	v_pk_fma_f32 v[6:7], v[14:15], v[46:47], v[6:7] op_sel_hi:[1,0,1]
	s_nop 0
	v_mov_b32_e32 v9, v7
	s_waitcnt vmcnt(0) lgkmcnt(0)
	v_pk_mul_f32 v[6:7], v[16:17], v[54:55] op_sel:[1,1] op_sel_hi:[0,1]
	v_pk_add_f32 v[4:5], v[4:5], v[8:9]
	v_pk_fma_f32 v[8:9], v[16:17], v[54:55], v[6:7] neg_lo:[0,0,1] neg_hi:[0,0,1]
	v_pk_fma_f32 v[6:7], v[16:17], v[54:55], v[6:7] op_sel_hi:[1,0,1]
	s_nop 0
	v_mov_b32_e32 v9, v7
	scratch_load_dwordx2 v[6:7], off, off offset:144
	v_pk_add_f32 v[4:5], v[4:5], v[8:9]
	s_waitcnt vmcnt(0)
	v_pk_add_f32 v[4:5], v[6:7], v[4:5] neg_lo:[0,1] neg_hi:[0,1]
	scratch_store_dwordx2 off, v[4:5], off offset:144
	s_and_saveexec_b64 s[0:1], vcc
	s_cbranch_execz .LBB33_183
; %bb.182:
	scratch_load_dwordx2 v[4:5], off, off offset:136
	v_mov_b32_e32 v3, v2
	scratch_store_dwordx2 off, v[2:3], off offset:136
	s_waitcnt vmcnt(1)
	ds_write_b64 v1, v[4:5]
.LBB33_183:
	s_or_b64 exec, exec, s[0:1]
	s_waitcnt lgkmcnt(0)
	; wave barrier
	ds_read_b128 v[4:7], v2 offset:416
	ds_read_b128 v[8:11], v2 offset:432
	;; [unrolled: 1-line block ×4, first 2 shown]
	scratch_load_dwordx4 v[20:23], off, off offset:144
	v_cmp_lt_u32_e32 vcc, 16, v0
	s_waitcnt vmcnt(0) lgkmcnt(3)
	v_mul_f32_e32 v3, v4, v21
	v_fmac_f32_e32 v3, v5, v20
	v_mul_f32_e32 v24, v6, v23
	v_add_f32_e32 v3, 0, v3
	v_fmac_f32_e32 v24, v7, v22
	v_add_f32_e32 v3, v3, v24
	scratch_load_dwordx4 v[24:27], off, off offset:160
	s_waitcnt vmcnt(0) lgkmcnt(2)
	v_mul_f32_e32 v28, v8, v25
	v_fmac_f32_e32 v28, v9, v24
	v_add_f32_e32 v3, v3, v28
	v_mul_f32_e32 v28, v10, v27
	v_fmac_f32_e32 v28, v11, v26
	v_add_f32_e32 v3, v3, v28
	scratch_load_dwordx4 v[28:31], off, off offset:176
	s_waitcnt vmcnt(0) lgkmcnt(1)
	v_mul_f32_e32 v32, v12, v29
	v_fmac_f32_e32 v32, v13, v28
	v_add_f32_e32 v3, v3, v32
	v_mul_f32_e32 v32, v14, v31
	v_fmac_f32_e32 v32, v15, v30
	v_add_f32_e32 v53, v3, v32
	scratch_load_dwordx4 v[32:35], off, off offset:192
	scratch_load_dwordx4 v[36:39], off, off offset:208
	;; [unrolled: 1-line block ×5, first 2 shown]
	v_mul_f32_e32 v3, v5, v21
	v_fma_f32 v3, v4, v20, -v3
	v_mul_f32_e32 v4, v7, v23
	v_add_f32_e32 v3, 0, v3
	v_fma_f32 v4, v6, v22, -v4
	v_add_f32_e32 v3, v3, v4
	v_mul_f32_e32 v4, v9, v25
	v_fma_f32 v4, v8, v24, -v4
	v_add_f32_e32 v3, v3, v4
	v_mul_f32_e32 v4, v11, v27
	;; [unrolled: 3-line block ×4, first 2 shown]
	v_fma_f32 v4, v14, v30, -v4
	v_add_f32_e32 v52, v3, v4
	s_waitcnt vmcnt(4) lgkmcnt(0)
	v_mul_f32_e32 v3, v17, v33
	v_mul_f32_e32 v55, v16, v33
	;; [unrolled: 1-line block ×3, first 2 shown]
	v_fma_f32 v54, v16, v32, -v3
	v_mul_f32_e32 v3, v19, v35
	v_fmac_f32_e32 v55, v17, v32
	v_fmac_f32_e32 v57, v19, v34
	v_fma_f32 v56, v18, v34, -v3
	ds_read_b128 v[4:7], v2 offset:480
	ds_read_b128 v[8:11], v2 offset:496
	ds_read_b128 v[12:15], v2 offset:512
	ds_read_b128 v[16:19], v2 offset:528
	v_pk_add_f32 v[2:3], v[52:53], v[54:55]
	s_waitcnt vmcnt(3) lgkmcnt(3)
	v_pk_mul_f32 v[20:21], v[4:5], v[36:37] op_sel:[1,1] op_sel_hi:[0,1]
	v_pk_fma_f32 v[22:23], v[4:5], v[36:37], v[20:21] neg_lo:[0,0,1] neg_hi:[0,0,1]
	v_pk_fma_f32 v[4:5], v[4:5], v[36:37], v[20:21] op_sel_hi:[1,0,1]
	v_pk_add_f32 v[2:3], v[2:3], v[56:57]
	v_mov_b32_e32 v4, v39
	v_mov_b32_e32 v23, v5
	v_pk_mul_f32 v[4:5], v[6:7], v[4:5] op_sel:[1,0] op_sel_hi:[0,0]
	v_pk_fma_f32 v[20:21], v[6:7], v[38:39], v[4:5] neg_lo:[0,0,1] neg_hi:[0,0,1]
	v_pk_fma_f32 v[4:5], v[6:7], v[38:39], v[4:5] op_sel_hi:[1,0,1]
	v_pk_add_f32 v[2:3], v[2:3], v[22:23]
	v_mov_b32_e32 v21, v5
	s_waitcnt vmcnt(2) lgkmcnt(2)
	v_pk_mul_f32 v[4:5], v[8:9], v[40:41] op_sel:[1,1] op_sel_hi:[0,1]
	v_pk_fma_f32 v[6:7], v[8:9], v[40:41], v[4:5] neg_lo:[0,0,1] neg_hi:[0,0,1]
	v_pk_fma_f32 v[4:5], v[8:9], v[40:41], v[4:5] op_sel_hi:[1,0,1]
	v_pk_add_f32 v[2:3], v[2:3], v[20:21]
	v_mov_b32_e32 v4, v43
	v_mov_b32_e32 v7, v5
	v_pk_mul_f32 v[4:5], v[10:11], v[4:5] op_sel:[1,0] op_sel_hi:[0,0]
	v_pk_add_f32 v[2:3], v[2:3], v[6:7]
	v_pk_fma_f32 v[6:7], v[10:11], v[42:43], v[4:5] neg_lo:[0,0,1] neg_hi:[0,0,1]
	v_pk_fma_f32 v[4:5], v[10:11], v[42:43], v[4:5] op_sel_hi:[1,0,1]
	s_nop 0
	v_mov_b32_e32 v7, v5
	s_waitcnt vmcnt(1) lgkmcnt(1)
	v_pk_mul_f32 v[4:5], v[12:13], v[44:45] op_sel:[1,1] op_sel_hi:[0,1]
	v_pk_add_f32 v[2:3], v[2:3], v[6:7]
	v_pk_fma_f32 v[6:7], v[12:13], v[44:45], v[4:5] neg_lo:[0,0,1] neg_hi:[0,0,1]
	v_pk_fma_f32 v[4:5], v[12:13], v[44:45], v[4:5] op_sel_hi:[1,0,1]
	s_nop 0
	v_mov_b32_e32 v4, v47
	v_mov_b32_e32 v7, v5
	v_pk_mul_f32 v[4:5], v[14:15], v[4:5] op_sel:[1,0] op_sel_hi:[0,0]
	v_pk_add_f32 v[2:3], v[2:3], v[6:7]
	v_pk_fma_f32 v[6:7], v[14:15], v[46:47], v[4:5] neg_lo:[0,0,1] neg_hi:[0,0,1]
	v_pk_fma_f32 v[4:5], v[14:15], v[46:47], v[4:5] op_sel_hi:[1,0,1]
	s_nop 0
	v_mov_b32_e32 v7, v5
	s_waitcnt vmcnt(0) lgkmcnt(0)
	v_pk_mul_f32 v[4:5], v[16:17], v[48:49] op_sel:[1,1] op_sel_hi:[0,1]
	v_pk_add_f32 v[2:3], v[2:3], v[6:7]
	v_pk_fma_f32 v[6:7], v[16:17], v[48:49], v[4:5] neg_lo:[0,0,1] neg_hi:[0,0,1]
	v_pk_fma_f32 v[4:5], v[16:17], v[48:49], v[4:5] op_sel_hi:[1,0,1]
	s_nop 0
	v_mov_b32_e32 v4, v51
	v_mov_b32_e32 v7, v5
	v_pk_mul_f32 v[4:5], v[18:19], v[4:5] op_sel:[1,0] op_sel_hi:[0,0]
	v_pk_add_f32 v[2:3], v[2:3], v[6:7]
	v_pk_fma_f32 v[6:7], v[18:19], v[50:51], v[4:5] neg_lo:[0,0,1] neg_hi:[0,0,1]
	v_pk_fma_f32 v[4:5], v[18:19], v[50:51], v[4:5] op_sel_hi:[1,0,1]
	s_nop 0
	v_mov_b32_e32 v7, v5
	scratch_load_dwordx2 v[4:5], off, off offset:136
	v_pk_add_f32 v[2:3], v[2:3], v[6:7]
	s_waitcnt vmcnt(0)
	v_pk_add_f32 v[2:3], v[4:5], v[2:3] neg_lo:[0,1] neg_hi:[0,1]
	scratch_store_dwordx2 off, v[2:3], off offset:136
	s_and_saveexec_b64 s[0:1], vcc
	s_cbranch_execz .LBB33_185
; %bb.184:
	scratch_load_dwordx2 v[2:3], off, off offset:128
	v_mov_b32_e32 v4, 0
	v_mov_b32_e32 v5, v4
	scratch_store_dwordx2 off, v[4:5], off offset:128
	s_waitcnt vmcnt(1)
	ds_write_b64 v1, v[2:3]
.LBB33_185:
	s_or_b64 exec, exec, s[0:1]
	s_waitcnt lgkmcnt(0)
	; wave barrier
	scratch_load_dwordx4 v[4:7], off, off offset:136
	scratch_load_dwordx4 v[8:11], off, off offset:152
	;; [unrolled: 1-line block ×8, first 2 shown]
	scratch_load_dwordx2 v[68:69], off, off offset:264
	scratch_load_dwordx2 v[70:71], off, off offset:128
	v_mov_b32_e32 v2, 0
	ds_read2_b64 v[36:39], v2 offset0:51 offset1:52
	ds_read2_b64 v[40:43], v2 offset0:53 offset1:54
	;; [unrolled: 1-line block ×8, first 2 shown]
	ds_read_b64 v[72:73], v2 offset:536
	v_cmp_lt_u32_e32 vcc, 15, v0
	s_waitcnt vmcnt(9) lgkmcnt(8)
	v_mul_f32_e32 v79, v38, v7
	v_mul_f32_e32 v3, v36, v5
	s_waitcnt vmcnt(8) lgkmcnt(7)
	v_mul_f32_e32 v83, v40, v9
	s_waitcnt vmcnt(7) lgkmcnt(6)
	v_mul_f32_e32 v87, v44, v13
	v_mul_f32_e32 v5, v37, v5
	;; [unrolled: 1-line block ×5, first 2 shown]
	s_waitcnt vmcnt(5)
	v_mov_b32_e32 v78, v23
	s_waitcnt vmcnt(3) lgkmcnt(2)
	v_pk_mul_f32 v[84:85], v[60:61], v[28:29] op_sel:[1,1] op_sel_hi:[0,1]
	v_fmac_f32_e32 v79, v39, v6
	v_mul_f32_e32 v86, v42, v11
	v_mul_f32_e32 v89, v48, v17
	;; [unrolled: 1-line block ×4, first 2 shown]
	v_fmac_f32_e32 v3, v37, v4
	v_fmac_f32_e32 v87, v45, v12
	v_fma_f32 v36, v36, v4, -v5
	v_fma_f32 v37, v38, v6, -v7
	;; [unrolled: 1-line block ×4, first 2 shown]
	v_pk_mul_f32 v[4:5], v[54:55], v[78:79] op_sel:[1,0] op_sel_hi:[0,0]
	v_pk_fma_f32 v[12:13], v[60:61], v[28:29], v[84:85] neg_lo:[0,0,1] neg_hi:[0,0,1]
	v_fmac_f32_e32 v89, v49, v16
	v_fma_f32 v39, v42, v10, -v11
	v_fma_f32 v42, v48, v16, -v17
	v_add_f32_e32 v3, 0, v3
	v_add_f32_e32 v13, 0, v36
	v_pk_fma_f32 v[16:17], v[54:55], v[22:23], v[4:5] neg_lo:[0,0,1] neg_hi:[0,0,1]
	v_pk_fma_f32 v[4:5], v[54:55], v[22:23], v[4:5] op_sel_hi:[1,0,1]
	v_fmac_f32_e32 v83, v41, v8
	v_add_f32_e32 v3, v3, v79
	v_add_f32_e32 v4, v13, v37
	v_fmac_f32_e32 v86, v43, v10
	v_add_f32_e32 v3, v3, v83
	v_add_f32_e32 v4, v4, v38
	v_mul_f32_e32 v88, v46, v15
	v_mul_f32_e32 v15, v47, v15
	v_add_f32_e32 v3, v3, v86
	v_add_f32_e32 v4, v4, v39
	v_fmac_f32_e32 v88, v47, v14
	v_fma_f32 v41, v46, v14, -v15
	v_add_f32_e32 v3, v3, v87
	v_add_f32_e32 v4, v4, v40
	v_mul_f32_e32 v75, v50, v19
	v_mul_f32_e32 v19, v51, v19
	v_add_f32_e32 v3, v3, v88
	v_add_f32_e32 v4, v4, v41
	v_mul_f32_e32 v77, v52, v21
	v_mul_f32_e32 v21, v53, v21
	v_fmac_f32_e32 v75, v51, v18
	v_fma_f32 v74, v50, v18, -v19
	v_mov_b32_e32 v17, v5
	v_add_f32_e32 v5, v3, v89
	v_add_f32_e32 v4, v4, v42
	v_pk_mul_f32 v[80:81], v[56:57], v[24:25] op_sel:[1,1] op_sel_hi:[0,1]
	v_fmac_f32_e32 v77, v53, v20
	v_fma_f32 v76, v52, v20, -v21
	v_pk_add_f32 v[4:5], v[4:5], v[74:75]
	v_mov_b32_e32 v82, v27
	v_pk_fma_f32 v[6:7], v[56:57], v[24:25], v[80:81] neg_lo:[0,0,1] neg_hi:[0,0,1]
	v_pk_fma_f32 v[8:9], v[56:57], v[24:25], v[80:81] op_sel_hi:[1,0,1]
	v_pk_add_f32 v[4:5], v[4:5], v[76:77]
	v_pk_mul_f32 v[10:11], v[58:59], v[82:83] op_sel:[1,0] op_sel_hi:[0,0]
	v_mov_b32_e32 v7, v9
	v_pk_add_f32 v[4:5], v[4:5], v[16:17]
	v_pk_fma_f32 v[8:9], v[58:59], v[26:27], v[10:11] neg_lo:[0,0,1] neg_hi:[0,0,1]
	v_pk_fma_f32 v[10:11], v[58:59], v[26:27], v[10:11] op_sel_hi:[1,0,1]
	v_pk_add_f32 v[4:5], v[4:5], v[6:7]
	v_mov_b32_e32 v6, v31
	v_pk_fma_f32 v[14:15], v[60:61], v[28:29], v[84:85] op_sel_hi:[1,0,1]
	v_mov_b32_e32 v9, v11
	v_pk_mul_f32 v[6:7], v[62:63], v[6:7] op_sel:[1,0] op_sel_hi:[0,0]
	v_pk_add_f32 v[4:5], v[4:5], v[8:9]
	v_mov_b32_e32 v13, v15
	v_pk_fma_f32 v[8:9], v[62:63], v[30:31], v[6:7] neg_lo:[0,0,1] neg_hi:[0,0,1]
	v_pk_fma_f32 v[6:7], v[62:63], v[30:31], v[6:7] op_sel_hi:[1,0,1]
	v_pk_add_f32 v[4:5], v[4:5], v[12:13]
	v_mov_b32_e32 v9, v7
	s_waitcnt vmcnt(2) lgkmcnt(1)
	v_pk_mul_f32 v[6:7], v[64:65], v[32:33] op_sel:[1,1] op_sel_hi:[0,1]
	v_pk_add_f32 v[4:5], v[4:5], v[8:9]
	v_pk_fma_f32 v[8:9], v[64:65], v[32:33], v[6:7] neg_lo:[0,0,1] neg_hi:[0,0,1]
	v_pk_fma_f32 v[6:7], v[64:65], v[32:33], v[6:7] op_sel_hi:[1,0,1]
	s_nop 0
	v_mov_b32_e32 v6, v35
	v_mov_b32_e32 v9, v7
	v_pk_mul_f32 v[6:7], v[66:67], v[6:7] op_sel:[1,0] op_sel_hi:[0,0]
	v_pk_add_f32 v[4:5], v[4:5], v[8:9]
	v_pk_fma_f32 v[8:9], v[66:67], v[34:35], v[6:7] neg_lo:[0,0,1] neg_hi:[0,0,1]
	v_pk_fma_f32 v[6:7], v[66:67], v[34:35], v[6:7] op_sel_hi:[1,0,1]
	s_nop 0
	v_mov_b32_e32 v9, v7
	s_waitcnt vmcnt(1) lgkmcnt(0)
	v_pk_mul_f32 v[6:7], v[72:73], v[68:69] op_sel:[1,1] op_sel_hi:[0,1]
	v_pk_add_f32 v[4:5], v[4:5], v[8:9]
	v_pk_fma_f32 v[8:9], v[72:73], v[68:69], v[6:7] neg_lo:[0,0,1] neg_hi:[0,0,1]
	v_pk_fma_f32 v[6:7], v[72:73], v[68:69], v[6:7] op_sel_hi:[1,0,1]
	s_nop 0
	v_mov_b32_e32 v9, v7
	v_pk_add_f32 v[4:5], v[4:5], v[8:9]
	s_waitcnt vmcnt(0)
	v_pk_add_f32 v[4:5], v[70:71], v[4:5] neg_lo:[0,1] neg_hi:[0,1]
	scratch_store_dwordx2 off, v[4:5], off offset:128
	s_and_saveexec_b64 s[0:1], vcc
	s_cbranch_execz .LBB33_187
; %bb.186:
	scratch_load_dwordx2 v[4:5], off, off offset:120
	v_mov_b32_e32 v3, v2
	scratch_store_dwordx2 off, v[2:3], off offset:120
	s_waitcnt vmcnt(1)
	ds_write_b64 v1, v[4:5]
.LBB33_187:
	s_or_b64 exec, exec, s[0:1]
	s_waitcnt lgkmcnt(0)
	; wave barrier
	scratch_load_dwordx4 v[4:7], off, off offset:128
	scratch_load_dwordx4 v[8:11], off, off offset:144
	scratch_load_dwordx4 v[12:15], off, off offset:160
	scratch_load_dwordx4 v[16:19], off, off offset:176
	scratch_load_dwordx4 v[20:23], off, off offset:192
	scratch_load_dwordx4 v[24:27], off, off offset:208
	scratch_load_dwordx4 v[28:31], off, off offset:224
	ds_read_b128 v[32:35], v2 offset:400
	ds_read_b128 v[36:39], v2 offset:416
	;; [unrolled: 1-line block ×4, first 2 shown]
	scratch_load_dwordx4 v[48:51], off, off offset:240
	scratch_load_dwordx4 v[52:55], off, off offset:256
	ds_read_b128 v[56:59], v2 offset:464
	ds_read_b128 v[60:63], v2 offset:480
	;; [unrolled: 1-line block ×5, first 2 shown]
	scratch_load_dwordx2 v[2:3], off, off offset:120
	v_cmp_lt_u32_e32 vcc, 14, v0
	s_waitcnt vmcnt(9) lgkmcnt(8)
	v_mul_f32_e32 v83, v32, v5
	v_mul_f32_e32 v86, v34, v7
	s_waitcnt vmcnt(8) lgkmcnt(7)
	v_mul_f32_e32 v87, v36, v9
	s_waitcnt vmcnt(7) lgkmcnt(6)
	v_mul_f32_e32 v89, v40, v13
	v_mul_f32_e32 v5, v33, v5
	v_mul_f32_e32 v7, v35, v7
	v_mul_f32_e32 v9, v37, v9
	v_mul_f32_e32 v13, v41, v13
	s_waitcnt vmcnt(4) lgkmcnt(3)
	v_pk_mul_f32 v[80:81], v[60:61], v[24:25] op_sel:[1,1] op_sel_hi:[0,1]
	v_mov_b32_e32 v82, v27
	s_waitcnt vmcnt(3) lgkmcnt(2)
	v_pk_mul_f32 v[84:85], v[64:65], v[28:29] op_sel:[1,1] op_sel_hi:[0,1]
	v_fmac_f32_e32 v83, v33, v4
	v_mul_f32_e32 v90, v42, v15
	v_mul_f32_e32 v91, v44, v17
	;; [unrolled: 1-line block ×4, first 2 shown]
	v_fmac_f32_e32 v86, v35, v6
	v_fmac_f32_e32 v87, v37, v8
	;; [unrolled: 1-line block ×3, first 2 shown]
	v_fma_f32 v32, v32, v4, -v5
	v_fma_f32 v33, v34, v6, -v7
	;; [unrolled: 1-line block ×4, first 2 shown]
	v_pk_fma_f32 v[4:5], v[60:61], v[24:25], v[80:81] neg_lo:[0,0,1] neg_hi:[0,0,1]
	v_pk_fma_f32 v[6:7], v[60:61], v[24:25], v[80:81] op_sel_hi:[1,0,1]
	v_pk_mul_f32 v[8:9], v[62:63], v[82:83] op_sel:[1,0] op_sel_hi:[0,0]
	v_pk_fma_f32 v[12:13], v[64:65], v[28:29], v[84:85] op_sel_hi:[1,0,1]
	v_fmac_f32_e32 v90, v43, v14
	v_fma_f32 v14, v42, v14, -v15
	v_fma_f32 v15, v44, v16, -v17
	v_add_f32_e32 v12, 0, v83
	v_add_f32_e32 v17, 0, v32
	v_mov_b32_e32 v5, v7
	v_pk_fma_f32 v[6:7], v[62:63], v[26:27], v[8:9] neg_lo:[0,0,1] neg_hi:[0,0,1]
	v_pk_fma_f32 v[8:9], v[62:63], v[26:27], v[8:9] op_sel_hi:[1,0,1]
	v_mul_f32_e32 v88, v38, v11
	v_mul_f32_e32 v11, v39, v11
	v_add_f32_e32 v8, v12, v86
	v_add_f32_e32 v12, v17, v33
	v_fmac_f32_e32 v88, v39, v10
	v_fma_f32 v35, v38, v10, -v11
	v_mov_b32_e32 v7, v9
	v_add_f32_e32 v8, v8, v87
	v_add_f32_e32 v9, v12, v34
	;; [unrolled: 1-line block ×6, first 2 shown]
	v_mul_f32_e32 v92, v46, v19
	v_mul_f32_e32 v19, v47, v19
	v_fmac_f32_e32 v91, v45, v16
	v_add_f32_e32 v8, v8, v90
	v_add_f32_e32 v9, v9, v14
	v_mul_f32_e32 v77, v56, v21
	v_mul_f32_e32 v21, v57, v21
	v_fmac_f32_e32 v92, v47, v18
	v_fma_f32 v16, v46, v18, -v19
	v_add_f32_e32 v8, v8, v91
	v_add_f32_e32 v12, v9, v15
	v_mul_f32_e32 v79, v58, v23
	v_mul_f32_e32 v23, v59, v23
	v_fmac_f32_e32 v77, v57, v20
	v_fma_f32 v76, v56, v20, -v21
	v_add_f32_e32 v9, v8, v92
	v_add_f32_e32 v8, v12, v16
	v_fmac_f32_e32 v79, v59, v22
	v_fma_f32 v78, v58, v22, -v23
	v_pk_add_f32 v[8:9], v[8:9], v[76:77]
	v_pk_fma_f32 v[10:11], v[64:65], v[28:29], v[84:85] neg_lo:[0,0,1] neg_hi:[0,0,1]
	v_pk_add_f32 v[8:9], v[8:9], v[78:79]
	v_mov_b32_e32 v11, v13
	v_pk_add_f32 v[4:5], v[8:9], v[4:5]
	s_nop 0
	v_pk_add_f32 v[4:5], v[4:5], v[6:7]
	v_mov_b32_e32 v6, v31
	v_pk_mul_f32 v[6:7], v[66:67], v[6:7] op_sel:[1,0] op_sel_hi:[0,0]
	v_pk_fma_f32 v[8:9], v[66:67], v[30:31], v[6:7] neg_lo:[0,0,1] neg_hi:[0,0,1]
	v_pk_fma_f32 v[6:7], v[66:67], v[30:31], v[6:7] op_sel_hi:[1,0,1]
	v_pk_add_f32 v[4:5], v[4:5], v[10:11]
	v_mov_b32_e32 v9, v7
	s_waitcnt vmcnt(2) lgkmcnt(1)
	v_pk_mul_f32 v[6:7], v[68:69], v[48:49] op_sel:[1,1] op_sel_hi:[0,1]
	v_pk_add_f32 v[4:5], v[4:5], v[8:9]
	v_pk_fma_f32 v[8:9], v[68:69], v[48:49], v[6:7] neg_lo:[0,0,1] neg_hi:[0,0,1]
	v_pk_fma_f32 v[6:7], v[68:69], v[48:49], v[6:7] op_sel_hi:[1,0,1]
	s_nop 0
	v_mov_b32_e32 v6, v51
	v_mov_b32_e32 v9, v7
	v_pk_mul_f32 v[6:7], v[70:71], v[6:7] op_sel:[1,0] op_sel_hi:[0,0]
	v_pk_add_f32 v[4:5], v[4:5], v[8:9]
	v_pk_fma_f32 v[8:9], v[70:71], v[50:51], v[6:7] neg_lo:[0,0,1] neg_hi:[0,0,1]
	v_pk_fma_f32 v[6:7], v[70:71], v[50:51], v[6:7] op_sel_hi:[1,0,1]
	s_nop 0
	v_mov_b32_e32 v9, v7
	s_waitcnt vmcnt(1) lgkmcnt(0)
	v_pk_mul_f32 v[6:7], v[72:73], v[52:53] op_sel:[1,1] op_sel_hi:[0,1]
	v_pk_add_f32 v[4:5], v[4:5], v[8:9]
	v_pk_fma_f32 v[8:9], v[72:73], v[52:53], v[6:7] neg_lo:[0,0,1] neg_hi:[0,0,1]
	v_pk_fma_f32 v[6:7], v[72:73], v[52:53], v[6:7] op_sel_hi:[1,0,1]
	s_nop 0
	v_mov_b32_e32 v6, v55
	v_mov_b32_e32 v9, v7
	v_pk_mul_f32 v[6:7], v[74:75], v[6:7] op_sel:[1,0] op_sel_hi:[0,0]
	v_pk_add_f32 v[4:5], v[4:5], v[8:9]
	v_pk_fma_f32 v[8:9], v[74:75], v[54:55], v[6:7] neg_lo:[0,0,1] neg_hi:[0,0,1]
	v_pk_fma_f32 v[6:7], v[74:75], v[54:55], v[6:7] op_sel_hi:[1,0,1]
	s_nop 0
	v_mov_b32_e32 v9, v7
	v_pk_add_f32 v[4:5], v[4:5], v[8:9]
	s_waitcnt vmcnt(0)
	v_pk_add_f32 v[2:3], v[2:3], v[4:5] neg_lo:[0,1] neg_hi:[0,1]
	scratch_store_dwordx2 off, v[2:3], off offset:120
	s_and_saveexec_b64 s[0:1], vcc
	s_cbranch_execz .LBB33_189
; %bb.188:
	scratch_load_dwordx2 v[2:3], off, off offset:112
	v_mov_b32_e32 v4, 0
	v_mov_b32_e32 v5, v4
	scratch_store_dwordx2 off, v[4:5], off offset:112
	s_waitcnt vmcnt(1)
	ds_write_b64 v1, v[2:3]
.LBB33_189:
	s_or_b64 exec, exec, s[0:1]
	s_waitcnt lgkmcnt(0)
	; wave barrier
	scratch_load_dwordx4 v[4:7], off, off offset:120
	scratch_load_dwordx4 v[8:11], off, off offset:136
	;; [unrolled: 1-line block ×9, first 2 shown]
	scratch_load_dwordx2 v[76:77], off, off offset:264
	scratch_load_dwordx2 v[78:79], off, off offset:112
	v_mov_b32_e32 v2, 0
	ds_read2_b64 v[40:43], v2 offset0:49 offset1:50
	ds_read2_b64 v[44:47], v2 offset0:51 offset1:52
	;; [unrolled: 1-line block ×9, first 2 shown]
	ds_read_b64 v[80:81], v2 offset:536
	v_cmp_lt_u32_e32 vcc, 13, v0
	s_waitcnt vmcnt(10) lgkmcnt(9)
	v_mul_f32_e32 v87, v42, v7
	v_mul_f32_e32 v3, v40, v5
	;; [unrolled: 1-line block ×3, first 2 shown]
	v_fmac_f32_e32 v87, v43, v6
	s_waitcnt vmcnt(9) lgkmcnt(8)
	v_mul_f32_e32 v88, v44, v9
	s_waitcnt vmcnt(5)
	v_mov_b32_e32 v86, v27
	v_mul_f32_e32 v89, v46, v11
	s_waitcnt lgkmcnt(7)
	v_mul_f32_e32 v91, v50, v15
	v_mul_f32_e32 v7, v43, v7
	v_mul_f32_e32 v9, v45, v9
	v_mul_f32_e32 v11, v47, v11
	v_mul_f32_e32 v15, v51, v15
	v_fmac_f32_e32 v3, v41, v4
	v_fma_f32 v40, v40, v4, -v5
	s_waitcnt lgkmcnt(4)
	v_pk_mul_f32 v[4:5], v[62:63], v[86:87] op_sel:[1,0] op_sel_hi:[0,0]
	v_fmac_f32_e32 v88, v45, v8
	v_fma_f32 v41, v42, v6, -v7
	v_fma_f32 v8, v44, v8, -v9
	;; [unrolled: 1-line block ×4, first 2 shown]
	v_add_f32_e32 v3, 0, v3
	v_add_f32_e32 v15, 0, v40
	v_pk_fma_f32 v[6:7], v[62:63], v[26:27], v[4:5] neg_lo:[0,0,1] neg_hi:[0,0,1]
	v_pk_fma_f32 v[4:5], v[62:63], v[26:27], v[4:5] op_sel_hi:[1,0,1]
	v_add_f32_e32 v3, v3, v87
	v_add_f32_e32 v4, v15, v41
	v_mul_f32_e32 v90, v48, v13
	v_mul_f32_e32 v13, v49, v13
	v_fmac_f32_e32 v89, v47, v10
	v_add_f32_e32 v3, v3, v88
	v_add_f32_e32 v4, v4, v8
	v_fmac_f32_e32 v90, v49, v12
	v_fma_f32 v10, v48, v12, -v13
	v_add_f32_e32 v3, v3, v89
	v_add_f32_e32 v4, v4, v9
	v_mul_f32_e32 v92, v52, v17
	v_mul_f32_e32 v17, v53, v17
	v_fmac_f32_e32 v91, v51, v14
	v_add_f32_e32 v3, v3, v90
	v_add_f32_e32 v4, v4, v10
	v_mul_f32_e32 v93, v54, v19
	v_mul_f32_e32 v19, v55, v19
	v_fmac_f32_e32 v92, v53, v16
	v_fma_f32 v12, v52, v16, -v17
	v_add_f32_e32 v3, v3, v91
	v_add_f32_e32 v4, v4, v11
	v_mul_f32_e32 v94, v56, v21
	v_mul_f32_e32 v21, v57, v21
	v_fmac_f32_e32 v93, v55, v18
	v_fma_f32 v13, v54, v18, -v19
	;; [unrolled: 6-line block ×4, first 2 shown]
	v_mov_b32_e32 v7, v5
	v_add_f32_e32 v5, v3, v94
	v_add_f32_e32 v4, v4, v14
	v_fmac_f32_e32 v85, v61, v24
	v_fma_f32 v84, v60, v24, -v25
	v_pk_add_f32 v[4:5], v[4:5], v[82:83]
	s_nop 0
	v_pk_add_f32 v[4:5], v[4:5], v[84:85]
	s_nop 0
	v_pk_add_f32 v[4:5], v[4:5], v[6:7]
	s_waitcnt vmcnt(4) lgkmcnt(3)
	v_pk_mul_f32 v[6:7], v[64:65], v[28:29] op_sel:[1,1] op_sel_hi:[0,1]
	v_pk_fma_f32 v[8:9], v[64:65], v[28:29], v[6:7] neg_lo:[0,0,1] neg_hi:[0,0,1]
	v_pk_fma_f32 v[6:7], v[64:65], v[28:29], v[6:7] op_sel_hi:[1,0,1]
	s_nop 0
	v_mov_b32_e32 v6, v31
	v_mov_b32_e32 v9, v7
	v_pk_mul_f32 v[6:7], v[66:67], v[6:7] op_sel:[1,0] op_sel_hi:[0,0]
	v_pk_add_f32 v[4:5], v[4:5], v[8:9]
	v_pk_fma_f32 v[8:9], v[66:67], v[30:31], v[6:7] neg_lo:[0,0,1] neg_hi:[0,0,1]
	v_pk_fma_f32 v[6:7], v[66:67], v[30:31], v[6:7] op_sel_hi:[1,0,1]
	s_nop 0
	v_mov_b32_e32 v9, v7
	s_waitcnt vmcnt(3) lgkmcnt(2)
	v_pk_mul_f32 v[6:7], v[68:69], v[32:33] op_sel:[1,1] op_sel_hi:[0,1]
	v_pk_add_f32 v[4:5], v[4:5], v[8:9]
	v_pk_fma_f32 v[8:9], v[68:69], v[32:33], v[6:7] neg_lo:[0,0,1] neg_hi:[0,0,1]
	v_pk_fma_f32 v[6:7], v[68:69], v[32:33], v[6:7] op_sel_hi:[1,0,1]
	s_nop 0
	v_mov_b32_e32 v6, v35
	v_mov_b32_e32 v9, v7
	v_pk_mul_f32 v[6:7], v[70:71], v[6:7] op_sel:[1,0] op_sel_hi:[0,0]
	v_pk_add_f32 v[4:5], v[4:5], v[8:9]
	v_pk_fma_f32 v[8:9], v[70:71], v[34:35], v[6:7] neg_lo:[0,0,1] neg_hi:[0,0,1]
	v_pk_fma_f32 v[6:7], v[70:71], v[34:35], v[6:7] op_sel_hi:[1,0,1]
	s_nop 0
	v_mov_b32_e32 v9, v7
	s_waitcnt vmcnt(2) lgkmcnt(1)
	v_pk_mul_f32 v[6:7], v[72:73], v[36:37] op_sel:[1,1] op_sel_hi:[0,1]
	v_pk_add_f32 v[4:5], v[4:5], v[8:9]
	;; [unrolled: 14-line block ×3, first 2 shown]
	v_pk_fma_f32 v[8:9], v[80:81], v[76:77], v[6:7] neg_lo:[0,0,1] neg_hi:[0,0,1]
	v_pk_fma_f32 v[6:7], v[80:81], v[76:77], v[6:7] op_sel_hi:[1,0,1]
	s_nop 0
	v_mov_b32_e32 v9, v7
	v_pk_add_f32 v[4:5], v[4:5], v[8:9]
	s_waitcnt vmcnt(0)
	v_pk_add_f32 v[4:5], v[78:79], v[4:5] neg_lo:[0,1] neg_hi:[0,1]
	scratch_store_dwordx2 off, v[4:5], off offset:112
	s_and_saveexec_b64 s[0:1], vcc
	s_cbranch_execz .LBB33_191
; %bb.190:
	scratch_load_dwordx2 v[4:5], off, off offset:104
	v_mov_b32_e32 v3, v2
	scratch_store_dwordx2 off, v[2:3], off offset:104
	s_waitcnt vmcnt(1)
	ds_write_b64 v1, v[4:5]
.LBB33_191:
	s_or_b64 exec, exec, s[0:1]
	s_waitcnt lgkmcnt(0)
	; wave barrier
	scratch_load_dwordx4 v[4:7], off, off offset:112
	scratch_load_dwordx4 v[8:11], off, off offset:128
	;; [unrolled: 1-line block ×7, first 2 shown]
	ds_read_b128 v[32:35], v2 offset:384
	ds_read_b128 v[36:39], v2 offset:400
	;; [unrolled: 1-line block ×6, first 2 shown]
	scratch_load_dwordx4 v[56:59], off, off offset:224
	scratch_load_dwordx4 v[60:63], off, off offset:240
	scratch_load_dwordx4 v[64:67], off, off offset:256
	ds_read_b128 v[68:71], v2 offset:480
	ds_read_b128 v[72:75], v2 offset:496
	;; [unrolled: 1-line block ×4, first 2 shown]
	scratch_load_dwordx2 v[2:3], off, off offset:104
	v_cmp_lt_u32_e32 vcc, 12, v0
	s_waitcnt vmcnt(10) lgkmcnt(9)
	v_mul_f32_e32 v90, v32, v5
	v_mul_f32_e32 v5, v33, v5
	;; [unrolled: 1-line block ×3, first 2 shown]
	s_waitcnt vmcnt(9) lgkmcnt(8)
	v_mul_f32_e32 v92, v36, v9
	s_waitcnt vmcnt(8) lgkmcnt(7)
	v_mul_f32_e32 v95, v42, v15
	v_mul_f32_e32 v7, v35, v7
	;; [unrolled: 1-line block ×4, first 2 shown]
	v_fmac_f32_e32 v90, v33, v4
	v_fma_f32 v4, v32, v4, -v5
	v_fmac_f32_e32 v91, v35, v6
	v_fmac_f32_e32 v95, v43, v14
	v_fma_f32 v5, v34, v6, -v7
	v_fma_f32 v6, v36, v8, -v9
	;; [unrolled: 1-line block ×3, first 2 shown]
	v_add_f32_e32 v14, 0, v90
	v_add_f32_e32 v4, 0, v4
	v_mul_f32_e32 v93, v38, v11
	v_mul_f32_e32 v11, v39, v11
	v_fmac_f32_e32 v92, v37, v8
	v_add_f32_e32 v14, v14, v91
	v_add_f32_e32 v4, v4, v5
	v_mul_f32_e32 v94, v40, v13
	v_mul_f32_e32 v13, v41, v13
	v_fmac_f32_e32 v93, v39, v10
	v_fma_f32 v7, v38, v10, -v11
	v_add_f32_e32 v5, v14, v92
	v_add_f32_e32 v4, v4, v6
	v_fmac_f32_e32 v94, v41, v12
	v_fma_f32 v8, v40, v12, -v13
	v_add_f32_e32 v5, v5, v93
	v_add_f32_e32 v4, v4, v7
	s_waitcnt vmcnt(7) lgkmcnt(6)
	v_mul_f32_e32 v96, v44, v17
	v_mul_f32_e32 v17, v45, v17
	v_add_f32_e32 v5, v5, v94
	v_add_f32_e32 v4, v4, v8
	v_mul_f32_e32 v97, v46, v19
	v_mul_f32_e32 v19, v47, v19
	v_fmac_f32_e32 v96, v45, v16
	v_fma_f32 v10, v44, v16, -v17
	v_add_f32_e32 v5, v5, v95
	v_add_f32_e32 v4, v4, v9
	s_waitcnt vmcnt(6) lgkmcnt(5)
	v_mul_f32_e32 v98, v48, v21
	v_mul_f32_e32 v21, v49, v21
	v_fmac_f32_e32 v97, v47, v18
	v_fma_f32 v11, v46, v18, -v19
	v_add_f32_e32 v5, v5, v96
	v_add_f32_e32 v4, v4, v10
	v_mul_f32_e32 v99, v50, v23
	v_mul_f32_e32 v23, v51, v23
	v_fmac_f32_e32 v98, v49, v20
	v_fma_f32 v12, v48, v20, -v21
	v_add_f32_e32 v5, v5, v97
	v_add_f32_e32 v4, v4, v11
	s_waitcnt vmcnt(5) lgkmcnt(4)
	v_mul_f32_e32 v85, v52, v25
	v_mul_f32_e32 v25, v53, v25
	v_fmac_f32_e32 v99, v51, v22
	v_fma_f32 v13, v50, v22, -v23
	v_add_f32_e32 v5, v5, v98
	v_add_f32_e32 v4, v4, v12
	v_mul_f32_e32 v87, v54, v27
	v_mul_f32_e32 v27, v55, v27
	s_waitcnt vmcnt(4) lgkmcnt(3)
	v_pk_mul_f32 v[88:89], v[68:69], v[28:29] op_sel:[1,1] op_sel_hi:[0,1]
	v_fmac_f32_e32 v85, v53, v24
	v_fma_f32 v84, v52, v24, -v25
	v_add_f32_e32 v5, v5, v99
	v_add_f32_e32 v4, v4, v13
	v_fmac_f32_e32 v87, v55, v26
	v_fma_f32 v86, v54, v26, -v27
	v_pk_add_f32 v[4:5], v[4:5], v[84:85]
	v_pk_fma_f32 v[6:7], v[68:69], v[28:29], v[88:89] neg_lo:[0,0,1] neg_hi:[0,0,1]
	v_pk_fma_f32 v[8:9], v[68:69], v[28:29], v[88:89] op_sel_hi:[1,0,1]
	v_pk_add_f32 v[4:5], v[4:5], v[86:87]
	v_mov_b32_e32 v7, v9
	v_pk_add_f32 v[4:5], v[4:5], v[6:7]
	v_mov_b32_e32 v6, v31
	v_pk_mul_f32 v[6:7], v[70:71], v[6:7] op_sel:[1,0] op_sel_hi:[0,0]
	v_pk_fma_f32 v[8:9], v[70:71], v[30:31], v[6:7] neg_lo:[0,0,1] neg_hi:[0,0,1]
	v_pk_fma_f32 v[6:7], v[70:71], v[30:31], v[6:7] op_sel_hi:[1,0,1]
	s_nop 0
	v_mov_b32_e32 v9, v7
	s_waitcnt vmcnt(3) lgkmcnt(2)
	v_pk_mul_f32 v[6:7], v[72:73], v[56:57] op_sel:[1,1] op_sel_hi:[0,1]
	v_pk_add_f32 v[4:5], v[4:5], v[8:9]
	v_pk_fma_f32 v[8:9], v[72:73], v[56:57], v[6:7] neg_lo:[0,0,1] neg_hi:[0,0,1]
	v_pk_fma_f32 v[6:7], v[72:73], v[56:57], v[6:7] op_sel_hi:[1,0,1]
	s_nop 0
	v_mov_b32_e32 v6, v59
	v_mov_b32_e32 v9, v7
	v_pk_mul_f32 v[6:7], v[74:75], v[6:7] op_sel:[1,0] op_sel_hi:[0,0]
	v_pk_add_f32 v[4:5], v[4:5], v[8:9]
	v_pk_fma_f32 v[8:9], v[74:75], v[58:59], v[6:7] neg_lo:[0,0,1] neg_hi:[0,0,1]
	v_pk_fma_f32 v[6:7], v[74:75], v[58:59], v[6:7] op_sel_hi:[1,0,1]
	s_nop 0
	v_mov_b32_e32 v9, v7
	s_waitcnt vmcnt(2) lgkmcnt(1)
	v_pk_mul_f32 v[6:7], v[76:77], v[60:61] op_sel:[1,1] op_sel_hi:[0,1]
	v_pk_add_f32 v[4:5], v[4:5], v[8:9]
	v_pk_fma_f32 v[8:9], v[76:77], v[60:61], v[6:7] neg_lo:[0,0,1] neg_hi:[0,0,1]
	v_pk_fma_f32 v[6:7], v[76:77], v[60:61], v[6:7] op_sel_hi:[1,0,1]
	s_nop 0
	v_mov_b32_e32 v6, v63
	v_mov_b32_e32 v9, v7
	v_pk_mul_f32 v[6:7], v[78:79], v[6:7] op_sel:[1,0] op_sel_hi:[0,0]
	v_pk_add_f32 v[4:5], v[4:5], v[8:9]
	;; [unrolled: 14-line block ×3, first 2 shown]
	v_pk_fma_f32 v[8:9], v[82:83], v[66:67], v[6:7] neg_lo:[0,0,1] neg_hi:[0,0,1]
	v_pk_fma_f32 v[6:7], v[82:83], v[66:67], v[6:7] op_sel_hi:[1,0,1]
	s_nop 0
	v_mov_b32_e32 v9, v7
	v_pk_add_f32 v[4:5], v[4:5], v[8:9]
	s_waitcnt vmcnt(0)
	v_pk_add_f32 v[2:3], v[2:3], v[4:5] neg_lo:[0,1] neg_hi:[0,1]
	scratch_store_dwordx2 off, v[2:3], off offset:104
	s_and_saveexec_b64 s[0:1], vcc
	s_cbranch_execz .LBB33_193
; %bb.192:
	scratch_load_dwordx2 v[2:3], off, off offset:96
	v_mov_b32_e32 v4, 0
	v_mov_b32_e32 v5, v4
	scratch_store_dwordx2 off, v[4:5], off offset:96
	s_waitcnt vmcnt(1)
	ds_write_b64 v1, v[2:3]
.LBB33_193:
	s_or_b64 exec, exec, s[0:1]
	s_waitcnt lgkmcnt(0)
	; wave barrier
	scratch_load_dwordx4 v[2:5], off, off offset:104
	scratch_load_dwordx4 v[8:11], off, off offset:120
	;; [unrolled: 1-line block ×10, first 2 shown]
	scratch_load_dwordx2 v[76:77], off, off offset:264
	scratch_load_dwordx2 v[78:79], off, off offset:96
	v_mov_b32_e32 v6, 0
	ds_read2_b64 v[44:47], v6 offset0:47 offset1:48
	ds_read2_b64 v[48:51], v6 offset0:49 offset1:50
	;; [unrolled: 1-line block ×8, first 2 shown]
	v_cmp_lt_u32_e32 vcc, 11, v0
	s_waitcnt vmcnt(11) lgkmcnt(7)
	v_mul_f32_e32 v7, v44, v3
	v_mul_f32_e32 v3, v45, v3
	v_mul_f32_e32 v80, v46, v5
	v_mul_f32_e32 v5, v47, v5
	v_fmac_f32_e32 v7, v45, v2
	v_fma_f32 v2, v44, v2, -v3
	s_waitcnt vmcnt(10) lgkmcnt(6)
	v_mul_f32_e32 v82, v48, v9
	v_mul_f32_e32 v9, v49, v9
	v_fma_f32 v3, v46, v4, -v5
	v_add_f32_e32 v2, 0, v2
	v_mul_f32_e32 v84, v50, v11
	v_mul_f32_e32 v11, v51, v11
	v_fmac_f32_e32 v80, v47, v4
	v_fma_f32 v4, v48, v8, -v9
	v_add_f32_e32 v7, 0, v7
	v_add_f32_e32 v2, v2, v3
	s_waitcnt vmcnt(9) lgkmcnt(5)
	v_mul_f32_e32 v85, v52, v13
	v_mul_f32_e32 v13, v53, v13
	v_fmac_f32_e32 v82, v49, v8
	v_fma_f32 v5, v50, v10, -v11
	v_add_f32_e32 v7, v7, v80
	v_add_f32_e32 v2, v2, v4
	v_mul_f32_e32 v86, v54, v15
	v_mul_f32_e32 v15, v55, v15
	v_fmac_f32_e32 v84, v51, v10
	v_fma_f32 v8, v52, v12, -v13
	v_add_f32_e32 v3, v7, v82
	v_add_f32_e32 v2, v2, v5
	s_waitcnt vmcnt(8) lgkmcnt(4)
	v_mul_f32_e32 v87, v56, v17
	v_mul_f32_e32 v17, v57, v17
	v_fmac_f32_e32 v85, v53, v12
	v_fma_f32 v9, v54, v14, -v15
	v_add_f32_e32 v3, v3, v84
	;; [unrolled: 13-line block ×4, first 2 shown]
	v_add_f32_e32 v2, v2, v12
	v_fmac_f32_e32 v90, v63, v22
	v_fma_f32 v14, v64, v24, -v25
	v_add_f32_e32 v3, v3, v89
	v_add_f32_e32 v2, v2, v13
	v_mul_f32_e32 v81, v66, v27
	v_fmac_f32_e32 v91, v65, v24
	v_add_f32_e32 v3, v3, v90
	v_add_f32_e32 v12, v2, v14
	v_mul_f32_e32 v2, v67, v27
	s_waitcnt vmcnt(5)
	v_mov_b32_e32 v16, v31
	s_waitcnt lgkmcnt(1)
	v_mul_f32_e32 v83, v68, v29
	v_fmac_f32_e32 v81, v67, v26
	v_add_f32_e32 v13, v3, v91
	v_fma_f32 v80, v66, v26, -v2
	v_mul_f32_e32 v2, v69, v29
	v_pk_mul_f32 v[16:17], v[70:71], v[16:17] op_sel:[1,0] op_sel_hi:[0,0]
	v_fmac_f32_e32 v83, v69, v28
	v_fma_f32 v82, v68, v28, -v2
	v_pk_add_f32 v[12:13], v[12:13], v[80:81]
	v_pk_fma_f32 v[18:19], v[70:71], v[30:31], v[16:17] neg_lo:[0,0,1] neg_hi:[0,0,1]
	v_pk_fma_f32 v[16:17], v[70:71], v[30:31], v[16:17] op_sel_hi:[1,0,1]
	v_pk_add_f32 v[12:13], v[12:13], v[82:83]
	v_mov_b32_e32 v19, v17
	s_waitcnt vmcnt(4) lgkmcnt(0)
	v_pk_mul_f32 v[16:17], v[72:73], v[32:33] op_sel:[1,1] op_sel_hi:[0,1]
	v_pk_add_f32 v[12:13], v[12:13], v[18:19]
	v_pk_fma_f32 v[18:19], v[72:73], v[32:33], v[16:17] neg_lo:[0,0,1] neg_hi:[0,0,1]
	v_pk_fma_f32 v[16:17], v[72:73], v[32:33], v[16:17] op_sel_hi:[1,0,1]
	ds_read2_b64 v[2:5], v6 offset0:63 offset1:64
	ds_read2_b64 v[8:11], v6 offset0:65 offset1:66
	ds_read_b64 v[14:15], v6 offset:536
	v_mov_b32_e32 v16, v35
	v_mov_b32_e32 v19, v17
	v_pk_mul_f32 v[16:17], v[74:75], v[16:17] op_sel:[1,0] op_sel_hi:[0,0]
	v_pk_add_f32 v[12:13], v[12:13], v[18:19]
	v_pk_fma_f32 v[18:19], v[74:75], v[34:35], v[16:17] neg_lo:[0,0,1] neg_hi:[0,0,1]
	v_pk_fma_f32 v[16:17], v[74:75], v[34:35], v[16:17] op_sel_hi:[1,0,1]
	s_nop 0
	v_mov_b32_e32 v19, v17
	s_waitcnt vmcnt(3) lgkmcnt(2)
	v_pk_mul_f32 v[16:17], v[2:3], v[36:37] op_sel:[1,1] op_sel_hi:[0,1]
	v_pk_add_f32 v[12:13], v[12:13], v[18:19]
	v_pk_fma_f32 v[18:19], v[2:3], v[36:37], v[16:17] neg_lo:[0,0,1] neg_hi:[0,0,1]
	v_pk_fma_f32 v[2:3], v[2:3], v[36:37], v[16:17] op_sel_hi:[1,0,1]
	s_nop 0
	v_mov_b32_e32 v19, v3
	v_pk_add_f32 v[2:3], v[12:13], v[18:19]
	v_mov_b32_e32 v12, v39
	v_pk_mul_f32 v[12:13], v[4:5], v[12:13] op_sel:[1,0] op_sel_hi:[0,0]
	v_pk_fma_f32 v[16:17], v[4:5], v[38:39], v[12:13] neg_lo:[0,0,1] neg_hi:[0,0,1]
	v_pk_fma_f32 v[4:5], v[4:5], v[38:39], v[12:13] op_sel_hi:[1,0,1]
	s_nop 0
	v_mov_b32_e32 v17, v5
	s_waitcnt vmcnt(2) lgkmcnt(1)
	v_pk_mul_f32 v[4:5], v[8:9], v[40:41] op_sel:[1,1] op_sel_hi:[0,1]
	v_pk_fma_f32 v[12:13], v[8:9], v[40:41], v[4:5] neg_lo:[0,0,1] neg_hi:[0,0,1]
	v_pk_fma_f32 v[4:5], v[8:9], v[40:41], v[4:5] op_sel_hi:[1,0,1]
	v_pk_add_f32 v[2:3], v[2:3], v[16:17]
	v_mov_b32_e32 v4, v43
	v_mov_b32_e32 v13, v5
	v_pk_mul_f32 v[4:5], v[10:11], v[4:5] op_sel:[1,0] op_sel_hi:[0,0]
	v_pk_fma_f32 v[8:9], v[10:11], v[42:43], v[4:5] neg_lo:[0,0,1] neg_hi:[0,0,1]
	v_pk_fma_f32 v[4:5], v[10:11], v[42:43], v[4:5] op_sel_hi:[1,0,1]
	v_pk_add_f32 v[2:3], v[2:3], v[12:13]
	v_mov_b32_e32 v9, v5
	s_waitcnt vmcnt(1) lgkmcnt(0)
	v_pk_mul_f32 v[4:5], v[14:15], v[76:77] op_sel:[1,1] op_sel_hi:[0,1]
	v_pk_add_f32 v[2:3], v[2:3], v[8:9]
	v_pk_fma_f32 v[8:9], v[14:15], v[76:77], v[4:5] neg_lo:[0,0,1] neg_hi:[0,0,1]
	v_pk_fma_f32 v[4:5], v[14:15], v[76:77], v[4:5] op_sel_hi:[1,0,1]
	s_nop 0
	v_mov_b32_e32 v9, v5
	v_pk_add_f32 v[2:3], v[2:3], v[8:9]
	s_waitcnt vmcnt(0)
	v_pk_add_f32 v[2:3], v[78:79], v[2:3] neg_lo:[0,1] neg_hi:[0,1]
	scratch_store_dwordx2 off, v[2:3], off offset:96
	s_and_saveexec_b64 s[0:1], vcc
	s_cbranch_execz .LBB33_195
; %bb.194:
	scratch_load_dwordx2 v[2:3], off, off offset:88
	v_mov_b32_e32 v7, v6
	scratch_store_dwordx2 off, v[6:7], off offset:88
	s_waitcnt vmcnt(1)
	ds_write_b64 v1, v[2:3]
.LBB33_195:
	s_or_b64 exec, exec, s[0:1]
	s_waitcnt lgkmcnt(0)
	; wave barrier
	scratch_load_dwordx4 v[8:11], off, off offset:96
	scratch_load_dwordx4 v[12:15], off, off offset:112
	;; [unrolled: 1-line block ×7, first 2 shown]
	ds_read_b128 v[36:39], v6 offset:368
	ds_read_b128 v[40:43], v6 offset:384
	;; [unrolled: 1-line block ×6, first 2 shown]
	scratch_load_dwordx4 v[60:63], off, off offset:208
	scratch_load_dwordx4 v[64:67], off, off offset:224
	;; [unrolled: 1-line block ×4, first 2 shown]
	ds_read_b128 v[72:75], v6 offset:464
	ds_read_b128 v[76:79], v6 offset:480
	scratch_load_dwordx2 v[80:81], off, off offset:88
	v_cmp_lt_u32_e32 vcc, 10, v0
	s_waitcnt vmcnt(11) lgkmcnt(7)
	v_mul_f32_e32 v7, v36, v9
	v_mul_f32_e32 v82, v38, v11
	;; [unrolled: 1-line block ×3, first 2 shown]
	v_fmac_f32_e32 v7, v37, v8
	s_waitcnt vmcnt(10) lgkmcnt(6)
	v_mul_f32_e32 v84, v40, v13
	v_mul_f32_e32 v11, v39, v11
	v_fmac_f32_e32 v82, v39, v10
	v_fma_f32 v8, v36, v8, -v9
	v_add_f32_e32 v7, 0, v7
	v_mul_f32_e32 v86, v42, v15
	v_mul_f32_e32 v13, v41, v13
	v_fmac_f32_e32 v84, v41, v12
	v_fma_f32 v9, v38, v10, -v11
	v_add_f32_e32 v8, 0, v8
	v_add_f32_e32 v7, v7, v82
	s_waitcnt vmcnt(9) lgkmcnt(5)
	v_mul_f32_e32 v87, v44, v17
	v_mul_f32_e32 v15, v43, v15
	v_fmac_f32_e32 v86, v43, v14
	v_fma_f32 v10, v40, v12, -v13
	v_add_f32_e32 v8, v8, v9
	v_add_f32_e32 v7, v7, v84
	v_mul_f32_e32 v88, v46, v19
	v_mul_f32_e32 v17, v45, v17
	v_fmac_f32_e32 v87, v45, v16
	v_fma_f32 v11, v42, v14, -v15
	v_add_f32_e32 v8, v8, v10
	v_add_f32_e32 v7, v7, v86
	s_waitcnt vmcnt(8) lgkmcnt(4)
	v_mul_f32_e32 v89, v48, v21
	v_mul_f32_e32 v19, v47, v19
	v_fmac_f32_e32 v88, v47, v18
	v_fma_f32 v12, v44, v16, -v17
	v_add_f32_e32 v8, v8, v11
	v_add_f32_e32 v7, v7, v87
	v_mul_f32_e32 v90, v50, v23
	v_mul_f32_e32 v21, v49, v21
	v_fmac_f32_e32 v89, v49, v20
	v_fma_f32 v13, v46, v18, -v19
	v_add_f32_e32 v8, v8, v12
	v_add_f32_e32 v7, v7, v88
	s_waitcnt vmcnt(7) lgkmcnt(3)
	v_mul_f32_e32 v91, v52, v25
	v_mul_f32_e32 v23, v51, v23
	v_fmac_f32_e32 v90, v51, v22
	v_fma_f32 v14, v48, v20, -v21
	v_add_f32_e32 v8, v8, v13
	v_add_f32_e32 v7, v7, v89
	v_mul_f32_e32 v92, v54, v27
	v_mul_f32_e32 v25, v53, v25
	v_fmac_f32_e32 v91, v53, v24
	v_fma_f32 v15, v50, v22, -v23
	v_add_f32_e32 v8, v8, v14
	v_add_f32_e32 v7, v7, v90
	s_waitcnt vmcnt(6) lgkmcnt(2)
	v_mul_f32_e32 v93, v56, v29
	v_mul_f32_e32 v27, v55, v27
	v_fmac_f32_e32 v92, v55, v26
	v_fma_f32 v16, v52, v24, -v25
	v_add_f32_e32 v8, v8, v15
	v_add_f32_e32 v7, v7, v91
	v_mul_f32_e32 v94, v58, v31
	v_mul_f32_e32 v29, v57, v29
	v_fmac_f32_e32 v93, v57, v28
	v_fma_f32 v17, v54, v26, -v27
	v_add_f32_e32 v8, v8, v16
	v_add_f32_e32 v7, v7, v92
	v_fmac_f32_e32 v94, v59, v30
	v_fma_f32 v18, v56, v28, -v29
	v_add_f32_e32 v8, v8, v17
	v_add_f32_e32 v7, v7, v93
	;; [unrolled: 1-line block ×4, first 2 shown]
	v_mul_f32_e32 v8, v59, v31
	v_fma_f32 v8, v58, v30, -v8
	s_waitcnt vmcnt(5) lgkmcnt(1)
	v_mul_f32_e32 v83, v72, v33
	v_add_f32_e32 v20, v7, v8
	v_mul_f32_e32 v7, v73, v33
	v_fmac_f32_e32 v83, v73, v32
	v_fma_f32 v82, v72, v32, -v7
	v_mul_f32_e32 v7, v75, v35
	v_fma_f32 v84, v74, v34, -v7
	ds_read_b128 v[8:11], v6 offset:496
	ds_read_b128 v[12:15], v6 offset:512
	;; [unrolled: 1-line block ×3, first 2 shown]
	v_pk_add_f32 v[6:7], v[20:21], v[82:83]
	s_waitcnt vmcnt(4) lgkmcnt(3)
	v_pk_mul_f32 v[20:21], v[76:77], v[60:61] op_sel:[1,1] op_sel_hi:[0,1]
	v_mul_f32_e32 v85, v74, v35
	v_pk_fma_f32 v[22:23], v[76:77], v[60:61], v[20:21] neg_lo:[0,0,1] neg_hi:[0,0,1]
	v_pk_fma_f32 v[20:21], v[76:77], v[60:61], v[20:21] op_sel_hi:[1,0,1]
	v_fmac_f32_e32 v85, v75, v34
	v_mov_b32_e32 v20, v63
	v_pk_add_f32 v[6:7], v[6:7], v[84:85]
	v_mov_b32_e32 v23, v21
	v_pk_mul_f32 v[20:21], v[78:79], v[20:21] op_sel:[1,0] op_sel_hi:[0,0]
	v_pk_add_f32 v[6:7], v[6:7], v[22:23]
	v_pk_fma_f32 v[22:23], v[78:79], v[62:63], v[20:21] neg_lo:[0,0,1] neg_hi:[0,0,1]
	v_pk_fma_f32 v[20:21], v[78:79], v[62:63], v[20:21] op_sel_hi:[1,0,1]
	s_nop 0
	v_mov_b32_e32 v23, v21
	s_waitcnt vmcnt(3) lgkmcnt(2)
	v_pk_mul_f32 v[20:21], v[8:9], v[64:65] op_sel:[1,1] op_sel_hi:[0,1]
	v_pk_add_f32 v[6:7], v[6:7], v[22:23]
	v_pk_fma_f32 v[22:23], v[8:9], v[64:65], v[20:21] neg_lo:[0,0,1] neg_hi:[0,0,1]
	v_pk_fma_f32 v[8:9], v[8:9], v[64:65], v[20:21] op_sel_hi:[1,0,1]
	s_nop 0
	v_mov_b32_e32 v8, v67
	v_mov_b32_e32 v23, v9
	v_pk_mul_f32 v[8:9], v[10:11], v[8:9] op_sel:[1,0] op_sel_hi:[0,0]
	v_pk_fma_f32 v[20:21], v[10:11], v[66:67], v[8:9] neg_lo:[0,0,1] neg_hi:[0,0,1]
	v_pk_fma_f32 v[8:9], v[10:11], v[66:67], v[8:9] op_sel_hi:[1,0,1]
	v_pk_add_f32 v[6:7], v[6:7], v[22:23]
	v_mov_b32_e32 v21, v9
	s_waitcnt vmcnt(2) lgkmcnt(1)
	v_pk_mul_f32 v[8:9], v[12:13], v[68:69] op_sel:[1,1] op_sel_hi:[0,1]
	v_pk_fma_f32 v[10:11], v[12:13], v[68:69], v[8:9] neg_lo:[0,0,1] neg_hi:[0,0,1]
	v_pk_fma_f32 v[8:9], v[12:13], v[68:69], v[8:9] op_sel_hi:[1,0,1]
	v_pk_add_f32 v[6:7], v[6:7], v[20:21]
	v_mov_b32_e32 v8, v71
	v_mov_b32_e32 v11, v9
	v_pk_mul_f32 v[8:9], v[14:15], v[8:9] op_sel:[1,0] op_sel_hi:[0,0]
	v_pk_add_f32 v[6:7], v[6:7], v[10:11]
	v_pk_fma_f32 v[10:11], v[14:15], v[70:71], v[8:9] neg_lo:[0,0,1] neg_hi:[0,0,1]
	v_pk_fma_f32 v[8:9], v[14:15], v[70:71], v[8:9] op_sel_hi:[1,0,1]
	s_nop 0
	v_mov_b32_e32 v11, v9
	s_waitcnt vmcnt(1) lgkmcnt(0)
	v_pk_mul_f32 v[8:9], v[16:17], v[2:3] op_sel:[1,1] op_sel_hi:[0,1]
	v_pk_add_f32 v[6:7], v[6:7], v[10:11]
	v_pk_fma_f32 v[10:11], v[16:17], v[2:3], v[8:9] neg_lo:[0,0,1] neg_hi:[0,0,1]
	v_pk_fma_f32 v[2:3], v[16:17], v[2:3], v[8:9] op_sel_hi:[1,0,1]
	s_nop 0
	v_mov_b32_e32 v11, v3
	v_pk_add_f32 v[2:3], v[6:7], v[10:11]
	v_mov_b32_e32 v6, v5
	v_pk_mul_f32 v[6:7], v[18:19], v[6:7] op_sel:[1,0] op_sel_hi:[0,0]
	v_pk_fma_f32 v[8:9], v[18:19], v[4:5], v[6:7] neg_lo:[0,0,1] neg_hi:[0,0,1]
	v_pk_fma_f32 v[4:5], v[18:19], v[4:5], v[6:7] op_sel_hi:[1,0,1]
	s_nop 0
	v_mov_b32_e32 v9, v5
	v_pk_add_f32 v[2:3], v[2:3], v[8:9]
	s_waitcnt vmcnt(0)
	v_pk_add_f32 v[2:3], v[80:81], v[2:3] neg_lo:[0,1] neg_hi:[0,1]
	scratch_store_dwordx2 off, v[2:3], off offset:88
	s_and_saveexec_b64 s[0:1], vcc
	s_cbranch_execz .LBB33_197
; %bb.196:
	scratch_load_dwordx2 v[2:3], off, off offset:80
	v_mov_b32_e32 v4, 0
	v_mov_b32_e32 v5, v4
	scratch_store_dwordx2 off, v[4:5], off offset:80
	s_waitcnt vmcnt(1)
	ds_write_b64 v1, v[2:3]
.LBB33_197:
	s_or_b64 exec, exec, s[0:1]
	s_waitcnt lgkmcnt(0)
	; wave barrier
	scratch_load_dwordx4 v[2:5], off, off offset:88
	scratch_load_dwordx4 v[14:17], off, off offset:104
	;; [unrolled: 1-line block ×11, first 2 shown]
	scratch_load_dwordx2 v[24:25], off, off offset:264
	scratch_load_dwordx2 v[82:83], off, off offset:80
	v_mov_b32_e32 v22, 0
	ds_read2_b64 v[50:53], v22 offset0:45 offset1:46
	ds_read2_b64 v[54:57], v22 offset0:47 offset1:48
	;; [unrolled: 1-line block ×8, first 2 shown]
	v_cmp_lt_u32_e32 vcc, 9, v0
	s_waitcnt vmcnt(12) lgkmcnt(7)
	v_mul_f32_e32 v23, v50, v3
	v_mul_f32_e32 v84, v52, v5
	;; [unrolled: 1-line block ×3, first 2 shown]
	v_fmac_f32_e32 v23, v51, v2
	s_waitcnt vmcnt(8) lgkmcnt(3)
	v_mul_f32_e32 v93, v66, v19
	v_mul_f32_e32 v19, v67, v19
	;; [unrolled: 1-line block ×4, first 2 shown]
	v_fmac_f32_e32 v84, v53, v4
	v_fmac_f32_e32 v93, v67, v18
	v_fma_f32 v2, v50, v2, -v3
	v_fma_f32 v18, v66, v18, -v19
	v_add_f32_e32 v19, 0, v23
	v_mul_f32_e32 v88, v56, v17
	v_fmac_f32_e32 v86, v55, v14
	v_fma_f32 v3, v52, v4, -v5
	v_add_f32_e32 v2, 0, v2
	v_add_f32_e32 v19, v19, v84
	v_mul_f32_e32 v89, v58, v27
	v_fmac_f32_e32 v88, v57, v16
	v_add_f32_e32 v2, v2, v3
	v_add_f32_e32 v3, v19, v86
	v_mul_f32_e32 v90, v60, v29
	v_fmac_f32_e32 v89, v59, v26
	v_add_f32_e32 v3, v3, v88
	v_mul_f32_e32 v91, v62, v31
	v_mul_f32_e32 v15, v55, v15
	v_fmac_f32_e32 v90, v61, v28
	v_add_f32_e32 v3, v3, v89
	v_mul_f32_e32 v92, v64, v33
	v_mul_f32_e32 v17, v57, v17
	v_fmac_f32_e32 v91, v63, v30
	v_fma_f32 v4, v54, v14, -v15
	v_add_f32_e32 v3, v3, v90
	v_mul_f32_e32 v27, v59, v27
	v_fmac_f32_e32 v92, v65, v32
	v_fma_f32 v5, v56, v16, -v17
	v_add_f32_e32 v2, v2, v4
	v_add_f32_e32 v3, v3, v91
	v_mul_f32_e32 v94, v68, v21
	v_mul_f32_e32 v29, v61, v29
	v_fma_f32 v14, v58, v26, -v27
	v_add_f32_e32 v2, v2, v5
	v_add_f32_e32 v3, v3, v92
	s_waitcnt vmcnt(7) lgkmcnt(2)
	v_mul_f32_e32 v95, v70, v35
	v_mul_f32_e32 v31, v63, v31
	v_fmac_f32_e32 v94, v69, v20
	v_fma_f32 v15, v60, v28, -v29
	v_add_f32_e32 v2, v2, v14
	v_add_f32_e32 v3, v3, v93
	v_mul_f32_e32 v96, v72, v37
	v_mul_f32_e32 v33, v65, v33
	v_fmac_f32_e32 v95, v71, v34
	v_fma_f32 v16, v62, v30, -v31
	v_add_f32_e32 v2, v2, v15
	v_add_f32_e32 v3, v3, v94
	s_waitcnt vmcnt(6) lgkmcnt(1)
	v_mul_f32_e32 v97, v74, v39
	v_fmac_f32_e32 v96, v73, v36
	v_fma_f32 v17, v64, v32, -v33
	v_add_f32_e32 v2, v2, v16
	v_add_f32_e32 v3, v3, v95
	v_mul_f32_e32 v21, v69, v21
	v_fmac_f32_e32 v97, v75, v38
	v_add_f32_e32 v2, v2, v17
	v_add_f32_e32 v3, v3, v96
	;; [unrolled: 1-line block ×4, first 2 shown]
	v_fma_f32 v3, v68, v20, -v21
	v_add_f32_e32 v2, v2, v3
	v_mul_f32_e32 v3, v71, v35
	v_fma_f32 v3, v70, v34, -v3
	v_add_f32_e32 v2, v2, v3
	v_mul_f32_e32 v3, v73, v37
	v_fma_f32 v3, v72, v36, -v3
	v_add_f32_e32 v2, v2, v3
	v_mul_f32_e32 v3, v75, v39
	v_fma_f32 v3, v74, v38, -v3
	v_add_f32_e32 v26, v2, v3
	v_mul_f32_e32 v2, v77, v41
	v_mul_f32_e32 v85, v76, v41
	v_fma_f32 v84, v76, v40, -v2
	s_waitcnt vmcnt(5) lgkmcnt(0)
	v_mul_f32_e32 v2, v79, v43
	v_mov_b32_e32 v30, v45
	v_mul_f32_e32 v87, v78, v43
	v_fmac_f32_e32 v85, v77, v40
	v_fma_f32 v86, v78, v42, -v2
	ds_read2_b64 v[2:5], v22 offset0:61 offset1:62
	ds_read2_b64 v[14:17], v22 offset0:63 offset1:64
	;; [unrolled: 1-line block ×3, first 2 shown]
	ds_read_b64 v[28:29], v22 offset:536
	v_pk_mul_f32 v[30:31], v[80:81], v[30:31] op_sel:[1,0] op_sel_hi:[0,0]
	v_fmac_f32_e32 v87, v79, v42
	v_pk_add_f32 v[26:27], v[26:27], v[84:85]
	v_pk_fma_f32 v[32:33], v[80:81], v[44:45], v[30:31] neg_lo:[0,0,1] neg_hi:[0,0,1]
	v_pk_fma_f32 v[30:31], v[80:81], v[44:45], v[30:31] op_sel_hi:[1,0,1]
	v_pk_add_f32 v[26:27], v[26:27], v[86:87]
	v_mov_b32_e32 v33, v31
	s_waitcnt vmcnt(4) lgkmcnt(3)
	v_pk_mul_f32 v[30:31], v[2:3], v[46:47] op_sel:[1,1] op_sel_hi:[0,1]
	v_pk_add_f32 v[26:27], v[26:27], v[32:33]
	v_pk_fma_f32 v[32:33], v[2:3], v[46:47], v[30:31] neg_lo:[0,0,1] neg_hi:[0,0,1]
	v_pk_fma_f32 v[2:3], v[2:3], v[46:47], v[30:31] op_sel_hi:[1,0,1]
	s_nop 0
	v_mov_b32_e32 v33, v3
	v_pk_add_f32 v[2:3], v[26:27], v[32:33]
	v_mov_b32_e32 v26, v49
	v_pk_mul_f32 v[26:27], v[4:5], v[26:27] op_sel:[1,0] op_sel_hi:[0,0]
	v_pk_fma_f32 v[30:31], v[4:5], v[48:49], v[26:27] neg_lo:[0,0,1] neg_hi:[0,0,1]
	v_pk_fma_f32 v[4:5], v[4:5], v[48:49], v[26:27] op_sel_hi:[1,0,1]
	s_nop 0
	v_mov_b32_e32 v31, v5
	s_waitcnt vmcnt(3) lgkmcnt(2)
	v_pk_mul_f32 v[4:5], v[14:15], v[10:11] op_sel:[1,1] op_sel_hi:[0,1]
	v_pk_fma_f32 v[26:27], v[14:15], v[10:11], v[4:5] neg_lo:[0,0,1] neg_hi:[0,0,1]
	v_pk_fma_f32 v[4:5], v[14:15], v[10:11], v[4:5] op_sel_hi:[1,0,1]
	v_pk_add_f32 v[2:3], v[2:3], v[30:31]
	v_mov_b32_e32 v4, v13
	v_mov_b32_e32 v27, v5
	v_pk_mul_f32 v[4:5], v[16:17], v[4:5] op_sel:[1,0] op_sel_hi:[0,0]
	v_pk_fma_f32 v[10:11], v[16:17], v[12:13], v[4:5] neg_lo:[0,0,1] neg_hi:[0,0,1]
	v_pk_fma_f32 v[4:5], v[16:17], v[12:13], v[4:5] op_sel_hi:[1,0,1]
	v_pk_add_f32 v[2:3], v[2:3], v[26:27]
	v_mov_b32_e32 v11, v5
	s_waitcnt vmcnt(2) lgkmcnt(1)
	v_pk_mul_f32 v[4:5], v[18:19], v[6:7] op_sel:[1,1] op_sel_hi:[0,1]
	v_pk_add_f32 v[2:3], v[2:3], v[10:11]
	v_pk_fma_f32 v[10:11], v[18:19], v[6:7], v[4:5] neg_lo:[0,0,1] neg_hi:[0,0,1]
	v_pk_fma_f32 v[4:5], v[18:19], v[6:7], v[4:5] op_sel_hi:[1,0,1]
	s_nop 0
	v_mov_b32_e32 v4, v9
	v_mov_b32_e32 v11, v5
	v_pk_mul_f32 v[4:5], v[20:21], v[4:5] op_sel:[1,0] op_sel_hi:[0,0]
	v_pk_fma_f32 v[6:7], v[20:21], v[8:9], v[4:5] neg_lo:[0,0,1] neg_hi:[0,0,1]
	v_pk_fma_f32 v[4:5], v[20:21], v[8:9], v[4:5] op_sel_hi:[1,0,1]
	v_pk_add_f32 v[2:3], v[2:3], v[10:11]
	v_mov_b32_e32 v7, v5
	s_waitcnt vmcnt(1) lgkmcnt(0)
	v_pk_mul_f32 v[4:5], v[28:29], v[24:25] op_sel:[1,1] op_sel_hi:[0,1]
	v_pk_add_f32 v[2:3], v[2:3], v[6:7]
	v_pk_fma_f32 v[6:7], v[28:29], v[24:25], v[4:5] neg_lo:[0,0,1] neg_hi:[0,0,1]
	v_pk_fma_f32 v[4:5], v[28:29], v[24:25], v[4:5] op_sel_hi:[1,0,1]
	s_nop 0
	v_mov_b32_e32 v7, v5
	v_pk_add_f32 v[2:3], v[2:3], v[6:7]
	s_waitcnt vmcnt(0)
	v_pk_add_f32 v[2:3], v[82:83], v[2:3] neg_lo:[0,1] neg_hi:[0,1]
	scratch_store_dwordx2 off, v[2:3], off offset:80
	s_and_saveexec_b64 s[0:1], vcc
	s_cbranch_execz .LBB33_199
; %bb.198:
	scratch_load_dwordx2 v[2:3], off, off offset:72
	v_mov_b32_e32 v23, v22
	scratch_store_dwordx2 off, v[22:23], off offset:72
	s_waitcnt vmcnt(1)
	ds_write_b64 v1, v[2:3]
.LBB33_199:
	s_or_b64 exec, exec, s[0:1]
	s_waitcnt lgkmcnt(0)
	; wave barrier
	ds_read_b128 v[2:5], v22 offset:352
	ds_read_b128 v[6:9], v22 offset:368
	;; [unrolled: 1-line block ×4, first 2 shown]
	scratch_load_dwordx4 v[18:21], off, off offset:80
	scratch_load_dwordx4 v[40:43], off, off offset:144
	v_cmp_lt_u32_e32 vcc, 8, v0
	scratch_load_dwordx4 v[48:51], off, off offset:160
	scratch_load_dwordx4 v[56:59], off, off offset:176
	scratch_load_dwordx4 v[64:67], off, off offset:192
	s_waitcnt vmcnt(4) lgkmcnt(3)
	v_mul_f32_e32 v23, v2, v19
	v_fmac_f32_e32 v23, v3, v18
	v_mul_f32_e32 v24, v4, v21
	v_add_f32_e32 v23, 0, v23
	v_fmac_f32_e32 v24, v5, v20
	v_add_f32_e32 v23, v23, v24
	scratch_load_dwordx4 v[24:27], off, off offset:96
	v_mul_f32_e32 v3, v3, v19
	v_fma_f32 v2, v2, v18, -v3
	v_mul_f32_e32 v3, v5, v21
	v_add_f32_e32 v2, 0, v2
	v_fma_f32 v3, v4, v20, -v3
	v_add_f32_e32 v2, v2, v3
	s_waitcnt vmcnt(0) lgkmcnt(2)
	v_mul_f32_e32 v28, v6, v25
	v_fmac_f32_e32 v28, v7, v24
	v_add_f32_e32 v23, v23, v28
	v_mul_f32_e32 v28, v8, v27
	v_fmac_f32_e32 v28, v9, v26
	v_add_f32_e32 v23, v23, v28
	scratch_load_dwordx4 v[28:31], off, off offset:112
	v_mul_f32_e32 v3, v7, v25
	v_fma_f32 v3, v6, v24, -v3
	v_add_f32_e32 v2, v2, v3
	v_mul_f32_e32 v3, v9, v27
	v_fma_f32 v3, v8, v26, -v3
	v_add_f32_e32 v2, v2, v3
	s_waitcnt vmcnt(0) lgkmcnt(1)
	v_mul_f32_e32 v32, v10, v29
	v_fmac_f32_e32 v32, v11, v28
	v_add_f32_e32 v23, v23, v32
	v_mul_f32_e32 v32, v12, v31
	v_fmac_f32_e32 v32, v13, v30
	v_add_f32_e32 v23, v23, v32
	scratch_load_dwordx4 v[32:35], off, off offset:128
	v_mul_f32_e32 v3, v11, v29
	v_fma_f32 v3, v10, v28, -v3
	v_add_f32_e32 v2, v2, v3
	v_mul_f32_e32 v3, v13, v31
	v_fma_f32 v3, v12, v30, -v3
	v_add_f32_e32 v2, v2, v3
	s_waitcnt vmcnt(0) lgkmcnt(0)
	v_mul_f32_e32 v36, v14, v33
	v_fmac_f32_e32 v36, v15, v32
	v_add_f32_e32 v23, v23, v36
	v_mul_f32_e32 v36, v16, v35
	v_fmac_f32_e32 v36, v17, v34
	v_add_f32_e32 v23, v23, v36
	ds_read_b128 v[36:39], v22 offset:416
	v_mul_f32_e32 v3, v15, v33
	v_fma_f32 v3, v14, v32, -v3
	v_add_f32_e32 v2, v2, v3
	v_mul_f32_e32 v3, v17, v35
	s_waitcnt lgkmcnt(0)
	v_mul_f32_e32 v44, v36, v41
	v_fmac_f32_e32 v44, v37, v40
	v_add_f32_e32 v23, v23, v44
	v_mul_f32_e32 v44, v38, v43
	v_fmac_f32_e32 v44, v39, v42
	v_add_f32_e32 v23, v23, v44
	ds_read_b128 v[44:47], v22 offset:432
	v_fma_f32 v3, v16, v34, -v3
	v_add_f32_e32 v2, v2, v3
	v_mul_f32_e32 v3, v37, v41
	v_fma_f32 v3, v36, v40, -v3
	s_waitcnt lgkmcnt(0)
	v_mul_f32_e32 v52, v44, v49
	v_fmac_f32_e32 v52, v45, v48
	v_add_f32_e32 v23, v23, v52
	v_mul_f32_e32 v52, v46, v51
	v_fmac_f32_e32 v52, v47, v50
	v_add_f32_e32 v23, v23, v52
	ds_read_b128 v[52:55], v22 offset:448
	v_add_f32_e32 v2, v2, v3
	v_mul_f32_e32 v3, v39, v43
	v_fma_f32 v3, v38, v42, -v3
	v_add_f32_e32 v2, v2, v3
	s_waitcnt lgkmcnt(0)
	v_mul_f32_e32 v60, v52, v57
	v_fmac_f32_e32 v60, v53, v56
	v_add_f32_e32 v23, v23, v60
	v_mul_f32_e32 v60, v54, v59
	v_fmac_f32_e32 v60, v55, v58
	v_add_f32_e32 v85, v23, v60
	ds_read_b128 v[60:63], v22 offset:464
	scratch_load_dwordx4 v[68:71], off, off offset:208
	scratch_load_dwordx4 v[72:75], off, off offset:224
	scratch_load_dwordx4 v[76:79], off, off offset:240
	scratch_load_dwordx4 v[80:83], off, off offset:256
	v_mul_f32_e32 v3, v45, v49
	v_fma_f32 v3, v44, v48, -v3
	v_add_f32_e32 v2, v2, v3
	v_mul_f32_e32 v3, v47, v51
	v_fma_f32 v3, v46, v50, -v3
	v_add_f32_e32 v2, v2, v3
	;; [unrolled: 3-line block ×4, first 2 shown]
	s_waitcnt lgkmcnt(0)
	v_mul_f32_e32 v2, v61, v65
	v_fma_f32 v86, v60, v64, -v2
	v_mul_f32_e32 v2, v63, v67
	v_fma_f32 v88, v62, v66, -v2
	ds_read_b128 v[2:5], v22 offset:480
	ds_read_b128 v[6:9], v22 offset:496
	;; [unrolled: 1-line block ×4, first 2 shown]
	v_mul_f32_e32 v87, v60, v65
	v_fmac_f32_e32 v87, v61, v64
	v_mul_f32_e32 v89, v62, v67
	v_fmac_f32_e32 v89, v63, v66
	v_pk_add_f32 v[18:19], v[84:85], v[86:87]
	s_waitcnt vmcnt(3) lgkmcnt(3)
	v_pk_mul_f32 v[20:21], v[2:3], v[68:69] op_sel:[1,1] op_sel_hi:[0,1]
	v_pk_fma_f32 v[22:23], v[2:3], v[68:69], v[20:21] neg_lo:[0,0,1] neg_hi:[0,0,1]
	v_pk_fma_f32 v[2:3], v[2:3], v[68:69], v[20:21] op_sel_hi:[1,0,1]
	v_pk_add_f32 v[18:19], v[18:19], v[88:89]
	v_mov_b32_e32 v23, v3
	v_pk_add_f32 v[2:3], v[18:19], v[22:23]
	v_mov_b32_e32 v18, v71
	v_pk_mul_f32 v[18:19], v[4:5], v[18:19] op_sel:[1,0] op_sel_hi:[0,0]
	v_pk_fma_f32 v[20:21], v[4:5], v[70:71], v[18:19] neg_lo:[0,0,1] neg_hi:[0,0,1]
	v_pk_fma_f32 v[4:5], v[4:5], v[70:71], v[18:19] op_sel_hi:[1,0,1]
	s_nop 0
	v_mov_b32_e32 v21, v5
	s_waitcnt vmcnt(2) lgkmcnt(2)
	v_pk_mul_f32 v[4:5], v[6:7], v[72:73] op_sel:[1,1] op_sel_hi:[0,1]
	v_pk_fma_f32 v[18:19], v[6:7], v[72:73], v[4:5] neg_lo:[0,0,1] neg_hi:[0,0,1]
	v_pk_fma_f32 v[4:5], v[6:7], v[72:73], v[4:5] op_sel_hi:[1,0,1]
	v_pk_add_f32 v[2:3], v[2:3], v[20:21]
	v_mov_b32_e32 v4, v75
	v_mov_b32_e32 v19, v5
	v_pk_mul_f32 v[4:5], v[8:9], v[4:5] op_sel:[1,0] op_sel_hi:[0,0]
	v_pk_fma_f32 v[6:7], v[8:9], v[74:75], v[4:5] neg_lo:[0,0,1] neg_hi:[0,0,1]
	v_pk_fma_f32 v[4:5], v[8:9], v[74:75], v[4:5] op_sel_hi:[1,0,1]
	v_pk_add_f32 v[2:3], v[2:3], v[18:19]
	v_mov_b32_e32 v7, v5
	s_waitcnt vmcnt(1) lgkmcnt(1)
	v_pk_mul_f32 v[4:5], v[10:11], v[76:77] op_sel:[1,1] op_sel_hi:[0,1]
	v_pk_add_f32 v[2:3], v[2:3], v[6:7]
	v_pk_fma_f32 v[6:7], v[10:11], v[76:77], v[4:5] neg_lo:[0,0,1] neg_hi:[0,0,1]
	v_pk_fma_f32 v[4:5], v[10:11], v[76:77], v[4:5] op_sel_hi:[1,0,1]
	s_nop 0
	v_mov_b32_e32 v4, v79
	v_mov_b32_e32 v7, v5
	v_pk_mul_f32 v[4:5], v[12:13], v[4:5] op_sel:[1,0] op_sel_hi:[0,0]
	v_pk_add_f32 v[2:3], v[2:3], v[6:7]
	v_pk_fma_f32 v[6:7], v[12:13], v[78:79], v[4:5] neg_lo:[0,0,1] neg_hi:[0,0,1]
	v_pk_fma_f32 v[4:5], v[12:13], v[78:79], v[4:5] op_sel_hi:[1,0,1]
	s_nop 0
	v_mov_b32_e32 v7, v5
	s_waitcnt vmcnt(0) lgkmcnt(0)
	v_pk_mul_f32 v[4:5], v[14:15], v[80:81] op_sel:[1,1] op_sel_hi:[0,1]
	v_pk_add_f32 v[2:3], v[2:3], v[6:7]
	v_pk_fma_f32 v[6:7], v[14:15], v[80:81], v[4:5] neg_lo:[0,0,1] neg_hi:[0,0,1]
	v_pk_fma_f32 v[4:5], v[14:15], v[80:81], v[4:5] op_sel_hi:[1,0,1]
	s_nop 0
	v_mov_b32_e32 v4, v83
	v_mov_b32_e32 v7, v5
	v_pk_mul_f32 v[4:5], v[16:17], v[4:5] op_sel:[1,0] op_sel_hi:[0,0]
	v_pk_add_f32 v[2:3], v[2:3], v[6:7]
	v_pk_fma_f32 v[6:7], v[16:17], v[82:83], v[4:5] neg_lo:[0,0,1] neg_hi:[0,0,1]
	v_pk_fma_f32 v[4:5], v[16:17], v[82:83], v[4:5] op_sel_hi:[1,0,1]
	s_nop 0
	v_mov_b32_e32 v7, v5
	scratch_load_dwordx2 v[4:5], off, off offset:72
	v_pk_add_f32 v[2:3], v[2:3], v[6:7]
	s_waitcnt vmcnt(0)
	v_pk_add_f32 v[2:3], v[4:5], v[2:3] neg_lo:[0,1] neg_hi:[0,1]
	scratch_store_dwordx2 off, v[2:3], off offset:72
	s_and_saveexec_b64 s[0:1], vcc
	s_cbranch_execz .LBB33_201
; %bb.200:
	scratch_load_dwordx2 v[2:3], off, off offset:64
	v_mov_b32_e32 v4, 0
	v_mov_b32_e32 v5, v4
	scratch_store_dwordx2 off, v[4:5], off offset:64
	s_waitcnt vmcnt(1)
	ds_write_b64 v1, v[2:3]
.LBB33_201:
	s_or_b64 exec, exec, s[0:1]
	s_waitcnt lgkmcnt(0)
	; wave barrier
	scratch_load_dwordx4 v[8:11], off, off offset:72
	scratch_load_dwordx4 v[16:19], off, off offset:88
	;; [unrolled: 1-line block ×8, first 2 shown]
	v_mov_b32_e32 v2, 0
	ds_read2_b64 v[4:7], v2 offset0:43 offset1:44
	scratch_load_dwordx4 v[72:75], off, off offset:200
	v_cmp_lt_u32_e32 vcc, 7, v0
	s_waitcnt vmcnt(8) lgkmcnt(0)
	v_mul_f32_e32 v3, v4, v9
	v_fmac_f32_e32 v3, v5, v8
	v_mul_f32_e32 v12, v6, v11
	v_add_f32_e32 v3, 0, v3
	v_fmac_f32_e32 v12, v7, v10
	v_add_f32_e32 v3, v3, v12
	ds_read2_b64 v[12:15], v2 offset0:45 offset1:46
	s_waitcnt vmcnt(7) lgkmcnt(0)
	v_mul_f32_e32 v20, v12, v17
	v_fmac_f32_e32 v20, v13, v16
	v_add_f32_e32 v3, v3, v20
	v_mul_f32_e32 v20, v14, v19
	v_fmac_f32_e32 v20, v15, v18
	v_add_f32_e32 v3, v3, v20
	ds_read2_b64 v[20:23], v2 offset0:47 offset1:48
	s_waitcnt vmcnt(6) lgkmcnt(0)
	v_mul_f32_e32 v28, v20, v25
	v_fmac_f32_e32 v28, v21, v24
	v_add_f32_e32 v3, v3, v28
	v_mul_f32_e32 v28, v22, v27
	v_fmac_f32_e32 v28, v23, v26
	v_add_f32_e32 v3, v3, v28
	ds_read2_b64 v[28:31], v2 offset0:49 offset1:50
	s_waitcnt vmcnt(5) lgkmcnt(0)
	v_mul_f32_e32 v36, v28, v33
	v_fmac_f32_e32 v36, v29, v32
	v_add_f32_e32 v3, v3, v36
	v_mul_f32_e32 v36, v30, v35
	v_fmac_f32_e32 v36, v31, v34
	v_add_f32_e32 v3, v3, v36
	ds_read2_b64 v[36:39], v2 offset0:51 offset1:52
	s_waitcnt vmcnt(4) lgkmcnt(0)
	v_mul_f32_e32 v44, v36, v41
	v_fmac_f32_e32 v44, v37, v40
	v_add_f32_e32 v3, v3, v44
	v_mul_f32_e32 v44, v38, v43
	v_fmac_f32_e32 v44, v39, v42
	v_add_f32_e32 v3, v3, v44
	ds_read2_b64 v[44:47], v2 offset0:53 offset1:54
	s_waitcnt vmcnt(3) lgkmcnt(0)
	v_mul_f32_e32 v52, v44, v49
	v_fmac_f32_e32 v52, v45, v48
	v_add_f32_e32 v3, v3, v52
	v_mul_f32_e32 v52, v46, v51
	v_fmac_f32_e32 v52, v47, v50
	v_add_f32_e32 v3, v3, v52
	ds_read2_b64 v[52:55], v2 offset0:55 offset1:56
	s_waitcnt vmcnt(2) lgkmcnt(0)
	v_mul_f32_e32 v60, v52, v57
	v_fmac_f32_e32 v60, v53, v56
	v_add_f32_e32 v3, v3, v60
	v_mul_f32_e32 v60, v54, v59
	v_fmac_f32_e32 v60, v55, v58
	v_add_f32_e32 v3, v3, v60
	ds_read2_b64 v[60:63], v2 offset0:57 offset1:58
	s_waitcnt vmcnt(1) lgkmcnt(0)
	v_mul_f32_e32 v68, v60, v65
	v_fmac_f32_e32 v68, v61, v64
	v_add_f32_e32 v89, v3, v68
	ds_read2_b64 v[68:71], v2 offset0:59 offset1:60
	scratch_load_dwordx4 v[76:79], off, off offset:216
	scratch_load_dwordx4 v[80:83], off, off offset:232
	;; [unrolled: 1-line block ×3, first 2 shown]
	scratch_load_dwordx2 v[94:95], off, off offset:264
	v_mul_f32_e32 v3, v5, v9
	v_fma_f32 v3, v4, v8, -v3
	v_mul_f32_e32 v4, v7, v11
	v_add_f32_e32 v3, 0, v3
	v_fma_f32 v4, v6, v10, -v4
	v_add_f32_e32 v3, v3, v4
	v_mul_f32_e32 v4, v13, v17
	v_fma_f32 v4, v12, v16, -v4
	v_add_f32_e32 v3, v3, v4
	v_mul_f32_e32 v4, v15, v19
	;; [unrolled: 3-line block ×13, first 2 shown]
	v_fma_f32 v4, v60, v64, -v4
	v_mul_f32_e32 v91, v62, v67
	v_add_f32_e32 v88, v3, v4
	v_mul_f32_e32 v3, v63, v67
	s_waitcnt vmcnt(4)
	v_mov_b32_e32 v20, v75
	v_fmac_f32_e32 v91, v63, v66
	s_waitcnt lgkmcnt(0)
	v_mul_f32_e32 v93, v68, v73
	v_fma_f32 v90, v62, v66, -v3
	v_mul_f32_e32 v3, v69, v73
	ds_read2_b64 v[4:7], v2 offset0:61 offset1:62
	ds_read2_b64 v[8:11], v2 offset0:63 offset1:64
	;; [unrolled: 1-line block ×3, first 2 shown]
	ds_read_b64 v[16:17], v2 offset:536
	v_pk_mul_f32 v[20:21], v[70:71], v[20:21] op_sel:[1,0] op_sel_hi:[0,0]
	v_fmac_f32_e32 v93, v69, v72
	v_fma_f32 v92, v68, v72, -v3
	v_pk_add_f32 v[18:19], v[88:89], v[90:91]
	v_pk_fma_f32 v[22:23], v[70:71], v[74:75], v[20:21] neg_lo:[0,0,1] neg_hi:[0,0,1]
	v_pk_fma_f32 v[20:21], v[70:71], v[74:75], v[20:21] op_sel_hi:[1,0,1]
	v_pk_add_f32 v[18:19], v[18:19], v[92:93]
	v_mov_b32_e32 v23, v21
	v_pk_add_f32 v[18:19], v[18:19], v[22:23]
	s_waitcnt vmcnt(3) lgkmcnt(3)
	v_pk_mul_f32 v[20:21], v[4:5], v[76:77] op_sel:[1,1] op_sel_hi:[0,1]
	v_pk_fma_f32 v[22:23], v[4:5], v[76:77], v[20:21] neg_lo:[0,0,1] neg_hi:[0,0,1]
	v_pk_fma_f32 v[4:5], v[4:5], v[76:77], v[20:21] op_sel_hi:[1,0,1]
	s_nop 0
	v_mov_b32_e32 v23, v5
	v_pk_add_f32 v[4:5], v[18:19], v[22:23]
	v_mov_b32_e32 v18, v79
	v_pk_mul_f32 v[18:19], v[6:7], v[18:19] op_sel:[1,0] op_sel_hi:[0,0]
	v_pk_fma_f32 v[20:21], v[6:7], v[78:79], v[18:19] neg_lo:[0,0,1] neg_hi:[0,0,1]
	v_pk_fma_f32 v[6:7], v[6:7], v[78:79], v[18:19] op_sel_hi:[1,0,1]
	s_nop 0
	v_mov_b32_e32 v21, v7
	s_waitcnt vmcnt(2) lgkmcnt(2)
	v_pk_mul_f32 v[6:7], v[8:9], v[80:81] op_sel:[1,1] op_sel_hi:[0,1]
	v_pk_fma_f32 v[18:19], v[8:9], v[80:81], v[6:7] neg_lo:[0,0,1] neg_hi:[0,0,1]
	v_pk_fma_f32 v[6:7], v[8:9], v[80:81], v[6:7] op_sel_hi:[1,0,1]
	v_pk_add_f32 v[4:5], v[4:5], v[20:21]
	v_mov_b32_e32 v6, v83
	v_mov_b32_e32 v19, v7
	v_pk_mul_f32 v[6:7], v[10:11], v[6:7] op_sel:[1,0] op_sel_hi:[0,0]
	v_pk_fma_f32 v[8:9], v[10:11], v[82:83], v[6:7] neg_lo:[0,0,1] neg_hi:[0,0,1]
	v_pk_fma_f32 v[6:7], v[10:11], v[82:83], v[6:7] op_sel_hi:[1,0,1]
	v_pk_add_f32 v[4:5], v[4:5], v[18:19]
	v_mov_b32_e32 v9, v7
	s_waitcnt vmcnt(1) lgkmcnt(1)
	v_pk_mul_f32 v[6:7], v[12:13], v[84:85] op_sel:[1,1] op_sel_hi:[0,1]
	v_pk_add_f32 v[4:5], v[4:5], v[8:9]
	v_pk_fma_f32 v[8:9], v[12:13], v[84:85], v[6:7] neg_lo:[0,0,1] neg_hi:[0,0,1]
	v_pk_fma_f32 v[6:7], v[12:13], v[84:85], v[6:7] op_sel_hi:[1,0,1]
	s_nop 0
	v_mov_b32_e32 v6, v87
	v_mov_b32_e32 v9, v7
	v_pk_mul_f32 v[6:7], v[14:15], v[6:7] op_sel:[1,0] op_sel_hi:[0,0]
	v_pk_add_f32 v[4:5], v[4:5], v[8:9]
	v_pk_fma_f32 v[8:9], v[14:15], v[86:87], v[6:7] neg_lo:[0,0,1] neg_hi:[0,0,1]
	v_pk_fma_f32 v[6:7], v[14:15], v[86:87], v[6:7] op_sel_hi:[1,0,1]
	s_nop 0
	v_mov_b32_e32 v9, v7
	s_waitcnt vmcnt(0) lgkmcnt(0)
	v_pk_mul_f32 v[6:7], v[16:17], v[94:95] op_sel:[1,1] op_sel_hi:[0,1]
	v_pk_add_f32 v[4:5], v[4:5], v[8:9]
	v_pk_fma_f32 v[8:9], v[16:17], v[94:95], v[6:7] neg_lo:[0,0,1] neg_hi:[0,0,1]
	v_pk_fma_f32 v[6:7], v[16:17], v[94:95], v[6:7] op_sel_hi:[1,0,1]
	s_nop 0
	v_mov_b32_e32 v9, v7
	scratch_load_dwordx2 v[6:7], off, off offset:64
	v_pk_add_f32 v[4:5], v[4:5], v[8:9]
	s_waitcnt vmcnt(0)
	v_pk_add_f32 v[4:5], v[6:7], v[4:5] neg_lo:[0,1] neg_hi:[0,1]
	scratch_store_dwordx2 off, v[4:5], off offset:64
	s_and_saveexec_b64 s[0:1], vcc
	s_cbranch_execz .LBB33_203
; %bb.202:
	scratch_load_dwordx2 v[4:5], off, off offset:56
	v_mov_b32_e32 v3, v2
	scratch_store_dwordx2 off, v[2:3], off offset:56
	s_waitcnt vmcnt(1)
	ds_write_b64 v1, v[4:5]
.LBB33_203:
	s_or_b64 exec, exec, s[0:1]
	s_waitcnt lgkmcnt(0)
	; wave barrier
	ds_read_b128 v[4:7], v2 offset:336
	ds_read_b128 v[8:11], v2 offset:352
	;; [unrolled: 1-line block ×4, first 2 shown]
	scratch_load_dwordx4 v[20:23], off, off offset:64
	scratch_load_dwordx4 v[40:43], off, off offset:128
	;; [unrolled: 1-line block ×3, first 2 shown]
	v_cmp_lt_u32_e32 vcc, 6, v0
	scratch_load_dwordx4 v[48:51], off, off offset:144
	scratch_load_dwordx4 v[56:59], off, off offset:160
	;; [unrolled: 1-line block ×3, first 2 shown]
	s_waitcnt vmcnt(5) lgkmcnt(3)
	v_mul_f32_e32 v3, v4, v21
	v_fmac_f32_e32 v3, v5, v20
	v_mul_f32_e32 v24, v6, v23
	v_add_f32_e32 v3, 0, v3
	v_fmac_f32_e32 v24, v7, v22
	v_add_f32_e32 v3, v3, v24
	scratch_load_dwordx4 v[24:27], off, off offset:80
	s_waitcnt vmcnt(0) lgkmcnt(2)
	v_mul_f32_e32 v28, v8, v25
	v_fmac_f32_e32 v28, v9, v24
	v_add_f32_e32 v3, v3, v28
	v_mul_f32_e32 v28, v10, v27
	v_fmac_f32_e32 v28, v11, v26
	v_add_f32_e32 v3, v3, v28
	scratch_load_dwordx4 v[28:31], off, off offset:96
	s_waitcnt vmcnt(0) lgkmcnt(1)
	v_mul_f32_e32 v32, v12, v29
	v_fmac_f32_e32 v32, v13, v28
	v_add_f32_e32 v3, v3, v32
	v_mul_f32_e32 v32, v14, v31
	;; [unrolled: 8-line block ×3, first 2 shown]
	v_fmac_f32_e32 v36, v19, v34
	v_add_f32_e32 v3, v3, v36
	ds_read_b128 v[36:39], v2 offset:400
	s_waitcnt lgkmcnt(0)
	v_mul_f32_e32 v44, v36, v41
	v_fmac_f32_e32 v44, v37, v40
	v_add_f32_e32 v3, v3, v44
	v_mul_f32_e32 v44, v38, v43
	v_fmac_f32_e32 v44, v39, v42
	v_add_f32_e32 v3, v3, v44
	ds_read_b128 v[44:47], v2 offset:416
	s_waitcnt lgkmcnt(0)
	v_mul_f32_e32 v52, v44, v49
	v_fmac_f32_e32 v52, v45, v48
	v_add_f32_e32 v3, v3, v52
	v_mul_f32_e32 v52, v46, v51
	v_fmac_f32_e32 v52, v47, v50
	v_add_f32_e32 v3, v3, v52
	ds_read_b128 v[52:55], v2 offset:432
	s_waitcnt lgkmcnt(0)
	v_mul_f32_e32 v60, v52, v57
	v_fmac_f32_e32 v60, v53, v56
	v_add_f32_e32 v3, v3, v60
	v_mul_f32_e32 v60, v54, v59
	v_fmac_f32_e32 v60, v55, v58
	v_add_f32_e32 v3, v3, v60
	ds_read_b128 v[60:63], v2 offset:448
	s_waitcnt lgkmcnt(0)
	v_mul_f32_e32 v68, v60, v65
	v_fmac_f32_e32 v68, v61, v64
	v_add_f32_e32 v3, v3, v68
	v_mul_f32_e32 v68, v62, v67
	v_fmac_f32_e32 v68, v63, v66
	v_add_f32_e32 v93, v3, v68
	ds_read_b128 v[68:71], v2 offset:464
	scratch_load_dwordx4 v[76:79], off, off offset:208
	scratch_load_dwordx4 v[80:83], off, off offset:224
	scratch_load_dwordx4 v[84:87], off, off offset:240
	scratch_load_dwordx4 v[88:91], off, off offset:256
	v_mul_f32_e32 v3, v5, v21
	v_fma_f32 v3, v4, v20, -v3
	v_mul_f32_e32 v4, v7, v23
	v_add_f32_e32 v3, 0, v3
	v_fma_f32 v4, v6, v22, -v4
	v_add_f32_e32 v3, v3, v4
	v_mul_f32_e32 v4, v9, v25
	v_fma_f32 v4, v8, v24, -v4
	v_add_f32_e32 v3, v3, v4
	v_mul_f32_e32 v4, v11, v27
	;; [unrolled: 3-line block ×14, first 2 shown]
	v_fma_f32 v4, v62, v66, -v4
	v_add_f32_e32 v92, v3, v4
	ds_read_b128 v[4:7], v2 offset:480
	ds_read_b128 v[8:11], v2 offset:496
	;; [unrolled: 1-line block ×4, first 2 shown]
	s_waitcnt lgkmcnt(4)
	v_mul_f32_e32 v95, v68, v73
	v_mul_f32_e32 v3, v69, v73
	v_fmac_f32_e32 v95, v69, v72
	v_mul_f32_e32 v97, v70, v75
	v_fma_f32 v94, v68, v72, -v3
	v_mul_f32_e32 v3, v71, v75
	v_fmac_f32_e32 v97, v71, v74
	v_fma_f32 v96, v70, v74, -v3
	v_pk_add_f32 v[2:3], v[92:93], v[94:95]
	s_waitcnt vmcnt(3) lgkmcnt(3)
	v_pk_mul_f32 v[20:21], v[4:5], v[76:77] op_sel:[1,1] op_sel_hi:[0,1]
	v_pk_fma_f32 v[22:23], v[4:5], v[76:77], v[20:21] neg_lo:[0,0,1] neg_hi:[0,0,1]
	v_pk_fma_f32 v[4:5], v[4:5], v[76:77], v[20:21] op_sel_hi:[1,0,1]
	v_pk_add_f32 v[2:3], v[2:3], v[96:97]
	v_mov_b32_e32 v4, v79
	v_mov_b32_e32 v23, v5
	v_pk_mul_f32 v[4:5], v[6:7], v[4:5] op_sel:[1,0] op_sel_hi:[0,0]
	v_pk_fma_f32 v[20:21], v[6:7], v[78:79], v[4:5] neg_lo:[0,0,1] neg_hi:[0,0,1]
	v_pk_fma_f32 v[4:5], v[6:7], v[78:79], v[4:5] op_sel_hi:[1,0,1]
	v_pk_add_f32 v[2:3], v[2:3], v[22:23]
	v_mov_b32_e32 v21, v5
	s_waitcnt vmcnt(2) lgkmcnt(2)
	v_pk_mul_f32 v[4:5], v[8:9], v[80:81] op_sel:[1,1] op_sel_hi:[0,1]
	v_pk_fma_f32 v[6:7], v[8:9], v[80:81], v[4:5] neg_lo:[0,0,1] neg_hi:[0,0,1]
	v_pk_fma_f32 v[4:5], v[8:9], v[80:81], v[4:5] op_sel_hi:[1,0,1]
	v_pk_add_f32 v[2:3], v[2:3], v[20:21]
	v_mov_b32_e32 v4, v83
	v_mov_b32_e32 v7, v5
	v_pk_mul_f32 v[4:5], v[10:11], v[4:5] op_sel:[1,0] op_sel_hi:[0,0]
	v_pk_add_f32 v[2:3], v[2:3], v[6:7]
	v_pk_fma_f32 v[6:7], v[10:11], v[82:83], v[4:5] neg_lo:[0,0,1] neg_hi:[0,0,1]
	v_pk_fma_f32 v[4:5], v[10:11], v[82:83], v[4:5] op_sel_hi:[1,0,1]
	s_nop 0
	v_mov_b32_e32 v7, v5
	s_waitcnt vmcnt(1) lgkmcnt(1)
	v_pk_mul_f32 v[4:5], v[12:13], v[84:85] op_sel:[1,1] op_sel_hi:[0,1]
	v_pk_add_f32 v[2:3], v[2:3], v[6:7]
	v_pk_fma_f32 v[6:7], v[12:13], v[84:85], v[4:5] neg_lo:[0,0,1] neg_hi:[0,0,1]
	v_pk_fma_f32 v[4:5], v[12:13], v[84:85], v[4:5] op_sel_hi:[1,0,1]
	s_nop 0
	v_mov_b32_e32 v4, v87
	v_mov_b32_e32 v7, v5
	v_pk_mul_f32 v[4:5], v[14:15], v[4:5] op_sel:[1,0] op_sel_hi:[0,0]
	v_pk_add_f32 v[2:3], v[2:3], v[6:7]
	v_pk_fma_f32 v[6:7], v[14:15], v[86:87], v[4:5] neg_lo:[0,0,1] neg_hi:[0,0,1]
	v_pk_fma_f32 v[4:5], v[14:15], v[86:87], v[4:5] op_sel_hi:[1,0,1]
	s_nop 0
	v_mov_b32_e32 v7, v5
	s_waitcnt vmcnt(0) lgkmcnt(0)
	v_pk_mul_f32 v[4:5], v[16:17], v[88:89] op_sel:[1,1] op_sel_hi:[0,1]
	v_pk_add_f32 v[2:3], v[2:3], v[6:7]
	v_pk_fma_f32 v[6:7], v[16:17], v[88:89], v[4:5] neg_lo:[0,0,1] neg_hi:[0,0,1]
	v_pk_fma_f32 v[4:5], v[16:17], v[88:89], v[4:5] op_sel_hi:[1,0,1]
	s_nop 0
	v_mov_b32_e32 v4, v91
	v_mov_b32_e32 v7, v5
	v_pk_mul_f32 v[4:5], v[18:19], v[4:5] op_sel:[1,0] op_sel_hi:[0,0]
	v_pk_add_f32 v[2:3], v[2:3], v[6:7]
	v_pk_fma_f32 v[6:7], v[18:19], v[90:91], v[4:5] neg_lo:[0,0,1] neg_hi:[0,0,1]
	v_pk_fma_f32 v[4:5], v[18:19], v[90:91], v[4:5] op_sel_hi:[1,0,1]
	s_nop 0
	v_mov_b32_e32 v7, v5
	scratch_load_dwordx2 v[4:5], off, off offset:56
	v_pk_add_f32 v[2:3], v[2:3], v[6:7]
	s_waitcnt vmcnt(0)
	v_pk_add_f32 v[2:3], v[4:5], v[2:3] neg_lo:[0,1] neg_hi:[0,1]
	scratch_store_dwordx2 off, v[2:3], off offset:56
	s_and_saveexec_b64 s[0:1], vcc
	s_cbranch_execz .LBB33_205
; %bb.204:
	scratch_load_dwordx2 v[2:3], off, off offset:48
	v_mov_b32_e32 v4, 0
	v_mov_b32_e32 v5, v4
	scratch_store_dwordx2 off, v[4:5], off offset:48
	s_waitcnt vmcnt(1)
	ds_write_b64 v1, v[2:3]
.LBB33_205:
	s_or_b64 exec, exec, s[0:1]
	s_waitcnt lgkmcnt(0)
	; wave barrier
	scratch_load_dwordx4 v[10:13], off, off offset:56
	scratch_load_dwordx4 v[30:33], off, off offset:72
	;; [unrolled: 1-line block ×13, first 2 shown]
	scratch_load_dwordx2 v[54:55], off, off offset:264
	scratch_load_dwordx2 v[80:81], off, off offset:48
	v_mov_b32_e32 v82, 0
	ds_read2_b64 v[56:59], v82 offset0:41 offset1:42
	ds_read2_b64 v[60:63], v82 offset0:43 offset1:44
	;; [unrolled: 1-line block ×10, first 2 shown]
	v_cmp_lt_u32_e32 vcc, 5, v0
	s_waitcnt vmcnt(14) lgkmcnt(9)
	v_mul_f32_e32 v83, v56, v11
	v_mul_f32_e32 v100, v58, v13
	s_waitcnt vmcnt(12) lgkmcnt(7)
	v_mul_f32_e32 v105, v64, v3
	v_mul_f32_e32 v3, v65, v3
	v_fmac_f32_e32 v83, v57, v10
	v_mul_f32_e32 v102, v60, v31
	v_fmac_f32_e32 v100, v59, v12
	v_fmac_f32_e32 v105, v65, v2
	v_fma_f32 v2, v64, v2, -v3
	v_add_f32_e32 v3, 0, v83
	v_mul_f32_e32 v104, v62, v33
	v_fmac_f32_e32 v102, v61, v30
	v_add_f32_e32 v3, v3, v100
	v_fmac_f32_e32 v104, v63, v32
	v_add_f32_e32 v3, v3, v102
	v_mul_f32_e32 v106, v66, v5
	v_add_f32_e32 v3, v3, v104
	s_waitcnt vmcnt(11) lgkmcnt(6)
	v_mul_f32_e32 v107, v68, v7
	v_fmac_f32_e32 v106, v67, v4
	v_add_f32_e32 v3, v3, v105
	v_mul_f32_e32 v108, v70, v9
	v_fmac_f32_e32 v107, v69, v6
	v_add_f32_e32 v3, v3, v106
	s_waitcnt vmcnt(10) lgkmcnt(5)
	v_mul_f32_e32 v109, v72, v19
	v_fmac_f32_e32 v108, v71, v8
	v_add_f32_e32 v3, v3, v107
	v_mul_f32_e32 v110, v74, v21
	v_fmac_f32_e32 v109, v73, v18
	;; [unrolled: 7-line block ×3, first 2 shown]
	v_add_f32_e32 v3, v3, v110
	s_waitcnt vmcnt(8) lgkmcnt(3)
	v_mul_f32_e32 v113, v84, v35
	v_mul_f32_e32 v11, v57, v11
	v_fmac_f32_e32 v112, v79, v24
	v_add_f32_e32 v3, v3, v111
	v_mul_f32_e32 v182, v86, v37
	v_mul_f32_e32 v13, v59, v13
	v_fmac_f32_e32 v113, v85, v34
	v_fma_f32 v10, v56, v10, -v11
	v_add_f32_e32 v3, v3, v112
	s_waitcnt vmcnt(7) lgkmcnt(2)
	v_mul_f32_e32 v183, v88, v39
	v_mul_f32_e32 v31, v61, v31
	v_fmac_f32_e32 v182, v87, v36
	v_fma_f32 v11, v58, v12, -v13
	v_add_f32_e32 v10, 0, v10
	v_add_f32_e32 v3, v3, v113
	v_mul_f32_e32 v184, v90, v41
	v_mul_f32_e32 v33, v63, v33
	v_fmac_f32_e32 v183, v89, v38
	v_fma_f32 v12, v60, v30, -v31
	v_add_f32_e32 v10, v10, v11
	v_add_f32_e32 v3, v3, v182
	s_waitcnt vmcnt(6) lgkmcnt(1)
	v_mul_f32_e32 v185, v92, v51
	v_fmac_f32_e32 v184, v91, v40
	v_fma_f32 v13, v62, v32, -v33
	v_add_f32_e32 v10, v10, v12
	v_add_f32_e32 v3, v3, v183
	v_mul_f32_e32 v5, v67, v5
	v_fmac_f32_e32 v185, v93, v50
	v_add_f32_e32 v10, v10, v13
	v_add_f32_e32 v3, v3, v184
	;; [unrolled: 1-line block ×4, first 2 shown]
	v_fma_f32 v3, v66, v4, -v5
	v_add_f32_e32 v2, v2, v3
	v_mul_f32_e32 v3, v69, v7
	v_fma_f32 v3, v68, v6, -v3
	v_add_f32_e32 v2, v2, v3
	v_mul_f32_e32 v3, v71, v9
	;; [unrolled: 3-line block ×12, first 2 shown]
	v_mul_f32_e32 v101, v94, v53
	v_fma_f32 v100, v94, v52, -v2
	s_waitcnt vmcnt(5) lgkmcnt(0)
	v_mul_f32_e32 v2, v97, v47
	v_mov_b32_e32 v22, v49
	v_mul_f32_e32 v103, v96, v47
	v_fmac_f32_e32 v101, v95, v52
	v_fma_f32 v102, v96, v46, -v2
	ds_read2_b64 v[2:5], v82 offset0:61 offset1:62
	ds_read2_b64 v[6:9], v82 offset0:63 offset1:64
	;; [unrolled: 1-line block ×3, first 2 shown]
	ds_read_b64 v[18:19], v82 offset:536
	v_pk_mul_f32 v[22:23], v[98:99], v[22:23] op_sel:[1,0] op_sel_hi:[0,0]
	v_fmac_f32_e32 v103, v97, v46
	v_pk_add_f32 v[20:21], v[30:31], v[100:101]
	v_pk_fma_f32 v[24:25], v[98:99], v[48:49], v[22:23] neg_lo:[0,0,1] neg_hi:[0,0,1]
	v_pk_fma_f32 v[22:23], v[98:99], v[48:49], v[22:23] op_sel_hi:[1,0,1]
	v_pk_add_f32 v[20:21], v[20:21], v[102:103]
	v_mov_b32_e32 v25, v23
	s_waitcnt vmcnt(4) lgkmcnt(3)
	v_pk_mul_f32 v[22:23], v[2:3], v[42:43] op_sel:[1,1] op_sel_hi:[0,1]
	v_pk_add_f32 v[20:21], v[20:21], v[24:25]
	v_pk_fma_f32 v[24:25], v[2:3], v[42:43], v[22:23] neg_lo:[0,0,1] neg_hi:[0,0,1]
	v_pk_fma_f32 v[2:3], v[2:3], v[42:43], v[22:23] op_sel_hi:[1,0,1]
	s_nop 0
	v_mov_b32_e32 v25, v3
	v_pk_add_f32 v[2:3], v[20:21], v[24:25]
	v_mov_b32_e32 v20, v45
	v_pk_mul_f32 v[20:21], v[4:5], v[20:21] op_sel:[1,0] op_sel_hi:[0,0]
	v_pk_fma_f32 v[22:23], v[4:5], v[44:45], v[20:21] neg_lo:[0,0,1] neg_hi:[0,0,1]
	v_pk_fma_f32 v[4:5], v[4:5], v[44:45], v[20:21] op_sel_hi:[1,0,1]
	s_nop 0
	v_mov_b32_e32 v23, v5
	s_waitcnt vmcnt(3) lgkmcnt(2)
	v_pk_mul_f32 v[4:5], v[6:7], v[26:27] op_sel:[1,1] op_sel_hi:[0,1]
	v_pk_fma_f32 v[20:21], v[6:7], v[26:27], v[4:5] neg_lo:[0,0,1] neg_hi:[0,0,1]
	v_pk_fma_f32 v[4:5], v[6:7], v[26:27], v[4:5] op_sel_hi:[1,0,1]
	v_pk_add_f32 v[2:3], v[2:3], v[22:23]
	v_mov_b32_e32 v4, v29
	v_mov_b32_e32 v21, v5
	v_pk_mul_f32 v[4:5], v[8:9], v[4:5] op_sel:[1,0] op_sel_hi:[0,0]
	v_pk_fma_f32 v[6:7], v[8:9], v[28:29], v[4:5] neg_lo:[0,0,1] neg_hi:[0,0,1]
	v_pk_fma_f32 v[4:5], v[8:9], v[28:29], v[4:5] op_sel_hi:[1,0,1]
	v_pk_add_f32 v[2:3], v[2:3], v[20:21]
	v_mov_b32_e32 v7, v5
	s_waitcnt vmcnt(2) lgkmcnt(1)
	v_pk_mul_f32 v[4:5], v[10:11], v[14:15] op_sel:[1,1] op_sel_hi:[0,1]
	v_pk_add_f32 v[2:3], v[2:3], v[6:7]
	v_pk_fma_f32 v[6:7], v[10:11], v[14:15], v[4:5] neg_lo:[0,0,1] neg_hi:[0,0,1]
	v_pk_fma_f32 v[4:5], v[10:11], v[14:15], v[4:5] op_sel_hi:[1,0,1]
	s_nop 0
	v_mov_b32_e32 v4, v17
	v_mov_b32_e32 v7, v5
	v_pk_mul_f32 v[4:5], v[12:13], v[4:5] op_sel:[1,0] op_sel_hi:[0,0]
	v_pk_add_f32 v[2:3], v[2:3], v[6:7]
	v_pk_fma_f32 v[6:7], v[12:13], v[16:17], v[4:5] neg_lo:[0,0,1] neg_hi:[0,0,1]
	v_pk_fma_f32 v[4:5], v[12:13], v[16:17], v[4:5] op_sel_hi:[1,0,1]
	s_nop 0
	v_mov_b32_e32 v7, v5
	s_waitcnt vmcnt(1) lgkmcnt(0)
	v_pk_mul_f32 v[4:5], v[18:19], v[54:55] op_sel:[1,1] op_sel_hi:[0,1]
	v_pk_add_f32 v[2:3], v[2:3], v[6:7]
	v_pk_fma_f32 v[6:7], v[18:19], v[54:55], v[4:5] neg_lo:[0,0,1] neg_hi:[0,0,1]
	v_pk_fma_f32 v[4:5], v[18:19], v[54:55], v[4:5] op_sel_hi:[1,0,1]
	s_nop 0
	v_mov_b32_e32 v7, v5
	v_pk_add_f32 v[2:3], v[2:3], v[6:7]
	s_waitcnt vmcnt(0)
	v_pk_add_f32 v[2:3], v[80:81], v[2:3] neg_lo:[0,1] neg_hi:[0,1]
	scratch_store_dwordx2 off, v[2:3], off offset:48
	s_and_saveexec_b64 s[0:1], vcc
	s_cbranch_execz .LBB33_207
; %bb.206:
	scratch_load_dwordx2 v[2:3], off, off offset:40
	v_mov_b32_e32 v83, v82
	scratch_store_dwordx2 off, v[82:83], off offset:40
	s_waitcnt vmcnt(1)
	ds_write_b64 v1, v[2:3]
.LBB33_207:
	s_or_b64 exec, exec, s[0:1]
	s_waitcnt lgkmcnt(0)
	; wave barrier
	scratch_load_dwordx4 v[18:21], off, off offset:48
	scratch_load_dwordx4 v[34:37], off, off offset:64
	;; [unrolled: 1-line block ×10, first 2 shown]
	ds_read_b128 v[84:87], v82 offset:320
	ds_read_b128 v[88:91], v82 offset:336
	;; [unrolled: 1-line block ×10, first 2 shown]
	scratch_load_dwordx4 v[54:57], off, off offset:208
	scratch_load_dwordx4 v[46:49], off, off offset:224
	;; [unrolled: 1-line block ×4, first 2 shown]
	scratch_load_dwordx2 v[100:101], off, off offset:40
	v_cmp_lt_u32_e32 vcc, 4, v0
	s_waitcnt vmcnt(14) lgkmcnt(9)
	v_mul_f32_e32 v83, v84, v19
	v_mul_f32_e32 v102, v86, v21
	s_waitcnt vmcnt(12) lgkmcnt(7)
	v_mul_f32_e32 v107, v92, v3
	v_mul_f32_e32 v3, v93, v3
	v_fmac_f32_e32 v83, v85, v18
	v_mul_f32_e32 v104, v88, v35
	v_fmac_f32_e32 v102, v87, v20
	v_fmac_f32_e32 v107, v93, v2
	v_fma_f32 v2, v92, v2, -v3
	v_add_f32_e32 v3, 0, v83
	v_mul_f32_e32 v106, v90, v37
	v_fmac_f32_e32 v104, v89, v34
	v_add_f32_e32 v3, v3, v102
	v_fmac_f32_e32 v106, v91, v36
	v_add_f32_e32 v3, v3, v104
	v_mul_f32_e32 v108, v94, v5
	v_add_f32_e32 v3, v3, v106
	s_waitcnt vmcnt(11) lgkmcnt(6)
	v_mul_f32_e32 v109, v96, v7
	v_fmac_f32_e32 v108, v95, v4
	v_add_f32_e32 v3, v3, v107
	v_mul_f32_e32 v110, v98, v9
	v_fmac_f32_e32 v109, v97, v6
	v_add_f32_e32 v3, v3, v108
	s_waitcnt vmcnt(10) lgkmcnt(5)
	v_mul_f32_e32 v111, v78, v11
	v_fmac_f32_e32 v110, v99, v8
	v_add_f32_e32 v3, v3, v109
	v_mul_f32_e32 v112, v80, v13
	v_fmac_f32_e32 v111, v79, v10
	v_add_f32_e32 v3, v3, v110
	s_waitcnt vmcnt(9) lgkmcnt(4)
	v_mul_f32_e32 v113, v74, v23
	v_fmac_f32_e32 v112, v81, v12
	v_add_f32_e32 v3, v3, v111
	v_mul_f32_e32 v182, v76, v25
	v_fmac_f32_e32 v113, v75, v22
	v_add_f32_e32 v3, v3, v112
	s_waitcnt vmcnt(8) lgkmcnt(3)
	v_mul_f32_e32 v183, v70, v27
	v_fmac_f32_e32 v182, v77, v24
	v_add_f32_e32 v3, v3, v113
	v_mul_f32_e32 v184, v72, v29
	v_fmac_f32_e32 v183, v71, v26
	v_add_f32_e32 v3, v3, v182
	s_waitcnt vmcnt(7) lgkmcnt(2)
	v_mul_f32_e32 v185, v66, v39
	v_mul_f32_e32 v19, v85, v19
	v_fmac_f32_e32 v184, v73, v28
	v_add_f32_e32 v3, v3, v183
	v_mul_f32_e32 v186, v68, v41
	v_mul_f32_e32 v21, v87, v21
	v_fmac_f32_e32 v185, v67, v38
	v_fma_f32 v18, v84, v18, -v19
	v_add_f32_e32 v3, v3, v184
	s_waitcnt vmcnt(6) lgkmcnt(1)
	v_mul_f32_e32 v187, v62, v43
	v_mul_f32_e32 v35, v89, v35
	v_fmac_f32_e32 v186, v69, v40
	v_fma_f32 v19, v86, v20, -v21
	v_add_f32_e32 v18, 0, v18
	v_add_f32_e32 v3, v3, v185
	v_mul_f32_e32 v188, v64, v45
	v_mul_f32_e32 v37, v91, v37
	v_fmac_f32_e32 v187, v63, v42
	v_fma_f32 v20, v88, v34, -v35
	v_add_f32_e32 v18, v18, v19
	v_add_f32_e32 v3, v3, v186
	v_fmac_f32_e32 v188, v65, v44
	v_fma_f32 v21, v90, v36, -v37
	v_add_f32_e32 v18, v18, v20
	v_add_f32_e32 v3, v3, v187
	;; [unrolled: 1-line block ×4, first 2 shown]
	v_mul_f32_e32 v3, v95, v5
	v_add_f32_e32 v2, v18, v2
	v_fma_f32 v3, v94, v4, -v3
	v_add_f32_e32 v2, v2, v3
	v_mul_f32_e32 v3, v97, v7
	v_fma_f32 v3, v96, v6, -v3
	v_add_f32_e32 v2, v2, v3
	v_mul_f32_e32 v3, v99, v9
	;; [unrolled: 3-line block ×12, first 2 shown]
	v_fma_f32 v3, v64, v44, -v3
	v_add_f32_e32 v34, v2, v3
	s_waitcnt vmcnt(5) lgkmcnt(0)
	v_mul_f32_e32 v2, v59, v51
	v_fma_f32 v102, v58, v50, -v2
	v_mul_f32_e32 v2, v61, v53
	v_fma_f32 v104, v60, v52, -v2
	ds_read_b128 v[2:5], v82 offset:480
	ds_read_b128 v[6:9], v82 offset:496
	;; [unrolled: 1-line block ×4, first 2 shown]
	v_mul_f32_e32 v103, v58, v51
	v_mul_f32_e32 v105, v60, v53
	v_fmac_f32_e32 v103, v59, v50
	s_waitcnt vmcnt(4) lgkmcnt(3)
	v_pk_mul_f32 v[24:25], v[2:3], v[54:55] op_sel:[1,1] op_sel_hi:[0,1]
	v_fmac_f32_e32 v105, v61, v52
	v_pk_add_f32 v[22:23], v[34:35], v[102:103]
	v_pk_fma_f32 v[26:27], v[2:3], v[54:55], v[24:25] neg_lo:[0,0,1] neg_hi:[0,0,1]
	v_pk_fma_f32 v[2:3], v[2:3], v[54:55], v[24:25] op_sel_hi:[1,0,1]
	v_pk_add_f32 v[22:23], v[22:23], v[104:105]
	v_mov_b32_e32 v27, v3
	v_pk_add_f32 v[2:3], v[22:23], v[26:27]
	v_mov_b32_e32 v22, v57
	v_pk_mul_f32 v[22:23], v[4:5], v[22:23] op_sel:[1,0] op_sel_hi:[0,0]
	v_pk_fma_f32 v[24:25], v[4:5], v[56:57], v[22:23] neg_lo:[0,0,1] neg_hi:[0,0,1]
	v_pk_fma_f32 v[4:5], v[4:5], v[56:57], v[22:23] op_sel_hi:[1,0,1]
	s_nop 0
	v_mov_b32_e32 v25, v5
	s_waitcnt vmcnt(3) lgkmcnt(2)
	v_pk_mul_f32 v[4:5], v[6:7], v[46:47] op_sel:[1,1] op_sel_hi:[0,1]
	v_pk_fma_f32 v[22:23], v[6:7], v[46:47], v[4:5] neg_lo:[0,0,1] neg_hi:[0,0,1]
	v_pk_fma_f32 v[4:5], v[6:7], v[46:47], v[4:5] op_sel_hi:[1,0,1]
	v_pk_add_f32 v[2:3], v[2:3], v[24:25]
	v_mov_b32_e32 v4, v49
	v_mov_b32_e32 v23, v5
	v_pk_mul_f32 v[4:5], v[8:9], v[4:5] op_sel:[1,0] op_sel_hi:[0,0]
	v_pk_fma_f32 v[6:7], v[8:9], v[48:49], v[4:5] neg_lo:[0,0,1] neg_hi:[0,0,1]
	v_pk_fma_f32 v[4:5], v[8:9], v[48:49], v[4:5] op_sel_hi:[1,0,1]
	v_pk_add_f32 v[2:3], v[2:3], v[22:23]
	v_mov_b32_e32 v7, v5
	s_waitcnt vmcnt(2) lgkmcnt(1)
	v_pk_mul_f32 v[4:5], v[10:11], v[30:31] op_sel:[1,1] op_sel_hi:[0,1]
	v_pk_add_f32 v[2:3], v[2:3], v[6:7]
	v_pk_fma_f32 v[6:7], v[10:11], v[30:31], v[4:5] neg_lo:[0,0,1] neg_hi:[0,0,1]
	v_pk_fma_f32 v[4:5], v[10:11], v[30:31], v[4:5] op_sel_hi:[1,0,1]
	s_nop 0
	v_mov_b32_e32 v4, v33
	v_mov_b32_e32 v7, v5
	v_pk_mul_f32 v[4:5], v[12:13], v[4:5] op_sel:[1,0] op_sel_hi:[0,0]
	v_pk_add_f32 v[2:3], v[2:3], v[6:7]
	v_pk_fma_f32 v[6:7], v[12:13], v[32:33], v[4:5] neg_lo:[0,0,1] neg_hi:[0,0,1]
	v_pk_fma_f32 v[4:5], v[12:13], v[32:33], v[4:5] op_sel_hi:[1,0,1]
	s_nop 0
	v_mov_b32_e32 v7, v5
	s_waitcnt vmcnt(1) lgkmcnt(0)
	v_pk_mul_f32 v[4:5], v[18:19], v[14:15] op_sel:[1,1] op_sel_hi:[0,1]
	v_pk_add_f32 v[2:3], v[2:3], v[6:7]
	v_pk_fma_f32 v[6:7], v[18:19], v[14:15], v[4:5] neg_lo:[0,0,1] neg_hi:[0,0,1]
	v_pk_fma_f32 v[4:5], v[18:19], v[14:15], v[4:5] op_sel_hi:[1,0,1]
	s_nop 0
	v_mov_b32_e32 v4, v17
	v_mov_b32_e32 v7, v5
	v_pk_mul_f32 v[4:5], v[20:21], v[4:5] op_sel:[1,0] op_sel_hi:[0,0]
	v_pk_add_f32 v[2:3], v[2:3], v[6:7]
	v_pk_fma_f32 v[6:7], v[20:21], v[16:17], v[4:5] neg_lo:[0,0,1] neg_hi:[0,0,1]
	v_pk_fma_f32 v[4:5], v[20:21], v[16:17], v[4:5] op_sel_hi:[1,0,1]
	s_nop 0
	v_mov_b32_e32 v7, v5
	v_pk_add_f32 v[2:3], v[2:3], v[6:7]
	s_waitcnt vmcnt(0)
	v_pk_add_f32 v[2:3], v[100:101], v[2:3] neg_lo:[0,1] neg_hi:[0,1]
	scratch_store_dwordx2 off, v[2:3], off offset:40
	s_and_saveexec_b64 s[0:1], vcc
	s_cbranch_execz .LBB33_209
; %bb.208:
	scratch_load_dwordx2 v[2:3], off, off offset:32
	v_mov_b32_e32 v4, 0
	v_mov_b32_e32 v5, v4
	scratch_store_dwordx2 off, v[4:5], off offset:32
	s_waitcnt vmcnt(1)
	ds_write_b64 v1, v[2:3]
.LBB33_209:
	s_or_b64 exec, exec, s[0:1]
	s_waitcnt lgkmcnt(0)
	; wave barrier
	scratch_load_dwordx4 v[18:21], off, off offset:40
	scratch_load_dwordx4 v[2:5], off, off offset:56
	;; [unrolled: 1-line block ×14, first 2 shown]
	scratch_load_dwordx2 v[58:59], off, off offset:264
	scratch_load_dwordx2 v[100:101], off, off offset:32
	v_mov_b32_e32 v102, 0
	ds_read2_b64 v[60:63], v102 offset0:39 offset1:40
	ds_read2_b64 v[64:67], v102 offset0:41 offset1:42
	;; [unrolled: 1-line block ×12, first 2 shown]
	v_cmp_lt_u32_e32 vcc, 3, v0
	s_waitcnt vmcnt(15) lgkmcnt(11)
	v_mul_f32_e32 v103, v60, v19
	v_mul_f32_e32 v112, v62, v21
	s_waitcnt vmcnt(14) lgkmcnt(10)
	v_mul_f32_e32 v182, v64, v3
	v_mul_f32_e32 v3, v65, v3
	v_fmac_f32_e32 v103, v61, v18
	v_fmac_f32_e32 v112, v63, v20
	;; [unrolled: 1-line block ×3, first 2 shown]
	v_fma_f32 v2, v64, v2, -v3
	v_add_f32_e32 v3, 0, v103
	v_mul_f32_e32 v184, v66, v5
	v_add_f32_e32 v3, v3, v112
	s_waitcnt vmcnt(13) lgkmcnt(9)
	v_mul_f32_e32 v185, v68, v7
	v_fmac_f32_e32 v184, v67, v4
	v_add_f32_e32 v3, v3, v182
	v_mul_f32_e32 v186, v70, v9
	v_fmac_f32_e32 v185, v69, v6
	v_add_f32_e32 v3, v3, v184
	s_waitcnt vmcnt(12) lgkmcnt(8)
	v_mul_f32_e32 v187, v72, v11
	v_fmac_f32_e32 v186, v71, v8
	v_add_f32_e32 v3, v3, v185
	v_mul_f32_e32 v188, v74, v13
	v_fmac_f32_e32 v187, v73, v10
	;; [unrolled: 7-line block ×6, first 2 shown]
	v_add_f32_e32 v3, v3, v194
	s_waitcnt vmcnt(7) lgkmcnt(3)
	v_mul_f32_e32 v197, v92, v43
	v_fmac_f32_e32 v196, v91, v40
	v_add_f32_e32 v3, v3, v195
	v_mul_f32_e32 v198, v94, v45
	v_mul_f32_e32 v19, v61, v19
	v_fmac_f32_e32 v197, v93, v42
	v_add_f32_e32 v3, v3, v196
	s_waitcnt vmcnt(6) lgkmcnt(2)
	v_mul_f32_e32 v199, v96, v51
	v_mul_f32_e32 v21, v63, v21
	v_fmac_f32_e32 v198, v95, v44
	v_fma_f32 v18, v60, v18, -v19
	v_add_f32_e32 v3, v3, v197
	v_fmac_f32_e32 v199, v97, v50
	v_fma_f32 v19, v62, v20, -v21
	v_add_f32_e32 v18, 0, v18
	v_add_f32_e32 v3, v3, v198
	v_add_f32_e32 v18, v18, v19
	v_add_f32_e32 v19, v3, v199
	v_mul_f32_e32 v3, v67, v5
	v_add_f32_e32 v2, v18, v2
	v_fma_f32 v3, v66, v4, -v3
	v_add_f32_e32 v2, v2, v3
	v_mul_f32_e32 v3, v69, v7
	v_fma_f32 v3, v68, v6, -v3
	v_add_f32_e32 v2, v2, v3
	v_mul_f32_e32 v3, v71, v9
	;; [unrolled: 3-line block ×15, first 2 shown]
	v_fma_f32 v3, v96, v50, -v3
	v_mul_f32_e32 v113, v98, v53
	v_add_f32_e32 v18, v2, v3
	v_mul_f32_e32 v2, v99, v53
	s_waitcnt vmcnt(5)
	v_mov_b32_e32 v14, v57
	s_waitcnt lgkmcnt(1)
	v_mul_f32_e32 v183, v104, v55
	v_fmac_f32_e32 v113, v99, v52
	v_fma_f32 v112, v98, v52, -v2
	v_mul_f32_e32 v2, v105, v55
	v_pk_mul_f32 v[14:15], v[106:107], v[14:15] op_sel:[1,0] op_sel_hi:[0,0]
	v_fmac_f32_e32 v183, v105, v54
	v_fma_f32 v182, v104, v54, -v2
	v_pk_add_f32 v[12:13], v[18:19], v[112:113]
	v_pk_fma_f32 v[16:17], v[106:107], v[56:57], v[14:15] neg_lo:[0,0,1] neg_hi:[0,0,1]
	v_pk_fma_f32 v[14:15], v[106:107], v[56:57], v[14:15] op_sel_hi:[1,0,1]
	v_pk_add_f32 v[12:13], v[12:13], v[182:183]
	v_mov_b32_e32 v17, v15
	s_waitcnt vmcnt(4) lgkmcnt(0)
	v_pk_mul_f32 v[14:15], v[108:109], v[46:47] op_sel:[1,1] op_sel_hi:[0,1]
	v_pk_add_f32 v[12:13], v[12:13], v[16:17]
	v_pk_fma_f32 v[16:17], v[108:109], v[46:47], v[14:15] neg_lo:[0,0,1] neg_hi:[0,0,1]
	v_pk_fma_f32 v[14:15], v[108:109], v[46:47], v[14:15] op_sel_hi:[1,0,1]
	ds_read2_b64 v[2:5], v102 offset0:63 offset1:64
	ds_read2_b64 v[6:9], v102 offset0:65 offset1:66
	ds_read_b64 v[10:11], v102 offset:536
	v_mov_b32_e32 v14, v49
	v_mov_b32_e32 v17, v15
	v_pk_mul_f32 v[14:15], v[110:111], v[14:15] op_sel:[1,0] op_sel_hi:[0,0]
	v_pk_add_f32 v[12:13], v[12:13], v[16:17]
	v_pk_fma_f32 v[16:17], v[110:111], v[48:49], v[14:15] neg_lo:[0,0,1] neg_hi:[0,0,1]
	v_pk_fma_f32 v[14:15], v[110:111], v[48:49], v[14:15] op_sel_hi:[1,0,1]
	s_nop 0
	v_mov_b32_e32 v17, v15
	s_waitcnt vmcnt(3) lgkmcnt(2)
	v_pk_mul_f32 v[14:15], v[2:3], v[34:35] op_sel:[1,1] op_sel_hi:[0,1]
	v_pk_add_f32 v[12:13], v[12:13], v[16:17]
	v_pk_fma_f32 v[16:17], v[2:3], v[34:35], v[14:15] neg_lo:[0,0,1] neg_hi:[0,0,1]
	v_pk_fma_f32 v[2:3], v[2:3], v[34:35], v[14:15] op_sel_hi:[1,0,1]
	s_nop 0
	v_mov_b32_e32 v17, v3
	v_pk_add_f32 v[2:3], v[12:13], v[16:17]
	v_mov_b32_e32 v12, v37
	v_pk_mul_f32 v[12:13], v[4:5], v[12:13] op_sel:[1,0] op_sel_hi:[0,0]
	v_pk_fma_f32 v[14:15], v[4:5], v[36:37], v[12:13] neg_lo:[0,0,1] neg_hi:[0,0,1]
	v_pk_fma_f32 v[4:5], v[4:5], v[36:37], v[12:13] op_sel_hi:[1,0,1]
	s_nop 0
	v_mov_b32_e32 v15, v5
	s_waitcnt vmcnt(2) lgkmcnt(1)
	v_pk_mul_f32 v[4:5], v[6:7], v[22:23] op_sel:[1,1] op_sel_hi:[0,1]
	v_pk_fma_f32 v[12:13], v[6:7], v[22:23], v[4:5] neg_lo:[0,0,1] neg_hi:[0,0,1]
	v_pk_fma_f32 v[4:5], v[6:7], v[22:23], v[4:5] op_sel_hi:[1,0,1]
	v_pk_add_f32 v[2:3], v[2:3], v[14:15]
	v_mov_b32_e32 v4, v25
	v_mov_b32_e32 v13, v5
	v_pk_mul_f32 v[4:5], v[8:9], v[4:5] op_sel:[1,0] op_sel_hi:[0,0]
	v_pk_fma_f32 v[6:7], v[8:9], v[24:25], v[4:5] neg_lo:[0,0,1] neg_hi:[0,0,1]
	v_pk_fma_f32 v[4:5], v[8:9], v[24:25], v[4:5] op_sel_hi:[1,0,1]
	v_pk_add_f32 v[2:3], v[2:3], v[12:13]
	v_mov_b32_e32 v7, v5
	s_waitcnt vmcnt(1) lgkmcnt(0)
	v_pk_mul_f32 v[4:5], v[10:11], v[58:59] op_sel:[1,1] op_sel_hi:[0,1]
	v_pk_add_f32 v[2:3], v[2:3], v[6:7]
	v_pk_fma_f32 v[6:7], v[10:11], v[58:59], v[4:5] neg_lo:[0,0,1] neg_hi:[0,0,1]
	v_pk_fma_f32 v[4:5], v[10:11], v[58:59], v[4:5] op_sel_hi:[1,0,1]
	s_nop 0
	v_mov_b32_e32 v7, v5
	v_pk_add_f32 v[2:3], v[2:3], v[6:7]
	s_waitcnt vmcnt(0)
	v_pk_add_f32 v[2:3], v[100:101], v[2:3] neg_lo:[0,1] neg_hi:[0,1]
	scratch_store_dwordx2 off, v[2:3], off offset:32
	s_and_saveexec_b64 s[0:1], vcc
	s_cbranch_execz .LBB33_211
; %bb.210:
	scratch_load_dwordx2 v[2:3], off, off offset:24
	v_mov_b32_e32 v103, v102
	scratch_store_dwordx2 off, v[102:103], off offset:24
	s_waitcnt vmcnt(1)
	ds_write_b64 v1, v[2:3]
.LBB33_211:
	s_or_b64 exec, exec, s[0:1]
	s_waitcnt lgkmcnt(0)
	; wave barrier
	scratch_load_dwordx4 v[22:25], off, off offset:32
	scratch_load_dwordx4 v[2:5], off, off offset:48
	;; [unrolled: 1-line block ×11, first 2 shown]
	ds_read_b128 v[104:107], v102 offset:304
	ds_read_b128 v[98:101], v102 offset:320
	;; [unrolled: 1-line block ×10, first 2 shown]
	scratch_load_dwordx4 v[58:61], off, off offset:208
	scratch_load_dwordx4 v[50:53], off, off offset:224
	;; [unrolled: 1-line block ×4, first 2 shown]
	ds_read_b128 v[78:81], v102 offset:464
	ds_read_b128 v[108:111], v102 offset:480
	scratch_load_dwordx2 v[112:113], off, off offset:24
	v_cmp_lt_u32_e32 vcc, 2, v0
	s_waitcnt vmcnt(15) lgkmcnt(11)
	v_mul_f32_e32 v103, v104, v23
	v_mul_f32_e32 v182, v106, v25
	s_waitcnt vmcnt(14) lgkmcnt(10)
	v_mul_f32_e32 v184, v98, v3
	v_mul_f32_e32 v3, v99, v3
	v_fmac_f32_e32 v103, v105, v22
	v_fmac_f32_e32 v182, v107, v24
	;; [unrolled: 1-line block ×3, first 2 shown]
	v_fma_f32 v2, v98, v2, -v3
	v_add_f32_e32 v3, 0, v103
	v_mul_f32_e32 v186, v100, v5
	v_add_f32_e32 v3, v3, v182
	s_waitcnt vmcnt(13) lgkmcnt(9)
	v_mul_f32_e32 v187, v94, v7
	v_fmac_f32_e32 v186, v101, v4
	v_add_f32_e32 v3, v3, v184
	v_mul_f32_e32 v188, v96, v9
	v_fmac_f32_e32 v187, v95, v6
	v_add_f32_e32 v3, v3, v186
	s_waitcnt vmcnt(12) lgkmcnt(8)
	v_mul_f32_e32 v189, v90, v11
	v_fmac_f32_e32 v188, v97, v8
	v_add_f32_e32 v3, v3, v187
	v_mul_f32_e32 v190, v92, v13
	v_fmac_f32_e32 v189, v91, v10
	;; [unrolled: 7-line block ×7, first 2 shown]
	v_add_f32_e32 v3, v3, v198
	s_waitcnt vmcnt(6) lgkmcnt(2)
	v_mul_f32_e32 v201, v62, v47
	v_mul_f32_e32 v23, v105, v23
	v_fmac_f32_e32 v200, v69, v44
	v_add_f32_e32 v3, v3, v199
	v_mul_f32_e32 v202, v64, v49
	v_mul_f32_e32 v25, v107, v25
	v_fmac_f32_e32 v201, v63, v46
	v_fma_f32 v22, v104, v22, -v23
	v_add_f32_e32 v3, v3, v200
	v_fmac_f32_e32 v202, v65, v48
	v_fma_f32 v23, v106, v24, -v25
	v_add_f32_e32 v22, 0, v22
	v_add_f32_e32 v3, v3, v201
	;; [unrolled: 1-line block ×4, first 2 shown]
	v_mul_f32_e32 v3, v101, v5
	v_add_f32_e32 v2, v22, v2
	v_fma_f32 v3, v100, v4, -v3
	v_add_f32_e32 v2, v2, v3
	v_mul_f32_e32 v3, v95, v7
	v_fma_f32 v3, v94, v6, -v3
	v_add_f32_e32 v2, v2, v3
	v_mul_f32_e32 v3, v97, v9
	;; [unrolled: 3-line block ×16, first 2 shown]
	v_fma_f32 v3, v64, v48, -v3
	s_waitcnt vmcnt(5) lgkmcnt(1)
	v_mul_f32_e32 v183, v78, v55
	v_add_f32_e32 v22, v2, v3
	v_mul_f32_e32 v2, v79, v55
	s_waitcnt vmcnt(4) lgkmcnt(0)
	v_pk_mul_f32 v[16:17], v[108:109], v[58:59] op_sel:[1,1] op_sel_hi:[0,1]
	v_mul_f32_e32 v185, v80, v57
	v_fmac_f32_e32 v183, v79, v54
	v_fma_f32 v182, v78, v54, -v2
	v_mul_f32_e32 v2, v81, v57
	v_pk_fma_f32 v[18:19], v[108:109], v[58:59], v[16:17] neg_lo:[0,0,1] neg_hi:[0,0,1]
	v_pk_fma_f32 v[16:17], v[108:109], v[58:59], v[16:17] op_sel_hi:[1,0,1]
	v_fmac_f32_e32 v185, v81, v56
	v_fma_f32 v184, v80, v56, -v2
	ds_read_b128 v[2:5], v102 offset:496
	ds_read_b128 v[6:9], v102 offset:512
	;; [unrolled: 1-line block ×3, first 2 shown]
	v_pk_add_f32 v[14:15], v[22:23], v[182:183]
	v_mov_b32_e32 v16, v61
	v_pk_add_f32 v[14:15], v[14:15], v[184:185]
	v_mov_b32_e32 v19, v17
	v_pk_mul_f32 v[16:17], v[110:111], v[16:17] op_sel:[1,0] op_sel_hi:[0,0]
	v_pk_add_f32 v[14:15], v[14:15], v[18:19]
	v_pk_fma_f32 v[18:19], v[110:111], v[60:61], v[16:17] neg_lo:[0,0,1] neg_hi:[0,0,1]
	v_pk_fma_f32 v[16:17], v[110:111], v[60:61], v[16:17] op_sel_hi:[1,0,1]
	s_nop 0
	v_mov_b32_e32 v19, v17
	s_waitcnt vmcnt(3) lgkmcnt(2)
	v_pk_mul_f32 v[16:17], v[2:3], v[50:51] op_sel:[1,1] op_sel_hi:[0,1]
	v_pk_add_f32 v[14:15], v[14:15], v[18:19]
	v_pk_fma_f32 v[18:19], v[2:3], v[50:51], v[16:17] neg_lo:[0,0,1] neg_hi:[0,0,1]
	v_pk_fma_f32 v[2:3], v[2:3], v[50:51], v[16:17] op_sel_hi:[1,0,1]
	s_nop 0
	v_mov_b32_e32 v19, v3
	v_pk_add_f32 v[2:3], v[14:15], v[18:19]
	v_mov_b32_e32 v14, v53
	v_pk_mul_f32 v[14:15], v[4:5], v[14:15] op_sel:[1,0] op_sel_hi:[0,0]
	v_pk_fma_f32 v[16:17], v[4:5], v[52:53], v[14:15] neg_lo:[0,0,1] neg_hi:[0,0,1]
	v_pk_fma_f32 v[4:5], v[4:5], v[52:53], v[14:15] op_sel_hi:[1,0,1]
	s_nop 0
	v_mov_b32_e32 v17, v5
	s_waitcnt vmcnt(2) lgkmcnt(1)
	v_pk_mul_f32 v[4:5], v[6:7], v[38:39] op_sel:[1,1] op_sel_hi:[0,1]
	v_pk_fma_f32 v[14:15], v[6:7], v[38:39], v[4:5] neg_lo:[0,0,1] neg_hi:[0,0,1]
	v_pk_fma_f32 v[4:5], v[6:7], v[38:39], v[4:5] op_sel_hi:[1,0,1]
	v_pk_add_f32 v[2:3], v[2:3], v[16:17]
	v_mov_b32_e32 v4, v41
	v_mov_b32_e32 v15, v5
	v_pk_mul_f32 v[4:5], v[8:9], v[4:5] op_sel:[1,0] op_sel_hi:[0,0]
	v_pk_fma_f32 v[6:7], v[8:9], v[40:41], v[4:5] neg_lo:[0,0,1] neg_hi:[0,0,1]
	v_pk_fma_f32 v[4:5], v[8:9], v[40:41], v[4:5] op_sel_hi:[1,0,1]
	v_pk_add_f32 v[2:3], v[2:3], v[14:15]
	v_mov_b32_e32 v7, v5
	s_waitcnt vmcnt(1) lgkmcnt(0)
	v_pk_mul_f32 v[4:5], v[10:11], v[26:27] op_sel:[1,1] op_sel_hi:[0,1]
	v_pk_add_f32 v[2:3], v[2:3], v[6:7]
	v_pk_fma_f32 v[6:7], v[10:11], v[26:27], v[4:5] neg_lo:[0,0,1] neg_hi:[0,0,1]
	v_pk_fma_f32 v[4:5], v[10:11], v[26:27], v[4:5] op_sel_hi:[1,0,1]
	s_nop 0
	v_mov_b32_e32 v4, v29
	v_mov_b32_e32 v7, v5
	v_pk_mul_f32 v[4:5], v[12:13], v[4:5] op_sel:[1,0] op_sel_hi:[0,0]
	v_pk_add_f32 v[2:3], v[2:3], v[6:7]
	v_pk_fma_f32 v[6:7], v[12:13], v[28:29], v[4:5] neg_lo:[0,0,1] neg_hi:[0,0,1]
	v_pk_fma_f32 v[4:5], v[12:13], v[28:29], v[4:5] op_sel_hi:[1,0,1]
	s_nop 0
	v_mov_b32_e32 v7, v5
	v_pk_add_f32 v[2:3], v[2:3], v[6:7]
	s_waitcnt vmcnt(0)
	v_pk_add_f32 v[2:3], v[112:113], v[2:3] neg_lo:[0,1] neg_hi:[0,1]
	scratch_store_dwordx2 off, v[2:3], off offset:24
	s_and_saveexec_b64 s[0:1], vcc
	s_cbranch_execz .LBB33_213
; %bb.212:
	scratch_load_dwordx2 v[2:3], off, off offset:16
	v_mov_b32_e32 v4, 0
	v_mov_b32_e32 v5, v4
	scratch_store_dwordx2 off, v[4:5], off offset:16
	s_waitcnt vmcnt(1)
	ds_write_b64 v1, v[2:3]
.LBB33_213:
	s_or_b64 exec, exec, s[0:1]
	s_waitcnt lgkmcnt(0)
	; wave barrier
	scratch_load_dwordx4 v[2:5], off, off offset:24
	scratch_load_dwordx4 v[6:9], off, off offset:40
	scratch_load_dwordx4 v[10:13], off, off offset:56
	scratch_load_dwordx4 v[14:17], off, off offset:72
	scratch_load_dwordx4 v[18:21], off, off offset:88
	scratch_load_dwordx4 v[22:25], off, off offset:104
	scratch_load_dwordx4 v[30:33], off, off offset:120
	scratch_load_dwordx4 v[34:37], off, off offset:136
	scratch_load_dwordx4 v[42:45], off, off offset:152
	scratch_load_dwordx4 v[46:49], off, off offset:168
	scratch_load_dwordx4 v[58:61], off, off offset:184
	scratch_load_dwordx4 v[54:57], off, off offset:200
	scratch_load_dwordx4 v[50:53], off, off offset:216
	scratch_load_dwordx4 v[38:41], off, off offset:232
	scratch_load_dwordx4 v[26:29], off, off offset:248
	scratch_load_dwordx2 v[62:63], off, off offset:264
	scratch_load_dwordx2 v[112:113], off, off offset:16
	v_mov_b32_e32 v182, 0
	ds_read2_b64 v[64:67], v182 offset0:37 offset1:38
	ds_read2_b64 v[68:71], v182 offset0:39 offset1:40
	;; [unrolled: 1-line block ×12, first 2 shown]
	v_cmp_lt_u32_e32 vcc, 1, v0
	s_waitcnt vmcnt(16) lgkmcnt(11)
	v_mul_f32_e32 v183, v64, v3
	v_mul_f32_e32 v184, v66, v5
	;; [unrolled: 1-line block ×3, first 2 shown]
	v_fmac_f32_e32 v183, v65, v2
	s_waitcnt vmcnt(15) lgkmcnt(10)
	v_mul_f32_e32 v186, v68, v7
	v_fmac_f32_e32 v184, v67, v4
	v_fma_f32 v2, v64, v2, -v3
	v_add_f32_e32 v3, 0, v183
	v_mul_f32_e32 v188, v70, v9
	v_fmac_f32_e32 v186, v69, v6
	v_add_f32_e32 v3, v3, v184
	s_waitcnt vmcnt(14) lgkmcnt(9)
	v_mul_f32_e32 v189, v72, v11
	v_fmac_f32_e32 v188, v71, v8
	v_add_f32_e32 v3, v3, v186
	v_mul_f32_e32 v190, v74, v13
	v_fmac_f32_e32 v189, v73, v10
	v_add_f32_e32 v3, v3, v188
	s_waitcnt vmcnt(13) lgkmcnt(8)
	v_mul_f32_e32 v191, v76, v15
	v_fmac_f32_e32 v190, v75, v12
	;; [unrolled: 7-line block ×9, first 2 shown]
	v_add_f32_e32 v3, v3, v203
	v_mul_f32_e32 v5, v67, v5
	v_fmac_f32_e32 v205, v105, v58
	v_add_f32_e32 v3, v3, v204
	v_add_f32_e32 v2, 0, v2
	;; [unrolled: 1-line block ×3, first 2 shown]
	v_fma_f32 v3, v66, v4, -v5
	v_add_f32_e32 v2, v2, v3
	v_mul_f32_e32 v3, v69, v7
	v_fma_f32 v3, v68, v6, -v3
	v_add_f32_e32 v2, v2, v3
	v_mul_f32_e32 v3, v71, v9
	;; [unrolled: 3-line block ×20, first 2 shown]
	v_mul_f32_e32 v185, v106, v61
	v_fma_f32 v184, v106, v60, -v2
	s_waitcnt vmcnt(5) lgkmcnt(0)
	v_mul_f32_e32 v2, v109, v55
	v_mov_b32_e32 v18, v57
	v_mul_f32_e32 v187, v108, v55
	v_fmac_f32_e32 v185, v107, v60
	v_fma_f32 v186, v108, v54, -v2
	ds_read2_b64 v[2:5], v182 offset0:61 offset1:62
	ds_read2_b64 v[6:9], v182 offset0:63 offset1:64
	;; [unrolled: 1-line block ×3, first 2 shown]
	ds_read_b64 v[14:15], v182 offset:536
	v_pk_mul_f32 v[18:19], v[110:111], v[18:19] op_sel:[1,0] op_sel_hi:[0,0]
	v_fmac_f32_e32 v187, v109, v54
	v_pk_add_f32 v[16:17], v[64:65], v[184:185]
	v_pk_fma_f32 v[20:21], v[110:111], v[56:57], v[18:19] neg_lo:[0,0,1] neg_hi:[0,0,1]
	v_pk_fma_f32 v[18:19], v[110:111], v[56:57], v[18:19] op_sel_hi:[1,0,1]
	v_pk_add_f32 v[16:17], v[16:17], v[186:187]
	v_mov_b32_e32 v21, v19
	s_waitcnt vmcnt(4) lgkmcnt(3)
	v_pk_mul_f32 v[18:19], v[2:3], v[50:51] op_sel:[1,1] op_sel_hi:[0,1]
	v_pk_add_f32 v[16:17], v[16:17], v[20:21]
	v_pk_fma_f32 v[20:21], v[2:3], v[50:51], v[18:19] neg_lo:[0,0,1] neg_hi:[0,0,1]
	v_pk_fma_f32 v[2:3], v[2:3], v[50:51], v[18:19] op_sel_hi:[1,0,1]
	s_nop 0
	v_mov_b32_e32 v21, v3
	v_pk_add_f32 v[2:3], v[16:17], v[20:21]
	v_mov_b32_e32 v16, v53
	v_pk_mul_f32 v[16:17], v[4:5], v[16:17] op_sel:[1,0] op_sel_hi:[0,0]
	v_pk_fma_f32 v[18:19], v[4:5], v[52:53], v[16:17] neg_lo:[0,0,1] neg_hi:[0,0,1]
	v_pk_fma_f32 v[4:5], v[4:5], v[52:53], v[16:17] op_sel_hi:[1,0,1]
	s_nop 0
	v_mov_b32_e32 v19, v5
	s_waitcnt vmcnt(3) lgkmcnt(2)
	v_pk_mul_f32 v[4:5], v[6:7], v[38:39] op_sel:[1,1] op_sel_hi:[0,1]
	v_pk_fma_f32 v[16:17], v[6:7], v[38:39], v[4:5] neg_lo:[0,0,1] neg_hi:[0,0,1]
	v_pk_fma_f32 v[4:5], v[6:7], v[38:39], v[4:5] op_sel_hi:[1,0,1]
	v_pk_add_f32 v[2:3], v[2:3], v[18:19]
	v_mov_b32_e32 v4, v41
	v_mov_b32_e32 v17, v5
	v_pk_mul_f32 v[4:5], v[8:9], v[4:5] op_sel:[1,0] op_sel_hi:[0,0]
	v_pk_fma_f32 v[6:7], v[8:9], v[40:41], v[4:5] neg_lo:[0,0,1] neg_hi:[0,0,1]
	v_pk_fma_f32 v[4:5], v[8:9], v[40:41], v[4:5] op_sel_hi:[1,0,1]
	v_pk_add_f32 v[2:3], v[2:3], v[16:17]
	v_mov_b32_e32 v7, v5
	s_waitcnt vmcnt(2) lgkmcnt(1)
	v_pk_mul_f32 v[4:5], v[10:11], v[26:27] op_sel:[1,1] op_sel_hi:[0,1]
	v_pk_add_f32 v[2:3], v[2:3], v[6:7]
	v_pk_fma_f32 v[6:7], v[10:11], v[26:27], v[4:5] neg_lo:[0,0,1] neg_hi:[0,0,1]
	v_pk_fma_f32 v[4:5], v[10:11], v[26:27], v[4:5] op_sel_hi:[1,0,1]
	s_nop 0
	v_mov_b32_e32 v4, v29
	v_mov_b32_e32 v7, v5
	v_pk_mul_f32 v[4:5], v[12:13], v[4:5] op_sel:[1,0] op_sel_hi:[0,0]
	v_pk_add_f32 v[2:3], v[2:3], v[6:7]
	v_pk_fma_f32 v[6:7], v[12:13], v[28:29], v[4:5] neg_lo:[0,0,1] neg_hi:[0,0,1]
	v_pk_fma_f32 v[4:5], v[12:13], v[28:29], v[4:5] op_sel_hi:[1,0,1]
	s_nop 0
	v_mov_b32_e32 v7, v5
	s_waitcnt vmcnt(1) lgkmcnt(0)
	v_pk_mul_f32 v[4:5], v[14:15], v[62:63] op_sel:[1,1] op_sel_hi:[0,1]
	v_pk_add_f32 v[2:3], v[2:3], v[6:7]
	v_pk_fma_f32 v[6:7], v[14:15], v[62:63], v[4:5] neg_lo:[0,0,1] neg_hi:[0,0,1]
	v_pk_fma_f32 v[4:5], v[14:15], v[62:63], v[4:5] op_sel_hi:[1,0,1]
	s_nop 0
	v_mov_b32_e32 v7, v5
	v_pk_add_f32 v[2:3], v[2:3], v[6:7]
	s_waitcnt vmcnt(0)
	v_pk_add_f32 v[2:3], v[112:113], v[2:3] neg_lo:[0,1] neg_hi:[0,1]
	scratch_store_dwordx2 off, v[2:3], off offset:16
	s_and_saveexec_b64 s[0:1], vcc
	s_cbranch_execz .LBB33_215
; %bb.214:
	scratch_load_dwordx2 v[2:3], off, off offset:8
	v_mov_b32_e32 v183, v182
	scratch_store_dwordx2 off, v[182:183], off offset:8
	s_waitcnt vmcnt(1)
	ds_write_b64 v1, v[2:3]
.LBB33_215:
	s_or_b64 exec, exec, s[0:1]
	s_waitcnt lgkmcnt(0)
	; wave barrier
	scratch_load_dwordx4 v[2:5], off, off offset:16
	scratch_load_dwordx4 v[6:9], off, off offset:32
	;; [unrolled: 1-line block ×12, first 2 shown]
	ds_read_b128 v[110:113], v182 offset:288
	ds_read_b128 v[106:109], v182 offset:304
	ds_read_b128 v[102:105], v182 offset:320
	ds_read_b128 v[98:101], v182 offset:336
	ds_read_b128 v[94:97], v182 offset:352
	ds_read_b128 v[90:93], v182 offset:368
	ds_read_b128 v[86:89], v182 offset:384
	ds_read_b128 v[82:85], v182 offset:400
	ds_read_b128 v[78:81], v182 offset:416
	ds_read_b128 v[74:77], v182 offset:432
	ds_read_b128 v[70:73], v182 offset:448
	ds_read_b128 v[66:69], v182 offset:464
	scratch_load_dwordx4 v[62:65], off, off offset:208
	scratch_load_dwordx4 v[54:57], off, off offset:224
	;; [unrolled: 1-line block ×4, first 2 shown]
	scratch_load_dwordx2 v[184:185], off, off offset:8
	v_cmp_ne_u32_e32 vcc, 0, v0
	s_waitcnt vmcnt(16) lgkmcnt(11)
	v_mul_f32_e32 v183, v110, v3
	v_mul_f32_e32 v186, v112, v5
	;; [unrolled: 1-line block ×3, first 2 shown]
	v_fmac_f32_e32 v183, v111, v2
	s_waitcnt vmcnt(15) lgkmcnt(10)
	v_mul_f32_e32 v188, v106, v7
	v_fmac_f32_e32 v186, v113, v4
	v_fma_f32 v2, v110, v2, -v3
	v_add_f32_e32 v3, 0, v183
	v_mul_f32_e32 v190, v108, v9
	v_fmac_f32_e32 v188, v107, v6
	v_add_f32_e32 v3, v3, v186
	s_waitcnt vmcnt(14) lgkmcnt(9)
	v_mul_f32_e32 v191, v102, v11
	v_fmac_f32_e32 v190, v109, v8
	v_add_f32_e32 v3, v3, v188
	v_mul_f32_e32 v192, v104, v13
	v_fmac_f32_e32 v191, v103, v10
	v_add_f32_e32 v3, v3, v190
	s_waitcnt vmcnt(13) lgkmcnt(8)
	v_mul_f32_e32 v193, v98, v15
	v_fmac_f32_e32 v192, v105, v12
	;; [unrolled: 7-line block ×9, first 2 shown]
	v_add_f32_e32 v3, v3, v205
	v_mul_f32_e32 v208, v72, v53
	v_fmac_f32_e32 v207, v71, v50
	v_add_f32_e32 v3, v3, v206
	v_fmac_f32_e32 v208, v73, v52
	v_add_f32_e32 v3, v3, v207
	v_add_f32_e32 v111, v3, v208
	v_mul_f32_e32 v3, v113, v5
	v_add_f32_e32 v2, 0, v2
	v_fma_f32 v3, v112, v4, -v3
	v_add_f32_e32 v2, v2, v3
	v_mul_f32_e32 v3, v107, v7
	v_fma_f32 v3, v106, v6, -v3
	v_add_f32_e32 v2, v2, v3
	v_mul_f32_e32 v3, v109, v9
	;; [unrolled: 3-line block ×20, first 2 shown]
	v_fma_f32 v3, v72, v52, -v3
	v_add_f32_e32 v110, v2, v3
	s_waitcnt vmcnt(5) lgkmcnt(0)
	v_mul_f32_e32 v2, v67, v59
	v_fma_f32 v186, v66, v58, -v2
	v_mul_f32_e32 v2, v69, v61
	v_fma_f32 v188, v68, v60, -v2
	ds_read_b128 v[2:5], v182 offset:480
	ds_read_b128 v[6:9], v182 offset:496
	;; [unrolled: 1-line block ×4, first 2 shown]
	v_mul_f32_e32 v187, v66, v59
	v_mul_f32_e32 v189, v68, v61
	v_fmac_f32_e32 v187, v67, v58
	s_waitcnt vmcnt(4) lgkmcnt(3)
	v_pk_mul_f32 v[20:21], v[2:3], v[62:63] op_sel:[1,1] op_sel_hi:[0,1]
	v_fmac_f32_e32 v189, v69, v60
	v_pk_add_f32 v[18:19], v[110:111], v[186:187]
	v_pk_fma_f32 v[22:23], v[2:3], v[62:63], v[20:21] neg_lo:[0,0,1] neg_hi:[0,0,1]
	v_pk_fma_f32 v[2:3], v[2:3], v[62:63], v[20:21] op_sel_hi:[1,0,1]
	v_pk_add_f32 v[18:19], v[18:19], v[188:189]
	v_mov_b32_e32 v23, v3
	v_pk_add_f32 v[2:3], v[18:19], v[22:23]
	v_mov_b32_e32 v18, v65
	v_pk_mul_f32 v[18:19], v[4:5], v[18:19] op_sel:[1,0] op_sel_hi:[0,0]
	v_pk_fma_f32 v[20:21], v[4:5], v[64:65], v[18:19] neg_lo:[0,0,1] neg_hi:[0,0,1]
	v_pk_fma_f32 v[4:5], v[4:5], v[64:65], v[18:19] op_sel_hi:[1,0,1]
	s_nop 0
	v_mov_b32_e32 v21, v5
	s_waitcnt vmcnt(3) lgkmcnt(2)
	v_pk_mul_f32 v[4:5], v[6:7], v[54:55] op_sel:[1,1] op_sel_hi:[0,1]
	v_pk_fma_f32 v[18:19], v[6:7], v[54:55], v[4:5] neg_lo:[0,0,1] neg_hi:[0,0,1]
	v_pk_fma_f32 v[4:5], v[6:7], v[54:55], v[4:5] op_sel_hi:[1,0,1]
	v_pk_add_f32 v[2:3], v[2:3], v[20:21]
	v_mov_b32_e32 v4, v57
	v_mov_b32_e32 v19, v5
	v_pk_mul_f32 v[4:5], v[8:9], v[4:5] op_sel:[1,0] op_sel_hi:[0,0]
	v_pk_fma_f32 v[6:7], v[8:9], v[56:57], v[4:5] neg_lo:[0,0,1] neg_hi:[0,0,1]
	v_pk_fma_f32 v[4:5], v[8:9], v[56:57], v[4:5] op_sel_hi:[1,0,1]
	v_pk_add_f32 v[2:3], v[2:3], v[18:19]
	v_mov_b32_e32 v7, v5
	s_waitcnt vmcnt(2) lgkmcnt(1)
	v_pk_mul_f32 v[4:5], v[10:11], v[42:43] op_sel:[1,1] op_sel_hi:[0,1]
	v_pk_add_f32 v[2:3], v[2:3], v[6:7]
	v_pk_fma_f32 v[6:7], v[10:11], v[42:43], v[4:5] neg_lo:[0,0,1] neg_hi:[0,0,1]
	v_pk_fma_f32 v[4:5], v[10:11], v[42:43], v[4:5] op_sel_hi:[1,0,1]
	s_nop 0
	v_mov_b32_e32 v4, v45
	v_mov_b32_e32 v7, v5
	v_pk_mul_f32 v[4:5], v[12:13], v[4:5] op_sel:[1,0] op_sel_hi:[0,0]
	v_pk_add_f32 v[2:3], v[2:3], v[6:7]
	v_pk_fma_f32 v[6:7], v[12:13], v[44:45], v[4:5] neg_lo:[0,0,1] neg_hi:[0,0,1]
	v_pk_fma_f32 v[4:5], v[12:13], v[44:45], v[4:5] op_sel_hi:[1,0,1]
	s_nop 0
	v_mov_b32_e32 v7, v5
	s_waitcnt vmcnt(1) lgkmcnt(0)
	v_pk_mul_f32 v[4:5], v[14:15], v[34:35] op_sel:[1,1] op_sel_hi:[0,1]
	v_pk_add_f32 v[2:3], v[2:3], v[6:7]
	v_pk_fma_f32 v[6:7], v[14:15], v[34:35], v[4:5] neg_lo:[0,0,1] neg_hi:[0,0,1]
	v_pk_fma_f32 v[4:5], v[14:15], v[34:35], v[4:5] op_sel_hi:[1,0,1]
	s_nop 0
	v_mov_b32_e32 v4, v37
	v_mov_b32_e32 v7, v5
	v_pk_mul_f32 v[4:5], v[16:17], v[4:5] op_sel:[1,0] op_sel_hi:[0,0]
	v_pk_add_f32 v[2:3], v[2:3], v[6:7]
	v_pk_fma_f32 v[6:7], v[16:17], v[36:37], v[4:5] neg_lo:[0,0,1] neg_hi:[0,0,1]
	v_pk_fma_f32 v[4:5], v[16:17], v[36:37], v[4:5] op_sel_hi:[1,0,1]
	s_nop 0
	v_mov_b32_e32 v7, v5
	v_pk_add_f32 v[2:3], v[2:3], v[6:7]
	s_waitcnt vmcnt(0)
	v_pk_add_f32 v[2:3], v[184:185], v[2:3] neg_lo:[0,1] neg_hi:[0,1]
	scratch_store_dwordx2 off, v[2:3], off offset:8
	s_and_saveexec_b64 s[0:1], vcc
	s_cbranch_execz .LBB33_217
; %bb.216:
	scratch_load_dwordx2 v[2:3], off, off
	v_mov_b32_e32 v4, 0
	v_mov_b32_e32 v5, v4
	scratch_store_dwordx2 off, v[4:5], off
	s_waitcnt vmcnt(1)
	ds_write_b64 v1, v[2:3]
.LBB33_217:
	s_or_b64 exec, exec, s[0:1]
	s_waitcnt lgkmcnt(0)
	; wave barrier
	scratch_load_dwordx4 v[0:3], off, off offset:8
	scratch_load_dwordx4 v[4:7], off, off offset:24
	;; [unrolled: 1-line block ×13, first 2 shown]
	v_mov_b32_e32 v52, 0
	scratch_load_dwordx2 v[190:191], off, off
	ds_read2_b64 v[54:57], v52 offset0:35 offset1:36
	ds_read2_b64 v[58:61], v52 offset0:37 offset1:38
	;; [unrolled: 1-line block ×14, first 2 shown]
	s_and_b64 vcc, exec, s[18:19]
	s_waitcnt vmcnt(13) lgkmcnt(13)
	v_mul_f32_e32 v53, v54, v1
	v_mul_f32_e32 v110, v56, v3
	v_fmac_f32_e32 v53, v55, v0
	s_waitcnt vmcnt(12) lgkmcnt(12)
	v_mul_f32_e32 v111, v58, v5
	v_fmac_f32_e32 v110, v57, v2
	v_add_f32_e32 v53, 0, v53
	v_mul_f32_e32 v112, v60, v7
	v_fmac_f32_e32 v111, v59, v4
	v_add_f32_e32 v53, v53, v110
	s_waitcnt vmcnt(11) lgkmcnt(11)
	v_mul_f32_e32 v113, v62, v9
	v_fmac_f32_e32 v112, v61, v6
	v_add_f32_e32 v53, v53, v111
	v_mul_f32_e32 v182, v64, v11
	v_fmac_f32_e32 v113, v63, v8
	v_add_f32_e32 v53, v53, v112
	;; [unrolled: 7-line block ×8, first 2 shown]
	s_waitcnt vmcnt(4) lgkmcnt(4)
	v_mul_f32_e32 v199, v90, v37
	v_fmac_f32_e32 v198, v89, v34
	v_add_f32_e32 v53, v53, v197
	v_fmac_f32_e32 v199, v91, v36
	v_add_f32_e32 v53, v53, v198
	v_add_f32_e32 v53, v53, v199
	scratch_load_dwordx4 v[110:113], off, off offset:216
	scratch_load_dwordx4 v[182:185], off, off offset:232
	;; [unrolled: 1-line block ×3, first 2 shown]
	scratch_load_dwordx2 v[198:199], off, off offset:264
	v_mul_f32_e32 v1, v55, v1
	v_fma_f32 v0, v54, v0, -v1
	v_mul_f32_e32 v1, v57, v3
	v_add_f32_e32 v0, 0, v0
	v_fma_f32 v1, v56, v2, -v1
	v_add_f32_e32 v0, v0, v1
	v_mul_f32_e32 v1, v59, v5
	v_fma_f32 v1, v58, v4, -v1
	v_add_f32_e32 v0, v0, v1
	v_mul_f32_e32 v1, v61, v7
	;; [unrolled: 3-line block ×18, first 2 shown]
	v_fma_f32 v1, v92, v38, -v1
	v_add_f32_e32 v0, v0, v1
	s_waitcnt vmcnt(7) lgkmcnt(3)
	v_mul_f32_e32 v1, v95, v41
	v_fma_f32 v1, v94, v40, -v1
	v_mul_f32_e32 v200, v92, v39
	v_add_f32_e32 v0, v0, v1
	v_mul_f32_e32 v1, v97, v43
	v_mul_f32_e32 v201, v94, v41
	v_fmac_f32_e32 v200, v93, v38
	v_fma_f32 v1, v96, v42, -v1
	v_mul_f32_e32 v202, v96, v43
	v_fmac_f32_e32 v201, v95, v40
	v_add_f32_e32 v53, v53, v200
	v_add_f32_e32 v0, v0, v1
	s_waitcnt vmcnt(6) lgkmcnt(2)
	v_mul_f32_e32 v1, v99, v45
	v_mul_f32_e32 v203, v98, v45
	v_fmac_f32_e32 v202, v97, v42
	v_add_f32_e32 v53, v53, v201
	v_fma_f32 v1, v98, v44, -v1
	v_mul_f32_e32 v193, v100, v47
	v_fmac_f32_e32 v203, v99, v44
	v_add_f32_e32 v53, v53, v202
	v_add_f32_e32 v196, v0, v1
	v_mul_f32_e32 v0, v101, v47
	s_waitcnt vmcnt(5)
	v_mov_b32_e32 v12, v51
	s_waitcnt lgkmcnt(1)
	v_mul_f32_e32 v195, v102, v49
	v_fmac_f32_e32 v193, v101, v46
	v_add_f32_e32 v197, v53, v203
	v_fma_f32 v192, v100, v46, -v0
	v_mul_f32_e32 v0, v103, v49
	v_pk_mul_f32 v[12:13], v[104:105], v[12:13] op_sel:[1,0] op_sel_hi:[0,0]
	v_fmac_f32_e32 v195, v103, v48
	v_fma_f32 v194, v102, v48, -v0
	v_pk_add_f32 v[10:11], v[196:197], v[192:193]
	v_pk_fma_f32 v[14:15], v[104:105], v[50:51], v[12:13] neg_lo:[0,0,1] neg_hi:[0,0,1]
	v_pk_fma_f32 v[12:13], v[104:105], v[50:51], v[12:13] op_sel_hi:[1,0,1]
	v_pk_add_f32 v[10:11], v[10:11], v[194:195]
	v_mov_b32_e32 v15, v13
	s_waitcnt vmcnt(3) lgkmcnt(0)
	v_pk_mul_f32 v[12:13], v[106:107], v[110:111] op_sel:[1,1] op_sel_hi:[0,1]
	v_pk_add_f32 v[10:11], v[10:11], v[14:15]
	v_pk_fma_f32 v[14:15], v[106:107], v[110:111], v[12:13] neg_lo:[0,0,1] neg_hi:[0,0,1]
	v_pk_fma_f32 v[12:13], v[106:107], v[110:111], v[12:13] op_sel_hi:[1,0,1]
	ds_read2_b64 v[0:3], v52 offset0:63 offset1:64
	ds_read2_b64 v[4:7], v52 offset0:65 offset1:66
	ds_read_b64 v[8:9], v52 offset:536
	v_mov_b32_e32 v12, v113
	v_mov_b32_e32 v15, v13
	v_pk_mul_f32 v[12:13], v[108:109], v[12:13] op_sel:[1,0] op_sel_hi:[0,0]
	v_pk_add_f32 v[10:11], v[10:11], v[14:15]
	v_pk_fma_f32 v[14:15], v[108:109], v[112:113], v[12:13] neg_lo:[0,0,1] neg_hi:[0,0,1]
	v_pk_fma_f32 v[12:13], v[108:109], v[112:113], v[12:13] op_sel_hi:[1,0,1]
	s_nop 0
	v_mov_b32_e32 v15, v13
	s_waitcnt vmcnt(2) lgkmcnt(2)
	v_pk_mul_f32 v[12:13], v[0:1], v[182:183] op_sel:[1,1] op_sel_hi:[0,1]
	v_pk_add_f32 v[10:11], v[10:11], v[14:15]
	v_pk_fma_f32 v[14:15], v[0:1], v[182:183], v[12:13] neg_lo:[0,0,1] neg_hi:[0,0,1]
	v_pk_fma_f32 v[0:1], v[0:1], v[182:183], v[12:13] op_sel_hi:[1,0,1]
	s_nop 0
	v_mov_b32_e32 v15, v1
	v_pk_add_f32 v[0:1], v[10:11], v[14:15]
	v_mov_b32_e32 v10, v185
	v_pk_mul_f32 v[10:11], v[2:3], v[10:11] op_sel:[1,0] op_sel_hi:[0,0]
	v_pk_fma_f32 v[12:13], v[2:3], v[184:185], v[10:11] neg_lo:[0,0,1] neg_hi:[0,0,1]
	v_pk_fma_f32 v[2:3], v[2:3], v[184:185], v[10:11] op_sel_hi:[1,0,1]
	s_nop 0
	v_mov_b32_e32 v13, v3
	s_waitcnt vmcnt(1) lgkmcnt(1)
	v_pk_mul_f32 v[2:3], v[4:5], v[186:187] op_sel:[1,1] op_sel_hi:[0,1]
	v_pk_fma_f32 v[10:11], v[4:5], v[186:187], v[2:3] neg_lo:[0,0,1] neg_hi:[0,0,1]
	v_pk_fma_f32 v[2:3], v[4:5], v[186:187], v[2:3] op_sel_hi:[1,0,1]
	v_pk_add_f32 v[0:1], v[0:1], v[12:13]
	v_mov_b32_e32 v2, v189
	v_mov_b32_e32 v11, v3
	v_pk_mul_f32 v[2:3], v[6:7], v[2:3] op_sel:[1,0] op_sel_hi:[0,0]
	v_pk_fma_f32 v[4:5], v[6:7], v[188:189], v[2:3] neg_lo:[0,0,1] neg_hi:[0,0,1]
	v_pk_fma_f32 v[2:3], v[6:7], v[188:189], v[2:3] op_sel_hi:[1,0,1]
	v_pk_add_f32 v[0:1], v[0:1], v[10:11]
	v_mov_b32_e32 v5, v3
	s_waitcnt vmcnt(0) lgkmcnt(0)
	v_pk_mul_f32 v[2:3], v[8:9], v[198:199] op_sel:[1,1] op_sel_hi:[0,1]
	v_pk_add_f32 v[0:1], v[0:1], v[4:5]
	v_pk_fma_f32 v[4:5], v[8:9], v[198:199], v[2:3] neg_lo:[0,0,1] neg_hi:[0,0,1]
	v_pk_fma_f32 v[2:3], v[8:9], v[198:199], v[2:3] op_sel_hi:[1,0,1]
	s_nop 0
	v_mov_b32_e32 v5, v3
	v_pk_add_f32 v[0:1], v[0:1], v[4:5]
	s_nop 0
	v_pk_add_f32 v[0:1], v[190:191], v[0:1] neg_lo:[0,1] neg_hi:[0,1]
	scratch_store_dwordx2 off, v[0:1], off
	s_cbranch_vccz .LBB33_284
; %bb.218:
	global_load_dword v0, v52, s[16:17] offset:128
	s_waitcnt vmcnt(0)
	v_readfirstlane_b32 s0, v0
	s_add_i32 s0, s0, -1
	s_cmp_lg_u32 s0, 32
	s_cbranch_scc0 .LBB33_220
; %bb.219:
	s_lshl_b32 s0, s0, 3
	s_nop 0
	scratch_load_dwordx2 v[0:1], off, s0
	scratch_load_dwordx2 v[2:3], off, off offset:256
	s_waitcnt vmcnt(1)
	scratch_store_dwordx2 off, v[0:1], off offset:256
	s_waitcnt vmcnt(1)
	scratch_store_dwordx2 off, v[2:3], s0
.LBB33_220:
	v_mov_b32_e32 v0, 0
	global_load_dword v1, v0, s[16:17] offset:124
	s_waitcnt vmcnt(0)
	v_readfirstlane_b32 s0, v1
	s_add_i32 s0, s0, -1
	s_cmp_eq_u32 s0, 31
	s_cbranch_scc1 .LBB33_222
; %bb.221:
	s_lshl_b32 s0, s0, 3
	s_nop 0
	scratch_load_dwordx2 v[2:3], off, s0
	scratch_load_dwordx2 v[4:5], off, off offset:248
	s_waitcnt vmcnt(1)
	scratch_store_dwordx2 off, v[2:3], off offset:248
	s_waitcnt vmcnt(1)
	scratch_store_dwordx2 off, v[4:5], s0
.LBB33_222:
	global_load_dword v0, v0, s[16:17] offset:120
	s_waitcnt vmcnt(0)
	v_readfirstlane_b32 s0, v0
	s_add_i32 s0, s0, -1
	s_cmp_eq_u32 s0, 30
	s_cbranch_scc1 .LBB33_224
; %bb.223:
	s_lshl_b32 s0, s0, 3
	s_nop 0
	scratch_load_dwordx2 v[0:1], off, s0
	scratch_load_dwordx2 v[2:3], off, off offset:240
	s_waitcnt vmcnt(1)
	scratch_store_dwordx2 off, v[0:1], off offset:240
	s_waitcnt vmcnt(1)
	scratch_store_dwordx2 off, v[2:3], s0
.LBB33_224:
	v_mov_b32_e32 v0, 0
	global_load_dword v1, v0, s[16:17] offset:116
	s_waitcnt vmcnt(0)
	v_readfirstlane_b32 s0, v1
	s_add_i32 s0, s0, -1
	s_cmp_eq_u32 s0, 29
	s_cbranch_scc1 .LBB33_226
; %bb.225:
	s_lshl_b32 s0, s0, 3
	s_nop 0
	scratch_load_dwordx2 v[2:3], off, s0
	scratch_load_dwordx2 v[4:5], off, off offset:232
	s_waitcnt vmcnt(1)
	scratch_store_dwordx2 off, v[2:3], off offset:232
	s_waitcnt vmcnt(1)
	scratch_store_dwordx2 off, v[4:5], s0
.LBB33_226:
	global_load_dword v0, v0, s[16:17] offset:112
	s_waitcnt vmcnt(0)
	v_readfirstlane_b32 s0, v0
	s_add_i32 s0, s0, -1
	s_cmp_eq_u32 s0, 28
	s_cbranch_scc1 .LBB33_228
; %bb.227:
	s_lshl_b32 s0, s0, 3
	s_nop 0
	scratch_load_dwordx2 v[0:1], off, s0
	scratch_load_dwordx2 v[2:3], off, off offset:224
	s_waitcnt vmcnt(1)
	scratch_store_dwordx2 off, v[0:1], off offset:224
	s_waitcnt vmcnt(1)
	scratch_store_dwordx2 off, v[2:3], s0
.LBB33_228:
	;; [unrolled: 33-line block ×15, first 2 shown]
	v_mov_b32_e32 v0, 0
	global_load_dword v1, v0, s[16:17] offset:4
	s_waitcnt vmcnt(0)
	v_readfirstlane_b32 s0, v1
	s_add_i32 s0, s0, -1
	s_cmp_eq_u32 s0, 1
	s_cbranch_scc1 .LBB33_282
; %bb.281:
	s_lshl_b32 s0, s0, 3
	s_nop 0
	scratch_load_dwordx2 v[2:3], off, s0
	scratch_load_dwordx2 v[4:5], off, off offset:8
	s_waitcnt vmcnt(1)
	scratch_store_dwordx2 off, v[2:3], off offset:8
	s_waitcnt vmcnt(1)
	scratch_store_dwordx2 off, v[4:5], s0
.LBB33_282:
	global_load_dword v2, v0, s[16:17]
	s_nop 0
	scratch_load_dwordx2 v[0:1], off, off
	s_waitcnt vmcnt(1)
	v_readfirstlane_b32 s0, v2
	s_add_i32 s0, s0, -1
	s_cmp_eq_u32 s0, 0
	s_cbranch_scc1 .LBB33_284
; %bb.283:
	s_lshl_b32 s0, s0, 3
	s_nop 0
	scratch_load_dwordx2 v[2:3], off, s0
	s_waitcnt vmcnt(0)
	scratch_store_dwordx2 off, v[2:3], off
	scratch_store_dwordx2 off, v[0:1], s0
	scratch_load_dwordx2 v[0:1], off, off
.LBB33_284:
	s_nop 0
	scratch_load_dwordx4 v[4:7], off, off offset:8
	scratch_load_dwordx4 v[8:11], off, off offset:24
	scratch_load_dwordx4 v[12:15], off, off offset:40
	scratch_load_dwordx4 v[16:19], off, off offset:56
	scratch_load_dwordx4 v[20:23], off, off offset:72
	scratch_load_dwordx4 v[24:27], off, off offset:88
	scratch_load_dwordx4 v[28:31], off, off offset:104
	scratch_load_dwordx4 v[32:35], off, off offset:120
	scratch_load_dwordx4 v[36:39], off, off offset:136
	scratch_load_dwordx4 v[40:43], off, off offset:152
	scratch_load_dwordx4 v[44:47], off, off offset:168
	scratch_load_dwordx4 v[48:51], off, off offset:184
	scratch_load_dwordx4 v[52:55], off, off offset:200
	scratch_load_dwordx4 v[56:59], off, off offset:216
	scratch_load_dwordx4 v[60:63], off, off offset:232
	scratch_load_dwordx4 v[64:67], off, off offset:248
	scratch_load_dwordx2 v[2:3], off, off offset:264
	s_waitcnt vmcnt(17)
	global_store_dwordx2 v[114:115], v[0:1], off
	s_waitcnt vmcnt(17)
	global_store_dwordx2 v[116:117], v[4:5], off
	global_store_dwordx2 v[118:119], v[6:7], off
	s_waitcnt vmcnt(18)
	global_store_dwordx2 v[120:121], v[8:9], off
	;; [unrolled: 3-line block ×17, first 2 shown]
	s_endpgm
	.section	.rodata,"a",@progbits
	.p2align	6, 0x0
	.amdhsa_kernel _ZN9rocsolver6v33100L18getri_kernel_smallILi34E19rocblas_complex_numIfEPS3_EEvT1_iilPiilS6_bb
		.amdhsa_group_segment_fixed_size 548
		.amdhsa_private_segment_fixed_size 288
		.amdhsa_kernarg_size 60
		.amdhsa_user_sgpr_count 2
		.amdhsa_user_sgpr_dispatch_ptr 0
		.amdhsa_user_sgpr_queue_ptr 0
		.amdhsa_user_sgpr_kernarg_segment_ptr 1
		.amdhsa_user_sgpr_dispatch_id 0
		.amdhsa_user_sgpr_kernarg_preload_length 0
		.amdhsa_user_sgpr_kernarg_preload_offset 0
		.amdhsa_user_sgpr_private_segment_size 0
		.amdhsa_uses_dynamic_stack 0
		.amdhsa_enable_private_segment 1
		.amdhsa_system_sgpr_workgroup_id_x 1
		.amdhsa_system_sgpr_workgroup_id_y 0
		.amdhsa_system_sgpr_workgroup_id_z 0
		.amdhsa_system_sgpr_workgroup_info 0
		.amdhsa_system_vgpr_workitem_id 0
		.amdhsa_next_free_vgpr 209
		.amdhsa_next_free_sgpr 20
		.amdhsa_accum_offset 212
		.amdhsa_reserve_vcc 1
		.amdhsa_float_round_mode_32 0
		.amdhsa_float_round_mode_16_64 0
		.amdhsa_float_denorm_mode_32 3
		.amdhsa_float_denorm_mode_16_64 3
		.amdhsa_dx10_clamp 1
		.amdhsa_ieee_mode 1
		.amdhsa_fp16_overflow 0
		.amdhsa_tg_split 0
		.amdhsa_exception_fp_ieee_invalid_op 0
		.amdhsa_exception_fp_denorm_src 0
		.amdhsa_exception_fp_ieee_div_zero 0
		.amdhsa_exception_fp_ieee_overflow 0
		.amdhsa_exception_fp_ieee_underflow 0
		.amdhsa_exception_fp_ieee_inexact 0
		.amdhsa_exception_int_div_zero 0
	.end_amdhsa_kernel
	.section	.text._ZN9rocsolver6v33100L18getri_kernel_smallILi34E19rocblas_complex_numIfEPS3_EEvT1_iilPiilS6_bb,"axG",@progbits,_ZN9rocsolver6v33100L18getri_kernel_smallILi34E19rocblas_complex_numIfEPS3_EEvT1_iilPiilS6_bb,comdat
.Lfunc_end33:
	.size	_ZN9rocsolver6v33100L18getri_kernel_smallILi34E19rocblas_complex_numIfEPS3_EEvT1_iilPiilS6_bb, .Lfunc_end33-_ZN9rocsolver6v33100L18getri_kernel_smallILi34E19rocblas_complex_numIfEPS3_EEvT1_iilPiilS6_bb
                                        ; -- End function
	.set _ZN9rocsolver6v33100L18getri_kernel_smallILi34E19rocblas_complex_numIfEPS3_EEvT1_iilPiilS6_bb.num_vgpr, 209
	.set _ZN9rocsolver6v33100L18getri_kernel_smallILi34E19rocblas_complex_numIfEPS3_EEvT1_iilPiilS6_bb.num_agpr, 0
	.set _ZN9rocsolver6v33100L18getri_kernel_smallILi34E19rocblas_complex_numIfEPS3_EEvT1_iilPiilS6_bb.numbered_sgpr, 20
	.set _ZN9rocsolver6v33100L18getri_kernel_smallILi34E19rocblas_complex_numIfEPS3_EEvT1_iilPiilS6_bb.num_named_barrier, 0
	.set _ZN9rocsolver6v33100L18getri_kernel_smallILi34E19rocblas_complex_numIfEPS3_EEvT1_iilPiilS6_bb.private_seg_size, 288
	.set _ZN9rocsolver6v33100L18getri_kernel_smallILi34E19rocblas_complex_numIfEPS3_EEvT1_iilPiilS6_bb.uses_vcc, 1
	.set _ZN9rocsolver6v33100L18getri_kernel_smallILi34E19rocblas_complex_numIfEPS3_EEvT1_iilPiilS6_bb.uses_flat_scratch, 0
	.set _ZN9rocsolver6v33100L18getri_kernel_smallILi34E19rocblas_complex_numIfEPS3_EEvT1_iilPiilS6_bb.has_dyn_sized_stack, 0
	.set _ZN9rocsolver6v33100L18getri_kernel_smallILi34E19rocblas_complex_numIfEPS3_EEvT1_iilPiilS6_bb.has_recursion, 0
	.set _ZN9rocsolver6v33100L18getri_kernel_smallILi34E19rocblas_complex_numIfEPS3_EEvT1_iilPiilS6_bb.has_indirect_call, 0
	.section	.AMDGPU.csdata,"",@progbits
; Kernel info:
; codeLenInByte = 39176
; TotalNumSgprs: 26
; NumVgprs: 209
; NumAgprs: 0
; TotalNumVgprs: 209
; ScratchSize: 288
; MemoryBound: 0
; FloatMode: 240
; IeeeMode: 1
; LDSByteSize: 548 bytes/workgroup (compile time only)
; SGPRBlocks: 3
; VGPRBlocks: 26
; NumSGPRsForWavesPerEU: 26
; NumVGPRsForWavesPerEU: 209
; AccumOffset: 212
; Occupancy: 2
; WaveLimiterHint : 1
; COMPUTE_PGM_RSRC2:SCRATCH_EN: 1
; COMPUTE_PGM_RSRC2:USER_SGPR: 2
; COMPUTE_PGM_RSRC2:TRAP_HANDLER: 0
; COMPUTE_PGM_RSRC2:TGID_X_EN: 1
; COMPUTE_PGM_RSRC2:TGID_Y_EN: 0
; COMPUTE_PGM_RSRC2:TGID_Z_EN: 0
; COMPUTE_PGM_RSRC2:TIDIG_COMP_CNT: 0
; COMPUTE_PGM_RSRC3_GFX90A:ACCUM_OFFSET: 52
; COMPUTE_PGM_RSRC3_GFX90A:TG_SPLIT: 0
	.section	.text._ZN9rocsolver6v33100L18getri_kernel_smallILi35E19rocblas_complex_numIfEPS3_EEvT1_iilPiilS6_bb,"axG",@progbits,_ZN9rocsolver6v33100L18getri_kernel_smallILi35E19rocblas_complex_numIfEPS3_EEvT1_iilPiilS6_bb,comdat
	.globl	_ZN9rocsolver6v33100L18getri_kernel_smallILi35E19rocblas_complex_numIfEPS3_EEvT1_iilPiilS6_bb ; -- Begin function _ZN9rocsolver6v33100L18getri_kernel_smallILi35E19rocblas_complex_numIfEPS3_EEvT1_iilPiilS6_bb
	.p2align	8
	.type	_ZN9rocsolver6v33100L18getri_kernel_smallILi35E19rocblas_complex_numIfEPS3_EEvT1_iilPiilS6_bb,@function
_ZN9rocsolver6v33100L18getri_kernel_smallILi35E19rocblas_complex_numIfEPS3_EEvT1_iilPiilS6_bb: ; @_ZN9rocsolver6v33100L18getri_kernel_smallILi35E19rocblas_complex_numIfEPS3_EEvT1_iilPiilS6_bb
; %bb.0:
	v_cmp_gt_u32_e32 vcc, 35, v0
	s_and_saveexec_b64 s[4:5], vcc
	s_cbranch_execz .LBB34_154
; %bb.1:
	s_load_dword s8, s[0:1], 0x38
	s_load_dwordx4 s[12:15], s[0:1], 0x10
	s_load_dwordx4 s[4:7], s[0:1], 0x28
                                        ; implicit-def: $sgpr16_sgpr17
	s_waitcnt lgkmcnt(0)
	s_bitcmp1_b32 s8, 8
	s_cselect_b64 s[18:19], -1, 0
	s_ashr_i32 s3, s2, 31
	s_bfe_u32 s8, s8, 0x10008
	s_cmp_eq_u32 s8, 0
	s_cbranch_scc1 .LBB34_3
; %bb.2:
	s_load_dword s8, s[0:1], 0x20
	s_mul_i32 s9, s4, s3
	s_mul_hi_u32 s10, s4, s2
	s_mul_i32 s5, s5, s2
	s_add_i32 s10, s10, s9
	s_add_i32 s5, s10, s5
	s_mul_i32 s4, s4, s2
	s_waitcnt lgkmcnt(0)
	s_ashr_i32 s9, s8, 31
	s_lshl_b64 s[4:5], s[4:5], 2
	s_add_u32 s10, s14, s4
	s_addc_u32 s11, s15, s5
	s_lshl_b64 s[4:5], s[8:9], 2
	s_add_u32 s16, s10, s4
	s_addc_u32 s17, s11, s5
.LBB34_3:
	s_load_dwordx4 s[8:11], s[0:1], 0x0
	s_load_dword s4, s[0:1], 0x38
	s_mul_i32 s5, s12, s3
	s_mul_hi_u32 s14, s12, s2
	s_add_i32 s5, s14, s5
	s_waitcnt lgkmcnt(0)
	s_ashr_i32 s1, s10, 31
	s_mov_b32 s0, s10
	s_mul_i32 s10, s13, s2
	s_add_i32 s13, s5, s10
	s_mul_i32 s12, s12, s2
	s_lshl_b64 s[12:13], s[12:13], 3
	s_add_u32 s5, s8, s12
	s_addc_u32 s8, s9, s13
	s_lshl_b64 s[0:1], s[0:1], 3
	s_add_u32 s0, s5, s0
	s_addc_u32 s1, s8, s1
	s_add_i32 s5, s11, s11
	v_add_u32_e32 v4, s5, v0
	v_ashrrev_i32_e32 v5, 31, v4
	v_lshl_add_u64 v[118:119], v[4:5], 3, s[0:1]
	v_add_u32_e32 v4, s11, v4
	v_ashrrev_i32_e32 v5, 31, v4
	v_lshl_add_u64 v[120:121], v[4:5], 3, s[0:1]
	;; [unrolled: 3-line block ×31, first 2 shown]
	v_add_u32_e32 v4, s11, v4
	v_lshlrev_b32_e32 v2, 3, v0
	v_mov_b32_e32 v3, 0
	v_ashrrev_i32_e32 v5, 31, v4
	v_lshl_add_u64 v[114:115], s[0:1], 0, v[2:3]
	s_ashr_i32 s9, s11, 31
	s_mov_b32 s8, s11
	v_lshl_add_u64 v[180:181], v[4:5], 3, s[0:1]
	v_add_u32_e32 v4, s11, v4
	v_lshl_add_u64 v[116:117], s[8:9], 3, v[114:115]
	v_ashrrev_i32_e32 v5, 31, v4
	global_load_dwordx2 v[6:7], v2, s[0:1]
	global_load_dwordx2 v[8:9], v[116:117], off
	global_load_dwordx2 v[10:11], v[118:119], off
	;; [unrolled: 1-line block ×32, first 2 shown]
	v_lshl_add_u64 v[182:183], v[4:5], 3, s[0:1]
	global_load_dwordx2 v[72:73], v[180:181], off
	global_load_dwordx2 v[4:5], v[182:183], off
	s_bitcmp0_b32 s4, 0
	s_mov_b64 s[4:5], -1
	s_waitcnt vmcnt(33)
	scratch_store_dwordx4 off, v[6:9], off
	s_waitcnt vmcnt(32)
	scratch_store_dwordx4 off, v[10:13], off offset:16
	s_waitcnt vmcnt(31)
	scratch_store_dwordx4 off, v[14:17], off offset:32
	;; [unrolled: 2-line block ×16, first 2 shown]
	s_waitcnt vmcnt(17)
	scratch_store_dwordx2 off, v[4:5], off offset:272
	s_cbranch_scc1 .LBB34_152
; %bb.4:
	v_cmp_eq_u32_e64 s[0:1], 0, v0
	s_and_saveexec_b64 s[4:5], s[0:1]
; %bb.5:
	v_mov_b32_e32 v1, 0
	ds_write_b32 v1, v1 offset:280
; %bb.6:
	s_or_b64 exec, exec, s[4:5]
	s_waitcnt lgkmcnt(0)
	; wave barrier
	scratch_load_dwordx2 v[4:5], v2, off
	s_waitcnt vmcnt(0)
	v_cmp_eq_f32_e32 vcc, 0, v4
	v_cmp_eq_f32_e64 s[4:5], 0, v5
	s_and_b64 s[4:5], vcc, s[4:5]
	s_and_saveexec_b64 s[8:9], s[4:5]
	s_cbranch_execz .LBB34_10
; %bb.7:
	v_mov_b32_e32 v1, 0
	ds_read_b32 v4, v1 offset:280
	v_add_u32_e32 v3, 1, v0
	s_waitcnt lgkmcnt(0)
	v_readfirstlane_b32 s4, v4
	s_cmp_eq_u32 s4, 0
	s_cselect_b64 s[10:11], -1, 0
	v_cmp_gt_i32_e32 vcc, s4, v3
	s_or_b64 s[10:11], s[10:11], vcc
	s_and_b64 exec, exec, s[10:11]
	s_cbranch_execz .LBB34_10
; %bb.8:
	s_mov_b64 s[10:11], 0
	v_mov_b32_e32 v4, s4
.LBB34_9:                               ; =>This Inner Loop Header: Depth=1
	ds_cmpst_rtn_b32 v4, v1, v4, v3 offset:280
	s_waitcnt lgkmcnt(0)
	v_cmp_ne_u32_e32 vcc, 0, v4
	v_cmp_le_i32_e64 s[4:5], v4, v3
	s_and_b64 s[4:5], vcc, s[4:5]
	s_and_b64 s[4:5], exec, s[4:5]
	s_or_b64 s[10:11], s[4:5], s[10:11]
	s_andn2_b64 exec, exec, s[10:11]
	s_cbranch_execnz .LBB34_9
.LBB34_10:
	s_or_b64 exec, exec, s[8:9]
	v_mov_b32_e32 v3, 0
	; wave barrier
	ds_read_b32 v1, v3 offset:280
	s_and_saveexec_b64 s[4:5], s[0:1]
	s_cbranch_execz .LBB34_12
; %bb.11:
	s_lshl_b64 s[8:9], s[2:3], 2
	s_add_u32 s8, s6, s8
	s_addc_u32 s9, s7, s9
	s_waitcnt lgkmcnt(0)
	global_store_dword v3, v1, s[8:9]
.LBB34_12:
	s_or_b64 exec, exec, s[4:5]
	s_waitcnt lgkmcnt(0)
	v_cmp_ne_u32_e32 vcc, 0, v1
	s_mov_b64 s[4:5], 0
	s_cbranch_vccnz .LBB34_152
; %bb.13:
	v_mov_b32_e32 v3, v2
	scratch_load_dwordx2 v[4:5], v3, off
                                        ; implicit-def: $vgpr7
                                        ; implicit-def: $vgpr8
	s_waitcnt vmcnt(0)
	v_cmp_ngt_f32_e64 s[4:5], |v4|, |v5|
	s_and_saveexec_b64 s[8:9], s[4:5]
	s_xor_b64 s[4:5], exec, s[8:9]
	s_cbranch_execz .LBB34_15
; %bb.14:
	v_div_scale_f32 v1, s[8:9], v5, v5, v4
	v_rcp_f32_e32 v6, v1
	v_div_scale_f32 v7, vcc, v4, v5, v4
	v_fma_f32 v8, -v1, v6, 1.0
	v_fmac_f32_e32 v6, v8, v6
	v_mul_f32_e32 v8, v7, v6
	v_fma_f32 v9, -v1, v8, v7
	v_fmac_f32_e32 v8, v9, v6
	v_fma_f32 v1, -v1, v8, v7
	v_div_fmas_f32 v1, v1, v6, v8
	v_div_fixup_f32 v1, v1, v5, v4
	v_fmac_f32_e32 v5, v4, v1
	v_div_scale_f32 v4, s[8:9], v5, v5, -1.0
	v_rcp_f32_e32 v6, v4
	s_nop 0
	v_fma_f32 v7, -v4, v6, 1.0
	v_fmac_f32_e32 v6, v7, v6
	v_div_scale_f32 v7, vcc, -1.0, v5, -1.0
	v_mul_f32_e32 v8, v7, v6
	v_fma_f32 v9, -v4, v8, v7
	v_fmac_f32_e32 v8, v9, v6
	v_fma_f32 v4, -v4, v8, v7
	v_div_fmas_f32 v4, v4, v6, v8
	v_div_fixup_f32 v7, v4, v5, -1.0
	v_mul_f32_e32 v8, v1, v7
	v_xor_b32_e32 v6, 0x80000000, v8
                                        ; implicit-def: $vgpr4_vgpr5
.LBB34_15:
	s_andn2_saveexec_b64 s[4:5], s[4:5]
	s_cbranch_execz .LBB34_17
; %bb.16:
	v_div_scale_f32 v1, s[8:9], v4, v4, v5
	v_rcp_f32_e32 v6, v1
	v_div_scale_f32 v7, vcc, v5, v4, v5
	v_fma_f32 v8, -v1, v6, 1.0
	v_fmac_f32_e32 v6, v8, v6
	v_mul_f32_e32 v8, v7, v6
	v_fma_f32 v9, -v1, v8, v7
	v_fmac_f32_e32 v8, v9, v6
	v_fma_f32 v1, -v1, v8, v7
	v_div_fmas_f32 v1, v1, v6, v8
	v_div_fixup_f32 v1, v1, v4, v5
	v_fmac_f32_e32 v4, v5, v1
	v_div_scale_f32 v5, s[8:9], v4, v4, 1.0
	v_rcp_f32_e32 v6, v5
	s_nop 0
	v_fma_f32 v7, -v5, v6, 1.0
	v_fmac_f32_e32 v6, v7, v6
	v_div_scale_f32 v7, vcc, 1.0, v4, 1.0
	v_mul_f32_e32 v8, v7, v6
	v_fma_f32 v9, -v5, v8, v7
	v_fmac_f32_e32 v8, v9, v6
	v_fma_f32 v5, -v5, v8, v7
	v_div_fmas_f32 v5, v5, v6, v8
	v_div_fixup_f32 v6, v5, v4, 1.0
	v_xor_b32_e32 v8, 0x80000000, v6
	v_mul_f32_e64 v7, v1, -v6
.LBB34_17:
	s_or_b64 exec, exec, s[4:5]
	scratch_store_dwordx2 v3, v[6:7], off
	scratch_load_dwordx2 v[4:5], off, off offset:8
	v_xor_b32_e32 v9, 0x80000000, v7
	v_add_u32_e32 v1, 0x120, v2
	s_waitcnt vmcnt(0)
	ds_write2_b64 v2, v[8:9], v[4:5] offset1:36
	s_waitcnt lgkmcnt(0)
	; wave barrier
	s_and_saveexec_b64 s[4:5], s[0:1]
	s_cbranch_execz .LBB34_19
; %bb.18:
	scratch_load_dwordx2 v[4:5], v3, off
	ds_read_b64 v[6:7], v1
	v_mov_b32_e32 v8, 0
	ds_read_b64 v[8:9], v8 offset:8
	s_waitcnt vmcnt(0) lgkmcnt(1)
	v_pk_mul_f32 v[10:11], v[6:7], v[4:5] op_sel:[1,1] op_sel_hi:[0,1]
	v_pk_fma_f32 v[12:13], v[6:7], v[4:5], v[10:11] neg_lo:[0,0,1] neg_hi:[0,0,1]
	v_pk_fma_f32 v[4:5], v[6:7], v[4:5], v[10:11] op_sel_hi:[1,0,1]
	s_nop 0
	v_mov_b32_e32 v13, v5
	v_pk_add_f32 v[4:5], v[12:13], 0 op_sel_hi:[1,0]
	s_waitcnt lgkmcnt(0)
	v_pk_mul_f32 v[6:7], v[4:5], v[8:9] op_sel:[1,1] op_sel_hi:[0,1]
	v_pk_fma_f32 v[10:11], v[4:5], v[8:9], v[6:7] neg_lo:[0,0,1] neg_hi:[0,0,1]
	v_pk_fma_f32 v[4:5], v[4:5], v[8:9], v[6:7] op_sel_hi:[1,0,1]
	s_nop 0
	v_mov_b32_e32 v11, v5
	scratch_store_dwordx2 off, v[10:11], off offset:8
.LBB34_19:
	s_or_b64 exec, exec, s[4:5]
	; wave barrier
	scratch_load_dwordx2 v[4:5], off, off offset:16
	v_cmp_gt_u32_e32 vcc, 2, v0
	s_waitcnt vmcnt(0)
	ds_write_b64 v1, v[4:5]
	s_waitcnt lgkmcnt(0)
	; wave barrier
	s_and_saveexec_b64 s[4:5], vcc
	s_cbranch_execz .LBB34_23
; %bb.20:
	scratch_load_dwordx2 v[4:5], v3, off
	ds_read_b64 v[6:7], v1
	s_waitcnt vmcnt(0) lgkmcnt(0)
	v_pk_mul_f32 v[8:9], v[6:7], v[4:5] op_sel:[1,1] op_sel_hi:[0,1]
	v_pk_fma_f32 v[10:11], v[6:7], v[4:5], v[8:9] neg_lo:[0,0,1] neg_hi:[0,0,1]
	v_pk_fma_f32 v[4:5], v[6:7], v[4:5], v[8:9] op_sel_hi:[1,0,1]
	s_nop 0
	v_mov_b32_e32 v11, v5
	v_pk_add_f32 v[4:5], v[10:11], 0 op_sel_hi:[1,0]
	s_and_saveexec_b64 s[8:9], s[0:1]
	s_cbranch_execz .LBB34_22
; %bb.21:
	scratch_load_dwordx2 v[6:7], off, off offset:8
	v_mov_b32_e32 v3, 0
	ds_read_b64 v[8:9], v3 offset:296
	s_waitcnt vmcnt(0) lgkmcnt(0)
	v_pk_mul_f32 v[10:11], v[8:9], v[6:7] op_sel:[1,1] op_sel_hi:[0,1]
	v_pk_fma_f32 v[12:13], v[8:9], v[6:7], v[10:11] neg_lo:[0,0,1] neg_hi:[0,0,1]
	v_pk_fma_f32 v[6:7], v[8:9], v[6:7], v[10:11] op_sel_hi:[1,0,1]
	s_nop 0
	v_mov_b32_e32 v13, v7
	v_pk_add_f32 v[4:5], v[4:5], v[12:13]
.LBB34_22:
	s_or_b64 exec, exec, s[8:9]
	v_mov_b32_e32 v3, 0
	ds_read_b64 v[6:7], v3 offset:16
	s_waitcnt lgkmcnt(0)
	v_pk_mul_f32 v[8:9], v[4:5], v[6:7] op_sel:[1,1] op_sel_hi:[0,1]
	v_pk_fma_f32 v[10:11], v[4:5], v[6:7], v[8:9] neg_lo:[0,0,1] neg_hi:[0,0,1]
	v_pk_fma_f32 v[4:5], v[4:5], v[6:7], v[8:9] op_sel_hi:[1,0,1]
	s_nop 0
	v_mov_b32_e32 v11, v5
	scratch_store_dwordx2 off, v[10:11], off offset:16
.LBB34_23:
	s_or_b64 exec, exec, s[4:5]
	; wave barrier
	scratch_load_dwordx2 v[4:5], off, off offset:24
	v_cmp_gt_u32_e32 vcc, 3, v0
	v_add_u32_e32 v6, -1, v0
	s_waitcnt vmcnt(0)
	ds_write_b64 v1, v[4:5]
	s_waitcnt lgkmcnt(0)
	; wave barrier
	s_and_saveexec_b64 s[0:1], vcc
	s_cbranch_execz .LBB34_27
; %bb.24:
	v_mov_b32_e32 v4, 0
	v_add_u32_e32 v3, -1, v0
	v_add_u32_e32 v7, 0x120, v2
	v_mov_b32_e32 v8, v2
	s_mov_b64 s[4:5], 0
	v_mov_b32_e32 v5, v4
.LBB34_25:                              ; =>This Inner Loop Header: Depth=1
	scratch_load_dwordx2 v[10:11], v8, off
	ds_read_b64 v[12:13], v7
	v_add_u32_e32 v3, 1, v3
	v_cmp_lt_u32_e32 vcc, 1, v3
	v_add_u32_e32 v7, 8, v7
	v_add_u32_e32 v8, 8, v8
	s_or_b64 s[4:5], vcc, s[4:5]
	s_waitcnt vmcnt(0) lgkmcnt(0)
	v_pk_mul_f32 v[14:15], v[12:13], v[10:11] op_sel:[1,1] op_sel_hi:[0,1]
	v_pk_fma_f32 v[16:17], v[12:13], v[10:11], v[14:15] neg_lo:[0,0,1] neg_hi:[0,0,1]
	v_pk_fma_f32 v[10:11], v[12:13], v[10:11], v[14:15] op_sel_hi:[1,0,1]
	s_nop 0
	v_mov_b32_e32 v17, v11
	v_pk_add_f32 v[4:5], v[4:5], v[16:17]
	s_andn2_b64 exec, exec, s[4:5]
	s_cbranch_execnz .LBB34_25
; %bb.26:
	s_or_b64 exec, exec, s[4:5]
	v_mov_b32_e32 v3, 0
	ds_read_b64 v[8:9], v3 offset:24
	s_waitcnt lgkmcnt(0)
	v_pk_mul_f32 v[10:11], v[4:5], v[8:9] op_sel:[1,1] op_sel_hi:[0,1]
	v_pk_fma_f32 v[12:13], v[4:5], v[8:9], v[10:11] neg_lo:[0,0,1] neg_hi:[0,0,1]
	v_pk_fma_f32 v[4:5], v[4:5], v[8:9], v[10:11] op_sel_hi:[1,0,1]
	s_nop 0
	v_mov_b32_e32 v13, v5
	scratch_store_dwordx2 off, v[12:13], off offset:24
.LBB34_27:
	s_or_b64 exec, exec, s[0:1]
	; wave barrier
	scratch_load_dwordx2 v[4:5], off, off offset:32
	v_cmp_gt_u32_e32 vcc, 4, v0
	s_waitcnt vmcnt(0)
	ds_write_b64 v1, v[4:5]
	s_waitcnt lgkmcnt(0)
	; wave barrier
	s_and_saveexec_b64 s[0:1], vcc
	s_cbranch_execz .LBB34_31
; %bb.28:
	v_mov_b32_e32 v4, 0
	v_add_u32_e32 v3, -1, v0
	v_add_u32_e32 v7, 0x120, v2
	v_mov_b32_e32 v8, v2
	s_mov_b64 s[4:5], 0
	v_mov_b32_e32 v5, v4
.LBB34_29:                              ; =>This Inner Loop Header: Depth=1
	scratch_load_dwordx2 v[10:11], v8, off
	ds_read_b64 v[12:13], v7
	v_add_u32_e32 v3, 1, v3
	v_cmp_lt_u32_e32 vcc, 2, v3
	v_add_u32_e32 v7, 8, v7
	v_add_u32_e32 v8, 8, v8
	s_or_b64 s[4:5], vcc, s[4:5]
	s_waitcnt vmcnt(0) lgkmcnt(0)
	v_pk_mul_f32 v[14:15], v[12:13], v[10:11] op_sel:[1,1] op_sel_hi:[0,1]
	v_pk_fma_f32 v[16:17], v[12:13], v[10:11], v[14:15] neg_lo:[0,0,1] neg_hi:[0,0,1]
	v_pk_fma_f32 v[10:11], v[12:13], v[10:11], v[14:15] op_sel_hi:[1,0,1]
	s_nop 0
	v_mov_b32_e32 v17, v11
	v_pk_add_f32 v[4:5], v[4:5], v[16:17]
	s_andn2_b64 exec, exec, s[4:5]
	s_cbranch_execnz .LBB34_29
; %bb.30:
	s_or_b64 exec, exec, s[4:5]
	v_mov_b32_e32 v3, 0
	ds_read_b64 v[8:9], v3 offset:32
	s_waitcnt lgkmcnt(0)
	v_pk_mul_f32 v[10:11], v[4:5], v[8:9] op_sel:[1,1] op_sel_hi:[0,1]
	v_pk_fma_f32 v[12:13], v[4:5], v[8:9], v[10:11] neg_lo:[0,0,1] neg_hi:[0,0,1]
	v_pk_fma_f32 v[4:5], v[4:5], v[8:9], v[10:11] op_sel_hi:[1,0,1]
	s_nop 0
	v_mov_b32_e32 v13, v5
	scratch_store_dwordx2 off, v[12:13], off offset:32
.LBB34_31:
	s_or_b64 exec, exec, s[0:1]
	; wave barrier
	scratch_load_dwordx2 v[4:5], off, off offset:40
	v_cmp_gt_u32_e32 vcc, 5, v0
	s_waitcnt vmcnt(0)
	ds_write_b64 v1, v[4:5]
	s_waitcnt lgkmcnt(0)
	; wave barrier
	s_and_saveexec_b64 s[0:1], vcc
	s_cbranch_execz .LBB34_35
; %bb.32:
	v_mov_b32_e32 v4, 0
	v_add_u32_e32 v3, -1, v0
	v_add_u32_e32 v7, 0x120, v2
	v_mov_b32_e32 v8, v2
	s_mov_b64 s[4:5], 0
	v_mov_b32_e32 v5, v4
.LBB34_33:                              ; =>This Inner Loop Header: Depth=1
	scratch_load_dwordx2 v[10:11], v8, off
	ds_read_b64 v[12:13], v7
	v_add_u32_e32 v3, 1, v3
	v_cmp_lt_u32_e32 vcc, 3, v3
	v_add_u32_e32 v7, 8, v7
	v_add_u32_e32 v8, 8, v8
	s_or_b64 s[4:5], vcc, s[4:5]
	s_waitcnt vmcnt(0) lgkmcnt(0)
	v_pk_mul_f32 v[14:15], v[12:13], v[10:11] op_sel:[1,1] op_sel_hi:[0,1]
	v_pk_fma_f32 v[16:17], v[12:13], v[10:11], v[14:15] neg_lo:[0,0,1] neg_hi:[0,0,1]
	v_pk_fma_f32 v[10:11], v[12:13], v[10:11], v[14:15] op_sel_hi:[1,0,1]
	s_nop 0
	v_mov_b32_e32 v17, v11
	v_pk_add_f32 v[4:5], v[4:5], v[16:17]
	s_andn2_b64 exec, exec, s[4:5]
	s_cbranch_execnz .LBB34_33
; %bb.34:
	s_or_b64 exec, exec, s[4:5]
	v_mov_b32_e32 v3, 0
	ds_read_b64 v[8:9], v3 offset:40
	s_waitcnt lgkmcnt(0)
	v_pk_mul_f32 v[10:11], v[4:5], v[8:9] op_sel:[1,1] op_sel_hi:[0,1]
	v_pk_fma_f32 v[12:13], v[4:5], v[8:9], v[10:11] neg_lo:[0,0,1] neg_hi:[0,0,1]
	v_pk_fma_f32 v[4:5], v[4:5], v[8:9], v[10:11] op_sel_hi:[1,0,1]
	s_nop 0
	v_mov_b32_e32 v13, v5
	scratch_store_dwordx2 off, v[12:13], off offset:40
.LBB34_35:
	s_or_b64 exec, exec, s[0:1]
	; wave barrier
	scratch_load_dwordx2 v[4:5], off, off offset:48
	v_cmp_gt_u32_e32 vcc, 6, v0
	s_waitcnt vmcnt(0)
	ds_write_b64 v1, v[4:5]
	s_waitcnt lgkmcnt(0)
	; wave barrier
	s_and_saveexec_b64 s[0:1], vcc
	s_cbranch_execz .LBB34_39
; %bb.36:
	v_mov_b32_e32 v4, 0
	v_add_u32_e32 v3, -1, v0
	v_add_u32_e32 v7, 0x120, v2
	v_mov_b32_e32 v8, v2
	s_mov_b64 s[4:5], 0
	v_mov_b32_e32 v5, v4
.LBB34_37:                              ; =>This Inner Loop Header: Depth=1
	scratch_load_dwordx2 v[10:11], v8, off
	ds_read_b64 v[12:13], v7
	v_add_u32_e32 v3, 1, v3
	v_cmp_lt_u32_e32 vcc, 4, v3
	v_add_u32_e32 v7, 8, v7
	v_add_u32_e32 v8, 8, v8
	s_or_b64 s[4:5], vcc, s[4:5]
	s_waitcnt vmcnt(0) lgkmcnt(0)
	v_pk_mul_f32 v[14:15], v[12:13], v[10:11] op_sel:[1,1] op_sel_hi:[0,1]
	v_pk_fma_f32 v[16:17], v[12:13], v[10:11], v[14:15] neg_lo:[0,0,1] neg_hi:[0,0,1]
	v_pk_fma_f32 v[10:11], v[12:13], v[10:11], v[14:15] op_sel_hi:[1,0,1]
	s_nop 0
	v_mov_b32_e32 v17, v11
	v_pk_add_f32 v[4:5], v[4:5], v[16:17]
	s_andn2_b64 exec, exec, s[4:5]
	s_cbranch_execnz .LBB34_37
; %bb.38:
	s_or_b64 exec, exec, s[4:5]
	v_mov_b32_e32 v3, 0
	ds_read_b64 v[8:9], v3 offset:48
	s_waitcnt lgkmcnt(0)
	v_pk_mul_f32 v[10:11], v[4:5], v[8:9] op_sel:[1,1] op_sel_hi:[0,1]
	v_pk_fma_f32 v[12:13], v[4:5], v[8:9], v[10:11] neg_lo:[0,0,1] neg_hi:[0,0,1]
	v_pk_fma_f32 v[4:5], v[4:5], v[8:9], v[10:11] op_sel_hi:[1,0,1]
	s_nop 0
	v_mov_b32_e32 v13, v5
	scratch_store_dwordx2 off, v[12:13], off offset:48
.LBB34_39:
	s_or_b64 exec, exec, s[0:1]
	; wave barrier
	scratch_load_dwordx2 v[4:5], off, off offset:56
	v_cmp_gt_u32_e32 vcc, 7, v0
	s_waitcnt vmcnt(0)
	ds_write_b64 v1, v[4:5]
	s_waitcnt lgkmcnt(0)
	; wave barrier
	s_and_saveexec_b64 s[0:1], vcc
	s_cbranch_execz .LBB34_43
; %bb.40:
	v_mov_b32_e32 v4, 0
	v_add_u32_e32 v3, -1, v0
	v_add_u32_e32 v7, 0x120, v2
	v_mov_b32_e32 v8, v2
	s_mov_b64 s[4:5], 0
	v_mov_b32_e32 v5, v4
.LBB34_41:                              ; =>This Inner Loop Header: Depth=1
	scratch_load_dwordx2 v[10:11], v8, off
	ds_read_b64 v[12:13], v7
	v_add_u32_e32 v3, 1, v3
	v_cmp_lt_u32_e32 vcc, 5, v3
	v_add_u32_e32 v7, 8, v7
	v_add_u32_e32 v8, 8, v8
	s_or_b64 s[4:5], vcc, s[4:5]
	s_waitcnt vmcnt(0) lgkmcnt(0)
	v_pk_mul_f32 v[14:15], v[12:13], v[10:11] op_sel:[1,1] op_sel_hi:[0,1]
	v_pk_fma_f32 v[16:17], v[12:13], v[10:11], v[14:15] neg_lo:[0,0,1] neg_hi:[0,0,1]
	v_pk_fma_f32 v[10:11], v[12:13], v[10:11], v[14:15] op_sel_hi:[1,0,1]
	s_nop 0
	v_mov_b32_e32 v17, v11
	v_pk_add_f32 v[4:5], v[4:5], v[16:17]
	s_andn2_b64 exec, exec, s[4:5]
	s_cbranch_execnz .LBB34_41
; %bb.42:
	s_or_b64 exec, exec, s[4:5]
	v_mov_b32_e32 v3, 0
	ds_read_b64 v[8:9], v3 offset:56
	s_waitcnt lgkmcnt(0)
	v_pk_mul_f32 v[10:11], v[4:5], v[8:9] op_sel:[1,1] op_sel_hi:[0,1]
	v_pk_fma_f32 v[12:13], v[4:5], v[8:9], v[10:11] neg_lo:[0,0,1] neg_hi:[0,0,1]
	v_pk_fma_f32 v[4:5], v[4:5], v[8:9], v[10:11] op_sel_hi:[1,0,1]
	s_nop 0
	v_mov_b32_e32 v13, v5
	scratch_store_dwordx2 off, v[12:13], off offset:56
.LBB34_43:
	s_or_b64 exec, exec, s[0:1]
	; wave barrier
	scratch_load_dwordx2 v[4:5], off, off offset:64
	v_cmp_gt_u32_e32 vcc, 8, v0
	s_waitcnt vmcnt(0)
	ds_write_b64 v1, v[4:5]
	s_waitcnt lgkmcnt(0)
	; wave barrier
	s_and_saveexec_b64 s[0:1], vcc
	s_cbranch_execz .LBB34_47
; %bb.44:
	v_mov_b32_e32 v4, 0
	v_add_u32_e32 v3, -1, v0
	v_add_u32_e32 v7, 0x120, v2
	v_mov_b32_e32 v8, v2
	s_mov_b64 s[4:5], 0
	v_mov_b32_e32 v5, v4
.LBB34_45:                              ; =>This Inner Loop Header: Depth=1
	scratch_load_dwordx2 v[10:11], v8, off
	ds_read_b64 v[12:13], v7
	v_add_u32_e32 v3, 1, v3
	v_cmp_lt_u32_e32 vcc, 6, v3
	v_add_u32_e32 v7, 8, v7
	v_add_u32_e32 v8, 8, v8
	s_or_b64 s[4:5], vcc, s[4:5]
	s_waitcnt vmcnt(0) lgkmcnt(0)
	v_pk_mul_f32 v[14:15], v[12:13], v[10:11] op_sel:[1,1] op_sel_hi:[0,1]
	v_pk_fma_f32 v[16:17], v[12:13], v[10:11], v[14:15] neg_lo:[0,0,1] neg_hi:[0,0,1]
	v_pk_fma_f32 v[10:11], v[12:13], v[10:11], v[14:15] op_sel_hi:[1,0,1]
	s_nop 0
	v_mov_b32_e32 v17, v11
	v_pk_add_f32 v[4:5], v[4:5], v[16:17]
	s_andn2_b64 exec, exec, s[4:5]
	s_cbranch_execnz .LBB34_45
; %bb.46:
	s_or_b64 exec, exec, s[4:5]
	v_mov_b32_e32 v3, 0
	ds_read_b64 v[8:9], v3 offset:64
	s_waitcnt lgkmcnt(0)
	v_pk_mul_f32 v[10:11], v[4:5], v[8:9] op_sel:[1,1] op_sel_hi:[0,1]
	v_pk_fma_f32 v[12:13], v[4:5], v[8:9], v[10:11] neg_lo:[0,0,1] neg_hi:[0,0,1]
	v_pk_fma_f32 v[4:5], v[4:5], v[8:9], v[10:11] op_sel_hi:[1,0,1]
	s_nop 0
	v_mov_b32_e32 v13, v5
	scratch_store_dwordx2 off, v[12:13], off offset:64
.LBB34_47:
	s_or_b64 exec, exec, s[0:1]
	; wave barrier
	scratch_load_dwordx2 v[4:5], off, off offset:72
	v_cmp_gt_u32_e32 vcc, 9, v0
	s_waitcnt vmcnt(0)
	ds_write_b64 v1, v[4:5]
	s_waitcnt lgkmcnt(0)
	; wave barrier
	s_and_saveexec_b64 s[0:1], vcc
	s_cbranch_execz .LBB34_51
; %bb.48:
	v_mov_b32_e32 v4, 0
	v_add_u32_e32 v3, -1, v0
	v_add_u32_e32 v7, 0x120, v2
	v_mov_b32_e32 v8, v2
	s_mov_b64 s[4:5], 0
	v_mov_b32_e32 v5, v4
.LBB34_49:                              ; =>This Inner Loop Header: Depth=1
	scratch_load_dwordx2 v[10:11], v8, off
	ds_read_b64 v[12:13], v7
	v_add_u32_e32 v3, 1, v3
	v_cmp_lt_u32_e32 vcc, 7, v3
	v_add_u32_e32 v7, 8, v7
	v_add_u32_e32 v8, 8, v8
	s_or_b64 s[4:5], vcc, s[4:5]
	s_waitcnt vmcnt(0) lgkmcnt(0)
	v_pk_mul_f32 v[14:15], v[12:13], v[10:11] op_sel:[1,1] op_sel_hi:[0,1]
	v_pk_fma_f32 v[16:17], v[12:13], v[10:11], v[14:15] neg_lo:[0,0,1] neg_hi:[0,0,1]
	v_pk_fma_f32 v[10:11], v[12:13], v[10:11], v[14:15] op_sel_hi:[1,0,1]
	s_nop 0
	v_mov_b32_e32 v17, v11
	v_pk_add_f32 v[4:5], v[4:5], v[16:17]
	s_andn2_b64 exec, exec, s[4:5]
	s_cbranch_execnz .LBB34_49
; %bb.50:
	s_or_b64 exec, exec, s[4:5]
	v_mov_b32_e32 v3, 0
	ds_read_b64 v[8:9], v3 offset:72
	s_waitcnt lgkmcnt(0)
	v_pk_mul_f32 v[10:11], v[4:5], v[8:9] op_sel:[1,1] op_sel_hi:[0,1]
	v_pk_fma_f32 v[12:13], v[4:5], v[8:9], v[10:11] neg_lo:[0,0,1] neg_hi:[0,0,1]
	v_pk_fma_f32 v[4:5], v[4:5], v[8:9], v[10:11] op_sel_hi:[1,0,1]
	s_nop 0
	v_mov_b32_e32 v13, v5
	scratch_store_dwordx2 off, v[12:13], off offset:72
.LBB34_51:
	s_or_b64 exec, exec, s[0:1]
	; wave barrier
	scratch_load_dwordx2 v[4:5], off, off offset:80
	v_cmp_gt_u32_e32 vcc, 10, v0
	s_waitcnt vmcnt(0)
	ds_write_b64 v1, v[4:5]
	s_waitcnt lgkmcnt(0)
	; wave barrier
	s_and_saveexec_b64 s[0:1], vcc
	s_cbranch_execz .LBB34_55
; %bb.52:
	v_mov_b32_e32 v4, 0
	v_add_u32_e32 v3, -1, v0
	v_add_u32_e32 v7, 0x120, v2
	v_mov_b32_e32 v8, v2
	s_mov_b64 s[4:5], 0
	v_mov_b32_e32 v5, v4
.LBB34_53:                              ; =>This Inner Loop Header: Depth=1
	scratch_load_dwordx2 v[10:11], v8, off
	ds_read_b64 v[12:13], v7
	v_add_u32_e32 v3, 1, v3
	v_cmp_lt_u32_e32 vcc, 8, v3
	v_add_u32_e32 v7, 8, v7
	v_add_u32_e32 v8, 8, v8
	s_or_b64 s[4:5], vcc, s[4:5]
	s_waitcnt vmcnt(0) lgkmcnt(0)
	v_pk_mul_f32 v[14:15], v[12:13], v[10:11] op_sel:[1,1] op_sel_hi:[0,1]
	v_pk_fma_f32 v[16:17], v[12:13], v[10:11], v[14:15] neg_lo:[0,0,1] neg_hi:[0,0,1]
	v_pk_fma_f32 v[10:11], v[12:13], v[10:11], v[14:15] op_sel_hi:[1,0,1]
	s_nop 0
	v_mov_b32_e32 v17, v11
	v_pk_add_f32 v[4:5], v[4:5], v[16:17]
	s_andn2_b64 exec, exec, s[4:5]
	s_cbranch_execnz .LBB34_53
; %bb.54:
	s_or_b64 exec, exec, s[4:5]
	v_mov_b32_e32 v3, 0
	ds_read_b64 v[8:9], v3 offset:80
	s_waitcnt lgkmcnt(0)
	v_pk_mul_f32 v[10:11], v[4:5], v[8:9] op_sel:[1,1] op_sel_hi:[0,1]
	v_pk_fma_f32 v[12:13], v[4:5], v[8:9], v[10:11] neg_lo:[0,0,1] neg_hi:[0,0,1]
	v_pk_fma_f32 v[4:5], v[4:5], v[8:9], v[10:11] op_sel_hi:[1,0,1]
	s_nop 0
	v_mov_b32_e32 v13, v5
	scratch_store_dwordx2 off, v[12:13], off offset:80
.LBB34_55:
	s_or_b64 exec, exec, s[0:1]
	; wave barrier
	scratch_load_dwordx2 v[4:5], off, off offset:88
	v_cmp_gt_u32_e32 vcc, 11, v0
	s_waitcnt vmcnt(0)
	ds_write_b64 v1, v[4:5]
	s_waitcnt lgkmcnt(0)
	; wave barrier
	s_and_saveexec_b64 s[0:1], vcc
	s_cbranch_execz .LBB34_59
; %bb.56:
	v_mov_b32_e32 v4, 0
	v_add_u32_e32 v3, -1, v0
	v_add_u32_e32 v7, 0x120, v2
	v_mov_b32_e32 v8, v2
	s_mov_b64 s[4:5], 0
	v_mov_b32_e32 v5, v4
.LBB34_57:                              ; =>This Inner Loop Header: Depth=1
	scratch_load_dwordx2 v[10:11], v8, off
	ds_read_b64 v[12:13], v7
	v_add_u32_e32 v3, 1, v3
	v_cmp_lt_u32_e32 vcc, 9, v3
	v_add_u32_e32 v7, 8, v7
	v_add_u32_e32 v8, 8, v8
	s_or_b64 s[4:5], vcc, s[4:5]
	s_waitcnt vmcnt(0) lgkmcnt(0)
	v_pk_mul_f32 v[14:15], v[12:13], v[10:11] op_sel:[1,1] op_sel_hi:[0,1]
	v_pk_fma_f32 v[16:17], v[12:13], v[10:11], v[14:15] neg_lo:[0,0,1] neg_hi:[0,0,1]
	v_pk_fma_f32 v[10:11], v[12:13], v[10:11], v[14:15] op_sel_hi:[1,0,1]
	s_nop 0
	v_mov_b32_e32 v17, v11
	v_pk_add_f32 v[4:5], v[4:5], v[16:17]
	s_andn2_b64 exec, exec, s[4:5]
	s_cbranch_execnz .LBB34_57
; %bb.58:
	s_or_b64 exec, exec, s[4:5]
	v_mov_b32_e32 v3, 0
	ds_read_b64 v[8:9], v3 offset:88
	s_waitcnt lgkmcnt(0)
	v_pk_mul_f32 v[10:11], v[4:5], v[8:9] op_sel:[1,1] op_sel_hi:[0,1]
	v_pk_fma_f32 v[12:13], v[4:5], v[8:9], v[10:11] neg_lo:[0,0,1] neg_hi:[0,0,1]
	v_pk_fma_f32 v[4:5], v[4:5], v[8:9], v[10:11] op_sel_hi:[1,0,1]
	s_nop 0
	v_mov_b32_e32 v13, v5
	scratch_store_dwordx2 off, v[12:13], off offset:88
.LBB34_59:
	s_or_b64 exec, exec, s[0:1]
	; wave barrier
	scratch_load_dwordx2 v[4:5], off, off offset:96
	v_cmp_gt_u32_e32 vcc, 12, v0
	s_waitcnt vmcnt(0)
	ds_write_b64 v1, v[4:5]
	s_waitcnt lgkmcnt(0)
	; wave barrier
	s_and_saveexec_b64 s[0:1], vcc
	s_cbranch_execz .LBB34_63
; %bb.60:
	v_mov_b32_e32 v4, 0
	v_add_u32_e32 v3, -1, v0
	v_add_u32_e32 v7, 0x120, v2
	v_mov_b32_e32 v8, v2
	s_mov_b64 s[4:5], 0
	v_mov_b32_e32 v5, v4
.LBB34_61:                              ; =>This Inner Loop Header: Depth=1
	scratch_load_dwordx2 v[10:11], v8, off
	ds_read_b64 v[12:13], v7
	v_add_u32_e32 v3, 1, v3
	v_cmp_lt_u32_e32 vcc, 10, v3
	v_add_u32_e32 v7, 8, v7
	v_add_u32_e32 v8, 8, v8
	s_or_b64 s[4:5], vcc, s[4:5]
	s_waitcnt vmcnt(0) lgkmcnt(0)
	v_pk_mul_f32 v[14:15], v[12:13], v[10:11] op_sel:[1,1] op_sel_hi:[0,1]
	v_pk_fma_f32 v[16:17], v[12:13], v[10:11], v[14:15] neg_lo:[0,0,1] neg_hi:[0,0,1]
	v_pk_fma_f32 v[10:11], v[12:13], v[10:11], v[14:15] op_sel_hi:[1,0,1]
	s_nop 0
	v_mov_b32_e32 v17, v11
	v_pk_add_f32 v[4:5], v[4:5], v[16:17]
	s_andn2_b64 exec, exec, s[4:5]
	s_cbranch_execnz .LBB34_61
; %bb.62:
	s_or_b64 exec, exec, s[4:5]
	v_mov_b32_e32 v3, 0
	ds_read_b64 v[8:9], v3 offset:96
	s_waitcnt lgkmcnt(0)
	v_pk_mul_f32 v[10:11], v[4:5], v[8:9] op_sel:[1,1] op_sel_hi:[0,1]
	v_pk_fma_f32 v[12:13], v[4:5], v[8:9], v[10:11] neg_lo:[0,0,1] neg_hi:[0,0,1]
	v_pk_fma_f32 v[4:5], v[4:5], v[8:9], v[10:11] op_sel_hi:[1,0,1]
	s_nop 0
	v_mov_b32_e32 v13, v5
	scratch_store_dwordx2 off, v[12:13], off offset:96
.LBB34_63:
	s_or_b64 exec, exec, s[0:1]
	; wave barrier
	scratch_load_dwordx2 v[4:5], off, off offset:104
	v_cmp_gt_u32_e32 vcc, 13, v0
	s_waitcnt vmcnt(0)
	ds_write_b64 v1, v[4:5]
	s_waitcnt lgkmcnt(0)
	; wave barrier
	s_and_saveexec_b64 s[0:1], vcc
	s_cbranch_execz .LBB34_67
; %bb.64:
	v_mov_b32_e32 v4, 0
	v_add_u32_e32 v3, -1, v0
	v_add_u32_e32 v7, 0x120, v2
	v_mov_b32_e32 v8, v2
	s_mov_b64 s[4:5], 0
	v_mov_b32_e32 v5, v4
.LBB34_65:                              ; =>This Inner Loop Header: Depth=1
	scratch_load_dwordx2 v[10:11], v8, off
	ds_read_b64 v[12:13], v7
	v_add_u32_e32 v3, 1, v3
	v_cmp_lt_u32_e32 vcc, 11, v3
	v_add_u32_e32 v7, 8, v7
	v_add_u32_e32 v8, 8, v8
	s_or_b64 s[4:5], vcc, s[4:5]
	s_waitcnt vmcnt(0) lgkmcnt(0)
	v_pk_mul_f32 v[14:15], v[12:13], v[10:11] op_sel:[1,1] op_sel_hi:[0,1]
	v_pk_fma_f32 v[16:17], v[12:13], v[10:11], v[14:15] neg_lo:[0,0,1] neg_hi:[0,0,1]
	v_pk_fma_f32 v[10:11], v[12:13], v[10:11], v[14:15] op_sel_hi:[1,0,1]
	s_nop 0
	v_mov_b32_e32 v17, v11
	v_pk_add_f32 v[4:5], v[4:5], v[16:17]
	s_andn2_b64 exec, exec, s[4:5]
	s_cbranch_execnz .LBB34_65
; %bb.66:
	s_or_b64 exec, exec, s[4:5]
	v_mov_b32_e32 v3, 0
	ds_read_b64 v[8:9], v3 offset:104
	s_waitcnt lgkmcnt(0)
	v_pk_mul_f32 v[10:11], v[4:5], v[8:9] op_sel:[1,1] op_sel_hi:[0,1]
	v_pk_fma_f32 v[12:13], v[4:5], v[8:9], v[10:11] neg_lo:[0,0,1] neg_hi:[0,0,1]
	v_pk_fma_f32 v[4:5], v[4:5], v[8:9], v[10:11] op_sel_hi:[1,0,1]
	s_nop 0
	v_mov_b32_e32 v13, v5
	scratch_store_dwordx2 off, v[12:13], off offset:104
.LBB34_67:
	s_or_b64 exec, exec, s[0:1]
	; wave barrier
	scratch_load_dwordx2 v[4:5], off, off offset:112
	v_cmp_gt_u32_e32 vcc, 14, v0
	s_waitcnt vmcnt(0)
	ds_write_b64 v1, v[4:5]
	s_waitcnt lgkmcnt(0)
	; wave barrier
	s_and_saveexec_b64 s[0:1], vcc
	s_cbranch_execz .LBB34_71
; %bb.68:
	v_mov_b32_e32 v4, 0
	v_add_u32_e32 v3, -1, v0
	v_add_u32_e32 v7, 0x120, v2
	v_mov_b32_e32 v8, v2
	s_mov_b64 s[4:5], 0
	v_mov_b32_e32 v5, v4
.LBB34_69:                              ; =>This Inner Loop Header: Depth=1
	scratch_load_dwordx2 v[10:11], v8, off
	ds_read_b64 v[12:13], v7
	v_add_u32_e32 v3, 1, v3
	v_cmp_lt_u32_e32 vcc, 12, v3
	v_add_u32_e32 v7, 8, v7
	v_add_u32_e32 v8, 8, v8
	s_or_b64 s[4:5], vcc, s[4:5]
	s_waitcnt vmcnt(0) lgkmcnt(0)
	v_pk_mul_f32 v[14:15], v[12:13], v[10:11] op_sel:[1,1] op_sel_hi:[0,1]
	v_pk_fma_f32 v[16:17], v[12:13], v[10:11], v[14:15] neg_lo:[0,0,1] neg_hi:[0,0,1]
	v_pk_fma_f32 v[10:11], v[12:13], v[10:11], v[14:15] op_sel_hi:[1,0,1]
	s_nop 0
	v_mov_b32_e32 v17, v11
	v_pk_add_f32 v[4:5], v[4:5], v[16:17]
	s_andn2_b64 exec, exec, s[4:5]
	s_cbranch_execnz .LBB34_69
; %bb.70:
	s_or_b64 exec, exec, s[4:5]
	v_mov_b32_e32 v3, 0
	ds_read_b64 v[8:9], v3 offset:112
	s_waitcnt lgkmcnt(0)
	v_pk_mul_f32 v[10:11], v[4:5], v[8:9] op_sel:[1,1] op_sel_hi:[0,1]
	v_pk_fma_f32 v[12:13], v[4:5], v[8:9], v[10:11] neg_lo:[0,0,1] neg_hi:[0,0,1]
	v_pk_fma_f32 v[4:5], v[4:5], v[8:9], v[10:11] op_sel_hi:[1,0,1]
	s_nop 0
	v_mov_b32_e32 v13, v5
	scratch_store_dwordx2 off, v[12:13], off offset:112
.LBB34_71:
	s_or_b64 exec, exec, s[0:1]
	; wave barrier
	scratch_load_dwordx2 v[4:5], off, off offset:120
	v_cmp_gt_u32_e32 vcc, 15, v0
	s_waitcnt vmcnt(0)
	ds_write_b64 v1, v[4:5]
	s_waitcnt lgkmcnt(0)
	; wave barrier
	s_and_saveexec_b64 s[0:1], vcc
	s_cbranch_execz .LBB34_75
; %bb.72:
	v_mov_b32_e32 v4, 0
	v_add_u32_e32 v3, -1, v0
	v_add_u32_e32 v7, 0x120, v2
	v_mov_b32_e32 v8, v2
	s_mov_b64 s[4:5], 0
	v_mov_b32_e32 v5, v4
.LBB34_73:                              ; =>This Inner Loop Header: Depth=1
	scratch_load_dwordx2 v[10:11], v8, off
	ds_read_b64 v[12:13], v7
	v_add_u32_e32 v3, 1, v3
	v_cmp_lt_u32_e32 vcc, 13, v3
	v_add_u32_e32 v7, 8, v7
	v_add_u32_e32 v8, 8, v8
	s_or_b64 s[4:5], vcc, s[4:5]
	s_waitcnt vmcnt(0) lgkmcnt(0)
	v_pk_mul_f32 v[14:15], v[12:13], v[10:11] op_sel:[1,1] op_sel_hi:[0,1]
	v_pk_fma_f32 v[16:17], v[12:13], v[10:11], v[14:15] neg_lo:[0,0,1] neg_hi:[0,0,1]
	v_pk_fma_f32 v[10:11], v[12:13], v[10:11], v[14:15] op_sel_hi:[1,0,1]
	s_nop 0
	v_mov_b32_e32 v17, v11
	v_pk_add_f32 v[4:5], v[4:5], v[16:17]
	s_andn2_b64 exec, exec, s[4:5]
	s_cbranch_execnz .LBB34_73
; %bb.74:
	s_or_b64 exec, exec, s[4:5]
	v_mov_b32_e32 v3, 0
	ds_read_b64 v[8:9], v3 offset:120
	s_waitcnt lgkmcnt(0)
	v_pk_mul_f32 v[10:11], v[4:5], v[8:9] op_sel:[1,1] op_sel_hi:[0,1]
	v_pk_fma_f32 v[12:13], v[4:5], v[8:9], v[10:11] neg_lo:[0,0,1] neg_hi:[0,0,1]
	v_pk_fma_f32 v[4:5], v[4:5], v[8:9], v[10:11] op_sel_hi:[1,0,1]
	s_nop 0
	v_mov_b32_e32 v13, v5
	scratch_store_dwordx2 off, v[12:13], off offset:120
.LBB34_75:
	s_or_b64 exec, exec, s[0:1]
	; wave barrier
	scratch_load_dwordx2 v[4:5], off, off offset:128
	v_cmp_gt_u32_e32 vcc, 16, v0
	s_waitcnt vmcnt(0)
	ds_write_b64 v1, v[4:5]
	s_waitcnt lgkmcnt(0)
	; wave barrier
	s_and_saveexec_b64 s[0:1], vcc
	s_cbranch_execz .LBB34_79
; %bb.76:
	v_mov_b32_e32 v4, 0
	v_add_u32_e32 v3, -1, v0
	v_add_u32_e32 v7, 0x120, v2
	v_mov_b32_e32 v8, v2
	s_mov_b64 s[4:5], 0
	v_mov_b32_e32 v5, v4
.LBB34_77:                              ; =>This Inner Loop Header: Depth=1
	scratch_load_dwordx2 v[10:11], v8, off
	ds_read_b64 v[12:13], v7
	v_add_u32_e32 v3, 1, v3
	v_cmp_lt_u32_e32 vcc, 14, v3
	v_add_u32_e32 v7, 8, v7
	v_add_u32_e32 v8, 8, v8
	s_or_b64 s[4:5], vcc, s[4:5]
	s_waitcnt vmcnt(0) lgkmcnt(0)
	v_pk_mul_f32 v[14:15], v[12:13], v[10:11] op_sel:[1,1] op_sel_hi:[0,1]
	v_pk_fma_f32 v[16:17], v[12:13], v[10:11], v[14:15] neg_lo:[0,0,1] neg_hi:[0,0,1]
	v_pk_fma_f32 v[10:11], v[12:13], v[10:11], v[14:15] op_sel_hi:[1,0,1]
	s_nop 0
	v_mov_b32_e32 v17, v11
	v_pk_add_f32 v[4:5], v[4:5], v[16:17]
	s_andn2_b64 exec, exec, s[4:5]
	s_cbranch_execnz .LBB34_77
; %bb.78:
	s_or_b64 exec, exec, s[4:5]
	v_mov_b32_e32 v3, 0
	ds_read_b64 v[8:9], v3 offset:128
	s_waitcnt lgkmcnt(0)
	v_pk_mul_f32 v[10:11], v[4:5], v[8:9] op_sel:[1,1] op_sel_hi:[0,1]
	v_pk_fma_f32 v[12:13], v[4:5], v[8:9], v[10:11] neg_lo:[0,0,1] neg_hi:[0,0,1]
	v_pk_fma_f32 v[4:5], v[4:5], v[8:9], v[10:11] op_sel_hi:[1,0,1]
	s_nop 0
	v_mov_b32_e32 v13, v5
	scratch_store_dwordx2 off, v[12:13], off offset:128
.LBB34_79:
	s_or_b64 exec, exec, s[0:1]
	; wave barrier
	scratch_load_dwordx2 v[4:5], off, off offset:136
	v_cmp_gt_u32_e32 vcc, 17, v0
	s_waitcnt vmcnt(0)
	ds_write_b64 v1, v[4:5]
	s_waitcnt lgkmcnt(0)
	; wave barrier
	s_and_saveexec_b64 s[0:1], vcc
	s_cbranch_execz .LBB34_83
; %bb.80:
	v_mov_b32_e32 v4, 0
	v_add_u32_e32 v3, -1, v0
	v_add_u32_e32 v7, 0x120, v2
	v_mov_b32_e32 v8, v2
	s_mov_b64 s[4:5], 0
	v_mov_b32_e32 v5, v4
.LBB34_81:                              ; =>This Inner Loop Header: Depth=1
	scratch_load_dwordx2 v[10:11], v8, off
	ds_read_b64 v[12:13], v7
	v_add_u32_e32 v3, 1, v3
	v_cmp_lt_u32_e32 vcc, 15, v3
	v_add_u32_e32 v7, 8, v7
	v_add_u32_e32 v8, 8, v8
	s_or_b64 s[4:5], vcc, s[4:5]
	s_waitcnt vmcnt(0) lgkmcnt(0)
	v_pk_mul_f32 v[14:15], v[12:13], v[10:11] op_sel:[1,1] op_sel_hi:[0,1]
	v_pk_fma_f32 v[16:17], v[12:13], v[10:11], v[14:15] neg_lo:[0,0,1] neg_hi:[0,0,1]
	v_pk_fma_f32 v[10:11], v[12:13], v[10:11], v[14:15] op_sel_hi:[1,0,1]
	s_nop 0
	v_mov_b32_e32 v17, v11
	v_pk_add_f32 v[4:5], v[4:5], v[16:17]
	s_andn2_b64 exec, exec, s[4:5]
	s_cbranch_execnz .LBB34_81
; %bb.82:
	s_or_b64 exec, exec, s[4:5]
	v_mov_b32_e32 v3, 0
	ds_read_b64 v[8:9], v3 offset:136
	s_waitcnt lgkmcnt(0)
	v_pk_mul_f32 v[10:11], v[4:5], v[8:9] op_sel:[1,1] op_sel_hi:[0,1]
	v_pk_fma_f32 v[12:13], v[4:5], v[8:9], v[10:11] neg_lo:[0,0,1] neg_hi:[0,0,1]
	v_pk_fma_f32 v[4:5], v[4:5], v[8:9], v[10:11] op_sel_hi:[1,0,1]
	s_nop 0
	v_mov_b32_e32 v13, v5
	scratch_store_dwordx2 off, v[12:13], off offset:136
.LBB34_83:
	s_or_b64 exec, exec, s[0:1]
	; wave barrier
	scratch_load_dwordx2 v[4:5], off, off offset:144
	v_cmp_gt_u32_e32 vcc, 18, v0
	s_waitcnt vmcnt(0)
	ds_write_b64 v1, v[4:5]
	s_waitcnt lgkmcnt(0)
	; wave barrier
	s_and_saveexec_b64 s[0:1], vcc
	s_cbranch_execz .LBB34_87
; %bb.84:
	v_mov_b32_e32 v4, 0
	v_add_u32_e32 v3, -1, v0
	v_add_u32_e32 v7, 0x120, v2
	v_mov_b32_e32 v8, v2
	s_mov_b64 s[4:5], 0
	v_mov_b32_e32 v5, v4
.LBB34_85:                              ; =>This Inner Loop Header: Depth=1
	scratch_load_dwordx2 v[10:11], v8, off
	ds_read_b64 v[12:13], v7
	v_add_u32_e32 v3, 1, v3
	v_cmp_lt_u32_e32 vcc, 16, v3
	v_add_u32_e32 v7, 8, v7
	v_add_u32_e32 v8, 8, v8
	s_or_b64 s[4:5], vcc, s[4:5]
	s_waitcnt vmcnt(0) lgkmcnt(0)
	v_pk_mul_f32 v[14:15], v[12:13], v[10:11] op_sel:[1,1] op_sel_hi:[0,1]
	v_pk_fma_f32 v[16:17], v[12:13], v[10:11], v[14:15] neg_lo:[0,0,1] neg_hi:[0,0,1]
	v_pk_fma_f32 v[10:11], v[12:13], v[10:11], v[14:15] op_sel_hi:[1,0,1]
	s_nop 0
	v_mov_b32_e32 v17, v11
	v_pk_add_f32 v[4:5], v[4:5], v[16:17]
	s_andn2_b64 exec, exec, s[4:5]
	s_cbranch_execnz .LBB34_85
; %bb.86:
	s_or_b64 exec, exec, s[4:5]
	v_mov_b32_e32 v3, 0
	ds_read_b64 v[8:9], v3 offset:144
	s_waitcnt lgkmcnt(0)
	v_pk_mul_f32 v[10:11], v[4:5], v[8:9] op_sel:[1,1] op_sel_hi:[0,1]
	v_pk_fma_f32 v[12:13], v[4:5], v[8:9], v[10:11] neg_lo:[0,0,1] neg_hi:[0,0,1]
	v_pk_fma_f32 v[4:5], v[4:5], v[8:9], v[10:11] op_sel_hi:[1,0,1]
	s_nop 0
	v_mov_b32_e32 v13, v5
	scratch_store_dwordx2 off, v[12:13], off offset:144
.LBB34_87:
	s_or_b64 exec, exec, s[0:1]
	; wave barrier
	scratch_load_dwordx2 v[4:5], off, off offset:152
	v_cmp_gt_u32_e32 vcc, 19, v0
	s_waitcnt vmcnt(0)
	ds_write_b64 v1, v[4:5]
	s_waitcnt lgkmcnt(0)
	; wave barrier
	s_and_saveexec_b64 s[0:1], vcc
	s_cbranch_execz .LBB34_91
; %bb.88:
	v_mov_b32_e32 v4, 0
	v_add_u32_e32 v3, -1, v0
	v_add_u32_e32 v7, 0x120, v2
	v_mov_b32_e32 v8, v2
	s_mov_b64 s[4:5], 0
	v_mov_b32_e32 v5, v4
.LBB34_89:                              ; =>This Inner Loop Header: Depth=1
	scratch_load_dwordx2 v[10:11], v8, off
	ds_read_b64 v[12:13], v7
	v_add_u32_e32 v3, 1, v3
	v_cmp_lt_u32_e32 vcc, 17, v3
	v_add_u32_e32 v7, 8, v7
	v_add_u32_e32 v8, 8, v8
	s_or_b64 s[4:5], vcc, s[4:5]
	s_waitcnt vmcnt(0) lgkmcnt(0)
	v_pk_mul_f32 v[14:15], v[12:13], v[10:11] op_sel:[1,1] op_sel_hi:[0,1]
	v_pk_fma_f32 v[16:17], v[12:13], v[10:11], v[14:15] neg_lo:[0,0,1] neg_hi:[0,0,1]
	v_pk_fma_f32 v[10:11], v[12:13], v[10:11], v[14:15] op_sel_hi:[1,0,1]
	s_nop 0
	v_mov_b32_e32 v17, v11
	v_pk_add_f32 v[4:5], v[4:5], v[16:17]
	s_andn2_b64 exec, exec, s[4:5]
	s_cbranch_execnz .LBB34_89
; %bb.90:
	s_or_b64 exec, exec, s[4:5]
	v_mov_b32_e32 v3, 0
	ds_read_b64 v[8:9], v3 offset:152
	s_waitcnt lgkmcnt(0)
	v_pk_mul_f32 v[10:11], v[4:5], v[8:9] op_sel:[1,1] op_sel_hi:[0,1]
	v_pk_fma_f32 v[12:13], v[4:5], v[8:9], v[10:11] neg_lo:[0,0,1] neg_hi:[0,0,1]
	v_pk_fma_f32 v[4:5], v[4:5], v[8:9], v[10:11] op_sel_hi:[1,0,1]
	s_nop 0
	v_mov_b32_e32 v13, v5
	scratch_store_dwordx2 off, v[12:13], off offset:152
.LBB34_91:
	s_or_b64 exec, exec, s[0:1]
	; wave barrier
	scratch_load_dwordx2 v[4:5], off, off offset:160
	v_cmp_gt_u32_e32 vcc, 20, v0
	s_waitcnt vmcnt(0)
	ds_write_b64 v1, v[4:5]
	s_waitcnt lgkmcnt(0)
	; wave barrier
	s_and_saveexec_b64 s[0:1], vcc
	s_cbranch_execz .LBB34_95
; %bb.92:
	v_mov_b32_e32 v4, 0
	v_add_u32_e32 v3, -1, v0
	v_add_u32_e32 v7, 0x120, v2
	v_mov_b32_e32 v8, v2
	s_mov_b64 s[4:5], 0
	v_mov_b32_e32 v5, v4
.LBB34_93:                              ; =>This Inner Loop Header: Depth=1
	scratch_load_dwordx2 v[10:11], v8, off
	ds_read_b64 v[12:13], v7
	v_add_u32_e32 v3, 1, v3
	v_cmp_lt_u32_e32 vcc, 18, v3
	v_add_u32_e32 v7, 8, v7
	v_add_u32_e32 v8, 8, v8
	s_or_b64 s[4:5], vcc, s[4:5]
	s_waitcnt vmcnt(0) lgkmcnt(0)
	v_pk_mul_f32 v[14:15], v[12:13], v[10:11] op_sel:[1,1] op_sel_hi:[0,1]
	v_pk_fma_f32 v[16:17], v[12:13], v[10:11], v[14:15] neg_lo:[0,0,1] neg_hi:[0,0,1]
	v_pk_fma_f32 v[10:11], v[12:13], v[10:11], v[14:15] op_sel_hi:[1,0,1]
	s_nop 0
	v_mov_b32_e32 v17, v11
	v_pk_add_f32 v[4:5], v[4:5], v[16:17]
	s_andn2_b64 exec, exec, s[4:5]
	s_cbranch_execnz .LBB34_93
; %bb.94:
	s_or_b64 exec, exec, s[4:5]
	v_mov_b32_e32 v3, 0
	ds_read_b64 v[8:9], v3 offset:160
	s_waitcnt lgkmcnt(0)
	v_pk_mul_f32 v[10:11], v[4:5], v[8:9] op_sel:[1,1] op_sel_hi:[0,1]
	v_pk_fma_f32 v[12:13], v[4:5], v[8:9], v[10:11] neg_lo:[0,0,1] neg_hi:[0,0,1]
	v_pk_fma_f32 v[4:5], v[4:5], v[8:9], v[10:11] op_sel_hi:[1,0,1]
	s_nop 0
	v_mov_b32_e32 v13, v5
	scratch_store_dwordx2 off, v[12:13], off offset:160
.LBB34_95:
	s_or_b64 exec, exec, s[0:1]
	; wave barrier
	scratch_load_dwordx2 v[4:5], off, off offset:168
	v_cmp_gt_u32_e32 vcc, 21, v0
	s_waitcnt vmcnt(0)
	ds_write_b64 v1, v[4:5]
	s_waitcnt lgkmcnt(0)
	; wave barrier
	s_and_saveexec_b64 s[0:1], vcc
	s_cbranch_execz .LBB34_99
; %bb.96:
	v_mov_b32_e32 v4, 0
	v_add_u32_e32 v3, -1, v0
	v_add_u32_e32 v7, 0x120, v2
	v_mov_b32_e32 v8, v2
	s_mov_b64 s[4:5], 0
	v_mov_b32_e32 v5, v4
.LBB34_97:                              ; =>This Inner Loop Header: Depth=1
	scratch_load_dwordx2 v[10:11], v8, off
	ds_read_b64 v[12:13], v7
	v_add_u32_e32 v3, 1, v3
	v_cmp_lt_u32_e32 vcc, 19, v3
	v_add_u32_e32 v7, 8, v7
	v_add_u32_e32 v8, 8, v8
	s_or_b64 s[4:5], vcc, s[4:5]
	s_waitcnt vmcnt(0) lgkmcnt(0)
	v_pk_mul_f32 v[14:15], v[12:13], v[10:11] op_sel:[1,1] op_sel_hi:[0,1]
	v_pk_fma_f32 v[16:17], v[12:13], v[10:11], v[14:15] neg_lo:[0,0,1] neg_hi:[0,0,1]
	v_pk_fma_f32 v[10:11], v[12:13], v[10:11], v[14:15] op_sel_hi:[1,0,1]
	s_nop 0
	v_mov_b32_e32 v17, v11
	v_pk_add_f32 v[4:5], v[4:5], v[16:17]
	s_andn2_b64 exec, exec, s[4:5]
	s_cbranch_execnz .LBB34_97
; %bb.98:
	s_or_b64 exec, exec, s[4:5]
	v_mov_b32_e32 v3, 0
	ds_read_b64 v[8:9], v3 offset:168
	s_waitcnt lgkmcnt(0)
	v_pk_mul_f32 v[10:11], v[4:5], v[8:9] op_sel:[1,1] op_sel_hi:[0,1]
	v_pk_fma_f32 v[12:13], v[4:5], v[8:9], v[10:11] neg_lo:[0,0,1] neg_hi:[0,0,1]
	v_pk_fma_f32 v[4:5], v[4:5], v[8:9], v[10:11] op_sel_hi:[1,0,1]
	s_nop 0
	v_mov_b32_e32 v13, v5
	scratch_store_dwordx2 off, v[12:13], off offset:168
.LBB34_99:
	s_or_b64 exec, exec, s[0:1]
	; wave barrier
	scratch_load_dwordx2 v[4:5], off, off offset:176
	v_cmp_gt_u32_e32 vcc, 22, v0
	s_waitcnt vmcnt(0)
	ds_write_b64 v1, v[4:5]
	s_waitcnt lgkmcnt(0)
	; wave barrier
	s_and_saveexec_b64 s[0:1], vcc
	s_cbranch_execz .LBB34_103
; %bb.100:
	v_mov_b32_e32 v4, 0
	v_add_u32_e32 v3, -1, v0
	v_add_u32_e32 v7, 0x120, v2
	v_mov_b32_e32 v8, v2
	s_mov_b64 s[4:5], 0
	v_mov_b32_e32 v5, v4
.LBB34_101:                             ; =>This Inner Loop Header: Depth=1
	scratch_load_dwordx2 v[10:11], v8, off
	ds_read_b64 v[12:13], v7
	v_add_u32_e32 v3, 1, v3
	v_cmp_lt_u32_e32 vcc, 20, v3
	v_add_u32_e32 v7, 8, v7
	v_add_u32_e32 v8, 8, v8
	s_or_b64 s[4:5], vcc, s[4:5]
	s_waitcnt vmcnt(0) lgkmcnt(0)
	v_pk_mul_f32 v[14:15], v[12:13], v[10:11] op_sel:[1,1] op_sel_hi:[0,1]
	v_pk_fma_f32 v[16:17], v[12:13], v[10:11], v[14:15] neg_lo:[0,0,1] neg_hi:[0,0,1]
	v_pk_fma_f32 v[10:11], v[12:13], v[10:11], v[14:15] op_sel_hi:[1,0,1]
	s_nop 0
	v_mov_b32_e32 v17, v11
	v_pk_add_f32 v[4:5], v[4:5], v[16:17]
	s_andn2_b64 exec, exec, s[4:5]
	s_cbranch_execnz .LBB34_101
; %bb.102:
	s_or_b64 exec, exec, s[4:5]
	v_mov_b32_e32 v3, 0
	ds_read_b64 v[8:9], v3 offset:176
	s_waitcnt lgkmcnt(0)
	v_pk_mul_f32 v[10:11], v[4:5], v[8:9] op_sel:[1,1] op_sel_hi:[0,1]
	v_pk_fma_f32 v[12:13], v[4:5], v[8:9], v[10:11] neg_lo:[0,0,1] neg_hi:[0,0,1]
	v_pk_fma_f32 v[4:5], v[4:5], v[8:9], v[10:11] op_sel_hi:[1,0,1]
	s_nop 0
	v_mov_b32_e32 v13, v5
	scratch_store_dwordx2 off, v[12:13], off offset:176
.LBB34_103:
	s_or_b64 exec, exec, s[0:1]
	; wave barrier
	scratch_load_dwordx2 v[4:5], off, off offset:184
	v_cmp_gt_u32_e32 vcc, 23, v0
	s_waitcnt vmcnt(0)
	ds_write_b64 v1, v[4:5]
	s_waitcnt lgkmcnt(0)
	; wave barrier
	s_and_saveexec_b64 s[0:1], vcc
	s_cbranch_execz .LBB34_107
; %bb.104:
	v_mov_b32_e32 v4, 0
	v_add_u32_e32 v3, -1, v0
	v_add_u32_e32 v7, 0x120, v2
	v_mov_b32_e32 v8, v2
	s_mov_b64 s[4:5], 0
	v_mov_b32_e32 v5, v4
.LBB34_105:                             ; =>This Inner Loop Header: Depth=1
	scratch_load_dwordx2 v[10:11], v8, off
	ds_read_b64 v[12:13], v7
	v_add_u32_e32 v3, 1, v3
	v_cmp_lt_u32_e32 vcc, 21, v3
	v_add_u32_e32 v7, 8, v7
	v_add_u32_e32 v8, 8, v8
	s_or_b64 s[4:5], vcc, s[4:5]
	s_waitcnt vmcnt(0) lgkmcnt(0)
	v_pk_mul_f32 v[14:15], v[12:13], v[10:11] op_sel:[1,1] op_sel_hi:[0,1]
	v_pk_fma_f32 v[16:17], v[12:13], v[10:11], v[14:15] neg_lo:[0,0,1] neg_hi:[0,0,1]
	v_pk_fma_f32 v[10:11], v[12:13], v[10:11], v[14:15] op_sel_hi:[1,0,1]
	s_nop 0
	v_mov_b32_e32 v17, v11
	v_pk_add_f32 v[4:5], v[4:5], v[16:17]
	s_andn2_b64 exec, exec, s[4:5]
	s_cbranch_execnz .LBB34_105
; %bb.106:
	s_or_b64 exec, exec, s[4:5]
	v_mov_b32_e32 v3, 0
	ds_read_b64 v[8:9], v3 offset:184
	s_waitcnt lgkmcnt(0)
	v_pk_mul_f32 v[10:11], v[4:5], v[8:9] op_sel:[1,1] op_sel_hi:[0,1]
	v_pk_fma_f32 v[12:13], v[4:5], v[8:9], v[10:11] neg_lo:[0,0,1] neg_hi:[0,0,1]
	v_pk_fma_f32 v[4:5], v[4:5], v[8:9], v[10:11] op_sel_hi:[1,0,1]
	s_nop 0
	v_mov_b32_e32 v13, v5
	scratch_store_dwordx2 off, v[12:13], off offset:184
.LBB34_107:
	s_or_b64 exec, exec, s[0:1]
	; wave barrier
	scratch_load_dwordx2 v[4:5], off, off offset:192
	v_cmp_gt_u32_e32 vcc, 24, v0
	s_waitcnt vmcnt(0)
	ds_write_b64 v1, v[4:5]
	s_waitcnt lgkmcnt(0)
	; wave barrier
	s_and_saveexec_b64 s[0:1], vcc
	s_cbranch_execz .LBB34_111
; %bb.108:
	v_mov_b32_e32 v4, 0
	v_add_u32_e32 v3, -1, v0
	v_add_u32_e32 v7, 0x120, v2
	v_mov_b32_e32 v8, v2
	s_mov_b64 s[4:5], 0
	v_mov_b32_e32 v5, v4
.LBB34_109:                             ; =>This Inner Loop Header: Depth=1
	scratch_load_dwordx2 v[10:11], v8, off
	ds_read_b64 v[12:13], v7
	v_add_u32_e32 v3, 1, v3
	v_cmp_lt_u32_e32 vcc, 22, v3
	v_add_u32_e32 v7, 8, v7
	v_add_u32_e32 v8, 8, v8
	s_or_b64 s[4:5], vcc, s[4:5]
	s_waitcnt vmcnt(0) lgkmcnt(0)
	v_pk_mul_f32 v[14:15], v[12:13], v[10:11] op_sel:[1,1] op_sel_hi:[0,1]
	v_pk_fma_f32 v[16:17], v[12:13], v[10:11], v[14:15] neg_lo:[0,0,1] neg_hi:[0,0,1]
	v_pk_fma_f32 v[10:11], v[12:13], v[10:11], v[14:15] op_sel_hi:[1,0,1]
	s_nop 0
	v_mov_b32_e32 v17, v11
	v_pk_add_f32 v[4:5], v[4:5], v[16:17]
	s_andn2_b64 exec, exec, s[4:5]
	s_cbranch_execnz .LBB34_109
; %bb.110:
	s_or_b64 exec, exec, s[4:5]
	v_mov_b32_e32 v3, 0
	ds_read_b64 v[8:9], v3 offset:192
	s_waitcnt lgkmcnt(0)
	v_pk_mul_f32 v[10:11], v[4:5], v[8:9] op_sel:[1,1] op_sel_hi:[0,1]
	v_pk_fma_f32 v[12:13], v[4:5], v[8:9], v[10:11] neg_lo:[0,0,1] neg_hi:[0,0,1]
	v_pk_fma_f32 v[4:5], v[4:5], v[8:9], v[10:11] op_sel_hi:[1,0,1]
	s_nop 0
	v_mov_b32_e32 v13, v5
	scratch_store_dwordx2 off, v[12:13], off offset:192
.LBB34_111:
	s_or_b64 exec, exec, s[0:1]
	; wave barrier
	scratch_load_dwordx2 v[4:5], off, off offset:200
	v_cmp_gt_u32_e32 vcc, 25, v0
	s_waitcnt vmcnt(0)
	ds_write_b64 v1, v[4:5]
	s_waitcnt lgkmcnt(0)
	; wave barrier
	s_and_saveexec_b64 s[0:1], vcc
	s_cbranch_execz .LBB34_115
; %bb.112:
	v_mov_b32_e32 v4, 0
	v_add_u32_e32 v3, -1, v0
	v_add_u32_e32 v7, 0x120, v2
	v_mov_b32_e32 v8, v2
	s_mov_b64 s[4:5], 0
	v_mov_b32_e32 v5, v4
.LBB34_113:                             ; =>This Inner Loop Header: Depth=1
	scratch_load_dwordx2 v[10:11], v8, off
	ds_read_b64 v[12:13], v7
	v_add_u32_e32 v3, 1, v3
	v_cmp_lt_u32_e32 vcc, 23, v3
	v_add_u32_e32 v7, 8, v7
	v_add_u32_e32 v8, 8, v8
	s_or_b64 s[4:5], vcc, s[4:5]
	s_waitcnt vmcnt(0) lgkmcnt(0)
	v_pk_mul_f32 v[14:15], v[12:13], v[10:11] op_sel:[1,1] op_sel_hi:[0,1]
	v_pk_fma_f32 v[16:17], v[12:13], v[10:11], v[14:15] neg_lo:[0,0,1] neg_hi:[0,0,1]
	v_pk_fma_f32 v[10:11], v[12:13], v[10:11], v[14:15] op_sel_hi:[1,0,1]
	s_nop 0
	v_mov_b32_e32 v17, v11
	v_pk_add_f32 v[4:5], v[4:5], v[16:17]
	s_andn2_b64 exec, exec, s[4:5]
	s_cbranch_execnz .LBB34_113
; %bb.114:
	s_or_b64 exec, exec, s[4:5]
	v_mov_b32_e32 v3, 0
	ds_read_b64 v[8:9], v3 offset:200
	s_waitcnt lgkmcnt(0)
	v_pk_mul_f32 v[10:11], v[4:5], v[8:9] op_sel:[1,1] op_sel_hi:[0,1]
	v_pk_fma_f32 v[12:13], v[4:5], v[8:9], v[10:11] neg_lo:[0,0,1] neg_hi:[0,0,1]
	v_pk_fma_f32 v[4:5], v[4:5], v[8:9], v[10:11] op_sel_hi:[1,0,1]
	s_nop 0
	v_mov_b32_e32 v13, v5
	scratch_store_dwordx2 off, v[12:13], off offset:200
.LBB34_115:
	s_or_b64 exec, exec, s[0:1]
	; wave barrier
	scratch_load_dwordx2 v[4:5], off, off offset:208
	v_cmp_gt_u32_e32 vcc, 26, v0
	s_waitcnt vmcnt(0)
	ds_write_b64 v1, v[4:5]
	s_waitcnt lgkmcnt(0)
	; wave barrier
	s_and_saveexec_b64 s[0:1], vcc
	s_cbranch_execz .LBB34_119
; %bb.116:
	v_mov_b32_e32 v4, 0
	v_add_u32_e32 v3, -1, v0
	v_add_u32_e32 v7, 0x120, v2
	v_mov_b32_e32 v8, v2
	s_mov_b64 s[4:5], 0
	v_mov_b32_e32 v5, v4
.LBB34_117:                             ; =>This Inner Loop Header: Depth=1
	scratch_load_dwordx2 v[10:11], v8, off
	ds_read_b64 v[12:13], v7
	v_add_u32_e32 v3, 1, v3
	v_cmp_lt_u32_e32 vcc, 24, v3
	v_add_u32_e32 v7, 8, v7
	v_add_u32_e32 v8, 8, v8
	s_or_b64 s[4:5], vcc, s[4:5]
	s_waitcnt vmcnt(0) lgkmcnt(0)
	v_pk_mul_f32 v[14:15], v[12:13], v[10:11] op_sel:[1,1] op_sel_hi:[0,1]
	v_pk_fma_f32 v[16:17], v[12:13], v[10:11], v[14:15] neg_lo:[0,0,1] neg_hi:[0,0,1]
	v_pk_fma_f32 v[10:11], v[12:13], v[10:11], v[14:15] op_sel_hi:[1,0,1]
	s_nop 0
	v_mov_b32_e32 v17, v11
	v_pk_add_f32 v[4:5], v[4:5], v[16:17]
	s_andn2_b64 exec, exec, s[4:5]
	s_cbranch_execnz .LBB34_117
; %bb.118:
	s_or_b64 exec, exec, s[4:5]
	v_mov_b32_e32 v3, 0
	ds_read_b64 v[8:9], v3 offset:208
	s_waitcnt lgkmcnt(0)
	v_pk_mul_f32 v[10:11], v[4:5], v[8:9] op_sel:[1,1] op_sel_hi:[0,1]
	v_pk_fma_f32 v[12:13], v[4:5], v[8:9], v[10:11] neg_lo:[0,0,1] neg_hi:[0,0,1]
	v_pk_fma_f32 v[4:5], v[4:5], v[8:9], v[10:11] op_sel_hi:[1,0,1]
	s_nop 0
	v_mov_b32_e32 v13, v5
	scratch_store_dwordx2 off, v[12:13], off offset:208
.LBB34_119:
	s_or_b64 exec, exec, s[0:1]
	; wave barrier
	scratch_load_dwordx2 v[4:5], off, off offset:216
	v_cmp_gt_u32_e32 vcc, 27, v0
	s_waitcnt vmcnt(0)
	ds_write_b64 v1, v[4:5]
	s_waitcnt lgkmcnt(0)
	; wave barrier
	s_and_saveexec_b64 s[0:1], vcc
	s_cbranch_execz .LBB34_123
; %bb.120:
	v_mov_b32_e32 v4, 0
	v_add_u32_e32 v3, -1, v0
	v_add_u32_e32 v7, 0x120, v2
	v_mov_b32_e32 v8, v2
	s_mov_b64 s[4:5], 0
	v_mov_b32_e32 v5, v4
.LBB34_121:                             ; =>This Inner Loop Header: Depth=1
	scratch_load_dwordx2 v[10:11], v8, off
	ds_read_b64 v[12:13], v7
	v_add_u32_e32 v3, 1, v3
	v_cmp_lt_u32_e32 vcc, 25, v3
	v_add_u32_e32 v7, 8, v7
	v_add_u32_e32 v8, 8, v8
	s_or_b64 s[4:5], vcc, s[4:5]
	s_waitcnt vmcnt(0) lgkmcnt(0)
	v_pk_mul_f32 v[14:15], v[12:13], v[10:11] op_sel:[1,1] op_sel_hi:[0,1]
	v_pk_fma_f32 v[16:17], v[12:13], v[10:11], v[14:15] neg_lo:[0,0,1] neg_hi:[0,0,1]
	v_pk_fma_f32 v[10:11], v[12:13], v[10:11], v[14:15] op_sel_hi:[1,0,1]
	s_nop 0
	v_mov_b32_e32 v17, v11
	v_pk_add_f32 v[4:5], v[4:5], v[16:17]
	s_andn2_b64 exec, exec, s[4:5]
	s_cbranch_execnz .LBB34_121
; %bb.122:
	s_or_b64 exec, exec, s[4:5]
	v_mov_b32_e32 v3, 0
	ds_read_b64 v[8:9], v3 offset:216
	s_waitcnt lgkmcnt(0)
	v_pk_mul_f32 v[10:11], v[4:5], v[8:9] op_sel:[1,1] op_sel_hi:[0,1]
	v_pk_fma_f32 v[12:13], v[4:5], v[8:9], v[10:11] neg_lo:[0,0,1] neg_hi:[0,0,1]
	v_pk_fma_f32 v[4:5], v[4:5], v[8:9], v[10:11] op_sel_hi:[1,0,1]
	s_nop 0
	v_mov_b32_e32 v13, v5
	scratch_store_dwordx2 off, v[12:13], off offset:216
.LBB34_123:
	s_or_b64 exec, exec, s[0:1]
	; wave barrier
	scratch_load_dwordx2 v[4:5], off, off offset:224
	v_cmp_gt_u32_e32 vcc, 28, v0
	s_waitcnt vmcnt(0)
	ds_write_b64 v1, v[4:5]
	s_waitcnt lgkmcnt(0)
	; wave barrier
	s_and_saveexec_b64 s[0:1], vcc
	s_cbranch_execz .LBB34_127
; %bb.124:
	v_mov_b32_e32 v4, 0
	v_add_u32_e32 v3, -1, v0
	v_add_u32_e32 v7, 0x120, v2
	v_mov_b32_e32 v8, v2
	s_mov_b64 s[4:5], 0
	v_mov_b32_e32 v5, v4
.LBB34_125:                             ; =>This Inner Loop Header: Depth=1
	scratch_load_dwordx2 v[10:11], v8, off
	ds_read_b64 v[12:13], v7
	v_add_u32_e32 v3, 1, v3
	v_cmp_lt_u32_e32 vcc, 26, v3
	v_add_u32_e32 v7, 8, v7
	v_add_u32_e32 v8, 8, v8
	s_or_b64 s[4:5], vcc, s[4:5]
	s_waitcnt vmcnt(0) lgkmcnt(0)
	v_pk_mul_f32 v[14:15], v[12:13], v[10:11] op_sel:[1,1] op_sel_hi:[0,1]
	v_pk_fma_f32 v[16:17], v[12:13], v[10:11], v[14:15] neg_lo:[0,0,1] neg_hi:[0,0,1]
	v_pk_fma_f32 v[10:11], v[12:13], v[10:11], v[14:15] op_sel_hi:[1,0,1]
	s_nop 0
	v_mov_b32_e32 v17, v11
	v_pk_add_f32 v[4:5], v[4:5], v[16:17]
	s_andn2_b64 exec, exec, s[4:5]
	s_cbranch_execnz .LBB34_125
; %bb.126:
	s_or_b64 exec, exec, s[4:5]
	v_mov_b32_e32 v3, 0
	ds_read_b64 v[8:9], v3 offset:224
	s_waitcnt lgkmcnt(0)
	v_pk_mul_f32 v[10:11], v[4:5], v[8:9] op_sel:[1,1] op_sel_hi:[0,1]
	v_pk_fma_f32 v[12:13], v[4:5], v[8:9], v[10:11] neg_lo:[0,0,1] neg_hi:[0,0,1]
	v_pk_fma_f32 v[4:5], v[4:5], v[8:9], v[10:11] op_sel_hi:[1,0,1]
	s_nop 0
	v_mov_b32_e32 v13, v5
	scratch_store_dwordx2 off, v[12:13], off offset:224
.LBB34_127:
	s_or_b64 exec, exec, s[0:1]
	; wave barrier
	scratch_load_dwordx2 v[4:5], off, off offset:232
	v_cmp_gt_u32_e32 vcc, 29, v0
	s_waitcnt vmcnt(0)
	ds_write_b64 v1, v[4:5]
	s_waitcnt lgkmcnt(0)
	; wave barrier
	s_and_saveexec_b64 s[0:1], vcc
	s_cbranch_execz .LBB34_131
; %bb.128:
	v_mov_b32_e32 v4, 0
	v_add_u32_e32 v3, -1, v0
	v_add_u32_e32 v7, 0x120, v2
	v_mov_b32_e32 v8, v2
	s_mov_b64 s[4:5], 0
	v_mov_b32_e32 v5, v4
.LBB34_129:                             ; =>This Inner Loop Header: Depth=1
	scratch_load_dwordx2 v[10:11], v8, off
	ds_read_b64 v[12:13], v7
	v_add_u32_e32 v3, 1, v3
	v_cmp_lt_u32_e32 vcc, 27, v3
	v_add_u32_e32 v7, 8, v7
	v_add_u32_e32 v8, 8, v8
	s_or_b64 s[4:5], vcc, s[4:5]
	s_waitcnt vmcnt(0) lgkmcnt(0)
	v_pk_mul_f32 v[14:15], v[12:13], v[10:11] op_sel:[1,1] op_sel_hi:[0,1]
	v_pk_fma_f32 v[16:17], v[12:13], v[10:11], v[14:15] neg_lo:[0,0,1] neg_hi:[0,0,1]
	v_pk_fma_f32 v[10:11], v[12:13], v[10:11], v[14:15] op_sel_hi:[1,0,1]
	s_nop 0
	v_mov_b32_e32 v17, v11
	v_pk_add_f32 v[4:5], v[4:5], v[16:17]
	s_andn2_b64 exec, exec, s[4:5]
	s_cbranch_execnz .LBB34_129
; %bb.130:
	s_or_b64 exec, exec, s[4:5]
	v_mov_b32_e32 v3, 0
	ds_read_b64 v[8:9], v3 offset:232
	s_waitcnt lgkmcnt(0)
	v_pk_mul_f32 v[10:11], v[4:5], v[8:9] op_sel:[1,1] op_sel_hi:[0,1]
	v_pk_fma_f32 v[12:13], v[4:5], v[8:9], v[10:11] neg_lo:[0,0,1] neg_hi:[0,0,1]
	v_pk_fma_f32 v[4:5], v[4:5], v[8:9], v[10:11] op_sel_hi:[1,0,1]
	s_nop 0
	v_mov_b32_e32 v13, v5
	scratch_store_dwordx2 off, v[12:13], off offset:232
.LBB34_131:
	s_or_b64 exec, exec, s[0:1]
	; wave barrier
	scratch_load_dwordx2 v[4:5], off, off offset:240
	v_cmp_gt_u32_e32 vcc, 30, v0
	s_waitcnt vmcnt(0)
	ds_write_b64 v1, v[4:5]
	s_waitcnt lgkmcnt(0)
	; wave barrier
	s_and_saveexec_b64 s[0:1], vcc
	s_cbranch_execz .LBB34_135
; %bb.132:
	v_mov_b32_e32 v4, 0
	v_add_u32_e32 v3, -1, v0
	v_add_u32_e32 v7, 0x120, v2
	v_mov_b32_e32 v8, v2
	s_mov_b64 s[4:5], 0
	v_mov_b32_e32 v5, v4
.LBB34_133:                             ; =>This Inner Loop Header: Depth=1
	scratch_load_dwordx2 v[10:11], v8, off
	ds_read_b64 v[12:13], v7
	v_add_u32_e32 v3, 1, v3
	v_cmp_lt_u32_e32 vcc, 28, v3
	v_add_u32_e32 v7, 8, v7
	v_add_u32_e32 v8, 8, v8
	s_or_b64 s[4:5], vcc, s[4:5]
	s_waitcnt vmcnt(0) lgkmcnt(0)
	v_pk_mul_f32 v[14:15], v[12:13], v[10:11] op_sel:[1,1] op_sel_hi:[0,1]
	v_pk_fma_f32 v[16:17], v[12:13], v[10:11], v[14:15] neg_lo:[0,0,1] neg_hi:[0,0,1]
	v_pk_fma_f32 v[10:11], v[12:13], v[10:11], v[14:15] op_sel_hi:[1,0,1]
	s_nop 0
	v_mov_b32_e32 v17, v11
	v_pk_add_f32 v[4:5], v[4:5], v[16:17]
	s_andn2_b64 exec, exec, s[4:5]
	s_cbranch_execnz .LBB34_133
; %bb.134:
	s_or_b64 exec, exec, s[4:5]
	v_mov_b32_e32 v3, 0
	ds_read_b64 v[8:9], v3 offset:240
	s_waitcnt lgkmcnt(0)
	v_pk_mul_f32 v[10:11], v[4:5], v[8:9] op_sel:[1,1] op_sel_hi:[0,1]
	v_pk_fma_f32 v[12:13], v[4:5], v[8:9], v[10:11] neg_lo:[0,0,1] neg_hi:[0,0,1]
	v_pk_fma_f32 v[4:5], v[4:5], v[8:9], v[10:11] op_sel_hi:[1,0,1]
	s_nop 0
	v_mov_b32_e32 v13, v5
	scratch_store_dwordx2 off, v[12:13], off offset:240
.LBB34_135:
	s_or_b64 exec, exec, s[0:1]
	; wave barrier
	scratch_load_dwordx2 v[4:5], off, off offset:248
	v_cmp_gt_u32_e32 vcc, 31, v0
	s_waitcnt vmcnt(0)
	ds_write_b64 v1, v[4:5]
	s_waitcnt lgkmcnt(0)
	; wave barrier
	s_and_saveexec_b64 s[0:1], vcc
	s_cbranch_execz .LBB34_139
; %bb.136:
	v_mov_b32_e32 v4, 0
	v_add_u32_e32 v3, -1, v0
	v_add_u32_e32 v7, 0x120, v2
	v_mov_b32_e32 v8, v2
	s_mov_b64 s[4:5], 0
	v_mov_b32_e32 v5, v4
.LBB34_137:                             ; =>This Inner Loop Header: Depth=1
	scratch_load_dwordx2 v[10:11], v8, off
	ds_read_b64 v[12:13], v7
	v_add_u32_e32 v3, 1, v3
	v_cmp_lt_u32_e32 vcc, 29, v3
	v_add_u32_e32 v7, 8, v7
	v_add_u32_e32 v8, 8, v8
	s_or_b64 s[4:5], vcc, s[4:5]
	s_waitcnt vmcnt(0) lgkmcnt(0)
	v_pk_mul_f32 v[14:15], v[12:13], v[10:11] op_sel:[1,1] op_sel_hi:[0,1]
	v_pk_fma_f32 v[16:17], v[12:13], v[10:11], v[14:15] neg_lo:[0,0,1] neg_hi:[0,0,1]
	v_pk_fma_f32 v[10:11], v[12:13], v[10:11], v[14:15] op_sel_hi:[1,0,1]
	s_nop 0
	v_mov_b32_e32 v17, v11
	v_pk_add_f32 v[4:5], v[4:5], v[16:17]
	s_andn2_b64 exec, exec, s[4:5]
	s_cbranch_execnz .LBB34_137
; %bb.138:
	s_or_b64 exec, exec, s[4:5]
	v_mov_b32_e32 v3, 0
	ds_read_b64 v[8:9], v3 offset:248
	s_waitcnt lgkmcnt(0)
	v_pk_mul_f32 v[10:11], v[4:5], v[8:9] op_sel:[1,1] op_sel_hi:[0,1]
	v_pk_fma_f32 v[12:13], v[4:5], v[8:9], v[10:11] neg_lo:[0,0,1] neg_hi:[0,0,1]
	v_pk_fma_f32 v[4:5], v[4:5], v[8:9], v[10:11] op_sel_hi:[1,0,1]
	s_nop 0
	v_mov_b32_e32 v13, v5
	scratch_store_dwordx2 off, v[12:13], off offset:248
.LBB34_139:
	s_or_b64 exec, exec, s[0:1]
	; wave barrier
	scratch_load_dwordx2 v[4:5], off, off offset:256
	v_cmp_gt_u32_e32 vcc, 32, v0
	s_waitcnt vmcnt(0)
	ds_write_b64 v1, v[4:5]
	s_waitcnt lgkmcnt(0)
	; wave barrier
	s_and_saveexec_b64 s[0:1], vcc
	s_cbranch_execz .LBB34_143
; %bb.140:
	v_mov_b32_e32 v4, 0
	v_add_u32_e32 v3, -1, v0
	v_add_u32_e32 v7, 0x120, v2
	v_mov_b32_e32 v8, v2
	s_mov_b64 s[4:5], 0
	v_mov_b32_e32 v5, v4
.LBB34_141:                             ; =>This Inner Loop Header: Depth=1
	scratch_load_dwordx2 v[10:11], v8, off
	ds_read_b64 v[12:13], v7
	v_add_u32_e32 v3, 1, v3
	v_cmp_lt_u32_e32 vcc, 30, v3
	v_add_u32_e32 v7, 8, v7
	v_add_u32_e32 v8, 8, v8
	s_or_b64 s[4:5], vcc, s[4:5]
	s_waitcnt vmcnt(0) lgkmcnt(0)
	v_pk_mul_f32 v[14:15], v[12:13], v[10:11] op_sel:[1,1] op_sel_hi:[0,1]
	v_pk_fma_f32 v[16:17], v[12:13], v[10:11], v[14:15] neg_lo:[0,0,1] neg_hi:[0,0,1]
	v_pk_fma_f32 v[10:11], v[12:13], v[10:11], v[14:15] op_sel_hi:[1,0,1]
	s_nop 0
	v_mov_b32_e32 v17, v11
	v_pk_add_f32 v[4:5], v[4:5], v[16:17]
	s_andn2_b64 exec, exec, s[4:5]
	s_cbranch_execnz .LBB34_141
; %bb.142:
	s_or_b64 exec, exec, s[4:5]
	v_mov_b32_e32 v3, 0
	ds_read_b64 v[8:9], v3 offset:256
	s_waitcnt lgkmcnt(0)
	v_pk_mul_f32 v[10:11], v[4:5], v[8:9] op_sel:[1,1] op_sel_hi:[0,1]
	v_pk_fma_f32 v[12:13], v[4:5], v[8:9], v[10:11] neg_lo:[0,0,1] neg_hi:[0,0,1]
	v_pk_fma_f32 v[4:5], v[4:5], v[8:9], v[10:11] op_sel_hi:[1,0,1]
	s_nop 0
	v_mov_b32_e32 v13, v5
	scratch_store_dwordx2 off, v[12:13], off offset:256
.LBB34_143:
	s_or_b64 exec, exec, s[0:1]
	; wave barrier
	scratch_load_dwordx2 v[4:5], off, off offset:264
	v_cmp_gt_u32_e32 vcc, 33, v0
	s_waitcnt vmcnt(0)
	ds_write_b64 v1, v[4:5]
	s_waitcnt lgkmcnt(0)
	; wave barrier
	s_and_saveexec_b64 s[0:1], vcc
	s_cbranch_execz .LBB34_147
; %bb.144:
	v_mov_b32_e32 v4, 0
	v_add_u32_e32 v3, -1, v0
	v_add_u32_e32 v7, 0x120, v2
	v_mov_b32_e32 v8, v2
	s_mov_b64 s[4:5], 0
	v_mov_b32_e32 v5, v4
.LBB34_145:                             ; =>This Inner Loop Header: Depth=1
	scratch_load_dwordx2 v[10:11], v8, off
	ds_read_b64 v[12:13], v7
	v_add_u32_e32 v3, 1, v3
	v_cmp_lt_u32_e32 vcc, 31, v3
	v_add_u32_e32 v7, 8, v7
	v_add_u32_e32 v8, 8, v8
	s_or_b64 s[4:5], vcc, s[4:5]
	s_waitcnt vmcnt(0) lgkmcnt(0)
	v_pk_mul_f32 v[14:15], v[12:13], v[10:11] op_sel:[1,1] op_sel_hi:[0,1]
	v_pk_fma_f32 v[16:17], v[12:13], v[10:11], v[14:15] neg_lo:[0,0,1] neg_hi:[0,0,1]
	v_pk_fma_f32 v[10:11], v[12:13], v[10:11], v[14:15] op_sel_hi:[1,0,1]
	s_nop 0
	v_mov_b32_e32 v17, v11
	v_pk_add_f32 v[4:5], v[4:5], v[16:17]
	s_andn2_b64 exec, exec, s[4:5]
	s_cbranch_execnz .LBB34_145
; %bb.146:
	s_or_b64 exec, exec, s[4:5]
	v_mov_b32_e32 v3, 0
	ds_read_b64 v[8:9], v3 offset:264
	s_waitcnt lgkmcnt(0)
	v_pk_mul_f32 v[10:11], v[4:5], v[8:9] op_sel:[1,1] op_sel_hi:[0,1]
	v_pk_fma_f32 v[12:13], v[4:5], v[8:9], v[10:11] neg_lo:[0,0,1] neg_hi:[0,0,1]
	v_pk_fma_f32 v[4:5], v[4:5], v[8:9], v[10:11] op_sel_hi:[1,0,1]
	s_nop 0
	v_mov_b32_e32 v13, v5
	scratch_store_dwordx2 off, v[12:13], off offset:264
.LBB34_147:
	s_or_b64 exec, exec, s[0:1]
	; wave barrier
	scratch_load_dwordx2 v[4:5], off, off offset:272
	v_cmp_ne_u32_e32 vcc, 34, v0
	s_waitcnt vmcnt(0)
	ds_write_b64 v1, v[4:5]
	s_waitcnt lgkmcnt(0)
	; wave barrier
	s_and_saveexec_b64 s[0:1], vcc
	s_cbranch_execz .LBB34_151
; %bb.148:
	v_add_u32_e32 v1, 0x120, v2
	v_mov_b32_e32 v4, v2
	v_mov_b32_e32 v2, 0
	s_mov_b64 s[4:5], 0
	v_mov_b32_e32 v3, v2
.LBB34_149:                             ; =>This Inner Loop Header: Depth=1
	scratch_load_dwordx2 v[8:9], v4, off
	ds_read_b64 v[10:11], v1
	v_add_u32_e32 v6, 1, v6
	v_cmp_lt_u32_e32 vcc, 32, v6
	v_add_u32_e32 v1, 8, v1
	v_add_u32_e32 v4, 8, v4
	s_or_b64 s[4:5], vcc, s[4:5]
	s_waitcnt vmcnt(0) lgkmcnt(0)
	v_pk_mul_f32 v[12:13], v[10:11], v[8:9] op_sel:[1,1] op_sel_hi:[0,1]
	v_pk_fma_f32 v[14:15], v[10:11], v[8:9], v[12:13] neg_lo:[0,0,1] neg_hi:[0,0,1]
	v_pk_fma_f32 v[8:9], v[10:11], v[8:9], v[12:13] op_sel_hi:[1,0,1]
	s_nop 0
	v_mov_b32_e32 v15, v9
	v_pk_add_f32 v[2:3], v[2:3], v[14:15]
	s_andn2_b64 exec, exec, s[4:5]
	s_cbranch_execnz .LBB34_149
; %bb.150:
	s_or_b64 exec, exec, s[4:5]
	v_mov_b32_e32 v1, 0
	ds_read_b64 v[4:5], v1 offset:272
	s_waitcnt lgkmcnt(0)
	v_pk_mul_f32 v[6:7], v[2:3], v[4:5] op_sel:[1,1] op_sel_hi:[0,1]
	v_pk_fma_f32 v[8:9], v[2:3], v[4:5], v[6:7] neg_lo:[0,0,1] neg_hi:[0,0,1]
	v_pk_fma_f32 v[2:3], v[2:3], v[4:5], v[6:7] op_sel_hi:[1,0,1]
	s_nop 0
	v_mov_b32_e32 v9, v3
	scratch_store_dwordx2 off, v[8:9], off offset:272
.LBB34_151:
	s_or_b64 exec, exec, s[0:1]
	s_mov_b64 s[4:5], -1
	; wave barrier
.LBB34_152:
	s_and_b64 vcc, exec, s[4:5]
	s_cbranch_vccz .LBB34_154
; %bb.153:
	s_lshl_b64 s[0:1], s[2:3], 2
	s_add_u32 s0, s6, s0
	s_addc_u32 s1, s7, s1
	v_mov_b32_e32 v1, 0
	global_load_dword v1, v1, s[0:1]
	s_waitcnt vmcnt(0)
	v_cmp_ne_u32_e32 vcc, 0, v1
	s_cbranch_vccz .LBB34_155
.LBB34_154:
	s_endpgm
.LBB34_155:
	v_mov_b32_e32 v1, 0x120
	v_lshl_add_u32 v1, v0, 3, v1
	v_cmp_eq_u32_e32 vcc, 34, v0
	s_and_saveexec_b64 s[0:1], vcc
	s_cbranch_execz .LBB34_157
; %bb.156:
	scratch_load_dwordx2 v[2:3], off, off offset:264
	v_mov_b32_e32 v4, 0
	v_mov_b32_e32 v5, v4
	scratch_store_dwordx2 off, v[4:5], off offset:264
	s_waitcnt vmcnt(1)
	ds_write_b64 v1, v[2:3]
.LBB34_157:
	s_or_b64 exec, exec, s[0:1]
	s_waitcnt lgkmcnt(0)
	; wave barrier
	scratch_load_dwordx2 v[4:5], off, off offset:272
	scratch_load_dwordx2 v[6:7], off, off offset:264
	v_mov_b32_e32 v2, 0
	ds_read_b64 v[8:9], v2 offset:560
	v_cmp_lt_u32_e32 vcc, 32, v0
	s_waitcnt vmcnt(1) lgkmcnt(0)
	v_pk_mul_f32 v[10:11], v[8:9], v[4:5] op_sel:[1,1] op_sel_hi:[0,1]
	v_pk_fma_f32 v[12:13], v[8:9], v[4:5], v[10:11] neg_lo:[0,0,1] neg_hi:[0,0,1]
	v_pk_fma_f32 v[4:5], v[8:9], v[4:5], v[10:11] op_sel_hi:[1,0,1]
	s_nop 0
	v_mov_b32_e32 v13, v5
	v_pk_add_f32 v[4:5], v[12:13], 0 op_sel_hi:[1,0]
	s_waitcnt vmcnt(0)
	v_pk_add_f32 v[4:5], v[6:7], v[4:5] neg_lo:[0,1] neg_hi:[0,1]
	scratch_store_dwordx2 off, v[4:5], off offset:264
	s_and_saveexec_b64 s[0:1], vcc
	s_cbranch_execz .LBB34_159
; %bb.158:
	scratch_load_dwordx2 v[4:5], off, off offset:256
	v_mov_b32_e32 v3, v2
	scratch_store_dwordx2 off, v[2:3], off offset:256
	s_waitcnt vmcnt(1)
	ds_write_b64 v1, v[4:5]
.LBB34_159:
	s_or_b64 exec, exec, s[0:1]
	s_waitcnt lgkmcnt(0)
	; wave barrier
	scratch_load_dwordx4 v[4:7], off, off offset:264
	scratch_load_dwordx2 v[12:13], off, off offset:256
	ds_read2_b64 v[8:11], v2 offset0:69 offset1:70
	v_cmp_lt_u32_e32 vcc, 31, v0
	s_waitcnt vmcnt(1) lgkmcnt(0)
	v_pk_mul_f32 v[2:3], v[8:9], v[4:5] op_sel:[1,1] op_sel_hi:[0,1]
	v_mov_b32_e32 v14, v7
	v_pk_fma_f32 v[16:17], v[8:9], v[4:5], v[2:3] neg_lo:[0,0,1] neg_hi:[0,0,1]
	v_pk_fma_f32 v[2:3], v[8:9], v[4:5], v[2:3] op_sel_hi:[1,0,1]
	v_pk_mul_f32 v[4:5], v[10:11], v[14:15] op_sel:[1,0] op_sel_hi:[0,0]
	v_mov_b32_e32 v17, v3
	v_pk_fma_f32 v[2:3], v[10:11], v[6:7], v[4:5] neg_lo:[0,0,1] neg_hi:[0,0,1]
	v_pk_fma_f32 v[4:5], v[10:11], v[6:7], v[4:5] op_sel_hi:[1,0,1]
	v_pk_add_f32 v[6:7], v[16:17], 0 op_sel_hi:[1,0]
	v_mov_b32_e32 v3, v5
	v_pk_add_f32 v[2:3], v[6:7], v[2:3]
	s_waitcnt vmcnt(0)
	v_pk_add_f32 v[2:3], v[12:13], v[2:3] neg_lo:[0,1] neg_hi:[0,1]
	scratch_store_dwordx2 off, v[2:3], off offset:256
	s_and_saveexec_b64 s[0:1], vcc
	s_cbranch_execz .LBB34_161
; %bb.160:
	scratch_load_dwordx2 v[2:3], off, off offset:248
	v_mov_b32_e32 v4, 0
	v_mov_b32_e32 v5, v4
	scratch_store_dwordx2 off, v[4:5], off offset:248
	s_waitcnt vmcnt(1)
	ds_write_b64 v1, v[2:3]
.LBB34_161:
	s_or_b64 exec, exec, s[0:1]
	s_waitcnt lgkmcnt(0)
	; wave barrier
	scratch_load_dwordx4 v[4:7], off, off offset:256
	scratch_load_dwordx2 v[12:13], off, off offset:272
	scratch_load_dwordx2 v[14:15], off, off offset:248
	v_mov_b32_e32 v2, 0
	ds_read_b128 v[8:11], v2 offset:544
	ds_read_b64 v[16:17], v2 offset:560
	v_cmp_lt_u32_e32 vcc, 30, v0
	s_waitcnt vmcnt(2) lgkmcnt(1)
	v_pk_mul_f32 v[18:19], v[8:9], v[4:5] op_sel:[1,1] op_sel_hi:[0,1]
	v_mov_b32_e32 v20, v7
	v_pk_fma_f32 v[24:25], v[8:9], v[4:5], v[18:19] neg_lo:[0,0,1] neg_hi:[0,0,1]
	v_pk_fma_f32 v[4:5], v[8:9], v[4:5], v[18:19] op_sel_hi:[1,0,1]
	v_pk_mul_f32 v[8:9], v[10:11], v[20:21] op_sel:[1,0] op_sel_hi:[0,0]
	s_waitcnt vmcnt(1) lgkmcnt(0)
	v_pk_mul_f32 v[22:23], v[16:17], v[12:13] op_sel:[1,1] op_sel_hi:[0,1]
	v_mov_b32_e32 v25, v5
	v_pk_fma_f32 v[4:5], v[10:11], v[6:7], v[8:9] neg_lo:[0,0,1] neg_hi:[0,0,1]
	v_pk_fma_f32 v[6:7], v[10:11], v[6:7], v[8:9] op_sel_hi:[1,0,1]
	v_pk_fma_f32 v[18:19], v[16:17], v[12:13], v[22:23] neg_lo:[0,0,1] neg_hi:[0,0,1]
	v_pk_fma_f32 v[12:13], v[16:17], v[12:13], v[22:23] op_sel_hi:[1,0,1]
	v_pk_add_f32 v[8:9], v[24:25], 0 op_sel_hi:[1,0]
	v_mov_b32_e32 v5, v7
	v_mov_b32_e32 v19, v13
	v_pk_add_f32 v[4:5], v[8:9], v[4:5]
	s_nop 0
	v_pk_add_f32 v[4:5], v[4:5], v[18:19]
	s_waitcnt vmcnt(0)
	v_pk_add_f32 v[4:5], v[14:15], v[4:5] neg_lo:[0,1] neg_hi:[0,1]
	scratch_store_dwordx2 off, v[4:5], off offset:248
	s_and_saveexec_b64 s[0:1], vcc
	s_cbranch_execz .LBB34_163
; %bb.162:
	scratch_load_dwordx2 v[4:5], off, off offset:240
	v_mov_b32_e32 v3, v2
	scratch_store_dwordx2 off, v[2:3], off offset:240
	s_waitcnt vmcnt(1)
	ds_write_b64 v1, v[4:5]
.LBB34_163:
	s_or_b64 exec, exec, s[0:1]
	s_waitcnt lgkmcnt(0)
	; wave barrier
	scratch_load_dwordx4 v[4:7], off, off offset:248
	scratch_load_dwordx4 v[8:11], off, off offset:264
	scratch_load_dwordx2 v[20:21], off, off offset:240
	ds_read2_b64 v[12:15], v2 offset0:67 offset1:68
	ds_read2_b64 v[16:19], v2 offset0:69 offset1:70
	v_cmp_lt_u32_e32 vcc, 29, v0
	s_waitcnt vmcnt(2) lgkmcnt(1)
	v_pk_mul_f32 v[2:3], v[12:13], v[4:5] op_sel:[1,1] op_sel_hi:[0,1]
	v_mov_b32_e32 v22, v7
	s_waitcnt vmcnt(1) lgkmcnt(0)
	v_pk_mul_f32 v[24:25], v[16:17], v[8:9] op_sel:[1,1] op_sel_hi:[0,1]
	v_mov_b32_e32 v26, v11
	v_pk_fma_f32 v[28:29], v[12:13], v[4:5], v[2:3] neg_lo:[0,0,1] neg_hi:[0,0,1]
	v_pk_fma_f32 v[2:3], v[12:13], v[4:5], v[2:3] op_sel_hi:[1,0,1]
	v_pk_mul_f32 v[4:5], v[14:15], v[22:23] op_sel:[1,0] op_sel_hi:[0,0]
	v_pk_fma_f32 v[12:13], v[16:17], v[8:9], v[24:25] neg_lo:[0,0,1] neg_hi:[0,0,1]
	v_pk_fma_f32 v[8:9], v[16:17], v[8:9], v[24:25] op_sel_hi:[1,0,1]
	v_pk_mul_f32 v[16:17], v[18:19], v[26:27] op_sel:[1,0] op_sel_hi:[0,0]
	v_mov_b32_e32 v29, v3
	v_pk_fma_f32 v[2:3], v[14:15], v[6:7], v[4:5] neg_lo:[0,0,1] neg_hi:[0,0,1]
	v_pk_fma_f32 v[4:5], v[14:15], v[6:7], v[4:5] op_sel_hi:[1,0,1]
	v_mov_b32_e32 v13, v9
	v_pk_fma_f32 v[6:7], v[18:19], v[10:11], v[16:17] neg_lo:[0,0,1] neg_hi:[0,0,1]
	v_pk_fma_f32 v[8:9], v[18:19], v[10:11], v[16:17] op_sel_hi:[1,0,1]
	v_pk_add_f32 v[10:11], v[28:29], 0 op_sel_hi:[1,0]
	v_mov_b32_e32 v3, v5
	v_pk_add_f32 v[2:3], v[10:11], v[2:3]
	v_mov_b32_e32 v7, v9
	v_pk_add_f32 v[2:3], v[2:3], v[12:13]
	s_nop 0
	v_pk_add_f32 v[2:3], v[2:3], v[6:7]
	s_waitcnt vmcnt(0)
	v_pk_add_f32 v[2:3], v[20:21], v[2:3] neg_lo:[0,1] neg_hi:[0,1]
	scratch_store_dwordx2 off, v[2:3], off offset:240
	s_and_saveexec_b64 s[0:1], vcc
	s_cbranch_execz .LBB34_165
; %bb.164:
	scratch_load_dwordx2 v[2:3], off, off offset:232
	v_mov_b32_e32 v4, 0
	v_mov_b32_e32 v5, v4
	scratch_store_dwordx2 off, v[4:5], off offset:232
	s_waitcnt vmcnt(1)
	ds_write_b64 v1, v[2:3]
.LBB34_165:
	s_or_b64 exec, exec, s[0:1]
	s_waitcnt lgkmcnt(0)
	; wave barrier
	scratch_load_dwordx4 v[4:7], off, off offset:240
	scratch_load_dwordx4 v[8:11], off, off offset:256
	scratch_load_dwordx2 v[20:21], off, off offset:272
	scratch_load_dwordx2 v[22:23], off, off offset:232
	v_mov_b32_e32 v2, 0
	ds_read_b128 v[12:15], v2 offset:528
	ds_read_b128 v[16:19], v2 offset:544
	ds_read_b64 v[24:25], v2 offset:560
	v_cmp_lt_u32_e32 vcc, 28, v0
	s_waitcnt vmcnt(3) lgkmcnt(2)
	v_pk_mul_f32 v[26:27], v[12:13], v[4:5] op_sel:[1,1] op_sel_hi:[0,1]
	v_mov_b32_e32 v28, v7
	v_pk_fma_f32 v[36:37], v[12:13], v[4:5], v[26:27] neg_lo:[0,0,1] neg_hi:[0,0,1]
	v_pk_fma_f32 v[4:5], v[12:13], v[4:5], v[26:27] op_sel_hi:[1,0,1]
	v_pk_mul_f32 v[12:13], v[14:15], v[28:29] op_sel:[1,0] op_sel_hi:[0,0]
	s_waitcnt vmcnt(2) lgkmcnt(1)
	v_pk_mul_f32 v[30:31], v[16:17], v[8:9] op_sel:[1,1] op_sel_hi:[0,1]
	v_mov_b32_e32 v32, v11
	v_mov_b32_e32 v37, v5
	v_pk_fma_f32 v[4:5], v[14:15], v[6:7], v[12:13] neg_lo:[0,0,1] neg_hi:[0,0,1]
	v_pk_fma_f32 v[6:7], v[14:15], v[6:7], v[12:13] op_sel_hi:[1,0,1]
	v_pk_fma_f32 v[26:27], v[16:17], v[8:9], v[30:31] neg_lo:[0,0,1] neg_hi:[0,0,1]
	v_pk_fma_f32 v[8:9], v[16:17], v[8:9], v[30:31] op_sel_hi:[1,0,1]
	v_pk_mul_f32 v[16:17], v[18:19], v[32:33] op_sel:[1,0] op_sel_hi:[0,0]
	v_pk_add_f32 v[12:13], v[36:37], 0 op_sel_hi:[1,0]
	v_mov_b32_e32 v5, v7
	s_waitcnt vmcnt(1) lgkmcnt(0)
	v_pk_mul_f32 v[34:35], v[24:25], v[20:21] op_sel:[1,1] op_sel_hi:[0,1]
	v_mov_b32_e32 v27, v9
	v_pk_fma_f32 v[8:9], v[18:19], v[10:11], v[16:17] neg_lo:[0,0,1] neg_hi:[0,0,1]
	v_pk_fma_f32 v[10:11], v[18:19], v[10:11], v[16:17] op_sel_hi:[1,0,1]
	v_pk_add_f32 v[4:5], v[12:13], v[4:5]
	v_pk_fma_f32 v[28:29], v[24:25], v[20:21], v[34:35] neg_lo:[0,0,1] neg_hi:[0,0,1]
	v_pk_fma_f32 v[20:21], v[24:25], v[20:21], v[34:35] op_sel_hi:[1,0,1]
	v_mov_b32_e32 v9, v11
	v_pk_add_f32 v[4:5], v[4:5], v[26:27]
	v_mov_b32_e32 v29, v21
	v_pk_add_f32 v[4:5], v[4:5], v[8:9]
	s_nop 0
	v_pk_add_f32 v[4:5], v[4:5], v[28:29]
	s_waitcnt vmcnt(0)
	v_pk_add_f32 v[4:5], v[22:23], v[4:5] neg_lo:[0,1] neg_hi:[0,1]
	scratch_store_dwordx2 off, v[4:5], off offset:232
	s_and_saveexec_b64 s[0:1], vcc
	s_cbranch_execz .LBB34_167
; %bb.166:
	scratch_load_dwordx2 v[4:5], off, off offset:224
	v_mov_b32_e32 v3, v2
	scratch_store_dwordx2 off, v[2:3], off offset:224
	s_waitcnt vmcnt(1)
	ds_write_b64 v1, v[4:5]
.LBB34_167:
	s_or_b64 exec, exec, s[0:1]
	s_waitcnt lgkmcnt(0)
	; wave barrier
	scratch_load_dwordx4 v[4:7], off, off offset:232
	scratch_load_dwordx4 v[8:11], off, off offset:248
	;; [unrolled: 1-line block ×3, first 2 shown]
	scratch_load_dwordx2 v[28:29], off, off offset:224
	ds_read2_b64 v[16:19], v2 offset0:65 offset1:66
	ds_read2_b64 v[20:23], v2 offset0:67 offset1:68
	;; [unrolled: 1-line block ×3, first 2 shown]
	v_cmp_lt_u32_e32 vcc, 27, v0
	s_waitcnt vmcnt(3) lgkmcnt(2)
	v_pk_mul_f32 v[2:3], v[16:17], v[4:5] op_sel:[1,1] op_sel_hi:[0,1]
	v_mov_b32_e32 v30, v7
	s_waitcnt vmcnt(2) lgkmcnt(1)
	v_pk_mul_f32 v[32:33], v[20:21], v[8:9] op_sel:[1,1] op_sel_hi:[0,1]
	v_mov_b32_e32 v34, v11
	;; [unrolled: 3-line block ×3, first 2 shown]
	v_pk_fma_f32 v[40:41], v[16:17], v[4:5], v[2:3] neg_lo:[0,0,1] neg_hi:[0,0,1]
	v_pk_fma_f32 v[2:3], v[16:17], v[4:5], v[2:3] op_sel_hi:[1,0,1]
	v_pk_mul_f32 v[4:5], v[18:19], v[30:31] op_sel:[1,0] op_sel_hi:[0,0]
	v_pk_fma_f32 v[16:17], v[20:21], v[8:9], v[32:33] neg_lo:[0,0,1] neg_hi:[0,0,1]
	v_pk_fma_f32 v[8:9], v[20:21], v[8:9], v[32:33] op_sel_hi:[1,0,1]
	v_pk_mul_f32 v[20:21], v[22:23], v[34:35] op_sel:[1,0] op_sel_hi:[0,0]
	;; [unrolled: 3-line block ×3, first 2 shown]
	v_mov_b32_e32 v41, v3
	v_pk_fma_f32 v[2:3], v[18:19], v[6:7], v[4:5] neg_lo:[0,0,1] neg_hi:[0,0,1]
	v_pk_fma_f32 v[4:5], v[18:19], v[6:7], v[4:5] op_sel_hi:[1,0,1]
	v_mov_b32_e32 v17, v9
	v_pk_fma_f32 v[6:7], v[22:23], v[10:11], v[20:21] neg_lo:[0,0,1] neg_hi:[0,0,1]
	v_pk_fma_f32 v[8:9], v[22:23], v[10:11], v[20:21] op_sel_hi:[1,0,1]
	;; [unrolled: 3-line block ×3, first 2 shown]
	v_pk_add_f32 v[14:15], v[40:41], 0 op_sel_hi:[1,0]
	v_mov_b32_e32 v3, v5
	v_pk_add_f32 v[2:3], v[14:15], v[2:3]
	v_mov_b32_e32 v7, v9
	v_pk_add_f32 v[2:3], v[2:3], v[16:17]
	;; [unrolled: 2-line block ×3, first 2 shown]
	s_nop 0
	v_pk_add_f32 v[2:3], v[2:3], v[30:31]
	s_nop 0
	v_pk_add_f32 v[2:3], v[2:3], v[10:11]
	s_waitcnt vmcnt(0)
	v_pk_add_f32 v[2:3], v[28:29], v[2:3] neg_lo:[0,1] neg_hi:[0,1]
	scratch_store_dwordx2 off, v[2:3], off offset:224
	s_and_saveexec_b64 s[0:1], vcc
	s_cbranch_execz .LBB34_169
; %bb.168:
	scratch_load_dwordx2 v[2:3], off, off offset:216
	v_mov_b32_e32 v4, 0
	v_mov_b32_e32 v5, v4
	scratch_store_dwordx2 off, v[4:5], off offset:216
	s_waitcnt vmcnt(1)
	ds_write_b64 v1, v[2:3]
.LBB34_169:
	s_or_b64 exec, exec, s[0:1]
	s_waitcnt lgkmcnt(0)
	; wave barrier
	scratch_load_dwordx4 v[4:7], off, off offset:224
	scratch_load_dwordx4 v[8:11], off, off offset:240
	;; [unrolled: 1-line block ×3, first 2 shown]
	scratch_load_dwordx2 v[28:29], off, off offset:272
	scratch_load_dwordx2 v[30:31], off, off offset:216
	v_mov_b32_e32 v2, 0
	ds_read_b128 v[16:19], v2 offset:512
	ds_read_b128 v[20:23], v2 offset:528
	;; [unrolled: 1-line block ×3, first 2 shown]
	ds_read_b64 v[32:33], v2 offset:560
	v_cmp_lt_u32_e32 vcc, 26, v0
	s_waitcnt vmcnt(4) lgkmcnt(3)
	v_pk_mul_f32 v[34:35], v[16:17], v[4:5] op_sel:[1,1] op_sel_hi:[0,1]
	v_mov_b32_e32 v36, v7
	v_pk_fma_f32 v[48:49], v[16:17], v[4:5], v[34:35] neg_lo:[0,0,1] neg_hi:[0,0,1]
	v_pk_fma_f32 v[4:5], v[16:17], v[4:5], v[34:35] op_sel_hi:[1,0,1]
	v_pk_mul_f32 v[16:17], v[18:19], v[36:37] op_sel:[1,0] op_sel_hi:[0,0]
	s_waitcnt vmcnt(3) lgkmcnt(2)
	v_pk_mul_f32 v[38:39], v[20:21], v[8:9] op_sel:[1,1] op_sel_hi:[0,1]
	v_mov_b32_e32 v40, v11
	v_mov_b32_e32 v49, v5
	v_pk_fma_f32 v[4:5], v[18:19], v[6:7], v[16:17] neg_lo:[0,0,1] neg_hi:[0,0,1]
	v_pk_fma_f32 v[6:7], v[18:19], v[6:7], v[16:17] op_sel_hi:[1,0,1]
	v_pk_fma_f32 v[34:35], v[20:21], v[8:9], v[38:39] neg_lo:[0,0,1] neg_hi:[0,0,1]
	v_pk_fma_f32 v[8:9], v[20:21], v[8:9], v[38:39] op_sel_hi:[1,0,1]
	v_pk_mul_f32 v[20:21], v[22:23], v[40:41] op_sel:[1,0] op_sel_hi:[0,0]
	v_pk_add_f32 v[16:17], v[48:49], 0 op_sel_hi:[1,0]
	v_mov_b32_e32 v5, v7
	s_waitcnt vmcnt(2) lgkmcnt(1)
	v_pk_mul_f32 v[42:43], v[24:25], v[12:13] op_sel:[1,1] op_sel_hi:[0,1]
	v_mov_b32_e32 v44, v15
	v_mov_b32_e32 v35, v9
	v_pk_fma_f32 v[8:9], v[22:23], v[10:11], v[20:21] neg_lo:[0,0,1] neg_hi:[0,0,1]
	v_pk_fma_f32 v[10:11], v[22:23], v[10:11], v[20:21] op_sel_hi:[1,0,1]
	v_pk_add_f32 v[4:5], v[16:17], v[4:5]
	v_pk_fma_f32 v[36:37], v[24:25], v[12:13], v[42:43] neg_lo:[0,0,1] neg_hi:[0,0,1]
	v_pk_fma_f32 v[12:13], v[24:25], v[12:13], v[42:43] op_sel_hi:[1,0,1]
	v_pk_mul_f32 v[24:25], v[26:27], v[44:45] op_sel:[1,0] op_sel_hi:[0,0]
	v_mov_b32_e32 v9, v11
	v_pk_add_f32 v[4:5], v[4:5], v[34:35]
	s_waitcnt vmcnt(1) lgkmcnt(0)
	v_pk_mul_f32 v[46:47], v[32:33], v[28:29] op_sel:[1,1] op_sel_hi:[0,1]
	v_mov_b32_e32 v37, v13
	v_pk_fma_f32 v[12:13], v[26:27], v[14:15], v[24:25] neg_lo:[0,0,1] neg_hi:[0,0,1]
	v_pk_fma_f32 v[14:15], v[26:27], v[14:15], v[24:25] op_sel_hi:[1,0,1]
	v_pk_add_f32 v[4:5], v[4:5], v[8:9]
	v_pk_fma_f32 v[38:39], v[32:33], v[28:29], v[46:47] neg_lo:[0,0,1] neg_hi:[0,0,1]
	v_pk_fma_f32 v[28:29], v[32:33], v[28:29], v[46:47] op_sel_hi:[1,0,1]
	v_mov_b32_e32 v13, v15
	v_pk_add_f32 v[4:5], v[4:5], v[36:37]
	v_mov_b32_e32 v39, v29
	v_pk_add_f32 v[4:5], v[4:5], v[12:13]
	s_nop 0
	v_pk_add_f32 v[4:5], v[4:5], v[38:39]
	s_waitcnt vmcnt(0)
	v_pk_add_f32 v[4:5], v[30:31], v[4:5] neg_lo:[0,1] neg_hi:[0,1]
	scratch_store_dwordx2 off, v[4:5], off offset:216
	s_and_saveexec_b64 s[0:1], vcc
	s_cbranch_execz .LBB34_171
; %bb.170:
	scratch_load_dwordx2 v[4:5], off, off offset:208
	v_mov_b32_e32 v3, v2
	scratch_store_dwordx2 off, v[2:3], off offset:208
	s_waitcnt vmcnt(1)
	ds_write_b64 v1, v[4:5]
.LBB34_171:
	s_or_b64 exec, exec, s[0:1]
	s_waitcnt lgkmcnt(0)
	; wave barrier
	scratch_load_dwordx4 v[4:7], off, off offset:216
	scratch_load_dwordx4 v[8:11], off, off offset:232
	;; [unrolled: 1-line block ×4, first 2 shown]
	scratch_load_dwordx2 v[36:37], off, off offset:208
	ds_read2_b64 v[20:23], v2 offset0:63 offset1:64
	ds_read2_b64 v[24:27], v2 offset0:65 offset1:66
	ds_read2_b64 v[28:31], v2 offset0:67 offset1:68
	ds_read2_b64 v[32:35], v2 offset0:69 offset1:70
	v_cmp_lt_u32_e32 vcc, 25, v0
	s_waitcnt vmcnt(4) lgkmcnt(3)
	v_pk_mul_f32 v[2:3], v[20:21], v[4:5] op_sel:[1,1] op_sel_hi:[0,1]
	v_mov_b32_e32 v38, v7
	s_waitcnt vmcnt(3) lgkmcnt(2)
	v_pk_mul_f32 v[40:41], v[24:25], v[8:9] op_sel:[1,1] op_sel_hi:[0,1]
	v_mov_b32_e32 v42, v11
	;; [unrolled: 3-line block ×4, first 2 shown]
	v_pk_fma_f32 v[52:53], v[20:21], v[4:5], v[2:3] neg_lo:[0,0,1] neg_hi:[0,0,1]
	v_pk_fma_f32 v[2:3], v[20:21], v[4:5], v[2:3] op_sel_hi:[1,0,1]
	v_pk_mul_f32 v[4:5], v[22:23], v[38:39] op_sel:[1,0] op_sel_hi:[0,0]
	v_pk_fma_f32 v[20:21], v[24:25], v[8:9], v[40:41] neg_lo:[0,0,1] neg_hi:[0,0,1]
	v_pk_fma_f32 v[8:9], v[24:25], v[8:9], v[40:41] op_sel_hi:[1,0,1]
	v_pk_mul_f32 v[24:25], v[26:27], v[42:43] op_sel:[1,0] op_sel_hi:[0,0]
	;; [unrolled: 3-line block ×4, first 2 shown]
	v_mov_b32_e32 v53, v3
	v_pk_fma_f32 v[2:3], v[22:23], v[6:7], v[4:5] neg_lo:[0,0,1] neg_hi:[0,0,1]
	v_pk_fma_f32 v[4:5], v[22:23], v[6:7], v[4:5] op_sel_hi:[1,0,1]
	v_mov_b32_e32 v21, v9
	v_pk_fma_f32 v[6:7], v[26:27], v[10:11], v[24:25] neg_lo:[0,0,1] neg_hi:[0,0,1]
	v_pk_fma_f32 v[8:9], v[26:27], v[10:11], v[24:25] op_sel_hi:[1,0,1]
	;; [unrolled: 3-line block ×4, first 2 shown]
	v_pk_add_f32 v[18:19], v[52:53], 0 op_sel_hi:[1,0]
	v_mov_b32_e32 v3, v5
	v_pk_add_f32 v[2:3], v[18:19], v[2:3]
	v_mov_b32_e32 v7, v9
	v_pk_add_f32 v[2:3], v[2:3], v[20:21]
	;; [unrolled: 2-line block ×4, first 2 shown]
	s_nop 0
	v_pk_add_f32 v[2:3], v[2:3], v[10:11]
	s_nop 0
	v_pk_add_f32 v[2:3], v[2:3], v[40:41]
	;; [unrolled: 2-line block ×3, first 2 shown]
	s_waitcnt vmcnt(0)
	v_pk_add_f32 v[2:3], v[36:37], v[2:3] neg_lo:[0,1] neg_hi:[0,1]
	scratch_store_dwordx2 off, v[2:3], off offset:208
	s_and_saveexec_b64 s[0:1], vcc
	s_cbranch_execz .LBB34_173
; %bb.172:
	scratch_load_dwordx2 v[2:3], off, off offset:200
	v_mov_b32_e32 v4, 0
	v_mov_b32_e32 v5, v4
	scratch_store_dwordx2 off, v[4:5], off offset:200
	s_waitcnt vmcnt(1)
	ds_write_b64 v1, v[2:3]
.LBB34_173:
	s_or_b64 exec, exec, s[0:1]
	s_waitcnt lgkmcnt(0)
	; wave barrier
	scratch_load_dwordx4 v[4:7], off, off offset:208
	scratch_load_dwordx4 v[8:11], off, off offset:224
	;; [unrolled: 1-line block ×4, first 2 shown]
	scratch_load_dwordx2 v[36:37], off, off offset:272
	scratch_load_dwordx2 v[38:39], off, off offset:200
	v_mov_b32_e32 v2, 0
	ds_read_b128 v[20:23], v2 offset:496
	ds_read_b128 v[24:27], v2 offset:512
	;; [unrolled: 1-line block ×4, first 2 shown]
	ds_read_b64 v[40:41], v2 offset:560
	v_cmp_lt_u32_e32 vcc, 24, v0
	s_waitcnt vmcnt(5) lgkmcnt(4)
	v_mul_f32_e32 v43, v20, v5
	v_mul_f32_e32 v3, v21, v5
	v_mov_b32_e32 v44, v7
	s_waitcnt vmcnt(4) lgkmcnt(3)
	v_pk_mul_f32 v[46:47], v[24:25], v[8:9] op_sel:[1,1] op_sel_hi:[0,1]
	v_mov_b32_e32 v48, v11
	s_waitcnt vmcnt(1) lgkmcnt(0)
	v_pk_mul_f32 v[58:59], v[40:41], v[36:37] op_sel:[1,1] op_sel_hi:[0,1]
	v_fmac_f32_e32 v43, v21, v4
	v_fma_f32 v42, v20, v4, -v3
	v_pk_mul_f32 v[4:5], v[22:23], v[44:45] op_sel:[1,0] op_sel_hi:[0,0]
	v_pk_fma_f32 v[20:21], v[24:25], v[8:9], v[46:47] neg_lo:[0,0,1] neg_hi:[0,0,1]
	v_pk_fma_f32 v[8:9], v[24:25], v[8:9], v[46:47] op_sel_hi:[1,0,1]
	v_pk_mul_f32 v[24:25], v[26:27], v[48:49] op_sel:[1,0] op_sel_hi:[0,0]
	v_pk_fma_f32 v[48:49], v[40:41], v[36:37], v[58:59] neg_lo:[0,0,1] neg_hi:[0,0,1]
	v_pk_fma_f32 v[36:37], v[40:41], v[36:37], v[58:59] op_sel_hi:[1,0,1]
	v_pk_add_f32 v[40:41], v[42:43], 0 op_sel_hi:[1,0]
	v_pk_fma_f32 v[42:43], v[22:23], v[6:7], v[4:5] neg_lo:[0,0,1] neg_hi:[0,0,1]
	v_pk_fma_f32 v[4:5], v[22:23], v[6:7], v[4:5] op_sel_hi:[1,0,1]
	v_pk_mul_f32 v[50:51], v[28:29], v[12:13] op_sel:[1,1] op_sel_hi:[0,1]
	v_mov_b32_e32 v43, v5
	v_mov_b32_e32 v52, v15
	;; [unrolled: 1-line block ×3, first 2 shown]
	v_pk_fma_f32 v[6:7], v[26:27], v[10:11], v[24:25] neg_lo:[0,0,1] neg_hi:[0,0,1]
	v_pk_fma_f32 v[8:9], v[26:27], v[10:11], v[24:25] op_sel_hi:[1,0,1]
	v_pk_add_f32 v[4:5], v[40:41], v[42:43]
	v_pk_fma_f32 v[44:45], v[28:29], v[12:13], v[50:51] neg_lo:[0,0,1] neg_hi:[0,0,1]
	v_pk_fma_f32 v[12:13], v[28:29], v[12:13], v[50:51] op_sel_hi:[1,0,1]
	v_pk_mul_f32 v[28:29], v[30:31], v[52:53] op_sel:[1,0] op_sel_hi:[0,0]
	v_mov_b32_e32 v7, v9
	v_pk_add_f32 v[4:5], v[4:5], v[20:21]
	v_pk_mul_f32 v[54:55], v[32:33], v[16:17] op_sel:[1,1] op_sel_hi:[0,1]
	v_mov_b32_e32 v56, v19
	v_mov_b32_e32 v45, v13
	v_pk_fma_f32 v[10:11], v[30:31], v[14:15], v[28:29] neg_lo:[0,0,1] neg_hi:[0,0,1]
	v_pk_fma_f32 v[12:13], v[30:31], v[14:15], v[28:29] op_sel_hi:[1,0,1]
	v_pk_add_f32 v[4:5], v[4:5], v[6:7]
	v_pk_fma_f32 v[46:47], v[32:33], v[16:17], v[54:55] neg_lo:[0,0,1] neg_hi:[0,0,1]
	v_pk_fma_f32 v[16:17], v[32:33], v[16:17], v[54:55] op_sel_hi:[1,0,1]
	v_pk_mul_f32 v[32:33], v[34:35], v[56:57] op_sel:[1,0] op_sel_hi:[0,0]
	v_mov_b32_e32 v11, v13
	v_pk_add_f32 v[4:5], v[4:5], v[44:45]
	v_mov_b32_e32 v47, v17
	v_pk_fma_f32 v[14:15], v[34:35], v[18:19], v[32:33] neg_lo:[0,0,1] neg_hi:[0,0,1]
	v_pk_fma_f32 v[16:17], v[34:35], v[18:19], v[32:33] op_sel_hi:[1,0,1]
	v_pk_add_f32 v[4:5], v[4:5], v[10:11]
	v_mov_b32_e32 v15, v17
	v_pk_add_f32 v[4:5], v[4:5], v[46:47]
	v_mov_b32_e32 v49, v37
	v_pk_add_f32 v[4:5], v[4:5], v[14:15]
	s_nop 0
	v_pk_add_f32 v[4:5], v[4:5], v[48:49]
	s_waitcnt vmcnt(0)
	v_pk_add_f32 v[4:5], v[38:39], v[4:5] neg_lo:[0,1] neg_hi:[0,1]
	scratch_store_dwordx2 off, v[4:5], off offset:200
	s_and_saveexec_b64 s[0:1], vcc
	s_cbranch_execz .LBB34_175
; %bb.174:
	scratch_load_dwordx2 v[4:5], off, off offset:192
	v_mov_b32_e32 v3, v2
	scratch_store_dwordx2 off, v[2:3], off offset:192
	s_waitcnt vmcnt(1)
	ds_write_b64 v1, v[4:5]
.LBB34_175:
	s_or_b64 exec, exec, s[0:1]
	s_waitcnt lgkmcnt(0)
	; wave barrier
	scratch_load_dwordx4 v[4:7], off, off offset:200
	scratch_load_dwordx4 v[8:11], off, off offset:216
	;; [unrolled: 1-line block ×5, first 2 shown]
	scratch_load_dwordx2 v[44:45], off, off offset:192
	ds_read2_b64 v[24:27], v2 offset0:61 offset1:62
	ds_read2_b64 v[28:31], v2 offset0:63 offset1:64
	;; [unrolled: 1-line block ×5, first 2 shown]
	v_cmp_lt_u32_e32 vcc, 23, v0
	s_waitcnt vmcnt(5) lgkmcnt(4)
	v_mul_f32_e32 v3, v24, v5
	v_mul_f32_e32 v2, v25, v5
	;; [unrolled: 1-line block ×4, first 2 shown]
	s_waitcnt vmcnt(4) lgkmcnt(3)
	v_pk_mul_f32 v[48:49], v[28:29], v[8:9] op_sel:[1,1] op_sel_hi:[0,1]
	v_mov_b32_e32 v50, v11
	v_fmac_f32_e32 v3, v25, v4
	v_fma_f32 v2, v24, v4, -v2
	v_fmac_f32_e32 v47, v27, v6
	v_fma_f32 v46, v26, v6, -v5
	v_pk_fma_f32 v[4:5], v[28:29], v[8:9], v[48:49] neg_lo:[0,0,1] neg_hi:[0,0,1]
	v_pk_fma_f32 v[6:7], v[28:29], v[8:9], v[48:49] op_sel_hi:[1,0,1]
	v_pk_mul_f32 v[8:9], v[30:31], v[50:51] op_sel:[1,0] op_sel_hi:[0,0]
	v_pk_add_f32 v[2:3], v[2:3], 0 op_sel_hi:[1,0]
	s_waitcnt vmcnt(3) lgkmcnt(2)
	v_pk_mul_f32 v[52:53], v[32:33], v[12:13] op_sel:[1,1] op_sel_hi:[0,1]
	v_mov_b32_e32 v54, v15
	v_mov_b32_e32 v5, v7
	v_pk_fma_f32 v[6:7], v[30:31], v[10:11], v[8:9] neg_lo:[0,0,1] neg_hi:[0,0,1]
	v_pk_fma_f32 v[8:9], v[30:31], v[10:11], v[8:9] op_sel_hi:[1,0,1]
	v_pk_add_f32 v[2:3], v[2:3], v[46:47]
	v_pk_fma_f32 v[24:25], v[32:33], v[12:13], v[52:53] neg_lo:[0,0,1] neg_hi:[0,0,1]
	v_pk_fma_f32 v[12:13], v[32:33], v[12:13], v[52:53] op_sel_hi:[1,0,1]
	v_pk_mul_f32 v[26:27], v[34:35], v[54:55] op_sel:[1,0] op_sel_hi:[0,0]
	v_mov_b32_e32 v7, v9
	v_pk_add_f32 v[2:3], v[2:3], v[4:5]
	s_waitcnt vmcnt(2) lgkmcnt(1)
	v_pk_mul_f32 v[56:57], v[36:37], v[16:17] op_sel:[1,1] op_sel_hi:[0,1]
	v_mov_b32_e32 v58, v19
	v_mov_b32_e32 v25, v13
	v_pk_fma_f32 v[10:11], v[34:35], v[14:15], v[26:27] neg_lo:[0,0,1] neg_hi:[0,0,1]
	v_pk_fma_f32 v[12:13], v[34:35], v[14:15], v[26:27] op_sel_hi:[1,0,1]
	v_pk_add_f32 v[2:3], v[2:3], v[6:7]
	v_pk_fma_f32 v[28:29], v[36:37], v[16:17], v[56:57] neg_lo:[0,0,1] neg_hi:[0,0,1]
	v_pk_fma_f32 v[16:17], v[36:37], v[16:17], v[56:57] op_sel_hi:[1,0,1]
	v_pk_mul_f32 v[32:33], v[38:39], v[58:59] op_sel:[1,0] op_sel_hi:[0,0]
	v_mov_b32_e32 v11, v13
	v_pk_add_f32 v[2:3], v[2:3], v[24:25]
	;; [unrolled: 12-line block ×3, first 2 shown]
	v_mov_b32_e32 v37, v21
	v_pk_fma_f32 v[18:19], v[42:43], v[22:23], v[40:41] neg_lo:[0,0,1] neg_hi:[0,0,1]
	v_pk_fma_f32 v[20:21], v[42:43], v[22:23], v[40:41] op_sel_hi:[1,0,1]
	v_pk_add_f32 v[2:3], v[2:3], v[14:15]
	v_mov_b32_e32 v19, v21
	v_pk_add_f32 v[2:3], v[2:3], v[36:37]
	s_nop 0
	v_pk_add_f32 v[2:3], v[2:3], v[18:19]
	s_waitcnt vmcnt(0)
	v_pk_add_f32 v[2:3], v[44:45], v[2:3] neg_lo:[0,1] neg_hi:[0,1]
	scratch_store_dwordx2 off, v[2:3], off offset:192
	s_and_saveexec_b64 s[0:1], vcc
	s_cbranch_execz .LBB34_177
; %bb.176:
	scratch_load_dwordx2 v[2:3], off, off offset:184
	v_mov_b32_e32 v4, 0
	v_mov_b32_e32 v5, v4
	scratch_store_dwordx2 off, v[4:5], off offset:184
	s_waitcnt vmcnt(1)
	ds_write_b64 v1, v[2:3]
.LBB34_177:
	s_or_b64 exec, exec, s[0:1]
	v_mov_b32_e32 v2, 0
	s_waitcnt lgkmcnt(0)
	; wave barrier
	ds_read_b128 v[4:7], v2 offset:480
	ds_read_b128 v[8:11], v2 offset:496
	;; [unrolled: 1-line block ×4, first 2 shown]
	scratch_load_dwordx4 v[20:23], off, off offset:192
	scratch_load_dwordx4 v[24:27], off, off offset:208
	;; [unrolled: 1-line block ×5, first 2 shown]
	scratch_load_dwordx2 v[46:47], off, off offset:272
	v_cmp_lt_u32_e32 vcc, 22, v0
	s_waitcnt vmcnt(5) lgkmcnt(3)
	v_mul_f32_e32 v3, v4, v21
	v_fmac_f32_e32 v3, v5, v20
	v_add_f32_e32 v41, 0, v3
	v_mul_f32_e32 v3, v5, v21
	v_fma_f32 v3, v4, v20, -v3
	v_mul_f32_e32 v43, v6, v23
	v_add_f32_e32 v40, 0, v3
	v_mul_f32_e32 v3, v7, v23
	v_fmac_f32_e32 v43, v7, v22
	v_fma_f32 v42, v6, v22, -v3
	s_waitcnt vmcnt(4)
	v_mov_b32_e32 v22, v27
	s_waitcnt lgkmcnt(2)
	v_mul_f32_e32 v45, v8, v25
	v_mul_f32_e32 v3, v9, v25
	v_pk_mul_f32 v[22:23], v[10:11], v[22:23] op_sel:[1,0] op_sel_hi:[0,0]
	v_fmac_f32_e32 v45, v9, v24
	v_fma_f32 v44, v8, v24, -v3
	v_pk_add_f32 v[20:21], v[40:41], v[42:43]
	v_pk_fma_f32 v[24:25], v[10:11], v[26:27], v[22:23] neg_lo:[0,0,1] neg_hi:[0,0,1]
	v_pk_fma_f32 v[10:11], v[10:11], v[26:27], v[22:23] op_sel_hi:[1,0,1]
	v_pk_add_f32 v[20:21], v[20:21], v[44:45]
	v_mov_b32_e32 v25, v11
	v_pk_add_f32 v[10:11], v[20:21], v[24:25]
	s_waitcnt vmcnt(3) lgkmcnt(1)
	v_pk_mul_f32 v[20:21], v[12:13], v[28:29] op_sel:[1,1] op_sel_hi:[0,1]
	v_pk_fma_f32 v[22:23], v[12:13], v[28:29], v[20:21] neg_lo:[0,0,1] neg_hi:[0,0,1]
	v_pk_fma_f32 v[12:13], v[12:13], v[28:29], v[20:21] op_sel_hi:[1,0,1]
	ds_read_b128 v[4:7], v2 offset:544
	ds_read_b64 v[8:9], v2 offset:560
	v_mov_b32_e32 v12, v31
	v_mov_b32_e32 v23, v13
	v_pk_mul_f32 v[12:13], v[14:15], v[12:13] op_sel:[1,0] op_sel_hi:[0,0]
	v_pk_fma_f32 v[20:21], v[14:15], v[30:31], v[12:13] neg_lo:[0,0,1] neg_hi:[0,0,1]
	v_pk_fma_f32 v[12:13], v[14:15], v[30:31], v[12:13] op_sel_hi:[1,0,1]
	v_pk_add_f32 v[10:11], v[10:11], v[22:23]
	v_mov_b32_e32 v21, v13
	s_waitcnt vmcnt(2) lgkmcnt(2)
	v_pk_mul_f32 v[12:13], v[16:17], v[32:33] op_sel:[1,1] op_sel_hi:[0,1]
	v_pk_fma_f32 v[14:15], v[16:17], v[32:33], v[12:13] neg_lo:[0,0,1] neg_hi:[0,0,1]
	v_pk_fma_f32 v[12:13], v[16:17], v[32:33], v[12:13] op_sel_hi:[1,0,1]
	v_pk_add_f32 v[10:11], v[10:11], v[20:21]
	v_mov_b32_e32 v12, v35
	v_mov_b32_e32 v15, v13
	v_pk_mul_f32 v[12:13], v[18:19], v[12:13] op_sel:[1,0] op_sel_hi:[0,0]
	v_pk_add_f32 v[10:11], v[10:11], v[14:15]
	v_pk_fma_f32 v[14:15], v[18:19], v[34:35], v[12:13] neg_lo:[0,0,1] neg_hi:[0,0,1]
	v_pk_fma_f32 v[12:13], v[18:19], v[34:35], v[12:13] op_sel_hi:[1,0,1]
	s_nop 0
	v_mov_b32_e32 v15, v13
	s_waitcnt vmcnt(1) lgkmcnt(1)
	v_pk_mul_f32 v[12:13], v[4:5], v[36:37] op_sel:[1,1] op_sel_hi:[0,1]
	v_pk_add_f32 v[10:11], v[10:11], v[14:15]
	v_pk_fma_f32 v[14:15], v[4:5], v[36:37], v[12:13] neg_lo:[0,0,1] neg_hi:[0,0,1]
	v_pk_fma_f32 v[4:5], v[4:5], v[36:37], v[12:13] op_sel_hi:[1,0,1]
	s_nop 0
	v_mov_b32_e32 v15, v5
	v_pk_add_f32 v[4:5], v[10:11], v[14:15]
	v_mov_b32_e32 v10, v39
	v_pk_mul_f32 v[10:11], v[6:7], v[10:11] op_sel:[1,0] op_sel_hi:[0,0]
	v_pk_fma_f32 v[12:13], v[6:7], v[38:39], v[10:11] neg_lo:[0,0,1] neg_hi:[0,0,1]
	v_pk_fma_f32 v[6:7], v[6:7], v[38:39], v[10:11] op_sel_hi:[1,0,1]
	s_nop 0
	v_mov_b32_e32 v13, v7
	s_waitcnt vmcnt(0) lgkmcnt(0)
	v_pk_mul_f32 v[6:7], v[8:9], v[46:47] op_sel:[1,1] op_sel_hi:[0,1]
	v_pk_fma_f32 v[10:11], v[8:9], v[46:47], v[6:7] neg_lo:[0,0,1] neg_hi:[0,0,1]
	v_pk_fma_f32 v[6:7], v[8:9], v[46:47], v[6:7] op_sel_hi:[1,0,1]
	v_pk_add_f32 v[4:5], v[4:5], v[12:13]
	v_mov_b32_e32 v11, v7
	scratch_load_dwordx2 v[6:7], off, off offset:184
	v_pk_add_f32 v[4:5], v[4:5], v[10:11]
	s_waitcnt vmcnt(0)
	v_pk_add_f32 v[4:5], v[6:7], v[4:5] neg_lo:[0,1] neg_hi:[0,1]
	scratch_store_dwordx2 off, v[4:5], off offset:184
	s_and_saveexec_b64 s[0:1], vcc
	s_cbranch_execz .LBB34_179
; %bb.178:
	scratch_load_dwordx2 v[4:5], off, off offset:176
	v_mov_b32_e32 v3, v2
	scratch_store_dwordx2 off, v[2:3], off offset:176
	s_waitcnt vmcnt(1)
	ds_write_b64 v1, v[4:5]
.LBB34_179:
	s_or_b64 exec, exec, s[0:1]
	s_waitcnt lgkmcnt(0)
	; wave barrier
	scratch_load_dwordx4 v[8:11], off, off offset:184
	scratch_load_dwordx4 v[16:19], off, off offset:200
	ds_read2_b64 v[4:7], v2 offset0:59 offset1:60
	v_cmp_lt_u32_e32 vcc, 21, v0
	s_waitcnt vmcnt(1) lgkmcnt(0)
	v_mul_f32_e32 v3, v4, v9
	v_fmac_f32_e32 v3, v5, v8
	v_mul_f32_e32 v12, v6, v11
	v_add_f32_e32 v3, 0, v3
	v_fmac_f32_e32 v12, v7, v10
	v_add_f32_e32 v37, v3, v12
	ds_read2_b64 v[12:15], v2 offset0:61 offset1:62
	scratch_load_dwordx4 v[20:23], off, off offset:216
	scratch_load_dwordx4 v[24:27], off, off offset:232
	;; [unrolled: 1-line block ×4, first 2 shown]
	v_mul_f32_e32 v3, v5, v9
	v_fma_f32 v3, v4, v8, -v3
	v_mul_f32_e32 v4, v7, v11
	v_add_f32_e32 v3, 0, v3
	v_fma_f32 v4, v6, v10, -v4
	v_add_f32_e32 v36, v3, v4
	s_waitcnt vmcnt(4) lgkmcnt(0)
	v_mul_f32_e32 v3, v13, v17
	v_mul_f32_e32 v39, v12, v17
	v_mul_f32_e32 v41, v14, v19
	v_fma_f32 v38, v12, v16, -v3
	v_mul_f32_e32 v3, v15, v19
	v_fmac_f32_e32 v39, v13, v16
	v_fmac_f32_e32 v41, v15, v18
	v_fma_f32 v40, v14, v18, -v3
	ds_read2_b64 v[4:7], v2 offset0:63 offset1:64
	ds_read2_b64 v[8:11], v2 offset0:65 offset1:66
	;; [unrolled: 1-line block ×4, first 2 shown]
	v_pk_add_f32 v[2:3], v[36:37], v[38:39]
	s_waitcnt vmcnt(3) lgkmcnt(3)
	v_pk_mul_f32 v[36:37], v[4:5], v[20:21] op_sel:[1,1] op_sel_hi:[0,1]
	v_pk_fma_f32 v[38:39], v[4:5], v[20:21], v[36:37] neg_lo:[0,0,1] neg_hi:[0,0,1]
	v_pk_fma_f32 v[4:5], v[4:5], v[20:21], v[36:37] op_sel_hi:[1,0,1]
	v_pk_add_f32 v[2:3], v[2:3], v[40:41]
	v_mov_b32_e32 v4, v23
	v_mov_b32_e32 v39, v5
	v_pk_mul_f32 v[4:5], v[6:7], v[4:5] op_sel:[1,0] op_sel_hi:[0,0]
	v_pk_fma_f32 v[20:21], v[6:7], v[22:23], v[4:5] neg_lo:[0,0,1] neg_hi:[0,0,1]
	v_pk_fma_f32 v[4:5], v[6:7], v[22:23], v[4:5] op_sel_hi:[1,0,1]
	v_pk_add_f32 v[2:3], v[2:3], v[38:39]
	v_mov_b32_e32 v21, v5
	s_waitcnt vmcnt(2) lgkmcnt(2)
	v_pk_mul_f32 v[4:5], v[8:9], v[24:25] op_sel:[1,1] op_sel_hi:[0,1]
	v_pk_fma_f32 v[6:7], v[8:9], v[24:25], v[4:5] neg_lo:[0,0,1] neg_hi:[0,0,1]
	v_pk_fma_f32 v[4:5], v[8:9], v[24:25], v[4:5] op_sel_hi:[1,0,1]
	v_pk_add_f32 v[2:3], v[2:3], v[20:21]
	v_mov_b32_e32 v4, v27
	v_mov_b32_e32 v7, v5
	v_pk_mul_f32 v[4:5], v[10:11], v[4:5] op_sel:[1,0] op_sel_hi:[0,0]
	v_pk_add_f32 v[2:3], v[2:3], v[6:7]
	v_pk_fma_f32 v[6:7], v[10:11], v[26:27], v[4:5] neg_lo:[0,0,1] neg_hi:[0,0,1]
	v_pk_fma_f32 v[4:5], v[10:11], v[26:27], v[4:5] op_sel_hi:[1,0,1]
	s_nop 0
	v_mov_b32_e32 v7, v5
	s_waitcnt vmcnt(1) lgkmcnt(1)
	v_pk_mul_f32 v[4:5], v[12:13], v[28:29] op_sel:[1,1] op_sel_hi:[0,1]
	v_pk_add_f32 v[2:3], v[2:3], v[6:7]
	v_pk_fma_f32 v[6:7], v[12:13], v[28:29], v[4:5] neg_lo:[0,0,1] neg_hi:[0,0,1]
	v_pk_fma_f32 v[4:5], v[12:13], v[28:29], v[4:5] op_sel_hi:[1,0,1]
	s_nop 0
	v_mov_b32_e32 v4, v31
	v_mov_b32_e32 v7, v5
	v_pk_mul_f32 v[4:5], v[14:15], v[4:5] op_sel:[1,0] op_sel_hi:[0,0]
	v_pk_add_f32 v[2:3], v[2:3], v[6:7]
	v_pk_fma_f32 v[6:7], v[14:15], v[30:31], v[4:5] neg_lo:[0,0,1] neg_hi:[0,0,1]
	v_pk_fma_f32 v[4:5], v[14:15], v[30:31], v[4:5] op_sel_hi:[1,0,1]
	s_nop 0
	v_mov_b32_e32 v7, v5
	s_waitcnt vmcnt(0) lgkmcnt(0)
	v_pk_mul_f32 v[4:5], v[16:17], v[32:33] op_sel:[1,1] op_sel_hi:[0,1]
	v_pk_add_f32 v[2:3], v[2:3], v[6:7]
	v_pk_fma_f32 v[6:7], v[16:17], v[32:33], v[4:5] neg_lo:[0,0,1] neg_hi:[0,0,1]
	v_pk_fma_f32 v[4:5], v[16:17], v[32:33], v[4:5] op_sel_hi:[1,0,1]
	s_nop 0
	v_mov_b32_e32 v4, v35
	v_mov_b32_e32 v7, v5
	v_pk_mul_f32 v[4:5], v[18:19], v[4:5] op_sel:[1,0] op_sel_hi:[0,0]
	v_pk_add_f32 v[2:3], v[2:3], v[6:7]
	v_pk_fma_f32 v[6:7], v[18:19], v[34:35], v[4:5] neg_lo:[0,0,1] neg_hi:[0,0,1]
	v_pk_fma_f32 v[4:5], v[18:19], v[34:35], v[4:5] op_sel_hi:[1,0,1]
	s_nop 0
	v_mov_b32_e32 v7, v5
	scratch_load_dwordx2 v[4:5], off, off offset:176
	v_pk_add_f32 v[2:3], v[2:3], v[6:7]
	s_waitcnt vmcnt(0)
	v_pk_add_f32 v[2:3], v[4:5], v[2:3] neg_lo:[0,1] neg_hi:[0,1]
	scratch_store_dwordx2 off, v[2:3], off offset:176
	s_and_saveexec_b64 s[0:1], vcc
	s_cbranch_execz .LBB34_181
; %bb.180:
	scratch_load_dwordx2 v[2:3], off, off offset:168
	v_mov_b32_e32 v4, 0
	v_mov_b32_e32 v5, v4
	scratch_store_dwordx2 off, v[4:5], off offset:168
	s_waitcnt vmcnt(1)
	ds_write_b64 v1, v[2:3]
.LBB34_181:
	s_or_b64 exec, exec, s[0:1]
	v_mov_b32_e32 v2, 0
	s_waitcnt lgkmcnt(0)
	; wave barrier
	ds_read_b128 v[4:7], v2 offset:464
	ds_read_b128 v[8:11], v2 offset:480
	;; [unrolled: 1-line block ×4, first 2 shown]
	scratch_load_dwordx4 v[20:23], off, off offset:176
	v_cmp_lt_u32_e32 vcc, 20, v0
	s_waitcnt vmcnt(0) lgkmcnt(3)
	v_mul_f32_e32 v3, v4, v21
	v_fmac_f32_e32 v3, v5, v20
	v_mul_f32_e32 v24, v6, v23
	v_add_f32_e32 v3, 0, v3
	v_fmac_f32_e32 v24, v7, v22
	v_add_f32_e32 v3, v3, v24
	scratch_load_dwordx4 v[24:27], off, off offset:192
	s_waitcnt vmcnt(0) lgkmcnt(2)
	v_mul_f32_e32 v28, v8, v25
	v_fmac_f32_e32 v28, v9, v24
	v_add_f32_e32 v45, v3, v28
	scratch_load_dwordx4 v[28:31], off, off offset:208
	scratch_load_dwordx4 v[32:35], off, off offset:224
	;; [unrolled: 1-line block ×4, first 2 shown]
	scratch_load_dwordx2 v[50:51], off, off offset:272
	v_mul_f32_e32 v3, v5, v21
	v_fma_f32 v3, v4, v20, -v3
	v_mul_f32_e32 v4, v7, v23
	v_add_f32_e32 v3, 0, v3
	v_fma_f32 v4, v6, v22, -v4
	v_add_f32_e32 v3, v3, v4
	v_mul_f32_e32 v4, v9, v25
	v_fma_f32 v4, v8, v24, -v4
	v_mul_f32_e32 v47, v10, v27
	v_add_f32_e32 v44, v3, v4
	v_mul_f32_e32 v3, v11, v27
	v_fmac_f32_e32 v47, v11, v26
	v_fma_f32 v46, v10, v26, -v3
	v_pk_add_f32 v[20:21], v[44:45], v[46:47]
	s_waitcnt vmcnt(4)
	v_mov_b32_e32 v22, v31
	s_waitcnt lgkmcnt(1)
	v_mul_f32_e32 v49, v12, v29
	v_mul_f32_e32 v3, v13, v29
	v_pk_mul_f32 v[22:23], v[14:15], v[22:23] op_sel:[1,0] op_sel_hi:[0,0]
	v_fmac_f32_e32 v49, v13, v28
	v_fma_f32 v48, v12, v28, -v3
	v_pk_fma_f32 v[24:25], v[14:15], v[30:31], v[22:23] neg_lo:[0,0,1] neg_hi:[0,0,1]
	v_pk_fma_f32 v[14:15], v[14:15], v[30:31], v[22:23] op_sel_hi:[1,0,1]
	v_pk_add_f32 v[20:21], v[20:21], v[48:49]
	v_mov_b32_e32 v25, v15
	v_pk_add_f32 v[14:15], v[20:21], v[24:25]
	s_waitcnt vmcnt(3) lgkmcnt(0)
	v_pk_mul_f32 v[20:21], v[16:17], v[32:33] op_sel:[1,1] op_sel_hi:[0,1]
	v_pk_fma_f32 v[22:23], v[16:17], v[32:33], v[20:21] neg_lo:[0,0,1] neg_hi:[0,0,1]
	v_pk_fma_f32 v[16:17], v[16:17], v[32:33], v[20:21] op_sel_hi:[1,0,1]
	ds_read_b128 v[4:7], v2 offset:528
	ds_read_b128 v[8:11], v2 offset:544
	ds_read_b64 v[12:13], v2 offset:560
	v_mov_b32_e32 v16, v35
	v_mov_b32_e32 v23, v17
	v_pk_mul_f32 v[16:17], v[18:19], v[16:17] op_sel:[1,0] op_sel_hi:[0,0]
	v_pk_fma_f32 v[20:21], v[18:19], v[34:35], v[16:17] neg_lo:[0,0,1] neg_hi:[0,0,1]
	v_pk_fma_f32 v[16:17], v[18:19], v[34:35], v[16:17] op_sel_hi:[1,0,1]
	v_pk_add_f32 v[14:15], v[14:15], v[22:23]
	v_mov_b32_e32 v21, v17
	s_waitcnt vmcnt(2) lgkmcnt(2)
	v_pk_mul_f32 v[16:17], v[4:5], v[36:37] op_sel:[1,1] op_sel_hi:[0,1]
	v_pk_fma_f32 v[18:19], v[4:5], v[36:37], v[16:17] neg_lo:[0,0,1] neg_hi:[0,0,1]
	v_pk_fma_f32 v[4:5], v[4:5], v[36:37], v[16:17] op_sel_hi:[1,0,1]
	v_pk_add_f32 v[14:15], v[14:15], v[20:21]
	v_mov_b32_e32 v19, v5
	v_pk_add_f32 v[4:5], v[14:15], v[18:19]
	v_mov_b32_e32 v14, v39
	v_pk_mul_f32 v[14:15], v[6:7], v[14:15] op_sel:[1,0] op_sel_hi:[0,0]
	v_pk_fma_f32 v[16:17], v[6:7], v[38:39], v[14:15] neg_lo:[0,0,1] neg_hi:[0,0,1]
	v_pk_fma_f32 v[6:7], v[6:7], v[38:39], v[14:15] op_sel_hi:[1,0,1]
	s_nop 0
	v_mov_b32_e32 v17, v7
	s_waitcnt vmcnt(1) lgkmcnt(1)
	v_pk_mul_f32 v[6:7], v[8:9], v[40:41] op_sel:[1,1] op_sel_hi:[0,1]
	v_pk_fma_f32 v[14:15], v[8:9], v[40:41], v[6:7] neg_lo:[0,0,1] neg_hi:[0,0,1]
	v_pk_fma_f32 v[6:7], v[8:9], v[40:41], v[6:7] op_sel_hi:[1,0,1]
	v_pk_add_f32 v[4:5], v[4:5], v[16:17]
	v_mov_b32_e32 v6, v43
	v_mov_b32_e32 v15, v7
	v_pk_mul_f32 v[6:7], v[10:11], v[6:7] op_sel:[1,0] op_sel_hi:[0,0]
	v_pk_fma_f32 v[8:9], v[10:11], v[42:43], v[6:7] neg_lo:[0,0,1] neg_hi:[0,0,1]
	v_pk_fma_f32 v[6:7], v[10:11], v[42:43], v[6:7] op_sel_hi:[1,0,1]
	v_pk_add_f32 v[4:5], v[4:5], v[14:15]
	v_mov_b32_e32 v9, v7
	s_waitcnt vmcnt(0) lgkmcnt(0)
	v_pk_mul_f32 v[6:7], v[12:13], v[50:51] op_sel:[1,1] op_sel_hi:[0,1]
	v_pk_add_f32 v[4:5], v[4:5], v[8:9]
	v_pk_fma_f32 v[8:9], v[12:13], v[50:51], v[6:7] neg_lo:[0,0,1] neg_hi:[0,0,1]
	v_pk_fma_f32 v[6:7], v[12:13], v[50:51], v[6:7] op_sel_hi:[1,0,1]
	s_nop 0
	v_mov_b32_e32 v9, v7
	scratch_load_dwordx2 v[6:7], off, off offset:168
	v_pk_add_f32 v[4:5], v[4:5], v[8:9]
	s_waitcnt vmcnt(0)
	v_pk_add_f32 v[4:5], v[6:7], v[4:5] neg_lo:[0,1] neg_hi:[0,1]
	scratch_store_dwordx2 off, v[4:5], off offset:168
	s_and_saveexec_b64 s[0:1], vcc
	s_cbranch_execz .LBB34_183
; %bb.182:
	scratch_load_dwordx2 v[4:5], off, off offset:160
	v_mov_b32_e32 v3, v2
	scratch_store_dwordx2 off, v[2:3], off offset:160
	s_waitcnt vmcnt(1)
	ds_write_b64 v1, v[4:5]
.LBB34_183:
	s_or_b64 exec, exec, s[0:1]
	s_waitcnt lgkmcnt(0)
	; wave barrier
	scratch_load_dwordx4 v[8:11], off, off offset:168
	scratch_load_dwordx4 v[16:19], off, off offset:184
	ds_read2_b64 v[4:7], v2 offset0:57 offset1:58
	scratch_load_dwordx4 v[24:27], off, off offset:200
	v_cmp_lt_u32_e32 vcc, 19, v0
	s_waitcnt vmcnt(2) lgkmcnt(0)
	v_mul_f32_e32 v3, v4, v9
	v_fmac_f32_e32 v3, v5, v8
	v_mul_f32_e32 v12, v6, v11
	v_add_f32_e32 v3, 0, v3
	v_fmac_f32_e32 v12, v7, v10
	v_add_f32_e32 v3, v3, v12
	ds_read2_b64 v[12:15], v2 offset0:59 offset1:60
	s_waitcnt vmcnt(1) lgkmcnt(0)
	v_mul_f32_e32 v20, v12, v17
	v_fmac_f32_e32 v20, v13, v16
	v_add_f32_e32 v3, v3, v20
	v_mul_f32_e32 v20, v14, v19
	v_fmac_f32_e32 v20, v15, v18
	v_add_f32_e32 v45, v3, v20
	ds_read2_b64 v[20:23], v2 offset0:61 offset1:62
	scratch_load_dwordx4 v[28:31], off, off offset:216
	scratch_load_dwordx4 v[32:35], off, off offset:232
	;; [unrolled: 1-line block ×4, first 2 shown]
	v_mul_f32_e32 v3, v5, v9
	v_fma_f32 v3, v4, v8, -v3
	v_mul_f32_e32 v4, v7, v11
	v_add_f32_e32 v3, 0, v3
	v_fma_f32 v4, v6, v10, -v4
	v_add_f32_e32 v3, v3, v4
	v_mul_f32_e32 v4, v13, v17
	v_fma_f32 v4, v12, v16, -v4
	v_add_f32_e32 v3, v3, v4
	v_mul_f32_e32 v4, v15, v19
	v_fma_f32 v4, v14, v18, -v4
	v_add_f32_e32 v44, v3, v4
	ds_read2_b64 v[4:7], v2 offset0:63 offset1:64
	ds_read2_b64 v[8:11], v2 offset0:65 offset1:66
	;; [unrolled: 1-line block ×4, first 2 shown]
	s_waitcnt vmcnt(4) lgkmcnt(4)
	v_mul_f32_e32 v47, v20, v25
	v_mul_f32_e32 v3, v21, v25
	v_fmac_f32_e32 v47, v21, v24
	v_mul_f32_e32 v49, v22, v27
	v_fma_f32 v46, v20, v24, -v3
	v_mul_f32_e32 v3, v23, v27
	v_fmac_f32_e32 v49, v23, v26
	v_fma_f32 v48, v22, v26, -v3
	v_pk_add_f32 v[2:3], v[44:45], v[46:47]
	s_waitcnt vmcnt(3) lgkmcnt(3)
	v_pk_mul_f32 v[20:21], v[4:5], v[28:29] op_sel:[1,1] op_sel_hi:[0,1]
	v_pk_fma_f32 v[22:23], v[4:5], v[28:29], v[20:21] neg_lo:[0,0,1] neg_hi:[0,0,1]
	v_pk_fma_f32 v[4:5], v[4:5], v[28:29], v[20:21] op_sel_hi:[1,0,1]
	v_pk_add_f32 v[2:3], v[2:3], v[48:49]
	v_mov_b32_e32 v4, v31
	v_mov_b32_e32 v23, v5
	v_pk_mul_f32 v[4:5], v[6:7], v[4:5] op_sel:[1,0] op_sel_hi:[0,0]
	v_pk_fma_f32 v[20:21], v[6:7], v[30:31], v[4:5] neg_lo:[0,0,1] neg_hi:[0,0,1]
	v_pk_fma_f32 v[4:5], v[6:7], v[30:31], v[4:5] op_sel_hi:[1,0,1]
	v_pk_add_f32 v[2:3], v[2:3], v[22:23]
	v_mov_b32_e32 v21, v5
	s_waitcnt vmcnt(2) lgkmcnt(2)
	v_pk_mul_f32 v[4:5], v[8:9], v[32:33] op_sel:[1,1] op_sel_hi:[0,1]
	v_pk_fma_f32 v[6:7], v[8:9], v[32:33], v[4:5] neg_lo:[0,0,1] neg_hi:[0,0,1]
	v_pk_fma_f32 v[4:5], v[8:9], v[32:33], v[4:5] op_sel_hi:[1,0,1]
	v_pk_add_f32 v[2:3], v[2:3], v[20:21]
	v_mov_b32_e32 v4, v35
	v_mov_b32_e32 v7, v5
	v_pk_mul_f32 v[4:5], v[10:11], v[4:5] op_sel:[1,0] op_sel_hi:[0,0]
	v_pk_add_f32 v[2:3], v[2:3], v[6:7]
	v_pk_fma_f32 v[6:7], v[10:11], v[34:35], v[4:5] neg_lo:[0,0,1] neg_hi:[0,0,1]
	v_pk_fma_f32 v[4:5], v[10:11], v[34:35], v[4:5] op_sel_hi:[1,0,1]
	s_nop 0
	v_mov_b32_e32 v7, v5
	s_waitcnt vmcnt(1) lgkmcnt(1)
	v_pk_mul_f32 v[4:5], v[12:13], v[36:37] op_sel:[1,1] op_sel_hi:[0,1]
	v_pk_add_f32 v[2:3], v[2:3], v[6:7]
	v_pk_fma_f32 v[6:7], v[12:13], v[36:37], v[4:5] neg_lo:[0,0,1] neg_hi:[0,0,1]
	v_pk_fma_f32 v[4:5], v[12:13], v[36:37], v[4:5] op_sel_hi:[1,0,1]
	s_nop 0
	v_mov_b32_e32 v4, v39
	v_mov_b32_e32 v7, v5
	v_pk_mul_f32 v[4:5], v[14:15], v[4:5] op_sel:[1,0] op_sel_hi:[0,0]
	v_pk_add_f32 v[2:3], v[2:3], v[6:7]
	v_pk_fma_f32 v[6:7], v[14:15], v[38:39], v[4:5] neg_lo:[0,0,1] neg_hi:[0,0,1]
	v_pk_fma_f32 v[4:5], v[14:15], v[38:39], v[4:5] op_sel_hi:[1,0,1]
	s_nop 0
	v_mov_b32_e32 v7, v5
	s_waitcnt vmcnt(0) lgkmcnt(0)
	v_pk_mul_f32 v[4:5], v[16:17], v[40:41] op_sel:[1,1] op_sel_hi:[0,1]
	v_pk_add_f32 v[2:3], v[2:3], v[6:7]
	v_pk_fma_f32 v[6:7], v[16:17], v[40:41], v[4:5] neg_lo:[0,0,1] neg_hi:[0,0,1]
	v_pk_fma_f32 v[4:5], v[16:17], v[40:41], v[4:5] op_sel_hi:[1,0,1]
	s_nop 0
	v_mov_b32_e32 v4, v43
	v_mov_b32_e32 v7, v5
	v_pk_mul_f32 v[4:5], v[18:19], v[4:5] op_sel:[1,0] op_sel_hi:[0,0]
	v_pk_add_f32 v[2:3], v[2:3], v[6:7]
	v_pk_fma_f32 v[6:7], v[18:19], v[42:43], v[4:5] neg_lo:[0,0,1] neg_hi:[0,0,1]
	v_pk_fma_f32 v[4:5], v[18:19], v[42:43], v[4:5] op_sel_hi:[1,0,1]
	s_nop 0
	v_mov_b32_e32 v7, v5
	scratch_load_dwordx2 v[4:5], off, off offset:160
	v_pk_add_f32 v[2:3], v[2:3], v[6:7]
	s_waitcnt vmcnt(0)
	v_pk_add_f32 v[2:3], v[4:5], v[2:3] neg_lo:[0,1] neg_hi:[0,1]
	scratch_store_dwordx2 off, v[2:3], off offset:160
	s_and_saveexec_b64 s[0:1], vcc
	s_cbranch_execz .LBB34_185
; %bb.184:
	scratch_load_dwordx2 v[2:3], off, off offset:152
	v_mov_b32_e32 v4, 0
	v_mov_b32_e32 v5, v4
	scratch_store_dwordx2 off, v[4:5], off offset:152
	s_waitcnt vmcnt(1)
	ds_write_b64 v1, v[2:3]
.LBB34_185:
	s_or_b64 exec, exec, s[0:1]
	v_mov_b32_e32 v2, 0
	s_waitcnt lgkmcnt(0)
	; wave barrier
	ds_read_b128 v[4:7], v2 offset:448
	ds_read_b128 v[8:11], v2 offset:464
	;; [unrolled: 1-line block ×4, first 2 shown]
	scratch_load_dwordx4 v[20:23], off, off offset:160
	v_cmp_lt_u32_e32 vcc, 18, v0
	s_waitcnt vmcnt(0) lgkmcnt(3)
	v_mul_f32_e32 v3, v4, v21
	v_fmac_f32_e32 v3, v5, v20
	v_mul_f32_e32 v24, v6, v23
	v_add_f32_e32 v3, 0, v3
	v_fmac_f32_e32 v24, v7, v22
	v_add_f32_e32 v3, v3, v24
	scratch_load_dwordx4 v[24:27], off, off offset:176
	s_waitcnt vmcnt(0) lgkmcnt(2)
	v_mul_f32_e32 v28, v8, v25
	v_fmac_f32_e32 v28, v9, v24
	v_add_f32_e32 v3, v3, v28
	v_mul_f32_e32 v28, v10, v27
	v_fmac_f32_e32 v28, v11, v26
	v_add_f32_e32 v3, v3, v28
	scratch_load_dwordx4 v[28:31], off, off offset:192
	s_waitcnt vmcnt(0) lgkmcnt(1)
	v_mul_f32_e32 v32, v12, v29
	v_fmac_f32_e32 v32, v13, v28
	v_add_f32_e32 v49, v3, v32
	scratch_load_dwordx4 v[32:35], off, off offset:208
	scratch_load_dwordx4 v[36:39], off, off offset:224
	;; [unrolled: 1-line block ×4, first 2 shown]
	scratch_load_dwordx2 v[54:55], off, off offset:272
	v_mul_f32_e32 v3, v5, v21
	v_fma_f32 v3, v4, v20, -v3
	v_mul_f32_e32 v4, v7, v23
	v_add_f32_e32 v3, 0, v3
	v_fma_f32 v4, v6, v22, -v4
	v_add_f32_e32 v3, v3, v4
	v_mul_f32_e32 v4, v9, v25
	v_fma_f32 v4, v8, v24, -v4
	v_add_f32_e32 v3, v3, v4
	v_mul_f32_e32 v4, v11, v27
	;; [unrolled: 3-line block ×3, first 2 shown]
	v_fma_f32 v4, v12, v28, -v4
	v_mul_f32_e32 v51, v14, v31
	v_add_f32_e32 v48, v3, v4
	v_mul_f32_e32 v3, v15, v31
	v_fmac_f32_e32 v51, v15, v30
	v_fma_f32 v50, v14, v30, -v3
	v_pk_add_f32 v[20:21], v[48:49], v[50:51]
	s_waitcnt vmcnt(4)
	v_mov_b32_e32 v22, v35
	s_waitcnt lgkmcnt(0)
	v_mul_f32_e32 v53, v16, v33
	v_mul_f32_e32 v3, v17, v33
	v_pk_mul_f32 v[22:23], v[18:19], v[22:23] op_sel:[1,0] op_sel_hi:[0,0]
	v_fmac_f32_e32 v53, v17, v32
	v_fma_f32 v52, v16, v32, -v3
	ds_read_b128 v[4:7], v2 offset:512
	ds_read_b128 v[8:11], v2 offset:528
	;; [unrolled: 1-line block ×3, first 2 shown]
	ds_read_b64 v[16:17], v2 offset:560
	v_pk_fma_f32 v[24:25], v[18:19], v[34:35], v[22:23] neg_lo:[0,0,1] neg_hi:[0,0,1]
	v_pk_fma_f32 v[18:19], v[18:19], v[34:35], v[22:23] op_sel_hi:[1,0,1]
	v_pk_add_f32 v[20:21], v[20:21], v[52:53]
	v_mov_b32_e32 v25, v19
	v_pk_add_f32 v[18:19], v[20:21], v[24:25]
	s_waitcnt vmcnt(3) lgkmcnt(3)
	v_pk_mul_f32 v[20:21], v[4:5], v[36:37] op_sel:[1,1] op_sel_hi:[0,1]
	v_pk_fma_f32 v[22:23], v[4:5], v[36:37], v[20:21] neg_lo:[0,0,1] neg_hi:[0,0,1]
	v_pk_fma_f32 v[4:5], v[4:5], v[36:37], v[20:21] op_sel_hi:[1,0,1]
	s_nop 0
	v_mov_b32_e32 v23, v5
	v_pk_add_f32 v[4:5], v[18:19], v[22:23]
	v_mov_b32_e32 v18, v39
	v_pk_mul_f32 v[18:19], v[6:7], v[18:19] op_sel:[1,0] op_sel_hi:[0,0]
	v_pk_fma_f32 v[20:21], v[6:7], v[38:39], v[18:19] neg_lo:[0,0,1] neg_hi:[0,0,1]
	v_pk_fma_f32 v[6:7], v[6:7], v[38:39], v[18:19] op_sel_hi:[1,0,1]
	s_nop 0
	v_mov_b32_e32 v21, v7
	s_waitcnt vmcnt(2) lgkmcnt(2)
	v_pk_mul_f32 v[6:7], v[8:9], v[40:41] op_sel:[1,1] op_sel_hi:[0,1]
	v_pk_fma_f32 v[18:19], v[8:9], v[40:41], v[6:7] neg_lo:[0,0,1] neg_hi:[0,0,1]
	v_pk_fma_f32 v[6:7], v[8:9], v[40:41], v[6:7] op_sel_hi:[1,0,1]
	v_pk_add_f32 v[4:5], v[4:5], v[20:21]
	v_mov_b32_e32 v6, v43
	v_mov_b32_e32 v19, v7
	v_pk_mul_f32 v[6:7], v[10:11], v[6:7] op_sel:[1,0] op_sel_hi:[0,0]
	v_pk_fma_f32 v[8:9], v[10:11], v[42:43], v[6:7] neg_lo:[0,0,1] neg_hi:[0,0,1]
	v_pk_fma_f32 v[6:7], v[10:11], v[42:43], v[6:7] op_sel_hi:[1,0,1]
	v_pk_add_f32 v[4:5], v[4:5], v[18:19]
	v_mov_b32_e32 v9, v7
	s_waitcnt vmcnt(1) lgkmcnt(1)
	v_pk_mul_f32 v[6:7], v[12:13], v[44:45] op_sel:[1,1] op_sel_hi:[0,1]
	v_pk_add_f32 v[4:5], v[4:5], v[8:9]
	v_pk_fma_f32 v[8:9], v[12:13], v[44:45], v[6:7] neg_lo:[0,0,1] neg_hi:[0,0,1]
	v_pk_fma_f32 v[6:7], v[12:13], v[44:45], v[6:7] op_sel_hi:[1,0,1]
	s_nop 0
	v_mov_b32_e32 v6, v47
	v_mov_b32_e32 v9, v7
	v_pk_mul_f32 v[6:7], v[14:15], v[6:7] op_sel:[1,0] op_sel_hi:[0,0]
	v_pk_add_f32 v[4:5], v[4:5], v[8:9]
	v_pk_fma_f32 v[8:9], v[14:15], v[46:47], v[6:7] neg_lo:[0,0,1] neg_hi:[0,0,1]
	v_pk_fma_f32 v[6:7], v[14:15], v[46:47], v[6:7] op_sel_hi:[1,0,1]
	s_nop 0
	v_mov_b32_e32 v9, v7
	s_waitcnt vmcnt(0) lgkmcnt(0)
	v_pk_mul_f32 v[6:7], v[16:17], v[54:55] op_sel:[1,1] op_sel_hi:[0,1]
	v_pk_add_f32 v[4:5], v[4:5], v[8:9]
	v_pk_fma_f32 v[8:9], v[16:17], v[54:55], v[6:7] neg_lo:[0,0,1] neg_hi:[0,0,1]
	v_pk_fma_f32 v[6:7], v[16:17], v[54:55], v[6:7] op_sel_hi:[1,0,1]
	s_nop 0
	v_mov_b32_e32 v9, v7
	scratch_load_dwordx2 v[6:7], off, off offset:152
	v_pk_add_f32 v[4:5], v[4:5], v[8:9]
	s_waitcnt vmcnt(0)
	v_pk_add_f32 v[4:5], v[6:7], v[4:5] neg_lo:[0,1] neg_hi:[0,1]
	scratch_store_dwordx2 off, v[4:5], off offset:152
	s_and_saveexec_b64 s[0:1], vcc
	s_cbranch_execz .LBB34_187
; %bb.186:
	scratch_load_dwordx2 v[4:5], off, off offset:144
	v_mov_b32_e32 v3, v2
	scratch_store_dwordx2 off, v[2:3], off offset:144
	s_waitcnt vmcnt(1)
	ds_write_b64 v1, v[4:5]
.LBB34_187:
	s_or_b64 exec, exec, s[0:1]
	s_waitcnt lgkmcnt(0)
	; wave barrier
	scratch_load_dwordx4 v[8:11], off, off offset:152
	scratch_load_dwordx4 v[16:19], off, off offset:168
	;; [unrolled: 1-line block ×4, first 2 shown]
	ds_read2_b64 v[4:7], v2 offset0:55 offset1:56
	v_cmp_lt_u32_e32 vcc, 17, v0
	s_waitcnt vmcnt(3) lgkmcnt(0)
	v_mul_f32_e32 v3, v4, v9
	v_fmac_f32_e32 v3, v5, v8
	v_mul_f32_e32 v12, v6, v11
	v_add_f32_e32 v3, 0, v3
	v_fmac_f32_e32 v12, v7, v10
	v_add_f32_e32 v3, v3, v12
	ds_read2_b64 v[12:15], v2 offset0:57 offset1:58
	s_waitcnt vmcnt(2) lgkmcnt(0)
	v_mul_f32_e32 v20, v12, v17
	v_fmac_f32_e32 v20, v13, v16
	v_add_f32_e32 v3, v3, v20
	v_mul_f32_e32 v20, v14, v19
	v_fmac_f32_e32 v20, v15, v18
	v_add_f32_e32 v3, v3, v20
	ds_read2_b64 v[20:23], v2 offset0:59 offset1:60
	s_waitcnt vmcnt(1) lgkmcnt(0)
	v_mul_f32_e32 v28, v20, v25
	v_fmac_f32_e32 v28, v21, v24
	v_add_f32_e32 v3, v3, v28
	v_mul_f32_e32 v28, v22, v27
	v_fmac_f32_e32 v28, v23, v26
	v_add_f32_e32 v53, v3, v28
	ds_read2_b64 v[28:31], v2 offset0:61 offset1:62
	scratch_load_dwordx4 v[36:39], off, off offset:216
	scratch_load_dwordx4 v[40:43], off, off offset:232
	;; [unrolled: 1-line block ×4, first 2 shown]
	v_mul_f32_e32 v3, v5, v9
	v_fma_f32 v3, v4, v8, -v3
	v_mul_f32_e32 v4, v7, v11
	v_add_f32_e32 v3, 0, v3
	v_fma_f32 v4, v6, v10, -v4
	v_add_f32_e32 v3, v3, v4
	v_mul_f32_e32 v4, v13, v17
	v_fma_f32 v4, v12, v16, -v4
	v_add_f32_e32 v3, v3, v4
	v_mul_f32_e32 v4, v15, v19
	;; [unrolled: 3-line block ×4, first 2 shown]
	v_fma_f32 v4, v22, v26, -v4
	v_add_f32_e32 v52, v3, v4
	ds_read2_b64 v[4:7], v2 offset0:63 offset1:64
	ds_read2_b64 v[8:11], v2 offset0:65 offset1:66
	;; [unrolled: 1-line block ×4, first 2 shown]
	s_waitcnt vmcnt(4) lgkmcnt(4)
	v_mul_f32_e32 v55, v28, v33
	v_mul_f32_e32 v3, v29, v33
	v_fmac_f32_e32 v55, v29, v32
	v_mul_f32_e32 v57, v30, v35
	v_fma_f32 v54, v28, v32, -v3
	v_mul_f32_e32 v3, v31, v35
	v_fmac_f32_e32 v57, v31, v34
	v_fma_f32 v56, v30, v34, -v3
	v_pk_add_f32 v[2:3], v[52:53], v[54:55]
	s_waitcnt vmcnt(3) lgkmcnt(3)
	v_pk_mul_f32 v[20:21], v[4:5], v[36:37] op_sel:[1,1] op_sel_hi:[0,1]
	v_pk_fma_f32 v[22:23], v[4:5], v[36:37], v[20:21] neg_lo:[0,0,1] neg_hi:[0,0,1]
	v_pk_fma_f32 v[4:5], v[4:5], v[36:37], v[20:21] op_sel_hi:[1,0,1]
	v_pk_add_f32 v[2:3], v[2:3], v[56:57]
	v_mov_b32_e32 v4, v39
	v_mov_b32_e32 v23, v5
	v_pk_mul_f32 v[4:5], v[6:7], v[4:5] op_sel:[1,0] op_sel_hi:[0,0]
	v_pk_fma_f32 v[20:21], v[6:7], v[38:39], v[4:5] neg_lo:[0,0,1] neg_hi:[0,0,1]
	v_pk_fma_f32 v[4:5], v[6:7], v[38:39], v[4:5] op_sel_hi:[1,0,1]
	v_pk_add_f32 v[2:3], v[2:3], v[22:23]
	v_mov_b32_e32 v21, v5
	s_waitcnt vmcnt(2) lgkmcnt(2)
	v_pk_mul_f32 v[4:5], v[8:9], v[40:41] op_sel:[1,1] op_sel_hi:[0,1]
	v_pk_fma_f32 v[6:7], v[8:9], v[40:41], v[4:5] neg_lo:[0,0,1] neg_hi:[0,0,1]
	v_pk_fma_f32 v[4:5], v[8:9], v[40:41], v[4:5] op_sel_hi:[1,0,1]
	v_pk_add_f32 v[2:3], v[2:3], v[20:21]
	v_mov_b32_e32 v4, v43
	v_mov_b32_e32 v7, v5
	v_pk_mul_f32 v[4:5], v[10:11], v[4:5] op_sel:[1,0] op_sel_hi:[0,0]
	v_pk_add_f32 v[2:3], v[2:3], v[6:7]
	v_pk_fma_f32 v[6:7], v[10:11], v[42:43], v[4:5] neg_lo:[0,0,1] neg_hi:[0,0,1]
	v_pk_fma_f32 v[4:5], v[10:11], v[42:43], v[4:5] op_sel_hi:[1,0,1]
	s_nop 0
	v_mov_b32_e32 v7, v5
	s_waitcnt vmcnt(1) lgkmcnt(1)
	v_pk_mul_f32 v[4:5], v[12:13], v[44:45] op_sel:[1,1] op_sel_hi:[0,1]
	v_pk_add_f32 v[2:3], v[2:3], v[6:7]
	v_pk_fma_f32 v[6:7], v[12:13], v[44:45], v[4:5] neg_lo:[0,0,1] neg_hi:[0,0,1]
	v_pk_fma_f32 v[4:5], v[12:13], v[44:45], v[4:5] op_sel_hi:[1,0,1]
	s_nop 0
	v_mov_b32_e32 v4, v47
	v_mov_b32_e32 v7, v5
	v_pk_mul_f32 v[4:5], v[14:15], v[4:5] op_sel:[1,0] op_sel_hi:[0,0]
	v_pk_add_f32 v[2:3], v[2:3], v[6:7]
	v_pk_fma_f32 v[6:7], v[14:15], v[46:47], v[4:5] neg_lo:[0,0,1] neg_hi:[0,0,1]
	v_pk_fma_f32 v[4:5], v[14:15], v[46:47], v[4:5] op_sel_hi:[1,0,1]
	s_nop 0
	v_mov_b32_e32 v7, v5
	s_waitcnt vmcnt(0) lgkmcnt(0)
	v_pk_mul_f32 v[4:5], v[16:17], v[48:49] op_sel:[1,1] op_sel_hi:[0,1]
	v_pk_add_f32 v[2:3], v[2:3], v[6:7]
	v_pk_fma_f32 v[6:7], v[16:17], v[48:49], v[4:5] neg_lo:[0,0,1] neg_hi:[0,0,1]
	v_pk_fma_f32 v[4:5], v[16:17], v[48:49], v[4:5] op_sel_hi:[1,0,1]
	s_nop 0
	v_mov_b32_e32 v4, v51
	v_mov_b32_e32 v7, v5
	v_pk_mul_f32 v[4:5], v[18:19], v[4:5] op_sel:[1,0] op_sel_hi:[0,0]
	v_pk_add_f32 v[2:3], v[2:3], v[6:7]
	v_pk_fma_f32 v[6:7], v[18:19], v[50:51], v[4:5] neg_lo:[0,0,1] neg_hi:[0,0,1]
	v_pk_fma_f32 v[4:5], v[18:19], v[50:51], v[4:5] op_sel_hi:[1,0,1]
	s_nop 0
	v_mov_b32_e32 v7, v5
	scratch_load_dwordx2 v[4:5], off, off offset:144
	v_pk_add_f32 v[2:3], v[2:3], v[6:7]
	s_waitcnt vmcnt(0)
	v_pk_add_f32 v[2:3], v[4:5], v[2:3] neg_lo:[0,1] neg_hi:[0,1]
	scratch_store_dwordx2 off, v[2:3], off offset:144
	s_and_saveexec_b64 s[0:1], vcc
	s_cbranch_execz .LBB34_189
; %bb.188:
	scratch_load_dwordx2 v[2:3], off, off offset:136
	v_mov_b32_e32 v4, 0
	v_mov_b32_e32 v5, v4
	scratch_store_dwordx2 off, v[4:5], off offset:136
	s_waitcnt vmcnt(1)
	ds_write_b64 v1, v[2:3]
.LBB34_189:
	s_or_b64 exec, exec, s[0:1]
	s_waitcnt lgkmcnt(0)
	; wave barrier
	scratch_load_dwordx4 v[4:7], off, off offset:144
	scratch_load_dwordx4 v[8:11], off, off offset:160
	;; [unrolled: 1-line block ×8, first 2 shown]
	scratch_load_dwordx2 v[68:69], off, off offset:272
	scratch_load_dwordx2 v[70:71], off, off offset:136
	v_mov_b32_e32 v2, 0
	ds_read_b128 v[36:39], v2 offset:432
	ds_read_b128 v[40:43], v2 offset:448
	;; [unrolled: 1-line block ×8, first 2 shown]
	ds_read_b64 v[72:73], v2 offset:560
	v_cmp_lt_u32_e32 vcc, 16, v0
	s_waitcnt vmcnt(9) lgkmcnt(8)
	v_mul_f32_e32 v79, v38, v7
	v_mul_f32_e32 v3, v36, v5
	s_waitcnt vmcnt(8) lgkmcnt(7)
	v_mul_f32_e32 v83, v40, v9
	s_waitcnt vmcnt(7) lgkmcnt(6)
	v_mul_f32_e32 v87, v44, v13
	v_mul_f32_e32 v5, v37, v5
	;; [unrolled: 1-line block ×5, first 2 shown]
	s_waitcnt vmcnt(5)
	v_mov_b32_e32 v78, v23
	s_waitcnt vmcnt(3) lgkmcnt(2)
	v_pk_mul_f32 v[84:85], v[60:61], v[28:29] op_sel:[1,1] op_sel_hi:[0,1]
	v_fmac_f32_e32 v79, v39, v6
	v_mul_f32_e32 v86, v42, v11
	v_mul_f32_e32 v89, v48, v17
	;; [unrolled: 1-line block ×4, first 2 shown]
	v_fmac_f32_e32 v3, v37, v4
	v_fmac_f32_e32 v87, v45, v12
	v_fma_f32 v36, v36, v4, -v5
	v_fma_f32 v37, v38, v6, -v7
	;; [unrolled: 1-line block ×4, first 2 shown]
	v_pk_mul_f32 v[4:5], v[54:55], v[78:79] op_sel:[1,0] op_sel_hi:[0,0]
	v_pk_fma_f32 v[12:13], v[60:61], v[28:29], v[84:85] neg_lo:[0,0,1] neg_hi:[0,0,1]
	v_fmac_f32_e32 v89, v49, v16
	v_fma_f32 v39, v42, v10, -v11
	v_fma_f32 v42, v48, v16, -v17
	v_add_f32_e32 v3, 0, v3
	v_add_f32_e32 v13, 0, v36
	v_pk_fma_f32 v[16:17], v[54:55], v[22:23], v[4:5] neg_lo:[0,0,1] neg_hi:[0,0,1]
	v_pk_fma_f32 v[4:5], v[54:55], v[22:23], v[4:5] op_sel_hi:[1,0,1]
	v_fmac_f32_e32 v83, v41, v8
	v_add_f32_e32 v3, v3, v79
	v_add_f32_e32 v4, v13, v37
	v_fmac_f32_e32 v86, v43, v10
	v_add_f32_e32 v3, v3, v83
	v_add_f32_e32 v4, v4, v38
	v_mul_f32_e32 v88, v46, v15
	v_mul_f32_e32 v15, v47, v15
	v_add_f32_e32 v3, v3, v86
	v_add_f32_e32 v4, v4, v39
	v_fmac_f32_e32 v88, v47, v14
	v_fma_f32 v41, v46, v14, -v15
	v_add_f32_e32 v3, v3, v87
	v_add_f32_e32 v4, v4, v40
	v_mul_f32_e32 v75, v50, v19
	v_mul_f32_e32 v19, v51, v19
	v_add_f32_e32 v3, v3, v88
	v_add_f32_e32 v4, v4, v41
	v_mul_f32_e32 v77, v52, v21
	v_mul_f32_e32 v21, v53, v21
	v_fmac_f32_e32 v75, v51, v18
	v_fma_f32 v74, v50, v18, -v19
	v_mov_b32_e32 v17, v5
	v_add_f32_e32 v5, v3, v89
	v_add_f32_e32 v4, v4, v42
	v_pk_mul_f32 v[80:81], v[56:57], v[24:25] op_sel:[1,1] op_sel_hi:[0,1]
	v_fmac_f32_e32 v77, v53, v20
	v_fma_f32 v76, v52, v20, -v21
	v_pk_add_f32 v[4:5], v[4:5], v[74:75]
	v_mov_b32_e32 v82, v27
	v_pk_fma_f32 v[6:7], v[56:57], v[24:25], v[80:81] neg_lo:[0,0,1] neg_hi:[0,0,1]
	v_pk_fma_f32 v[8:9], v[56:57], v[24:25], v[80:81] op_sel_hi:[1,0,1]
	v_pk_add_f32 v[4:5], v[4:5], v[76:77]
	v_pk_mul_f32 v[10:11], v[58:59], v[82:83] op_sel:[1,0] op_sel_hi:[0,0]
	v_mov_b32_e32 v7, v9
	v_pk_add_f32 v[4:5], v[4:5], v[16:17]
	v_pk_fma_f32 v[8:9], v[58:59], v[26:27], v[10:11] neg_lo:[0,0,1] neg_hi:[0,0,1]
	v_pk_fma_f32 v[10:11], v[58:59], v[26:27], v[10:11] op_sel_hi:[1,0,1]
	v_pk_add_f32 v[4:5], v[4:5], v[6:7]
	v_mov_b32_e32 v6, v31
	v_pk_fma_f32 v[14:15], v[60:61], v[28:29], v[84:85] op_sel_hi:[1,0,1]
	v_mov_b32_e32 v9, v11
	v_pk_mul_f32 v[6:7], v[62:63], v[6:7] op_sel:[1,0] op_sel_hi:[0,0]
	v_pk_add_f32 v[4:5], v[4:5], v[8:9]
	v_mov_b32_e32 v13, v15
	v_pk_fma_f32 v[8:9], v[62:63], v[30:31], v[6:7] neg_lo:[0,0,1] neg_hi:[0,0,1]
	v_pk_fma_f32 v[6:7], v[62:63], v[30:31], v[6:7] op_sel_hi:[1,0,1]
	v_pk_add_f32 v[4:5], v[4:5], v[12:13]
	v_mov_b32_e32 v9, v7
	s_waitcnt vmcnt(2) lgkmcnt(1)
	v_pk_mul_f32 v[6:7], v[64:65], v[32:33] op_sel:[1,1] op_sel_hi:[0,1]
	v_pk_add_f32 v[4:5], v[4:5], v[8:9]
	v_pk_fma_f32 v[8:9], v[64:65], v[32:33], v[6:7] neg_lo:[0,0,1] neg_hi:[0,0,1]
	v_pk_fma_f32 v[6:7], v[64:65], v[32:33], v[6:7] op_sel_hi:[1,0,1]
	s_nop 0
	v_mov_b32_e32 v6, v35
	v_mov_b32_e32 v9, v7
	v_pk_mul_f32 v[6:7], v[66:67], v[6:7] op_sel:[1,0] op_sel_hi:[0,0]
	v_pk_add_f32 v[4:5], v[4:5], v[8:9]
	v_pk_fma_f32 v[8:9], v[66:67], v[34:35], v[6:7] neg_lo:[0,0,1] neg_hi:[0,0,1]
	v_pk_fma_f32 v[6:7], v[66:67], v[34:35], v[6:7] op_sel_hi:[1,0,1]
	s_nop 0
	v_mov_b32_e32 v9, v7
	s_waitcnt vmcnt(1) lgkmcnt(0)
	v_pk_mul_f32 v[6:7], v[72:73], v[68:69] op_sel:[1,1] op_sel_hi:[0,1]
	v_pk_add_f32 v[4:5], v[4:5], v[8:9]
	v_pk_fma_f32 v[8:9], v[72:73], v[68:69], v[6:7] neg_lo:[0,0,1] neg_hi:[0,0,1]
	v_pk_fma_f32 v[6:7], v[72:73], v[68:69], v[6:7] op_sel_hi:[1,0,1]
	s_nop 0
	v_mov_b32_e32 v9, v7
	v_pk_add_f32 v[4:5], v[4:5], v[8:9]
	s_waitcnt vmcnt(0)
	v_pk_add_f32 v[4:5], v[70:71], v[4:5] neg_lo:[0,1] neg_hi:[0,1]
	scratch_store_dwordx2 off, v[4:5], off offset:136
	s_and_saveexec_b64 s[0:1], vcc
	s_cbranch_execz .LBB34_191
; %bb.190:
	scratch_load_dwordx2 v[4:5], off, off offset:128
	v_mov_b32_e32 v3, v2
	scratch_store_dwordx2 off, v[2:3], off offset:128
	s_waitcnt vmcnt(1)
	ds_write_b64 v1, v[4:5]
.LBB34_191:
	s_or_b64 exec, exec, s[0:1]
	s_waitcnt lgkmcnt(0)
	; wave barrier
	scratch_load_dwordx4 v[4:7], off, off offset:136
	scratch_load_dwordx4 v[8:11], off, off offset:152
	;; [unrolled: 1-line block ×7, first 2 shown]
	ds_read2_b64 v[32:35], v2 offset0:53 offset1:54
	ds_read2_b64 v[36:39], v2 offset0:55 offset1:56
	;; [unrolled: 1-line block ×4, first 2 shown]
	scratch_load_dwordx4 v[48:51], off, off offset:248
	scratch_load_dwordx4 v[52:55], off, off offset:264
	ds_read2_b64 v[56:59], v2 offset0:61 offset1:62
	ds_read2_b64 v[60:63], v2 offset0:63 offset1:64
	;; [unrolled: 1-line block ×5, first 2 shown]
	scratch_load_dwordx2 v[2:3], off, off offset:128
	v_cmp_lt_u32_e32 vcc, 15, v0
	s_waitcnt vmcnt(9) lgkmcnt(8)
	v_mul_f32_e32 v83, v32, v5
	v_mul_f32_e32 v86, v34, v7
	s_waitcnt vmcnt(8) lgkmcnt(7)
	v_mul_f32_e32 v87, v36, v9
	s_waitcnt vmcnt(7) lgkmcnt(6)
	v_mul_f32_e32 v89, v40, v13
	v_mul_f32_e32 v5, v33, v5
	v_mul_f32_e32 v7, v35, v7
	v_mul_f32_e32 v9, v37, v9
	v_mul_f32_e32 v13, v41, v13
	s_waitcnt vmcnt(4) lgkmcnt(3)
	v_pk_mul_f32 v[80:81], v[60:61], v[24:25] op_sel:[1,1] op_sel_hi:[0,1]
	v_mov_b32_e32 v82, v27
	s_waitcnt vmcnt(3) lgkmcnt(2)
	v_pk_mul_f32 v[84:85], v[64:65], v[28:29] op_sel:[1,1] op_sel_hi:[0,1]
	v_fmac_f32_e32 v83, v33, v4
	v_mul_f32_e32 v90, v42, v15
	v_mul_f32_e32 v91, v44, v17
	;; [unrolled: 1-line block ×4, first 2 shown]
	v_fmac_f32_e32 v86, v35, v6
	v_fmac_f32_e32 v87, v37, v8
	;; [unrolled: 1-line block ×3, first 2 shown]
	v_fma_f32 v32, v32, v4, -v5
	v_fma_f32 v33, v34, v6, -v7
	;; [unrolled: 1-line block ×4, first 2 shown]
	v_pk_fma_f32 v[4:5], v[60:61], v[24:25], v[80:81] neg_lo:[0,0,1] neg_hi:[0,0,1]
	v_pk_fma_f32 v[6:7], v[60:61], v[24:25], v[80:81] op_sel_hi:[1,0,1]
	v_pk_mul_f32 v[8:9], v[62:63], v[82:83] op_sel:[1,0] op_sel_hi:[0,0]
	v_pk_fma_f32 v[12:13], v[64:65], v[28:29], v[84:85] op_sel_hi:[1,0,1]
	v_fmac_f32_e32 v90, v43, v14
	v_fma_f32 v14, v42, v14, -v15
	v_fma_f32 v15, v44, v16, -v17
	v_add_f32_e32 v12, 0, v83
	v_add_f32_e32 v17, 0, v32
	v_mov_b32_e32 v5, v7
	v_pk_fma_f32 v[6:7], v[62:63], v[26:27], v[8:9] neg_lo:[0,0,1] neg_hi:[0,0,1]
	v_pk_fma_f32 v[8:9], v[62:63], v[26:27], v[8:9] op_sel_hi:[1,0,1]
	v_mul_f32_e32 v88, v38, v11
	v_mul_f32_e32 v11, v39, v11
	v_add_f32_e32 v8, v12, v86
	v_add_f32_e32 v12, v17, v33
	v_fmac_f32_e32 v88, v39, v10
	v_fma_f32 v35, v38, v10, -v11
	v_mov_b32_e32 v7, v9
	v_add_f32_e32 v8, v8, v87
	v_add_f32_e32 v9, v12, v34
	;; [unrolled: 1-line block ×6, first 2 shown]
	v_mul_f32_e32 v92, v46, v19
	v_mul_f32_e32 v19, v47, v19
	v_fmac_f32_e32 v91, v45, v16
	v_add_f32_e32 v8, v8, v90
	v_add_f32_e32 v9, v9, v14
	v_mul_f32_e32 v77, v56, v21
	v_mul_f32_e32 v21, v57, v21
	v_fmac_f32_e32 v92, v47, v18
	v_fma_f32 v16, v46, v18, -v19
	v_add_f32_e32 v8, v8, v91
	v_add_f32_e32 v12, v9, v15
	v_mul_f32_e32 v79, v58, v23
	v_mul_f32_e32 v23, v59, v23
	v_fmac_f32_e32 v77, v57, v20
	v_fma_f32 v76, v56, v20, -v21
	v_add_f32_e32 v9, v8, v92
	v_add_f32_e32 v8, v12, v16
	v_fmac_f32_e32 v79, v59, v22
	v_fma_f32 v78, v58, v22, -v23
	v_pk_add_f32 v[8:9], v[8:9], v[76:77]
	v_pk_fma_f32 v[10:11], v[64:65], v[28:29], v[84:85] neg_lo:[0,0,1] neg_hi:[0,0,1]
	v_pk_add_f32 v[8:9], v[8:9], v[78:79]
	v_mov_b32_e32 v11, v13
	v_pk_add_f32 v[4:5], v[8:9], v[4:5]
	s_nop 0
	v_pk_add_f32 v[4:5], v[4:5], v[6:7]
	v_mov_b32_e32 v6, v31
	v_pk_mul_f32 v[6:7], v[66:67], v[6:7] op_sel:[1,0] op_sel_hi:[0,0]
	v_pk_fma_f32 v[8:9], v[66:67], v[30:31], v[6:7] neg_lo:[0,0,1] neg_hi:[0,0,1]
	v_pk_fma_f32 v[6:7], v[66:67], v[30:31], v[6:7] op_sel_hi:[1,0,1]
	v_pk_add_f32 v[4:5], v[4:5], v[10:11]
	v_mov_b32_e32 v9, v7
	s_waitcnt vmcnt(2) lgkmcnt(1)
	v_pk_mul_f32 v[6:7], v[68:69], v[48:49] op_sel:[1,1] op_sel_hi:[0,1]
	v_pk_add_f32 v[4:5], v[4:5], v[8:9]
	v_pk_fma_f32 v[8:9], v[68:69], v[48:49], v[6:7] neg_lo:[0,0,1] neg_hi:[0,0,1]
	v_pk_fma_f32 v[6:7], v[68:69], v[48:49], v[6:7] op_sel_hi:[1,0,1]
	s_nop 0
	v_mov_b32_e32 v6, v51
	v_mov_b32_e32 v9, v7
	v_pk_mul_f32 v[6:7], v[70:71], v[6:7] op_sel:[1,0] op_sel_hi:[0,0]
	v_pk_add_f32 v[4:5], v[4:5], v[8:9]
	v_pk_fma_f32 v[8:9], v[70:71], v[50:51], v[6:7] neg_lo:[0,0,1] neg_hi:[0,0,1]
	v_pk_fma_f32 v[6:7], v[70:71], v[50:51], v[6:7] op_sel_hi:[1,0,1]
	s_nop 0
	v_mov_b32_e32 v9, v7
	s_waitcnt vmcnt(1) lgkmcnt(0)
	v_pk_mul_f32 v[6:7], v[72:73], v[52:53] op_sel:[1,1] op_sel_hi:[0,1]
	v_pk_add_f32 v[4:5], v[4:5], v[8:9]
	v_pk_fma_f32 v[8:9], v[72:73], v[52:53], v[6:7] neg_lo:[0,0,1] neg_hi:[0,0,1]
	v_pk_fma_f32 v[6:7], v[72:73], v[52:53], v[6:7] op_sel_hi:[1,0,1]
	s_nop 0
	v_mov_b32_e32 v6, v55
	v_mov_b32_e32 v9, v7
	v_pk_mul_f32 v[6:7], v[74:75], v[6:7] op_sel:[1,0] op_sel_hi:[0,0]
	v_pk_add_f32 v[4:5], v[4:5], v[8:9]
	v_pk_fma_f32 v[8:9], v[74:75], v[54:55], v[6:7] neg_lo:[0,0,1] neg_hi:[0,0,1]
	v_pk_fma_f32 v[6:7], v[74:75], v[54:55], v[6:7] op_sel_hi:[1,0,1]
	s_nop 0
	v_mov_b32_e32 v9, v7
	v_pk_add_f32 v[4:5], v[4:5], v[8:9]
	s_waitcnt vmcnt(0)
	v_pk_add_f32 v[2:3], v[2:3], v[4:5] neg_lo:[0,1] neg_hi:[0,1]
	scratch_store_dwordx2 off, v[2:3], off offset:128
	s_and_saveexec_b64 s[0:1], vcc
	s_cbranch_execz .LBB34_193
; %bb.192:
	scratch_load_dwordx2 v[2:3], off, off offset:120
	v_mov_b32_e32 v4, 0
	v_mov_b32_e32 v5, v4
	scratch_store_dwordx2 off, v[4:5], off offset:120
	s_waitcnt vmcnt(1)
	ds_write_b64 v1, v[2:3]
.LBB34_193:
	s_or_b64 exec, exec, s[0:1]
	s_waitcnt lgkmcnt(0)
	; wave barrier
	scratch_load_dwordx4 v[4:7], off, off offset:128
	scratch_load_dwordx4 v[8:11], off, off offset:144
	;; [unrolled: 1-line block ×9, first 2 shown]
	scratch_load_dwordx2 v[76:77], off, off offset:272
	scratch_load_dwordx2 v[78:79], off, off offset:120
	v_mov_b32_e32 v2, 0
	ds_read_b128 v[40:43], v2 offset:416
	ds_read_b128 v[44:47], v2 offset:432
	;; [unrolled: 1-line block ×9, first 2 shown]
	ds_read_b64 v[80:81], v2 offset:560
	v_cmp_lt_u32_e32 vcc, 14, v0
	s_waitcnt vmcnt(10) lgkmcnt(9)
	v_mul_f32_e32 v87, v42, v7
	v_mul_f32_e32 v3, v40, v5
	;; [unrolled: 1-line block ×3, first 2 shown]
	v_fmac_f32_e32 v87, v43, v6
	s_waitcnt vmcnt(9) lgkmcnt(8)
	v_mul_f32_e32 v88, v44, v9
	s_waitcnt vmcnt(5)
	v_mov_b32_e32 v86, v27
	v_mul_f32_e32 v89, v46, v11
	s_waitcnt lgkmcnt(7)
	v_mul_f32_e32 v91, v50, v15
	v_mul_f32_e32 v7, v43, v7
	;; [unrolled: 1-line block ×5, first 2 shown]
	v_fmac_f32_e32 v3, v41, v4
	v_fma_f32 v40, v40, v4, -v5
	s_waitcnt lgkmcnt(4)
	v_pk_mul_f32 v[4:5], v[62:63], v[86:87] op_sel:[1,0] op_sel_hi:[0,0]
	v_fmac_f32_e32 v88, v45, v8
	v_fma_f32 v41, v42, v6, -v7
	v_fma_f32 v8, v44, v8, -v9
	;; [unrolled: 1-line block ×4, first 2 shown]
	v_add_f32_e32 v3, 0, v3
	v_add_f32_e32 v15, 0, v40
	v_pk_fma_f32 v[6:7], v[62:63], v[26:27], v[4:5] neg_lo:[0,0,1] neg_hi:[0,0,1]
	v_pk_fma_f32 v[4:5], v[62:63], v[26:27], v[4:5] op_sel_hi:[1,0,1]
	v_add_f32_e32 v3, v3, v87
	v_add_f32_e32 v4, v15, v41
	v_mul_f32_e32 v90, v48, v13
	v_mul_f32_e32 v13, v49, v13
	v_fmac_f32_e32 v89, v47, v10
	v_add_f32_e32 v3, v3, v88
	v_add_f32_e32 v4, v4, v8
	v_fmac_f32_e32 v90, v49, v12
	v_fma_f32 v10, v48, v12, -v13
	v_add_f32_e32 v3, v3, v89
	v_add_f32_e32 v4, v4, v9
	v_mul_f32_e32 v92, v52, v17
	v_mul_f32_e32 v17, v53, v17
	v_fmac_f32_e32 v91, v51, v14
	v_add_f32_e32 v3, v3, v90
	v_add_f32_e32 v4, v4, v10
	v_mul_f32_e32 v93, v54, v19
	v_mul_f32_e32 v19, v55, v19
	v_fmac_f32_e32 v92, v53, v16
	v_fma_f32 v12, v52, v16, -v17
	v_add_f32_e32 v3, v3, v91
	v_add_f32_e32 v4, v4, v11
	v_mul_f32_e32 v94, v56, v21
	v_mul_f32_e32 v21, v57, v21
	v_fmac_f32_e32 v93, v55, v18
	v_fma_f32 v13, v54, v18, -v19
	;; [unrolled: 6-line block ×4, first 2 shown]
	v_mov_b32_e32 v7, v5
	v_add_f32_e32 v5, v3, v94
	v_add_f32_e32 v4, v4, v14
	v_fmac_f32_e32 v85, v61, v24
	v_fma_f32 v84, v60, v24, -v25
	v_pk_add_f32 v[4:5], v[4:5], v[82:83]
	s_nop 0
	v_pk_add_f32 v[4:5], v[4:5], v[84:85]
	s_nop 0
	v_pk_add_f32 v[4:5], v[4:5], v[6:7]
	s_waitcnt vmcnt(4) lgkmcnt(3)
	v_pk_mul_f32 v[6:7], v[64:65], v[28:29] op_sel:[1,1] op_sel_hi:[0,1]
	v_pk_fma_f32 v[8:9], v[64:65], v[28:29], v[6:7] neg_lo:[0,0,1] neg_hi:[0,0,1]
	v_pk_fma_f32 v[6:7], v[64:65], v[28:29], v[6:7] op_sel_hi:[1,0,1]
	s_nop 0
	v_mov_b32_e32 v6, v31
	v_mov_b32_e32 v9, v7
	v_pk_mul_f32 v[6:7], v[66:67], v[6:7] op_sel:[1,0] op_sel_hi:[0,0]
	v_pk_add_f32 v[4:5], v[4:5], v[8:9]
	v_pk_fma_f32 v[8:9], v[66:67], v[30:31], v[6:7] neg_lo:[0,0,1] neg_hi:[0,0,1]
	v_pk_fma_f32 v[6:7], v[66:67], v[30:31], v[6:7] op_sel_hi:[1,0,1]
	s_nop 0
	v_mov_b32_e32 v9, v7
	s_waitcnt vmcnt(3) lgkmcnt(2)
	v_pk_mul_f32 v[6:7], v[68:69], v[32:33] op_sel:[1,1] op_sel_hi:[0,1]
	v_pk_add_f32 v[4:5], v[4:5], v[8:9]
	v_pk_fma_f32 v[8:9], v[68:69], v[32:33], v[6:7] neg_lo:[0,0,1] neg_hi:[0,0,1]
	v_pk_fma_f32 v[6:7], v[68:69], v[32:33], v[6:7] op_sel_hi:[1,0,1]
	s_nop 0
	v_mov_b32_e32 v6, v35
	v_mov_b32_e32 v9, v7
	v_pk_mul_f32 v[6:7], v[70:71], v[6:7] op_sel:[1,0] op_sel_hi:[0,0]
	v_pk_add_f32 v[4:5], v[4:5], v[8:9]
	v_pk_fma_f32 v[8:9], v[70:71], v[34:35], v[6:7] neg_lo:[0,0,1] neg_hi:[0,0,1]
	v_pk_fma_f32 v[6:7], v[70:71], v[34:35], v[6:7] op_sel_hi:[1,0,1]
	s_nop 0
	v_mov_b32_e32 v9, v7
	s_waitcnt vmcnt(2) lgkmcnt(1)
	v_pk_mul_f32 v[6:7], v[72:73], v[36:37] op_sel:[1,1] op_sel_hi:[0,1]
	v_pk_add_f32 v[4:5], v[4:5], v[8:9]
	v_pk_fma_f32 v[8:9], v[72:73], v[36:37], v[6:7] neg_lo:[0,0,1] neg_hi:[0,0,1]
	v_pk_fma_f32 v[6:7], v[72:73], v[36:37], v[6:7] op_sel_hi:[1,0,1]
	s_nop 0
	v_mov_b32_e32 v6, v39
	v_mov_b32_e32 v9, v7
	v_pk_mul_f32 v[6:7], v[74:75], v[6:7] op_sel:[1,0] op_sel_hi:[0,0]
	v_pk_add_f32 v[4:5], v[4:5], v[8:9]
	v_pk_fma_f32 v[8:9], v[74:75], v[38:39], v[6:7] neg_lo:[0,0,1] neg_hi:[0,0,1]
	v_pk_fma_f32 v[6:7], v[74:75], v[38:39], v[6:7] op_sel_hi:[1,0,1]
	s_nop 0
	v_mov_b32_e32 v9, v7
	s_waitcnt vmcnt(1) lgkmcnt(0)
	v_pk_mul_f32 v[6:7], v[80:81], v[76:77] op_sel:[1,1] op_sel_hi:[0,1]
	v_pk_add_f32 v[4:5], v[4:5], v[8:9]
	v_pk_fma_f32 v[8:9], v[80:81], v[76:77], v[6:7] neg_lo:[0,0,1] neg_hi:[0,0,1]
	v_pk_fma_f32 v[6:7], v[80:81], v[76:77], v[6:7] op_sel_hi:[1,0,1]
	s_nop 0
	v_mov_b32_e32 v9, v7
	v_pk_add_f32 v[4:5], v[4:5], v[8:9]
	s_waitcnt vmcnt(0)
	v_pk_add_f32 v[4:5], v[78:79], v[4:5] neg_lo:[0,1] neg_hi:[0,1]
	scratch_store_dwordx2 off, v[4:5], off offset:120
	s_and_saveexec_b64 s[0:1], vcc
	s_cbranch_execz .LBB34_195
; %bb.194:
	scratch_load_dwordx2 v[4:5], off, off offset:112
	v_mov_b32_e32 v3, v2
	scratch_store_dwordx2 off, v[2:3], off offset:112
	s_waitcnt vmcnt(1)
	ds_write_b64 v1, v[4:5]
.LBB34_195:
	s_or_b64 exec, exec, s[0:1]
	s_waitcnt lgkmcnt(0)
	; wave barrier
	scratch_load_dwordx4 v[4:7], off, off offset:120
	scratch_load_dwordx4 v[8:11], off, off offset:136
	;; [unrolled: 1-line block ×7, first 2 shown]
	ds_read2_b64 v[32:35], v2 offset0:51 offset1:52
	ds_read2_b64 v[36:39], v2 offset0:53 offset1:54
	;; [unrolled: 1-line block ×6, first 2 shown]
	scratch_load_dwordx4 v[56:59], off, off offset:232
	scratch_load_dwordx4 v[60:63], off, off offset:248
	scratch_load_dwordx4 v[64:67], off, off offset:264
	ds_read2_b64 v[68:71], v2 offset0:63 offset1:64
	ds_read2_b64 v[72:75], v2 offset0:65 offset1:66
	;; [unrolled: 1-line block ×4, first 2 shown]
	scratch_load_dwordx2 v[2:3], off, off offset:112
	v_cmp_lt_u32_e32 vcc, 13, v0
	s_waitcnt vmcnt(10) lgkmcnt(9)
	v_mul_f32_e32 v90, v32, v5
	v_mul_f32_e32 v5, v33, v5
	;; [unrolled: 1-line block ×3, first 2 shown]
	s_waitcnt vmcnt(9) lgkmcnt(8)
	v_mul_f32_e32 v92, v36, v9
	s_waitcnt vmcnt(8) lgkmcnt(7)
	v_mul_f32_e32 v95, v42, v15
	v_mul_f32_e32 v7, v35, v7
	;; [unrolled: 1-line block ×4, first 2 shown]
	v_fmac_f32_e32 v90, v33, v4
	v_fma_f32 v4, v32, v4, -v5
	v_fmac_f32_e32 v91, v35, v6
	v_fmac_f32_e32 v95, v43, v14
	v_fma_f32 v5, v34, v6, -v7
	v_fma_f32 v6, v36, v8, -v9
	;; [unrolled: 1-line block ×3, first 2 shown]
	v_add_f32_e32 v14, 0, v90
	v_add_f32_e32 v4, 0, v4
	v_mul_f32_e32 v93, v38, v11
	v_mul_f32_e32 v11, v39, v11
	v_fmac_f32_e32 v92, v37, v8
	v_add_f32_e32 v14, v14, v91
	v_add_f32_e32 v4, v4, v5
	v_mul_f32_e32 v94, v40, v13
	v_mul_f32_e32 v13, v41, v13
	v_fmac_f32_e32 v93, v39, v10
	v_fma_f32 v7, v38, v10, -v11
	v_add_f32_e32 v5, v14, v92
	v_add_f32_e32 v4, v4, v6
	v_fmac_f32_e32 v94, v41, v12
	v_fma_f32 v8, v40, v12, -v13
	v_add_f32_e32 v5, v5, v93
	v_add_f32_e32 v4, v4, v7
	s_waitcnt vmcnt(7) lgkmcnt(6)
	v_mul_f32_e32 v96, v44, v17
	v_mul_f32_e32 v17, v45, v17
	v_add_f32_e32 v5, v5, v94
	v_add_f32_e32 v4, v4, v8
	v_mul_f32_e32 v97, v46, v19
	v_mul_f32_e32 v19, v47, v19
	v_fmac_f32_e32 v96, v45, v16
	v_fma_f32 v10, v44, v16, -v17
	v_add_f32_e32 v5, v5, v95
	v_add_f32_e32 v4, v4, v9
	s_waitcnt vmcnt(6) lgkmcnt(5)
	v_mul_f32_e32 v98, v48, v21
	v_mul_f32_e32 v21, v49, v21
	v_fmac_f32_e32 v97, v47, v18
	v_fma_f32 v11, v46, v18, -v19
	v_add_f32_e32 v5, v5, v96
	v_add_f32_e32 v4, v4, v10
	v_mul_f32_e32 v99, v50, v23
	v_mul_f32_e32 v23, v51, v23
	v_fmac_f32_e32 v98, v49, v20
	v_fma_f32 v12, v48, v20, -v21
	v_add_f32_e32 v5, v5, v97
	v_add_f32_e32 v4, v4, v11
	s_waitcnt vmcnt(5) lgkmcnt(4)
	v_mul_f32_e32 v85, v52, v25
	v_mul_f32_e32 v25, v53, v25
	v_fmac_f32_e32 v99, v51, v22
	v_fma_f32 v13, v50, v22, -v23
	v_add_f32_e32 v5, v5, v98
	v_add_f32_e32 v4, v4, v12
	v_mul_f32_e32 v87, v54, v27
	v_mul_f32_e32 v27, v55, v27
	s_waitcnt vmcnt(4) lgkmcnt(3)
	v_pk_mul_f32 v[88:89], v[68:69], v[28:29] op_sel:[1,1] op_sel_hi:[0,1]
	v_fmac_f32_e32 v85, v53, v24
	v_fma_f32 v84, v52, v24, -v25
	v_add_f32_e32 v5, v5, v99
	v_add_f32_e32 v4, v4, v13
	v_fmac_f32_e32 v87, v55, v26
	v_fma_f32 v86, v54, v26, -v27
	v_pk_add_f32 v[4:5], v[4:5], v[84:85]
	v_pk_fma_f32 v[6:7], v[68:69], v[28:29], v[88:89] neg_lo:[0,0,1] neg_hi:[0,0,1]
	v_pk_fma_f32 v[8:9], v[68:69], v[28:29], v[88:89] op_sel_hi:[1,0,1]
	v_pk_add_f32 v[4:5], v[4:5], v[86:87]
	v_mov_b32_e32 v7, v9
	v_pk_add_f32 v[4:5], v[4:5], v[6:7]
	v_mov_b32_e32 v6, v31
	v_pk_mul_f32 v[6:7], v[70:71], v[6:7] op_sel:[1,0] op_sel_hi:[0,0]
	v_pk_fma_f32 v[8:9], v[70:71], v[30:31], v[6:7] neg_lo:[0,0,1] neg_hi:[0,0,1]
	v_pk_fma_f32 v[6:7], v[70:71], v[30:31], v[6:7] op_sel_hi:[1,0,1]
	s_nop 0
	v_mov_b32_e32 v9, v7
	s_waitcnt vmcnt(3) lgkmcnt(2)
	v_pk_mul_f32 v[6:7], v[72:73], v[56:57] op_sel:[1,1] op_sel_hi:[0,1]
	v_pk_add_f32 v[4:5], v[4:5], v[8:9]
	v_pk_fma_f32 v[8:9], v[72:73], v[56:57], v[6:7] neg_lo:[0,0,1] neg_hi:[0,0,1]
	v_pk_fma_f32 v[6:7], v[72:73], v[56:57], v[6:7] op_sel_hi:[1,0,1]
	s_nop 0
	v_mov_b32_e32 v6, v59
	v_mov_b32_e32 v9, v7
	v_pk_mul_f32 v[6:7], v[74:75], v[6:7] op_sel:[1,0] op_sel_hi:[0,0]
	v_pk_add_f32 v[4:5], v[4:5], v[8:9]
	v_pk_fma_f32 v[8:9], v[74:75], v[58:59], v[6:7] neg_lo:[0,0,1] neg_hi:[0,0,1]
	v_pk_fma_f32 v[6:7], v[74:75], v[58:59], v[6:7] op_sel_hi:[1,0,1]
	s_nop 0
	v_mov_b32_e32 v9, v7
	s_waitcnt vmcnt(2) lgkmcnt(1)
	v_pk_mul_f32 v[6:7], v[76:77], v[60:61] op_sel:[1,1] op_sel_hi:[0,1]
	v_pk_add_f32 v[4:5], v[4:5], v[8:9]
	v_pk_fma_f32 v[8:9], v[76:77], v[60:61], v[6:7] neg_lo:[0,0,1] neg_hi:[0,0,1]
	v_pk_fma_f32 v[6:7], v[76:77], v[60:61], v[6:7] op_sel_hi:[1,0,1]
	s_nop 0
	v_mov_b32_e32 v6, v63
	v_mov_b32_e32 v9, v7
	v_pk_mul_f32 v[6:7], v[78:79], v[6:7] op_sel:[1,0] op_sel_hi:[0,0]
	v_pk_add_f32 v[4:5], v[4:5], v[8:9]
	;; [unrolled: 14-line block ×3, first 2 shown]
	v_pk_fma_f32 v[8:9], v[82:83], v[66:67], v[6:7] neg_lo:[0,0,1] neg_hi:[0,0,1]
	v_pk_fma_f32 v[6:7], v[82:83], v[66:67], v[6:7] op_sel_hi:[1,0,1]
	s_nop 0
	v_mov_b32_e32 v9, v7
	v_pk_add_f32 v[4:5], v[4:5], v[8:9]
	s_waitcnt vmcnt(0)
	v_pk_add_f32 v[2:3], v[2:3], v[4:5] neg_lo:[0,1] neg_hi:[0,1]
	scratch_store_dwordx2 off, v[2:3], off offset:112
	s_and_saveexec_b64 s[0:1], vcc
	s_cbranch_execz .LBB34_197
; %bb.196:
	scratch_load_dwordx2 v[2:3], off, off offset:104
	v_mov_b32_e32 v4, 0
	v_mov_b32_e32 v5, v4
	scratch_store_dwordx2 off, v[4:5], off offset:104
	s_waitcnt vmcnt(1)
	ds_write_b64 v1, v[2:3]
.LBB34_197:
	s_or_b64 exec, exec, s[0:1]
	s_waitcnt lgkmcnt(0)
	; wave barrier
	scratch_load_dwordx4 v[2:5], off, off offset:112
	scratch_load_dwordx4 v[6:9], off, off offset:128
	;; [unrolled: 1-line block ×10, first 2 shown]
	scratch_load_dwordx2 v[76:77], off, off offset:272
	scratch_load_dwordx2 v[78:79], off, off offset:104
	v_mov_b32_e32 v10, 0
	ds_read_b128 v[44:47], v10 offset:400
	ds_read_b128 v[48:51], v10 offset:416
	;; [unrolled: 1-line block ×8, first 2 shown]
	v_cmp_lt_u32_e32 vcc, 12, v0
	s_waitcnt vmcnt(11) lgkmcnt(7)
	v_mul_f32_e32 v11, v44, v3
	v_mul_f32_e32 v3, v45, v3
	;; [unrolled: 1-line block ×4, first 2 shown]
	v_fmac_f32_e32 v11, v45, v2
	v_fma_f32 v2, v44, v2, -v3
	s_waitcnt vmcnt(10) lgkmcnt(6)
	v_mul_f32_e32 v82, v48, v7
	v_mul_f32_e32 v7, v49, v7
	v_fma_f32 v3, v46, v4, -v5
	v_add_f32_e32 v2, 0, v2
	v_mul_f32_e32 v84, v50, v9
	v_mul_f32_e32 v9, v51, v9
	v_fmac_f32_e32 v80, v47, v4
	v_fma_f32 v4, v48, v6, -v7
	v_add_f32_e32 v11, 0, v11
	v_add_f32_e32 v2, v2, v3
	s_waitcnt vmcnt(9) lgkmcnt(5)
	v_mul_f32_e32 v85, v52, v13
	v_mul_f32_e32 v13, v53, v13
	v_fmac_f32_e32 v82, v49, v6
	v_fma_f32 v5, v50, v8, -v9
	v_add_f32_e32 v11, v11, v80
	v_add_f32_e32 v2, v2, v4
	v_mul_f32_e32 v86, v54, v15
	v_mul_f32_e32 v15, v55, v15
	v_fmac_f32_e32 v84, v51, v8
	v_fma_f32 v6, v52, v12, -v13
	v_add_f32_e32 v3, v11, v82
	v_add_f32_e32 v2, v2, v5
	s_waitcnt vmcnt(8) lgkmcnt(4)
	v_mul_f32_e32 v87, v56, v17
	v_mul_f32_e32 v17, v57, v17
	v_fmac_f32_e32 v85, v53, v12
	v_fma_f32 v7, v54, v14, -v15
	v_add_f32_e32 v3, v3, v84
	;; [unrolled: 13-line block ×4, first 2 shown]
	v_add_f32_e32 v2, v2, v12
	v_fmac_f32_e32 v90, v63, v22
	v_fma_f32 v14, v64, v24, -v25
	v_add_f32_e32 v3, v3, v89
	v_add_f32_e32 v2, v2, v13
	v_mul_f32_e32 v81, v66, v27
	v_fmac_f32_e32 v91, v65, v24
	v_add_f32_e32 v3, v3, v90
	v_add_f32_e32 v12, v2, v14
	v_mul_f32_e32 v2, v67, v27
	s_waitcnt vmcnt(5)
	v_mov_b32_e32 v16, v31
	s_waitcnt lgkmcnt(1)
	v_mul_f32_e32 v83, v68, v29
	v_fmac_f32_e32 v81, v67, v26
	v_add_f32_e32 v13, v3, v91
	v_fma_f32 v80, v66, v26, -v2
	v_mul_f32_e32 v2, v69, v29
	v_pk_mul_f32 v[16:17], v[70:71], v[16:17] op_sel:[1,0] op_sel_hi:[0,0]
	v_fmac_f32_e32 v83, v69, v28
	v_fma_f32 v82, v68, v28, -v2
	v_pk_add_f32 v[12:13], v[12:13], v[80:81]
	v_pk_fma_f32 v[18:19], v[70:71], v[30:31], v[16:17] neg_lo:[0,0,1] neg_hi:[0,0,1]
	v_pk_fma_f32 v[16:17], v[70:71], v[30:31], v[16:17] op_sel_hi:[1,0,1]
	v_pk_add_f32 v[12:13], v[12:13], v[82:83]
	v_mov_b32_e32 v19, v17
	s_waitcnt vmcnt(4) lgkmcnt(0)
	v_pk_mul_f32 v[16:17], v[72:73], v[32:33] op_sel:[1,1] op_sel_hi:[0,1]
	v_pk_add_f32 v[12:13], v[12:13], v[18:19]
	v_pk_fma_f32 v[18:19], v[72:73], v[32:33], v[16:17] neg_lo:[0,0,1] neg_hi:[0,0,1]
	v_pk_fma_f32 v[16:17], v[72:73], v[32:33], v[16:17] op_sel_hi:[1,0,1]
	ds_read_b128 v[2:5], v10 offset:528
	ds_read_b128 v[6:9], v10 offset:544
	ds_read_b64 v[14:15], v10 offset:560
	v_mov_b32_e32 v16, v35
	v_mov_b32_e32 v19, v17
	v_pk_mul_f32 v[16:17], v[74:75], v[16:17] op_sel:[1,0] op_sel_hi:[0,0]
	v_pk_add_f32 v[12:13], v[12:13], v[18:19]
	v_pk_fma_f32 v[18:19], v[74:75], v[34:35], v[16:17] neg_lo:[0,0,1] neg_hi:[0,0,1]
	v_pk_fma_f32 v[16:17], v[74:75], v[34:35], v[16:17] op_sel_hi:[1,0,1]
	s_nop 0
	v_mov_b32_e32 v19, v17
	s_waitcnt vmcnt(3) lgkmcnt(2)
	v_pk_mul_f32 v[16:17], v[2:3], v[36:37] op_sel:[1,1] op_sel_hi:[0,1]
	v_pk_add_f32 v[12:13], v[12:13], v[18:19]
	v_pk_fma_f32 v[18:19], v[2:3], v[36:37], v[16:17] neg_lo:[0,0,1] neg_hi:[0,0,1]
	v_pk_fma_f32 v[2:3], v[2:3], v[36:37], v[16:17] op_sel_hi:[1,0,1]
	s_nop 0
	v_mov_b32_e32 v19, v3
	v_pk_add_f32 v[2:3], v[12:13], v[18:19]
	v_mov_b32_e32 v12, v39
	v_pk_mul_f32 v[12:13], v[4:5], v[12:13] op_sel:[1,0] op_sel_hi:[0,0]
	v_pk_fma_f32 v[16:17], v[4:5], v[38:39], v[12:13] neg_lo:[0,0,1] neg_hi:[0,0,1]
	v_pk_fma_f32 v[4:5], v[4:5], v[38:39], v[12:13] op_sel_hi:[1,0,1]
	s_nop 0
	v_mov_b32_e32 v17, v5
	s_waitcnt vmcnt(2) lgkmcnt(1)
	v_pk_mul_f32 v[4:5], v[6:7], v[40:41] op_sel:[1,1] op_sel_hi:[0,1]
	v_pk_fma_f32 v[12:13], v[6:7], v[40:41], v[4:5] neg_lo:[0,0,1] neg_hi:[0,0,1]
	v_pk_fma_f32 v[4:5], v[6:7], v[40:41], v[4:5] op_sel_hi:[1,0,1]
	v_pk_add_f32 v[2:3], v[2:3], v[16:17]
	v_mov_b32_e32 v4, v43
	v_mov_b32_e32 v13, v5
	v_pk_mul_f32 v[4:5], v[8:9], v[4:5] op_sel:[1,0] op_sel_hi:[0,0]
	v_pk_fma_f32 v[6:7], v[8:9], v[42:43], v[4:5] neg_lo:[0,0,1] neg_hi:[0,0,1]
	v_pk_fma_f32 v[4:5], v[8:9], v[42:43], v[4:5] op_sel_hi:[1,0,1]
	v_pk_add_f32 v[2:3], v[2:3], v[12:13]
	v_mov_b32_e32 v7, v5
	s_waitcnt vmcnt(1) lgkmcnt(0)
	v_pk_mul_f32 v[4:5], v[14:15], v[76:77] op_sel:[1,1] op_sel_hi:[0,1]
	v_pk_add_f32 v[2:3], v[2:3], v[6:7]
	v_pk_fma_f32 v[6:7], v[14:15], v[76:77], v[4:5] neg_lo:[0,0,1] neg_hi:[0,0,1]
	v_pk_fma_f32 v[4:5], v[14:15], v[76:77], v[4:5] op_sel_hi:[1,0,1]
	s_nop 0
	v_mov_b32_e32 v7, v5
	v_pk_add_f32 v[2:3], v[2:3], v[6:7]
	s_waitcnt vmcnt(0)
	v_pk_add_f32 v[2:3], v[78:79], v[2:3] neg_lo:[0,1] neg_hi:[0,1]
	scratch_store_dwordx2 off, v[2:3], off offset:104
	s_and_saveexec_b64 s[0:1], vcc
	s_cbranch_execz .LBB34_199
; %bb.198:
	scratch_load_dwordx2 v[2:3], off, off offset:96
	v_mov_b32_e32 v11, v10
	scratch_store_dwordx2 off, v[10:11], off offset:96
	s_waitcnt vmcnt(1)
	ds_write_b64 v1, v[2:3]
.LBB34_199:
	s_or_b64 exec, exec, s[0:1]
	s_waitcnt lgkmcnt(0)
	; wave barrier
	scratch_load_dwordx4 v[6:9], off, off offset:104
	scratch_load_dwordx4 v[12:15], off, off offset:120
	;; [unrolled: 1-line block ×7, first 2 shown]
	ds_read2_b64 v[36:39], v10 offset0:49 offset1:50
	ds_read2_b64 v[40:43], v10 offset0:51 offset1:52
	;; [unrolled: 1-line block ×6, first 2 shown]
	scratch_load_dwordx4 v[60:63], off, off offset:216
	scratch_load_dwordx4 v[64:67], off, off offset:232
	;; [unrolled: 1-line block ×4, first 2 shown]
	ds_read2_b64 v[72:75], v10 offset0:61 offset1:62
	ds_read2_b64 v[76:79], v10 offset0:63 offset1:64
	scratch_load_dwordx2 v[80:81], off, off offset:96
	v_cmp_lt_u32_e32 vcc, 11, v0
	s_waitcnt vmcnt(11) lgkmcnt(7)
	v_mul_f32_e32 v11, v36, v7
	v_mul_f32_e32 v82, v38, v9
	;; [unrolled: 1-line block ×3, first 2 shown]
	v_fmac_f32_e32 v11, v37, v6
	s_waitcnt vmcnt(10) lgkmcnt(6)
	v_mul_f32_e32 v84, v40, v13
	v_mul_f32_e32 v9, v39, v9
	v_fmac_f32_e32 v82, v39, v8
	v_fma_f32 v6, v36, v6, -v7
	v_add_f32_e32 v11, 0, v11
	v_mul_f32_e32 v86, v42, v15
	v_fmac_f32_e32 v84, v41, v12
	v_fma_f32 v7, v38, v8, -v9
	v_add_f32_e32 v6, 0, v6
	v_add_f32_e32 v11, v11, v82
	s_waitcnt vmcnt(9) lgkmcnt(5)
	v_mul_f32_e32 v87, v44, v17
	v_mul_f32_e32 v13, v41, v13
	v_fmac_f32_e32 v86, v43, v14
	v_add_f32_e32 v6, v6, v7
	v_add_f32_e32 v7, v11, v84
	v_mul_f32_e32 v88, v46, v19
	v_mul_f32_e32 v15, v43, v15
	v_fmac_f32_e32 v87, v45, v16
	v_fma_f32 v8, v40, v12, -v13
	v_add_f32_e32 v7, v7, v86
	s_waitcnt vmcnt(8) lgkmcnt(4)
	v_mul_f32_e32 v89, v48, v21
	v_mul_f32_e32 v17, v45, v17
	v_fmac_f32_e32 v88, v47, v18
	v_fma_f32 v9, v42, v14, -v15
	v_add_f32_e32 v6, v6, v8
	v_add_f32_e32 v7, v7, v87
	v_mul_f32_e32 v90, v50, v23
	v_mul_f32_e32 v19, v47, v19
	v_fmac_f32_e32 v89, v49, v20
	v_fma_f32 v12, v44, v16, -v17
	v_add_f32_e32 v6, v6, v9
	v_add_f32_e32 v7, v7, v88
	s_waitcnt vmcnt(7) lgkmcnt(3)
	v_mul_f32_e32 v91, v52, v25
	v_mul_f32_e32 v21, v49, v21
	v_fmac_f32_e32 v90, v51, v22
	v_fma_f32 v13, v46, v18, -v19
	v_add_f32_e32 v6, v6, v12
	v_add_f32_e32 v7, v7, v89
	v_mul_f32_e32 v92, v54, v27
	v_mul_f32_e32 v23, v51, v23
	v_fmac_f32_e32 v91, v53, v24
	v_fma_f32 v14, v48, v20, -v21
	v_add_f32_e32 v6, v6, v13
	;; [unrolled: 13-line block ×3, first 2 shown]
	v_add_f32_e32 v7, v7, v92
	v_mul_f32_e32 v29, v57, v29
	v_fmac_f32_e32 v94, v59, v30
	v_fma_f32 v17, v54, v26, -v27
	v_add_f32_e32 v6, v6, v16
	v_add_f32_e32 v7, v7, v93
	v_fma_f32 v18, v56, v28, -v29
	v_add_f32_e32 v6, v6, v17
	v_add_f32_e32 v21, v7, v94
	v_mul_f32_e32 v7, v59, v31
	v_add_f32_e32 v6, v6, v18
	v_fma_f32 v7, v58, v30, -v7
	s_waitcnt vmcnt(5) lgkmcnt(1)
	v_mul_f32_e32 v83, v72, v33
	v_add_f32_e32 v20, v6, v7
	v_mul_f32_e32 v6, v73, v33
	v_fmac_f32_e32 v83, v73, v32
	v_fma_f32 v82, v72, v32, -v6
	v_mul_f32_e32 v6, v75, v35
	v_fma_f32 v84, v74, v34, -v6
	ds_read2_b64 v[6:9], v10 offset0:65 offset1:66
	ds_read2_b64 v[12:15], v10 offset0:67 offset1:68
	;; [unrolled: 1-line block ×3, first 2 shown]
	v_pk_add_f32 v[10:11], v[20:21], v[82:83]
	s_waitcnt vmcnt(4) lgkmcnt(3)
	v_pk_mul_f32 v[20:21], v[76:77], v[60:61] op_sel:[1,1] op_sel_hi:[0,1]
	v_mul_f32_e32 v85, v74, v35
	v_pk_fma_f32 v[22:23], v[76:77], v[60:61], v[20:21] neg_lo:[0,0,1] neg_hi:[0,0,1]
	v_pk_fma_f32 v[20:21], v[76:77], v[60:61], v[20:21] op_sel_hi:[1,0,1]
	v_fmac_f32_e32 v85, v75, v34
	v_mov_b32_e32 v20, v63
	v_pk_add_f32 v[10:11], v[10:11], v[84:85]
	v_mov_b32_e32 v23, v21
	v_pk_mul_f32 v[20:21], v[78:79], v[20:21] op_sel:[1,0] op_sel_hi:[0,0]
	v_pk_add_f32 v[10:11], v[10:11], v[22:23]
	v_pk_fma_f32 v[22:23], v[78:79], v[62:63], v[20:21] neg_lo:[0,0,1] neg_hi:[0,0,1]
	v_pk_fma_f32 v[20:21], v[78:79], v[62:63], v[20:21] op_sel_hi:[1,0,1]
	s_nop 0
	v_mov_b32_e32 v23, v21
	s_waitcnt vmcnt(3) lgkmcnt(2)
	v_pk_mul_f32 v[20:21], v[6:7], v[64:65] op_sel:[1,1] op_sel_hi:[0,1]
	v_pk_add_f32 v[10:11], v[10:11], v[22:23]
	v_pk_fma_f32 v[22:23], v[6:7], v[64:65], v[20:21] neg_lo:[0,0,1] neg_hi:[0,0,1]
	v_pk_fma_f32 v[6:7], v[6:7], v[64:65], v[20:21] op_sel_hi:[1,0,1]
	s_nop 0
	v_mov_b32_e32 v23, v7
	v_pk_add_f32 v[6:7], v[10:11], v[22:23]
	v_mov_b32_e32 v10, v67
	v_pk_mul_f32 v[10:11], v[8:9], v[10:11] op_sel:[1,0] op_sel_hi:[0,0]
	v_pk_fma_f32 v[20:21], v[8:9], v[66:67], v[10:11] neg_lo:[0,0,1] neg_hi:[0,0,1]
	v_pk_fma_f32 v[8:9], v[8:9], v[66:67], v[10:11] op_sel_hi:[1,0,1]
	s_nop 0
	v_mov_b32_e32 v21, v9
	s_waitcnt vmcnt(2) lgkmcnt(1)
	v_pk_mul_f32 v[8:9], v[12:13], v[68:69] op_sel:[1,1] op_sel_hi:[0,1]
	v_pk_fma_f32 v[10:11], v[12:13], v[68:69], v[8:9] neg_lo:[0,0,1] neg_hi:[0,0,1]
	v_pk_fma_f32 v[8:9], v[12:13], v[68:69], v[8:9] op_sel_hi:[1,0,1]
	v_pk_add_f32 v[6:7], v[6:7], v[20:21]
	v_mov_b32_e32 v8, v71
	v_mov_b32_e32 v11, v9
	v_pk_mul_f32 v[8:9], v[14:15], v[8:9] op_sel:[1,0] op_sel_hi:[0,0]
	v_pk_add_f32 v[6:7], v[6:7], v[10:11]
	v_pk_fma_f32 v[10:11], v[14:15], v[70:71], v[8:9] neg_lo:[0,0,1] neg_hi:[0,0,1]
	v_pk_fma_f32 v[8:9], v[14:15], v[70:71], v[8:9] op_sel_hi:[1,0,1]
	s_nop 0
	v_mov_b32_e32 v11, v9
	s_waitcnt vmcnt(1) lgkmcnt(0)
	v_pk_mul_f32 v[8:9], v[16:17], v[2:3] op_sel:[1,1] op_sel_hi:[0,1]
	v_pk_add_f32 v[6:7], v[6:7], v[10:11]
	v_pk_fma_f32 v[10:11], v[16:17], v[2:3], v[8:9] neg_lo:[0,0,1] neg_hi:[0,0,1]
	v_pk_fma_f32 v[2:3], v[16:17], v[2:3], v[8:9] op_sel_hi:[1,0,1]
	s_nop 0
	v_mov_b32_e32 v11, v3
	v_pk_add_f32 v[2:3], v[6:7], v[10:11]
	v_mov_b32_e32 v6, v5
	v_pk_mul_f32 v[6:7], v[18:19], v[6:7] op_sel:[1,0] op_sel_hi:[0,0]
	v_pk_fma_f32 v[8:9], v[18:19], v[4:5], v[6:7] neg_lo:[0,0,1] neg_hi:[0,0,1]
	v_pk_fma_f32 v[4:5], v[18:19], v[4:5], v[6:7] op_sel_hi:[1,0,1]
	s_nop 0
	v_mov_b32_e32 v9, v5
	v_pk_add_f32 v[2:3], v[2:3], v[8:9]
	s_waitcnt vmcnt(0)
	v_pk_add_f32 v[2:3], v[80:81], v[2:3] neg_lo:[0,1] neg_hi:[0,1]
	scratch_store_dwordx2 off, v[2:3], off offset:96
	s_and_saveexec_b64 s[0:1], vcc
	s_cbranch_execz .LBB34_201
; %bb.200:
	scratch_load_dwordx2 v[2:3], off, off offset:88
	v_mov_b32_e32 v4, 0
	v_mov_b32_e32 v5, v4
	scratch_store_dwordx2 off, v[4:5], off offset:88
	s_waitcnt vmcnt(1)
	ds_write_b64 v1, v[2:3]
.LBB34_201:
	s_or_b64 exec, exec, s[0:1]
	v_mov_b32_e32 v2, 0
	s_waitcnt lgkmcnt(0)
	; wave barrier
	ds_read_b128 v[4:7], v2 offset:384
	ds_read_b128 v[8:11], v2 offset:400
	;; [unrolled: 1-line block ×4, first 2 shown]
	scratch_load_dwordx4 v[20:23], off, off offset:96
	scratch_load_dwordx4 v[40:43], off, off offset:160
	v_cmp_lt_u32_e32 vcc, 10, v0
	scratch_load_dwordx4 v[48:51], off, off offset:176
	scratch_load_dwordx4 v[56:59], off, off offset:192
	;; [unrolled: 1-line block ×3, first 2 shown]
	s_waitcnt vmcnt(4) lgkmcnt(3)
	v_mul_f32_e32 v3, v4, v21
	v_fmac_f32_e32 v3, v5, v20
	v_mul_f32_e32 v24, v6, v23
	v_add_f32_e32 v3, 0, v3
	v_fmac_f32_e32 v24, v7, v22
	v_add_f32_e32 v3, v3, v24
	scratch_load_dwordx4 v[24:27], off, off offset:112
	s_waitcnt vmcnt(0) lgkmcnt(2)
	v_mul_f32_e32 v28, v8, v25
	v_fmac_f32_e32 v28, v9, v24
	v_add_f32_e32 v3, v3, v28
	v_mul_f32_e32 v28, v10, v27
	v_fmac_f32_e32 v28, v11, v26
	v_add_f32_e32 v3, v3, v28
	scratch_load_dwordx4 v[28:31], off, off offset:128
	s_waitcnt vmcnt(0) lgkmcnt(1)
	v_mul_f32_e32 v32, v12, v29
	v_fmac_f32_e32 v32, v13, v28
	v_add_f32_e32 v3, v3, v32
	v_mul_f32_e32 v32, v14, v31
	;; [unrolled: 8-line block ×3, first 2 shown]
	v_fmac_f32_e32 v36, v19, v34
	v_add_f32_e32 v3, v3, v36
	ds_read_b128 v[36:39], v2 offset:448
	s_waitcnt lgkmcnt(0)
	v_mul_f32_e32 v44, v36, v41
	v_fmac_f32_e32 v44, v37, v40
	v_add_f32_e32 v3, v3, v44
	v_mul_f32_e32 v44, v38, v43
	v_fmac_f32_e32 v44, v39, v42
	v_add_f32_e32 v3, v3, v44
	ds_read_b128 v[44:47], v2 offset:464
	s_waitcnt lgkmcnt(0)
	v_mul_f32_e32 v52, v44, v49
	v_fmac_f32_e32 v52, v45, v48
	v_add_f32_e32 v3, v3, v52
	v_mul_f32_e32 v52, v46, v51
	v_fmac_f32_e32 v52, v47, v50
	v_add_f32_e32 v3, v3, v52
	ds_read_b128 v[52:55], v2 offset:480
	s_waitcnt lgkmcnt(0)
	v_mul_f32_e32 v60, v52, v57
	v_fmac_f32_e32 v60, v53, v56
	v_add_f32_e32 v81, v3, v60
	ds_read_b128 v[60:63], v2 offset:496
	scratch_load_dwordx4 v[68:71], off, off offset:224
	scratch_load_dwordx4 v[72:75], off, off offset:240
	;; [unrolled: 1-line block ×3, first 2 shown]
	scratch_load_dwordx2 v[86:87], off, off offset:272
	v_mul_f32_e32 v3, v5, v21
	v_fma_f32 v3, v4, v20, -v3
	v_mul_f32_e32 v4, v7, v23
	v_add_f32_e32 v3, 0, v3
	v_fma_f32 v4, v6, v22, -v4
	v_add_f32_e32 v3, v3, v4
	v_mul_f32_e32 v4, v9, v25
	v_fma_f32 v4, v8, v24, -v4
	v_add_f32_e32 v3, v3, v4
	v_mul_f32_e32 v4, v11, v27
	;; [unrolled: 3-line block ×11, first 2 shown]
	v_fma_f32 v4, v52, v56, -v4
	v_mul_f32_e32 v83, v54, v59
	v_add_f32_e32 v80, v3, v4
	v_mul_f32_e32 v3, v55, v59
	v_mov_b32_e32 v20, v67
	v_fmac_f32_e32 v83, v55, v58
	s_waitcnt lgkmcnt(0)
	v_mul_f32_e32 v85, v60, v65
	v_fma_f32 v82, v54, v58, -v3
	v_mul_f32_e32 v3, v61, v65
	ds_read_b128 v[4:7], v2 offset:512
	ds_read_b128 v[8:11], v2 offset:528
	;; [unrolled: 1-line block ×3, first 2 shown]
	ds_read_b64 v[16:17], v2 offset:560
	v_pk_mul_f32 v[20:21], v[62:63], v[20:21] op_sel:[1,0] op_sel_hi:[0,0]
	v_fmac_f32_e32 v85, v61, v64
	v_fma_f32 v84, v60, v64, -v3
	v_pk_add_f32 v[18:19], v[80:81], v[82:83]
	v_pk_fma_f32 v[22:23], v[62:63], v[66:67], v[20:21] neg_lo:[0,0,1] neg_hi:[0,0,1]
	v_pk_fma_f32 v[20:21], v[62:63], v[66:67], v[20:21] op_sel_hi:[1,0,1]
	v_pk_add_f32 v[18:19], v[18:19], v[84:85]
	v_mov_b32_e32 v23, v21
	v_pk_add_f32 v[18:19], v[18:19], v[22:23]
	s_waitcnt vmcnt(3) lgkmcnt(3)
	v_pk_mul_f32 v[20:21], v[4:5], v[68:69] op_sel:[1,1] op_sel_hi:[0,1]
	v_pk_fma_f32 v[22:23], v[4:5], v[68:69], v[20:21] neg_lo:[0,0,1] neg_hi:[0,0,1]
	v_pk_fma_f32 v[4:5], v[4:5], v[68:69], v[20:21] op_sel_hi:[1,0,1]
	s_nop 0
	v_mov_b32_e32 v23, v5
	v_pk_add_f32 v[4:5], v[18:19], v[22:23]
	v_mov_b32_e32 v18, v71
	v_pk_mul_f32 v[18:19], v[6:7], v[18:19] op_sel:[1,0] op_sel_hi:[0,0]
	v_pk_fma_f32 v[20:21], v[6:7], v[70:71], v[18:19] neg_lo:[0,0,1] neg_hi:[0,0,1]
	v_pk_fma_f32 v[6:7], v[6:7], v[70:71], v[18:19] op_sel_hi:[1,0,1]
	s_nop 0
	v_mov_b32_e32 v21, v7
	s_waitcnt vmcnt(2) lgkmcnt(2)
	v_pk_mul_f32 v[6:7], v[8:9], v[72:73] op_sel:[1,1] op_sel_hi:[0,1]
	v_pk_fma_f32 v[18:19], v[8:9], v[72:73], v[6:7] neg_lo:[0,0,1] neg_hi:[0,0,1]
	v_pk_fma_f32 v[6:7], v[8:9], v[72:73], v[6:7] op_sel_hi:[1,0,1]
	v_pk_add_f32 v[4:5], v[4:5], v[20:21]
	v_mov_b32_e32 v6, v75
	v_mov_b32_e32 v19, v7
	v_pk_mul_f32 v[6:7], v[10:11], v[6:7] op_sel:[1,0] op_sel_hi:[0,0]
	v_pk_fma_f32 v[8:9], v[10:11], v[74:75], v[6:7] neg_lo:[0,0,1] neg_hi:[0,0,1]
	v_pk_fma_f32 v[6:7], v[10:11], v[74:75], v[6:7] op_sel_hi:[1,0,1]
	v_pk_add_f32 v[4:5], v[4:5], v[18:19]
	v_mov_b32_e32 v9, v7
	s_waitcnt vmcnt(1) lgkmcnt(1)
	v_pk_mul_f32 v[6:7], v[12:13], v[76:77] op_sel:[1,1] op_sel_hi:[0,1]
	v_pk_add_f32 v[4:5], v[4:5], v[8:9]
	v_pk_fma_f32 v[8:9], v[12:13], v[76:77], v[6:7] neg_lo:[0,0,1] neg_hi:[0,0,1]
	v_pk_fma_f32 v[6:7], v[12:13], v[76:77], v[6:7] op_sel_hi:[1,0,1]
	s_nop 0
	v_mov_b32_e32 v6, v79
	v_mov_b32_e32 v9, v7
	v_pk_mul_f32 v[6:7], v[14:15], v[6:7] op_sel:[1,0] op_sel_hi:[0,0]
	v_pk_add_f32 v[4:5], v[4:5], v[8:9]
	v_pk_fma_f32 v[8:9], v[14:15], v[78:79], v[6:7] neg_lo:[0,0,1] neg_hi:[0,0,1]
	v_pk_fma_f32 v[6:7], v[14:15], v[78:79], v[6:7] op_sel_hi:[1,0,1]
	s_nop 0
	v_mov_b32_e32 v9, v7
	s_waitcnt vmcnt(0) lgkmcnt(0)
	v_pk_mul_f32 v[6:7], v[16:17], v[86:87] op_sel:[1,1] op_sel_hi:[0,1]
	v_pk_add_f32 v[4:5], v[4:5], v[8:9]
	v_pk_fma_f32 v[8:9], v[16:17], v[86:87], v[6:7] neg_lo:[0,0,1] neg_hi:[0,0,1]
	v_pk_fma_f32 v[6:7], v[16:17], v[86:87], v[6:7] op_sel_hi:[1,0,1]
	s_nop 0
	v_mov_b32_e32 v9, v7
	scratch_load_dwordx2 v[6:7], off, off offset:88
	v_pk_add_f32 v[4:5], v[4:5], v[8:9]
	s_waitcnt vmcnt(0)
	v_pk_add_f32 v[4:5], v[6:7], v[4:5] neg_lo:[0,1] neg_hi:[0,1]
	scratch_store_dwordx2 off, v[4:5], off offset:88
	s_and_saveexec_b64 s[0:1], vcc
	s_cbranch_execz .LBB34_203
; %bb.202:
	scratch_load_dwordx2 v[4:5], off, off offset:80
	v_mov_b32_e32 v3, v2
	scratch_store_dwordx2 off, v[2:3], off offset:80
	s_waitcnt vmcnt(1)
	ds_write_b64 v1, v[4:5]
.LBB34_203:
	s_or_b64 exec, exec, s[0:1]
	s_waitcnt lgkmcnt(0)
	; wave barrier
	scratch_load_dwordx4 v[8:11], off, off offset:88
	scratch_load_dwordx4 v[16:19], off, off offset:104
	;; [unrolled: 1-line block ×8, first 2 shown]
	ds_read2_b64 v[4:7], v2 offset0:47 offset1:48
	v_cmp_lt_u32_e32 vcc, 9, v0
	s_waitcnt vmcnt(7) lgkmcnt(0)
	v_mul_f32_e32 v3, v4, v9
	v_fmac_f32_e32 v3, v5, v8
	v_mul_f32_e32 v12, v6, v11
	v_add_f32_e32 v3, 0, v3
	v_fmac_f32_e32 v12, v7, v10
	v_add_f32_e32 v3, v3, v12
	ds_read2_b64 v[12:15], v2 offset0:49 offset1:50
	s_waitcnt vmcnt(6) lgkmcnt(0)
	v_mul_f32_e32 v20, v12, v17
	v_fmac_f32_e32 v20, v13, v16
	v_add_f32_e32 v3, v3, v20
	v_mul_f32_e32 v20, v14, v19
	v_fmac_f32_e32 v20, v15, v18
	v_add_f32_e32 v3, v3, v20
	ds_read2_b64 v[20:23], v2 offset0:51 offset1:52
	s_waitcnt vmcnt(5) lgkmcnt(0)
	v_mul_f32_e32 v28, v20, v25
	v_fmac_f32_e32 v28, v21, v24
	v_add_f32_e32 v3, v3, v28
	v_mul_f32_e32 v28, v22, v27
	;; [unrolled: 8-line block ×6, first 2 shown]
	v_fmac_f32_e32 v60, v55, v58
	v_add_f32_e32 v85, v3, v60
	ds_read2_b64 v[60:63], v2 offset0:61 offset1:62
	scratch_load_dwordx4 v[68:71], off, off offset:216
	scratch_load_dwordx4 v[72:75], off, off offset:232
	;; [unrolled: 1-line block ×4, first 2 shown]
	v_mul_f32_e32 v3, v5, v9
	v_fma_f32 v3, v4, v8, -v3
	v_mul_f32_e32 v4, v7, v11
	v_add_f32_e32 v3, 0, v3
	v_fma_f32 v4, v6, v10, -v4
	v_add_f32_e32 v3, v3, v4
	v_mul_f32_e32 v4, v13, v17
	v_fma_f32 v4, v12, v16, -v4
	v_add_f32_e32 v3, v3, v4
	v_mul_f32_e32 v4, v15, v19
	v_fma_f32 v4, v14, v18, -v4
	v_add_f32_e32 v3, v3, v4
	v_mul_f32_e32 v4, v21, v25
	v_fma_f32 v4, v20, v24, -v4
	v_add_f32_e32 v3, v3, v4
	v_mul_f32_e32 v4, v23, v27
	v_fma_f32 v4, v22, v26, -v4
	v_add_f32_e32 v3, v3, v4
	v_mul_f32_e32 v4, v29, v33
	v_fma_f32 v4, v28, v32, -v4
	v_add_f32_e32 v3, v3, v4
	v_mul_f32_e32 v4, v31, v35
	v_fma_f32 v4, v30, v34, -v4
	v_add_f32_e32 v3, v3, v4
	v_mul_f32_e32 v4, v37, v41
	v_fma_f32 v4, v36, v40, -v4
	v_add_f32_e32 v3, v3, v4
	v_mul_f32_e32 v4, v39, v43
	v_fma_f32 v4, v38, v42, -v4
	v_add_f32_e32 v3, v3, v4
	v_mul_f32_e32 v4, v45, v49
	v_fma_f32 v4, v44, v48, -v4
	v_add_f32_e32 v3, v3, v4
	v_mul_f32_e32 v4, v47, v51
	v_fma_f32 v4, v46, v50, -v4
	v_add_f32_e32 v3, v3, v4
	v_mul_f32_e32 v4, v53, v57
	v_fma_f32 v4, v52, v56, -v4
	v_add_f32_e32 v3, v3, v4
	v_mul_f32_e32 v4, v55, v59
	v_fma_f32 v4, v54, v58, -v4
	v_add_f32_e32 v84, v3, v4
	ds_read2_b64 v[4:7], v2 offset0:63 offset1:64
	ds_read2_b64 v[8:11], v2 offset0:65 offset1:66
	;; [unrolled: 1-line block ×4, first 2 shown]
	s_waitcnt vmcnt(4) lgkmcnt(4)
	v_mul_f32_e32 v87, v60, v65
	v_mul_f32_e32 v3, v61, v65
	v_fmac_f32_e32 v87, v61, v64
	v_mul_f32_e32 v89, v62, v67
	v_fma_f32 v86, v60, v64, -v3
	v_mul_f32_e32 v3, v63, v67
	v_fmac_f32_e32 v89, v63, v66
	v_fma_f32 v88, v62, v66, -v3
	v_pk_add_f32 v[2:3], v[84:85], v[86:87]
	s_waitcnt vmcnt(3) lgkmcnt(3)
	v_pk_mul_f32 v[20:21], v[4:5], v[68:69] op_sel:[1,1] op_sel_hi:[0,1]
	v_pk_fma_f32 v[22:23], v[4:5], v[68:69], v[20:21] neg_lo:[0,0,1] neg_hi:[0,0,1]
	v_pk_fma_f32 v[4:5], v[4:5], v[68:69], v[20:21] op_sel_hi:[1,0,1]
	v_pk_add_f32 v[2:3], v[2:3], v[88:89]
	v_mov_b32_e32 v4, v71
	v_mov_b32_e32 v23, v5
	v_pk_mul_f32 v[4:5], v[6:7], v[4:5] op_sel:[1,0] op_sel_hi:[0,0]
	v_pk_fma_f32 v[20:21], v[6:7], v[70:71], v[4:5] neg_lo:[0,0,1] neg_hi:[0,0,1]
	v_pk_fma_f32 v[4:5], v[6:7], v[70:71], v[4:5] op_sel_hi:[1,0,1]
	v_pk_add_f32 v[2:3], v[2:3], v[22:23]
	v_mov_b32_e32 v21, v5
	s_waitcnt vmcnt(2) lgkmcnt(2)
	v_pk_mul_f32 v[4:5], v[8:9], v[72:73] op_sel:[1,1] op_sel_hi:[0,1]
	v_pk_fma_f32 v[6:7], v[8:9], v[72:73], v[4:5] neg_lo:[0,0,1] neg_hi:[0,0,1]
	v_pk_fma_f32 v[4:5], v[8:9], v[72:73], v[4:5] op_sel_hi:[1,0,1]
	v_pk_add_f32 v[2:3], v[2:3], v[20:21]
	v_mov_b32_e32 v4, v75
	v_mov_b32_e32 v7, v5
	v_pk_mul_f32 v[4:5], v[10:11], v[4:5] op_sel:[1,0] op_sel_hi:[0,0]
	v_pk_add_f32 v[2:3], v[2:3], v[6:7]
	v_pk_fma_f32 v[6:7], v[10:11], v[74:75], v[4:5] neg_lo:[0,0,1] neg_hi:[0,0,1]
	v_pk_fma_f32 v[4:5], v[10:11], v[74:75], v[4:5] op_sel_hi:[1,0,1]
	s_nop 0
	v_mov_b32_e32 v7, v5
	s_waitcnt vmcnt(1) lgkmcnt(1)
	v_pk_mul_f32 v[4:5], v[12:13], v[76:77] op_sel:[1,1] op_sel_hi:[0,1]
	v_pk_add_f32 v[2:3], v[2:3], v[6:7]
	v_pk_fma_f32 v[6:7], v[12:13], v[76:77], v[4:5] neg_lo:[0,0,1] neg_hi:[0,0,1]
	v_pk_fma_f32 v[4:5], v[12:13], v[76:77], v[4:5] op_sel_hi:[1,0,1]
	s_nop 0
	v_mov_b32_e32 v4, v79
	v_mov_b32_e32 v7, v5
	v_pk_mul_f32 v[4:5], v[14:15], v[4:5] op_sel:[1,0] op_sel_hi:[0,0]
	v_pk_add_f32 v[2:3], v[2:3], v[6:7]
	v_pk_fma_f32 v[6:7], v[14:15], v[78:79], v[4:5] neg_lo:[0,0,1] neg_hi:[0,0,1]
	v_pk_fma_f32 v[4:5], v[14:15], v[78:79], v[4:5] op_sel_hi:[1,0,1]
	s_nop 0
	v_mov_b32_e32 v7, v5
	s_waitcnt vmcnt(0) lgkmcnt(0)
	v_pk_mul_f32 v[4:5], v[16:17], v[80:81] op_sel:[1,1] op_sel_hi:[0,1]
	v_pk_add_f32 v[2:3], v[2:3], v[6:7]
	v_pk_fma_f32 v[6:7], v[16:17], v[80:81], v[4:5] neg_lo:[0,0,1] neg_hi:[0,0,1]
	v_pk_fma_f32 v[4:5], v[16:17], v[80:81], v[4:5] op_sel_hi:[1,0,1]
	s_nop 0
	v_mov_b32_e32 v4, v83
	v_mov_b32_e32 v7, v5
	v_pk_mul_f32 v[4:5], v[18:19], v[4:5] op_sel:[1,0] op_sel_hi:[0,0]
	v_pk_add_f32 v[2:3], v[2:3], v[6:7]
	v_pk_fma_f32 v[6:7], v[18:19], v[82:83], v[4:5] neg_lo:[0,0,1] neg_hi:[0,0,1]
	v_pk_fma_f32 v[4:5], v[18:19], v[82:83], v[4:5] op_sel_hi:[1,0,1]
	s_nop 0
	v_mov_b32_e32 v7, v5
	scratch_load_dwordx2 v[4:5], off, off offset:80
	v_pk_add_f32 v[2:3], v[2:3], v[6:7]
	s_waitcnt vmcnt(0)
	v_pk_add_f32 v[2:3], v[4:5], v[2:3] neg_lo:[0,1] neg_hi:[0,1]
	scratch_store_dwordx2 off, v[2:3], off offset:80
	s_and_saveexec_b64 s[0:1], vcc
	s_cbranch_execz .LBB34_205
; %bb.204:
	scratch_load_dwordx2 v[2:3], off, off offset:72
	v_mov_b32_e32 v4, 0
	v_mov_b32_e32 v5, v4
	scratch_store_dwordx2 off, v[4:5], off offset:72
	s_waitcnt vmcnt(1)
	ds_write_b64 v1, v[2:3]
.LBB34_205:
	s_or_b64 exec, exec, s[0:1]
	v_mov_b32_e32 v2, 0
	s_waitcnt lgkmcnt(0)
	; wave barrier
	ds_read_b128 v[4:7], v2 offset:368
	ds_read_b128 v[8:11], v2 offset:384
	;; [unrolled: 1-line block ×4, first 2 shown]
	scratch_load_dwordx4 v[20:23], off, off offset:80
	scratch_load_dwordx4 v[40:43], off, off offset:144
	;; [unrolled: 1-line block ×3, first 2 shown]
	v_cmp_lt_u32_e32 vcc, 8, v0
	scratch_load_dwordx4 v[48:51], off, off offset:160
	scratch_load_dwordx4 v[56:59], off, off offset:176
	;; [unrolled: 1-line block ×3, first 2 shown]
	s_waitcnt vmcnt(5) lgkmcnt(3)
	v_mul_f32_e32 v3, v4, v21
	v_fmac_f32_e32 v3, v5, v20
	v_mul_f32_e32 v24, v6, v23
	v_add_f32_e32 v3, 0, v3
	v_fmac_f32_e32 v24, v7, v22
	v_add_f32_e32 v3, v3, v24
	scratch_load_dwordx4 v[24:27], off, off offset:96
	s_waitcnt vmcnt(0) lgkmcnt(2)
	v_mul_f32_e32 v28, v8, v25
	v_fmac_f32_e32 v28, v9, v24
	v_add_f32_e32 v3, v3, v28
	v_mul_f32_e32 v28, v10, v27
	v_fmac_f32_e32 v28, v11, v26
	v_add_f32_e32 v3, v3, v28
	scratch_load_dwordx4 v[28:31], off, off offset:112
	s_waitcnt vmcnt(0) lgkmcnt(1)
	v_mul_f32_e32 v32, v12, v29
	v_fmac_f32_e32 v32, v13, v28
	v_add_f32_e32 v3, v3, v32
	v_mul_f32_e32 v32, v14, v31
	;; [unrolled: 8-line block ×3, first 2 shown]
	v_fmac_f32_e32 v36, v19, v34
	v_add_f32_e32 v3, v3, v36
	ds_read_b128 v[36:39], v2 offset:432
	s_waitcnt lgkmcnt(0)
	v_mul_f32_e32 v44, v36, v41
	v_fmac_f32_e32 v44, v37, v40
	v_add_f32_e32 v3, v3, v44
	v_mul_f32_e32 v44, v38, v43
	v_fmac_f32_e32 v44, v39, v42
	v_add_f32_e32 v3, v3, v44
	ds_read_b128 v[44:47], v2 offset:448
	s_waitcnt lgkmcnt(0)
	v_mul_f32_e32 v52, v44, v49
	v_fmac_f32_e32 v52, v45, v48
	v_add_f32_e32 v3, v3, v52
	v_mul_f32_e32 v52, v46, v51
	;; [unrolled: 8-line block ×3, first 2 shown]
	v_fmac_f32_e32 v60, v55, v58
	v_add_f32_e32 v3, v3, v60
	ds_read_b128 v[60:63], v2 offset:480
	s_waitcnt lgkmcnt(0)
	v_mul_f32_e32 v68, v60, v65
	v_fmac_f32_e32 v68, v61, v64
	v_add_f32_e32 v89, v3, v68
	ds_read_b128 v[68:71], v2 offset:496
	scratch_load_dwordx4 v[76:79], off, off offset:224
	scratch_load_dwordx4 v[80:83], off, off offset:240
	;; [unrolled: 1-line block ×3, first 2 shown]
	scratch_load_dwordx2 v[94:95], off, off offset:272
	v_mul_f32_e32 v3, v5, v21
	v_fma_f32 v3, v4, v20, -v3
	v_mul_f32_e32 v4, v7, v23
	v_add_f32_e32 v3, 0, v3
	v_fma_f32 v4, v6, v22, -v4
	v_add_f32_e32 v3, v3, v4
	v_mul_f32_e32 v4, v9, v25
	v_fma_f32 v4, v8, v24, -v4
	v_add_f32_e32 v3, v3, v4
	v_mul_f32_e32 v4, v11, v27
	;; [unrolled: 3-line block ×13, first 2 shown]
	v_fma_f32 v4, v60, v64, -v4
	v_mul_f32_e32 v91, v62, v67
	v_add_f32_e32 v88, v3, v4
	v_mul_f32_e32 v3, v63, v67
	v_mov_b32_e32 v20, v75
	v_fmac_f32_e32 v91, v63, v66
	s_waitcnt lgkmcnt(0)
	v_mul_f32_e32 v93, v68, v73
	v_fma_f32 v90, v62, v66, -v3
	v_mul_f32_e32 v3, v69, v73
	ds_read_b128 v[4:7], v2 offset:512
	ds_read_b128 v[8:11], v2 offset:528
	;; [unrolled: 1-line block ×3, first 2 shown]
	ds_read_b64 v[16:17], v2 offset:560
	v_pk_mul_f32 v[20:21], v[70:71], v[20:21] op_sel:[1,0] op_sel_hi:[0,0]
	v_fmac_f32_e32 v93, v69, v72
	v_fma_f32 v92, v68, v72, -v3
	v_pk_add_f32 v[18:19], v[88:89], v[90:91]
	v_pk_fma_f32 v[22:23], v[70:71], v[74:75], v[20:21] neg_lo:[0,0,1] neg_hi:[0,0,1]
	v_pk_fma_f32 v[20:21], v[70:71], v[74:75], v[20:21] op_sel_hi:[1,0,1]
	v_pk_add_f32 v[18:19], v[18:19], v[92:93]
	v_mov_b32_e32 v23, v21
	v_pk_add_f32 v[18:19], v[18:19], v[22:23]
	s_waitcnt vmcnt(3) lgkmcnt(3)
	v_pk_mul_f32 v[20:21], v[4:5], v[76:77] op_sel:[1,1] op_sel_hi:[0,1]
	v_pk_fma_f32 v[22:23], v[4:5], v[76:77], v[20:21] neg_lo:[0,0,1] neg_hi:[0,0,1]
	v_pk_fma_f32 v[4:5], v[4:5], v[76:77], v[20:21] op_sel_hi:[1,0,1]
	s_nop 0
	v_mov_b32_e32 v23, v5
	v_pk_add_f32 v[4:5], v[18:19], v[22:23]
	v_mov_b32_e32 v18, v79
	v_pk_mul_f32 v[18:19], v[6:7], v[18:19] op_sel:[1,0] op_sel_hi:[0,0]
	v_pk_fma_f32 v[20:21], v[6:7], v[78:79], v[18:19] neg_lo:[0,0,1] neg_hi:[0,0,1]
	v_pk_fma_f32 v[6:7], v[6:7], v[78:79], v[18:19] op_sel_hi:[1,0,1]
	s_nop 0
	v_mov_b32_e32 v21, v7
	s_waitcnt vmcnt(2) lgkmcnt(2)
	v_pk_mul_f32 v[6:7], v[8:9], v[80:81] op_sel:[1,1] op_sel_hi:[0,1]
	v_pk_fma_f32 v[18:19], v[8:9], v[80:81], v[6:7] neg_lo:[0,0,1] neg_hi:[0,0,1]
	v_pk_fma_f32 v[6:7], v[8:9], v[80:81], v[6:7] op_sel_hi:[1,0,1]
	v_pk_add_f32 v[4:5], v[4:5], v[20:21]
	v_mov_b32_e32 v6, v83
	v_mov_b32_e32 v19, v7
	v_pk_mul_f32 v[6:7], v[10:11], v[6:7] op_sel:[1,0] op_sel_hi:[0,0]
	v_pk_fma_f32 v[8:9], v[10:11], v[82:83], v[6:7] neg_lo:[0,0,1] neg_hi:[0,0,1]
	v_pk_fma_f32 v[6:7], v[10:11], v[82:83], v[6:7] op_sel_hi:[1,0,1]
	v_pk_add_f32 v[4:5], v[4:5], v[18:19]
	v_mov_b32_e32 v9, v7
	s_waitcnt vmcnt(1) lgkmcnt(1)
	v_pk_mul_f32 v[6:7], v[12:13], v[84:85] op_sel:[1,1] op_sel_hi:[0,1]
	v_pk_add_f32 v[4:5], v[4:5], v[8:9]
	v_pk_fma_f32 v[8:9], v[12:13], v[84:85], v[6:7] neg_lo:[0,0,1] neg_hi:[0,0,1]
	v_pk_fma_f32 v[6:7], v[12:13], v[84:85], v[6:7] op_sel_hi:[1,0,1]
	s_nop 0
	v_mov_b32_e32 v6, v87
	v_mov_b32_e32 v9, v7
	v_pk_mul_f32 v[6:7], v[14:15], v[6:7] op_sel:[1,0] op_sel_hi:[0,0]
	v_pk_add_f32 v[4:5], v[4:5], v[8:9]
	v_pk_fma_f32 v[8:9], v[14:15], v[86:87], v[6:7] neg_lo:[0,0,1] neg_hi:[0,0,1]
	v_pk_fma_f32 v[6:7], v[14:15], v[86:87], v[6:7] op_sel_hi:[1,0,1]
	s_nop 0
	v_mov_b32_e32 v9, v7
	s_waitcnt vmcnt(0) lgkmcnt(0)
	v_pk_mul_f32 v[6:7], v[16:17], v[94:95] op_sel:[1,1] op_sel_hi:[0,1]
	v_pk_add_f32 v[4:5], v[4:5], v[8:9]
	v_pk_fma_f32 v[8:9], v[16:17], v[94:95], v[6:7] neg_lo:[0,0,1] neg_hi:[0,0,1]
	v_pk_fma_f32 v[6:7], v[16:17], v[94:95], v[6:7] op_sel_hi:[1,0,1]
	s_nop 0
	v_mov_b32_e32 v9, v7
	scratch_load_dwordx2 v[6:7], off, off offset:72
	v_pk_add_f32 v[4:5], v[4:5], v[8:9]
	s_waitcnt vmcnt(0)
	v_pk_add_f32 v[4:5], v[6:7], v[4:5] neg_lo:[0,1] neg_hi:[0,1]
	scratch_store_dwordx2 off, v[4:5], off offset:72
	s_and_saveexec_b64 s[0:1], vcc
	s_cbranch_execz .LBB34_207
; %bb.206:
	scratch_load_dwordx2 v[4:5], off, off offset:64
	v_mov_b32_e32 v3, v2
	scratch_store_dwordx2 off, v[2:3], off offset:64
	s_waitcnt vmcnt(1)
	ds_write_b64 v1, v[4:5]
.LBB34_207:
	s_or_b64 exec, exec, s[0:1]
	s_waitcnt lgkmcnt(0)
	; wave barrier
	scratch_load_dwordx4 v[8:11], off, off offset:72
	scratch_load_dwordx4 v[16:19], off, off offset:88
	;; [unrolled: 1-line block ×8, first 2 shown]
	ds_read2_b64 v[4:7], v2 offset0:45 offset1:46
	scratch_load_dwordx4 v[72:75], off, off offset:200
	v_cmp_lt_u32_e32 vcc, 7, v0
	s_waitcnt vmcnt(8) lgkmcnt(0)
	v_mul_f32_e32 v3, v4, v9
	v_fmac_f32_e32 v3, v5, v8
	v_mul_f32_e32 v12, v6, v11
	v_add_f32_e32 v3, 0, v3
	v_fmac_f32_e32 v12, v7, v10
	v_add_f32_e32 v3, v3, v12
	ds_read2_b64 v[12:15], v2 offset0:47 offset1:48
	s_waitcnt vmcnt(7) lgkmcnt(0)
	v_mul_f32_e32 v20, v12, v17
	v_fmac_f32_e32 v20, v13, v16
	v_add_f32_e32 v3, v3, v20
	v_mul_f32_e32 v20, v14, v19
	v_fmac_f32_e32 v20, v15, v18
	v_add_f32_e32 v3, v3, v20
	ds_read2_b64 v[20:23], v2 offset0:49 offset1:50
	s_waitcnt vmcnt(6) lgkmcnt(0)
	v_mul_f32_e32 v28, v20, v25
	v_fmac_f32_e32 v28, v21, v24
	v_add_f32_e32 v3, v3, v28
	v_mul_f32_e32 v28, v22, v27
	;; [unrolled: 8-line block ×7, first 2 shown]
	v_fmac_f32_e32 v68, v63, v66
	v_add_f32_e32 v93, v3, v68
	ds_read2_b64 v[68:71], v2 offset0:61 offset1:62
	scratch_load_dwordx4 v[76:79], off, off offset:216
	scratch_load_dwordx4 v[80:83], off, off offset:232
	;; [unrolled: 1-line block ×4, first 2 shown]
	v_mul_f32_e32 v3, v5, v9
	v_fma_f32 v3, v4, v8, -v3
	v_mul_f32_e32 v4, v7, v11
	v_add_f32_e32 v3, 0, v3
	v_fma_f32 v4, v6, v10, -v4
	v_add_f32_e32 v3, v3, v4
	v_mul_f32_e32 v4, v13, v17
	v_fma_f32 v4, v12, v16, -v4
	v_add_f32_e32 v3, v3, v4
	v_mul_f32_e32 v4, v15, v19
	v_fma_f32 v4, v14, v18, -v4
	v_add_f32_e32 v3, v3, v4
	v_mul_f32_e32 v4, v21, v25
	v_fma_f32 v4, v20, v24, -v4
	v_add_f32_e32 v3, v3, v4
	v_mul_f32_e32 v4, v23, v27
	v_fma_f32 v4, v22, v26, -v4
	v_add_f32_e32 v3, v3, v4
	v_mul_f32_e32 v4, v29, v33
	v_fma_f32 v4, v28, v32, -v4
	v_add_f32_e32 v3, v3, v4
	v_mul_f32_e32 v4, v31, v35
	v_fma_f32 v4, v30, v34, -v4
	v_add_f32_e32 v3, v3, v4
	v_mul_f32_e32 v4, v37, v41
	v_fma_f32 v4, v36, v40, -v4
	v_add_f32_e32 v3, v3, v4
	v_mul_f32_e32 v4, v39, v43
	v_fma_f32 v4, v38, v42, -v4
	v_add_f32_e32 v3, v3, v4
	v_mul_f32_e32 v4, v45, v49
	v_fma_f32 v4, v44, v48, -v4
	v_add_f32_e32 v3, v3, v4
	v_mul_f32_e32 v4, v47, v51
	v_fma_f32 v4, v46, v50, -v4
	v_add_f32_e32 v3, v3, v4
	v_mul_f32_e32 v4, v53, v57
	v_fma_f32 v4, v52, v56, -v4
	v_add_f32_e32 v3, v3, v4
	v_mul_f32_e32 v4, v55, v59
	v_fma_f32 v4, v54, v58, -v4
	v_add_f32_e32 v3, v3, v4
	v_mul_f32_e32 v4, v61, v65
	v_fma_f32 v4, v60, v64, -v4
	v_add_f32_e32 v3, v3, v4
	v_mul_f32_e32 v4, v63, v67
	v_fma_f32 v4, v62, v66, -v4
	v_add_f32_e32 v92, v3, v4
	ds_read2_b64 v[4:7], v2 offset0:63 offset1:64
	ds_read2_b64 v[8:11], v2 offset0:65 offset1:66
	;; [unrolled: 1-line block ×4, first 2 shown]
	s_waitcnt vmcnt(4) lgkmcnt(4)
	v_mul_f32_e32 v95, v68, v73
	v_mul_f32_e32 v3, v69, v73
	v_fmac_f32_e32 v95, v69, v72
	v_mul_f32_e32 v97, v70, v75
	v_fma_f32 v94, v68, v72, -v3
	v_mul_f32_e32 v3, v71, v75
	v_fmac_f32_e32 v97, v71, v74
	v_fma_f32 v96, v70, v74, -v3
	v_pk_add_f32 v[2:3], v[92:93], v[94:95]
	s_waitcnt vmcnt(3) lgkmcnt(3)
	v_pk_mul_f32 v[20:21], v[4:5], v[76:77] op_sel:[1,1] op_sel_hi:[0,1]
	v_pk_fma_f32 v[22:23], v[4:5], v[76:77], v[20:21] neg_lo:[0,0,1] neg_hi:[0,0,1]
	v_pk_fma_f32 v[4:5], v[4:5], v[76:77], v[20:21] op_sel_hi:[1,0,1]
	v_pk_add_f32 v[2:3], v[2:3], v[96:97]
	v_mov_b32_e32 v4, v79
	v_mov_b32_e32 v23, v5
	v_pk_mul_f32 v[4:5], v[6:7], v[4:5] op_sel:[1,0] op_sel_hi:[0,0]
	v_pk_fma_f32 v[20:21], v[6:7], v[78:79], v[4:5] neg_lo:[0,0,1] neg_hi:[0,0,1]
	v_pk_fma_f32 v[4:5], v[6:7], v[78:79], v[4:5] op_sel_hi:[1,0,1]
	v_pk_add_f32 v[2:3], v[2:3], v[22:23]
	v_mov_b32_e32 v21, v5
	s_waitcnt vmcnt(2) lgkmcnt(2)
	v_pk_mul_f32 v[4:5], v[8:9], v[80:81] op_sel:[1,1] op_sel_hi:[0,1]
	v_pk_fma_f32 v[6:7], v[8:9], v[80:81], v[4:5] neg_lo:[0,0,1] neg_hi:[0,0,1]
	v_pk_fma_f32 v[4:5], v[8:9], v[80:81], v[4:5] op_sel_hi:[1,0,1]
	v_pk_add_f32 v[2:3], v[2:3], v[20:21]
	v_mov_b32_e32 v4, v83
	v_mov_b32_e32 v7, v5
	v_pk_mul_f32 v[4:5], v[10:11], v[4:5] op_sel:[1,0] op_sel_hi:[0,0]
	v_pk_add_f32 v[2:3], v[2:3], v[6:7]
	v_pk_fma_f32 v[6:7], v[10:11], v[82:83], v[4:5] neg_lo:[0,0,1] neg_hi:[0,0,1]
	v_pk_fma_f32 v[4:5], v[10:11], v[82:83], v[4:5] op_sel_hi:[1,0,1]
	s_nop 0
	v_mov_b32_e32 v7, v5
	s_waitcnt vmcnt(1) lgkmcnt(1)
	v_pk_mul_f32 v[4:5], v[12:13], v[84:85] op_sel:[1,1] op_sel_hi:[0,1]
	v_pk_add_f32 v[2:3], v[2:3], v[6:7]
	v_pk_fma_f32 v[6:7], v[12:13], v[84:85], v[4:5] neg_lo:[0,0,1] neg_hi:[0,0,1]
	v_pk_fma_f32 v[4:5], v[12:13], v[84:85], v[4:5] op_sel_hi:[1,0,1]
	s_nop 0
	v_mov_b32_e32 v4, v87
	v_mov_b32_e32 v7, v5
	v_pk_mul_f32 v[4:5], v[14:15], v[4:5] op_sel:[1,0] op_sel_hi:[0,0]
	v_pk_add_f32 v[2:3], v[2:3], v[6:7]
	v_pk_fma_f32 v[6:7], v[14:15], v[86:87], v[4:5] neg_lo:[0,0,1] neg_hi:[0,0,1]
	v_pk_fma_f32 v[4:5], v[14:15], v[86:87], v[4:5] op_sel_hi:[1,0,1]
	s_nop 0
	v_mov_b32_e32 v7, v5
	s_waitcnt vmcnt(0) lgkmcnt(0)
	v_pk_mul_f32 v[4:5], v[16:17], v[88:89] op_sel:[1,1] op_sel_hi:[0,1]
	v_pk_add_f32 v[2:3], v[2:3], v[6:7]
	v_pk_fma_f32 v[6:7], v[16:17], v[88:89], v[4:5] neg_lo:[0,0,1] neg_hi:[0,0,1]
	v_pk_fma_f32 v[4:5], v[16:17], v[88:89], v[4:5] op_sel_hi:[1,0,1]
	s_nop 0
	v_mov_b32_e32 v4, v91
	v_mov_b32_e32 v7, v5
	v_pk_mul_f32 v[4:5], v[18:19], v[4:5] op_sel:[1,0] op_sel_hi:[0,0]
	v_pk_add_f32 v[2:3], v[2:3], v[6:7]
	v_pk_fma_f32 v[6:7], v[18:19], v[90:91], v[4:5] neg_lo:[0,0,1] neg_hi:[0,0,1]
	v_pk_fma_f32 v[4:5], v[18:19], v[90:91], v[4:5] op_sel_hi:[1,0,1]
	s_nop 0
	v_mov_b32_e32 v7, v5
	scratch_load_dwordx2 v[4:5], off, off offset:64
	v_pk_add_f32 v[2:3], v[2:3], v[6:7]
	s_waitcnt vmcnt(0)
	v_pk_add_f32 v[2:3], v[4:5], v[2:3] neg_lo:[0,1] neg_hi:[0,1]
	scratch_store_dwordx2 off, v[2:3], off offset:64
	s_and_saveexec_b64 s[0:1], vcc
	s_cbranch_execz .LBB34_209
; %bb.208:
	scratch_load_dwordx2 v[2:3], off, off offset:56
	v_mov_b32_e32 v4, 0
	v_mov_b32_e32 v5, v4
	scratch_store_dwordx2 off, v[4:5], off offset:56
	s_waitcnt vmcnt(1)
	ds_write_b64 v1, v[2:3]
.LBB34_209:
	s_or_b64 exec, exec, s[0:1]
	s_waitcnt lgkmcnt(0)
	; wave barrier
	scratch_load_dwordx4 v[18:21], off, off offset:64
	scratch_load_dwordx4 v[30:33], off, off offset:80
	scratch_load_dwordx4 v[2:5], off, off offset:96
	scratch_load_dwordx4 v[6:9], off, off offset:112
	scratch_load_dwordx4 v[14:17], off, off offset:128
	scratch_load_dwordx4 v[22:25], off, off offset:144
	scratch_load_dwordx4 v[34:37], off, off offset:160
	scratch_load_dwordx4 v[38:41], off, off offset:176
	scratch_load_dwordx4 v[50:53], off, off offset:192
	scratch_load_dwordx4 v[46:49], off, off offset:208
	scratch_load_dwordx4 v[42:45], off, off offset:224
	scratch_load_dwordx4 v[26:29], off, off offset:240
	scratch_load_dwordx4 v[10:13], off, off offset:256
	scratch_load_dwordx2 v[54:55], off, off offset:272
	scratch_load_dwordx2 v[80:81], off, off offset:56
	v_mov_b32_e32 v82, 0
	ds_read_b128 v[56:59], v82 offset:352
	ds_read_b128 v[60:63], v82 offset:368
	ds_read_b128 v[64:67], v82 offset:384
	ds_read_b128 v[68:71], v82 offset:400
	ds_read_b128 v[72:75], v82 offset:416
	ds_read_b128 v[76:79], v82 offset:432
	ds_read_b128 v[84:87], v82 offset:448
	ds_read_b128 v[88:91], v82 offset:464
	ds_read_b128 v[92:95], v82 offset:480
	ds_read_b128 v[96:99], v82 offset:496
	v_cmp_lt_u32_e32 vcc, 6, v0
	s_waitcnt vmcnt(14) lgkmcnt(9)
	v_mul_f32_e32 v83, v56, v19
	v_mul_f32_e32 v100, v58, v21
	s_waitcnt vmcnt(12) lgkmcnt(7)
	v_mul_f32_e32 v105, v64, v3
	v_mul_f32_e32 v3, v65, v3
	v_fmac_f32_e32 v83, v57, v18
	v_mul_f32_e32 v102, v60, v31
	v_fmac_f32_e32 v100, v59, v20
	v_fmac_f32_e32 v105, v65, v2
	v_fma_f32 v2, v64, v2, -v3
	v_add_f32_e32 v3, 0, v83
	v_mul_f32_e32 v104, v62, v33
	v_fmac_f32_e32 v102, v61, v30
	v_add_f32_e32 v3, v3, v100
	v_fmac_f32_e32 v104, v63, v32
	v_add_f32_e32 v3, v3, v102
	v_mul_f32_e32 v106, v66, v5
	v_add_f32_e32 v3, v3, v104
	s_waitcnt vmcnt(11) lgkmcnt(6)
	v_mul_f32_e32 v107, v68, v7
	v_fmac_f32_e32 v106, v67, v4
	v_add_f32_e32 v3, v3, v105
	v_mul_f32_e32 v108, v70, v9
	v_fmac_f32_e32 v107, v69, v6
	v_add_f32_e32 v3, v3, v106
	s_waitcnt vmcnt(10) lgkmcnt(5)
	v_mul_f32_e32 v109, v72, v15
	v_fmac_f32_e32 v108, v71, v8
	v_add_f32_e32 v3, v3, v107
	v_mul_f32_e32 v110, v74, v17
	v_fmac_f32_e32 v109, v73, v14
	;; [unrolled: 7-line block ×3, first 2 shown]
	v_add_f32_e32 v3, v3, v110
	s_waitcnt vmcnt(8) lgkmcnt(3)
	v_mul_f32_e32 v113, v84, v35
	v_mul_f32_e32 v19, v57, v19
	v_fmac_f32_e32 v112, v79, v24
	v_add_f32_e32 v3, v3, v111
	v_mul_f32_e32 v184, v86, v37
	v_mul_f32_e32 v21, v59, v21
	v_fmac_f32_e32 v113, v85, v34
	v_fma_f32 v18, v56, v18, -v19
	v_add_f32_e32 v3, v3, v112
	s_waitcnt vmcnt(7) lgkmcnt(2)
	v_mul_f32_e32 v185, v88, v39
	v_mul_f32_e32 v31, v61, v31
	v_fmac_f32_e32 v184, v87, v36
	v_fma_f32 v19, v58, v20, -v21
	v_add_f32_e32 v18, 0, v18
	v_add_f32_e32 v3, v3, v113
	v_mul_f32_e32 v186, v90, v41
	v_mul_f32_e32 v33, v63, v33
	v_fmac_f32_e32 v185, v89, v38
	v_fma_f32 v20, v60, v30, -v31
	v_add_f32_e32 v18, v18, v19
	v_add_f32_e32 v3, v3, v184
	s_waitcnt vmcnt(6) lgkmcnt(1)
	v_mul_f32_e32 v187, v92, v51
	v_fmac_f32_e32 v186, v91, v40
	v_fma_f32 v21, v62, v32, -v33
	v_add_f32_e32 v18, v18, v20
	v_add_f32_e32 v3, v3, v185
	v_mul_f32_e32 v5, v67, v5
	v_fmac_f32_e32 v187, v93, v50
	v_add_f32_e32 v18, v18, v21
	v_add_f32_e32 v3, v3, v186
	v_add_f32_e32 v2, v18, v2
	v_add_f32_e32 v19, v3, v187
	v_fma_f32 v3, v66, v4, -v5
	v_add_f32_e32 v2, v2, v3
	v_mul_f32_e32 v3, v69, v7
	v_fma_f32 v3, v68, v6, -v3
	v_add_f32_e32 v2, v2, v3
	v_mul_f32_e32 v3, v71, v9
	v_fma_f32 v3, v70, v8, -v3
	v_add_f32_e32 v2, v2, v3
	v_mul_f32_e32 v3, v73, v15
	v_fma_f32 v3, v72, v14, -v3
	v_add_f32_e32 v2, v2, v3
	v_mul_f32_e32 v3, v75, v17
	v_fma_f32 v3, v74, v16, -v3
	v_add_f32_e32 v2, v2, v3
	v_mul_f32_e32 v3, v77, v23
	v_fma_f32 v3, v76, v22, -v3
	v_add_f32_e32 v2, v2, v3
	v_mul_f32_e32 v3, v79, v25
	v_fma_f32 v3, v78, v24, -v3
	v_add_f32_e32 v2, v2, v3
	v_mul_f32_e32 v3, v85, v35
	v_fma_f32 v3, v84, v34, -v3
	v_add_f32_e32 v2, v2, v3
	v_mul_f32_e32 v3, v87, v37
	v_fma_f32 v3, v86, v36, -v3
	v_add_f32_e32 v2, v2, v3
	v_mul_f32_e32 v3, v89, v39
	v_fma_f32 v3, v88, v38, -v3
	v_add_f32_e32 v2, v2, v3
	v_mul_f32_e32 v3, v91, v41
	v_fma_f32 v3, v90, v40, -v3
	v_add_f32_e32 v2, v2, v3
	v_mul_f32_e32 v3, v93, v51
	v_fma_f32 v3, v92, v50, -v3
	v_add_f32_e32 v18, v2, v3
	v_mul_f32_e32 v2, v95, v53
	v_mul_f32_e32 v101, v94, v53
	v_fma_f32 v100, v94, v52, -v2
	s_waitcnt vmcnt(5) lgkmcnt(0)
	v_mul_f32_e32 v2, v97, v47
	v_mov_b32_e32 v22, v49
	v_mul_f32_e32 v103, v96, v47
	v_fmac_f32_e32 v101, v95, v52
	v_fma_f32 v102, v96, v46, -v2
	ds_read_b128 v[2:5], v82 offset:512
	ds_read_b128 v[6:9], v82 offset:528
	ds_read_b128 v[14:17], v82 offset:544
	ds_read_b64 v[20:21], v82 offset:560
	v_pk_mul_f32 v[22:23], v[98:99], v[22:23] op_sel:[1,0] op_sel_hi:[0,0]
	v_fmac_f32_e32 v103, v97, v46
	v_pk_add_f32 v[18:19], v[18:19], v[100:101]
	v_pk_fma_f32 v[24:25], v[98:99], v[48:49], v[22:23] neg_lo:[0,0,1] neg_hi:[0,0,1]
	v_pk_fma_f32 v[22:23], v[98:99], v[48:49], v[22:23] op_sel_hi:[1,0,1]
	v_pk_add_f32 v[18:19], v[18:19], v[102:103]
	v_mov_b32_e32 v25, v23
	s_waitcnt vmcnt(4) lgkmcnt(3)
	v_pk_mul_f32 v[22:23], v[2:3], v[42:43] op_sel:[1,1] op_sel_hi:[0,1]
	v_pk_add_f32 v[18:19], v[18:19], v[24:25]
	v_pk_fma_f32 v[24:25], v[2:3], v[42:43], v[22:23] neg_lo:[0,0,1] neg_hi:[0,0,1]
	v_pk_fma_f32 v[2:3], v[2:3], v[42:43], v[22:23] op_sel_hi:[1,0,1]
	s_nop 0
	v_mov_b32_e32 v25, v3
	v_pk_add_f32 v[2:3], v[18:19], v[24:25]
	v_mov_b32_e32 v18, v45
	v_pk_mul_f32 v[18:19], v[4:5], v[18:19] op_sel:[1,0] op_sel_hi:[0,0]
	v_pk_fma_f32 v[22:23], v[4:5], v[44:45], v[18:19] neg_lo:[0,0,1] neg_hi:[0,0,1]
	v_pk_fma_f32 v[4:5], v[4:5], v[44:45], v[18:19] op_sel_hi:[1,0,1]
	s_nop 0
	v_mov_b32_e32 v23, v5
	s_waitcnt vmcnt(3) lgkmcnt(2)
	v_pk_mul_f32 v[4:5], v[6:7], v[26:27] op_sel:[1,1] op_sel_hi:[0,1]
	v_pk_fma_f32 v[18:19], v[6:7], v[26:27], v[4:5] neg_lo:[0,0,1] neg_hi:[0,0,1]
	v_pk_fma_f32 v[4:5], v[6:7], v[26:27], v[4:5] op_sel_hi:[1,0,1]
	v_pk_add_f32 v[2:3], v[2:3], v[22:23]
	v_mov_b32_e32 v4, v29
	v_mov_b32_e32 v19, v5
	v_pk_mul_f32 v[4:5], v[8:9], v[4:5] op_sel:[1,0] op_sel_hi:[0,0]
	v_pk_fma_f32 v[6:7], v[8:9], v[28:29], v[4:5] neg_lo:[0,0,1] neg_hi:[0,0,1]
	v_pk_fma_f32 v[4:5], v[8:9], v[28:29], v[4:5] op_sel_hi:[1,0,1]
	v_pk_add_f32 v[2:3], v[2:3], v[18:19]
	v_mov_b32_e32 v7, v5
	s_waitcnt vmcnt(2) lgkmcnt(1)
	v_pk_mul_f32 v[4:5], v[14:15], v[10:11] op_sel:[1,1] op_sel_hi:[0,1]
	v_pk_add_f32 v[2:3], v[2:3], v[6:7]
	v_pk_fma_f32 v[6:7], v[14:15], v[10:11], v[4:5] neg_lo:[0,0,1] neg_hi:[0,0,1]
	v_pk_fma_f32 v[4:5], v[14:15], v[10:11], v[4:5] op_sel_hi:[1,0,1]
	s_nop 0
	v_mov_b32_e32 v4, v13
	v_mov_b32_e32 v7, v5
	v_pk_mul_f32 v[4:5], v[16:17], v[4:5] op_sel:[1,0] op_sel_hi:[0,0]
	v_pk_add_f32 v[2:3], v[2:3], v[6:7]
	v_pk_fma_f32 v[6:7], v[16:17], v[12:13], v[4:5] neg_lo:[0,0,1] neg_hi:[0,0,1]
	v_pk_fma_f32 v[4:5], v[16:17], v[12:13], v[4:5] op_sel_hi:[1,0,1]
	s_nop 0
	v_mov_b32_e32 v7, v5
	s_waitcnt vmcnt(1) lgkmcnt(0)
	v_pk_mul_f32 v[4:5], v[20:21], v[54:55] op_sel:[1,1] op_sel_hi:[0,1]
	v_pk_add_f32 v[2:3], v[2:3], v[6:7]
	v_pk_fma_f32 v[6:7], v[20:21], v[54:55], v[4:5] neg_lo:[0,0,1] neg_hi:[0,0,1]
	v_pk_fma_f32 v[4:5], v[20:21], v[54:55], v[4:5] op_sel_hi:[1,0,1]
	s_nop 0
	v_mov_b32_e32 v7, v5
	v_pk_add_f32 v[2:3], v[2:3], v[6:7]
	s_waitcnt vmcnt(0)
	v_pk_add_f32 v[2:3], v[80:81], v[2:3] neg_lo:[0,1] neg_hi:[0,1]
	scratch_store_dwordx2 off, v[2:3], off offset:56
	s_and_saveexec_b64 s[0:1], vcc
	s_cbranch_execz .LBB34_211
; %bb.210:
	scratch_load_dwordx2 v[2:3], off, off offset:48
	v_mov_b32_e32 v83, v82
	scratch_store_dwordx2 off, v[82:83], off offset:48
	s_waitcnt vmcnt(1)
	ds_write_b64 v1, v[2:3]
.LBB34_211:
	s_or_b64 exec, exec, s[0:1]
	s_waitcnt lgkmcnt(0)
	; wave barrier
	scratch_load_dwordx4 v[10:13], off, off offset:56
	scratch_load_dwordx4 v[26:29], off, off offset:72
	;; [unrolled: 1-line block ×10, first 2 shown]
	ds_read2_b64 v[84:87], v82 offset0:43 offset1:44
	ds_read2_b64 v[88:91], v82 offset0:45 offset1:46
	;; [unrolled: 1-line block ×10, first 2 shown]
	scratch_load_dwordx4 v[54:57], off, off offset:216
	scratch_load_dwordx4 v[46:49], off, off offset:232
	;; [unrolled: 1-line block ×4, first 2 shown]
	scratch_load_dwordx2 v[100:101], off, off offset:48
	v_cmp_lt_u32_e32 vcc, 5, v0
	s_waitcnt vmcnt(14) lgkmcnt(9)
	v_mul_f32_e32 v83, v84, v11
	v_mul_f32_e32 v102, v86, v13
	s_waitcnt vmcnt(12) lgkmcnt(7)
	v_mul_f32_e32 v107, v92, v3
	v_mul_f32_e32 v3, v93, v3
	v_fmac_f32_e32 v83, v85, v10
	v_mul_f32_e32 v104, v88, v27
	v_fmac_f32_e32 v102, v87, v12
	v_fmac_f32_e32 v107, v93, v2
	v_fma_f32 v2, v92, v2, -v3
	v_add_f32_e32 v3, 0, v83
	v_mul_f32_e32 v106, v90, v29
	v_fmac_f32_e32 v104, v89, v26
	v_add_f32_e32 v3, v3, v102
	v_fmac_f32_e32 v106, v91, v28
	v_add_f32_e32 v3, v3, v104
	v_mul_f32_e32 v108, v94, v5
	v_add_f32_e32 v3, v3, v106
	s_waitcnt vmcnt(11) lgkmcnt(6)
	v_mul_f32_e32 v109, v96, v7
	v_fmac_f32_e32 v108, v95, v4
	v_add_f32_e32 v3, v3, v107
	v_mul_f32_e32 v110, v98, v9
	v_fmac_f32_e32 v109, v97, v6
	v_add_f32_e32 v3, v3, v108
	s_waitcnt vmcnt(10) lgkmcnt(5)
	v_mul_f32_e32 v111, v78, v15
	v_fmac_f32_e32 v110, v99, v8
	v_add_f32_e32 v3, v3, v109
	v_mul_f32_e32 v112, v80, v17
	v_fmac_f32_e32 v111, v79, v14
	;; [unrolled: 7-line block ×4, first 2 shown]
	v_add_f32_e32 v3, v3, v184
	s_waitcnt vmcnt(7) lgkmcnt(2)
	v_mul_f32_e32 v187, v66, v39
	v_mul_f32_e32 v11, v85, v11
	v_fmac_f32_e32 v186, v73, v32
	v_add_f32_e32 v3, v3, v185
	v_mul_f32_e32 v188, v68, v41
	v_mul_f32_e32 v13, v87, v13
	v_fmac_f32_e32 v187, v67, v38
	v_fma_f32 v10, v84, v10, -v11
	v_add_f32_e32 v3, v3, v186
	s_waitcnt vmcnt(6) lgkmcnt(1)
	v_mul_f32_e32 v189, v62, v43
	v_mul_f32_e32 v27, v89, v27
	v_fmac_f32_e32 v188, v69, v40
	v_fma_f32 v11, v86, v12, -v13
	v_add_f32_e32 v10, 0, v10
	v_add_f32_e32 v3, v3, v187
	v_mul_f32_e32 v190, v64, v45
	v_mul_f32_e32 v29, v91, v29
	v_fmac_f32_e32 v189, v63, v42
	v_fma_f32 v12, v88, v26, -v27
	v_add_f32_e32 v10, v10, v11
	v_add_f32_e32 v3, v3, v188
	v_fmac_f32_e32 v190, v65, v44
	v_fma_f32 v13, v90, v28, -v29
	v_add_f32_e32 v10, v10, v12
	v_add_f32_e32 v3, v3, v189
	;; [unrolled: 1-line block ×4, first 2 shown]
	v_mul_f32_e32 v3, v95, v5
	v_add_f32_e32 v2, v10, v2
	v_fma_f32 v3, v94, v4, -v3
	v_add_f32_e32 v2, v2, v3
	v_mul_f32_e32 v3, v97, v7
	v_fma_f32 v3, v96, v6, -v3
	v_add_f32_e32 v2, v2, v3
	v_mul_f32_e32 v3, v99, v9
	;; [unrolled: 3-line block ×12, first 2 shown]
	v_fma_f32 v3, v64, v44, -v3
	v_add_f32_e32 v26, v2, v3
	s_waitcnt vmcnt(5) lgkmcnt(0)
	v_mul_f32_e32 v2, v59, v51
	v_fma_f32 v102, v58, v50, -v2
	v_mul_f32_e32 v2, v61, v53
	v_fma_f32 v104, v60, v52, -v2
	ds_read2_b64 v[2:5], v82 offset0:63 offset1:64
	ds_read2_b64 v[6:9], v82 offset0:65 offset1:66
	;; [unrolled: 1-line block ×4, first 2 shown]
	v_mul_f32_e32 v103, v58, v51
	v_mul_f32_e32 v105, v60, v53
	v_fmac_f32_e32 v103, v59, v50
	s_waitcnt vmcnt(4) lgkmcnt(3)
	v_pk_mul_f32 v[24:25], v[2:3], v[54:55] op_sel:[1,1] op_sel_hi:[0,1]
	v_fmac_f32_e32 v105, v61, v52
	v_pk_add_f32 v[22:23], v[26:27], v[102:103]
	v_pk_fma_f32 v[26:27], v[2:3], v[54:55], v[24:25] neg_lo:[0,0,1] neg_hi:[0,0,1]
	v_pk_fma_f32 v[2:3], v[2:3], v[54:55], v[24:25] op_sel_hi:[1,0,1]
	v_pk_add_f32 v[22:23], v[22:23], v[104:105]
	v_mov_b32_e32 v27, v3
	v_pk_add_f32 v[2:3], v[22:23], v[26:27]
	v_mov_b32_e32 v22, v57
	v_pk_mul_f32 v[22:23], v[4:5], v[22:23] op_sel:[1,0] op_sel_hi:[0,0]
	v_pk_fma_f32 v[24:25], v[4:5], v[56:57], v[22:23] neg_lo:[0,0,1] neg_hi:[0,0,1]
	v_pk_fma_f32 v[4:5], v[4:5], v[56:57], v[22:23] op_sel_hi:[1,0,1]
	s_nop 0
	v_mov_b32_e32 v25, v5
	s_waitcnt vmcnt(3) lgkmcnt(2)
	v_pk_mul_f32 v[4:5], v[6:7], v[46:47] op_sel:[1,1] op_sel_hi:[0,1]
	v_pk_fma_f32 v[22:23], v[6:7], v[46:47], v[4:5] neg_lo:[0,0,1] neg_hi:[0,0,1]
	v_pk_fma_f32 v[4:5], v[6:7], v[46:47], v[4:5] op_sel_hi:[1,0,1]
	v_pk_add_f32 v[2:3], v[2:3], v[24:25]
	v_mov_b32_e32 v4, v49
	v_mov_b32_e32 v23, v5
	v_pk_mul_f32 v[4:5], v[8:9], v[4:5] op_sel:[1,0] op_sel_hi:[0,0]
	v_pk_fma_f32 v[6:7], v[8:9], v[48:49], v[4:5] neg_lo:[0,0,1] neg_hi:[0,0,1]
	v_pk_fma_f32 v[4:5], v[8:9], v[48:49], v[4:5] op_sel_hi:[1,0,1]
	v_pk_add_f32 v[2:3], v[2:3], v[22:23]
	v_mov_b32_e32 v7, v5
	s_waitcnt vmcnt(2) lgkmcnt(1)
	v_pk_mul_f32 v[4:5], v[10:11], v[34:35] op_sel:[1,1] op_sel_hi:[0,1]
	v_pk_add_f32 v[2:3], v[2:3], v[6:7]
	v_pk_fma_f32 v[6:7], v[10:11], v[34:35], v[4:5] neg_lo:[0,0,1] neg_hi:[0,0,1]
	v_pk_fma_f32 v[4:5], v[10:11], v[34:35], v[4:5] op_sel_hi:[1,0,1]
	s_nop 0
	v_mov_b32_e32 v4, v37
	v_mov_b32_e32 v7, v5
	v_pk_mul_f32 v[4:5], v[12:13], v[4:5] op_sel:[1,0] op_sel_hi:[0,0]
	v_pk_add_f32 v[2:3], v[2:3], v[6:7]
	v_pk_fma_f32 v[6:7], v[12:13], v[36:37], v[4:5] neg_lo:[0,0,1] neg_hi:[0,0,1]
	v_pk_fma_f32 v[4:5], v[12:13], v[36:37], v[4:5] op_sel_hi:[1,0,1]
	s_nop 0
	v_mov_b32_e32 v7, v5
	s_waitcnt vmcnt(1) lgkmcnt(0)
	v_pk_mul_f32 v[4:5], v[14:15], v[18:19] op_sel:[1,1] op_sel_hi:[0,1]
	v_pk_add_f32 v[2:3], v[2:3], v[6:7]
	v_pk_fma_f32 v[6:7], v[14:15], v[18:19], v[4:5] neg_lo:[0,0,1] neg_hi:[0,0,1]
	v_pk_fma_f32 v[4:5], v[14:15], v[18:19], v[4:5] op_sel_hi:[1,0,1]
	s_nop 0
	v_mov_b32_e32 v4, v21
	v_mov_b32_e32 v7, v5
	v_pk_mul_f32 v[4:5], v[16:17], v[4:5] op_sel:[1,0] op_sel_hi:[0,0]
	v_pk_add_f32 v[2:3], v[2:3], v[6:7]
	v_pk_fma_f32 v[6:7], v[16:17], v[20:21], v[4:5] neg_lo:[0,0,1] neg_hi:[0,0,1]
	v_pk_fma_f32 v[4:5], v[16:17], v[20:21], v[4:5] op_sel_hi:[1,0,1]
	s_nop 0
	v_mov_b32_e32 v7, v5
	v_pk_add_f32 v[2:3], v[2:3], v[6:7]
	s_waitcnt vmcnt(0)
	v_pk_add_f32 v[2:3], v[100:101], v[2:3] neg_lo:[0,1] neg_hi:[0,1]
	scratch_store_dwordx2 off, v[2:3], off offset:48
	s_and_saveexec_b64 s[0:1], vcc
	s_cbranch_execz .LBB34_213
; %bb.212:
	scratch_load_dwordx2 v[2:3], off, off offset:40
	v_mov_b32_e32 v4, 0
	v_mov_b32_e32 v5, v4
	scratch_store_dwordx2 off, v[4:5], off offset:40
	s_waitcnt vmcnt(1)
	ds_write_b64 v1, v[2:3]
.LBB34_213:
	s_or_b64 exec, exec, s[0:1]
	s_waitcnt lgkmcnt(0)
	; wave barrier
	scratch_load_dwordx4 v[26:29], off, off offset:48
	scratch_load_dwordx4 v[2:5], off, off offset:64
	;; [unrolled: 1-line block ×14, first 2 shown]
	scratch_load_dwordx2 v[58:59], off, off offset:272
	scratch_load_dwordx2 v[100:101], off, off offset:40
	v_mov_b32_e32 v102, 0
	ds_read_b128 v[60:63], v102 offset:336
	ds_read_b128 v[64:67], v102 offset:352
	;; [unrolled: 1-line block ×12, first 2 shown]
	v_cmp_lt_u32_e32 vcc, 4, v0
	s_waitcnt vmcnt(15) lgkmcnt(11)
	v_mul_f32_e32 v103, v60, v27
	v_mul_f32_e32 v112, v62, v29
	s_waitcnt vmcnt(14) lgkmcnt(10)
	v_mul_f32_e32 v184, v64, v3
	v_mul_f32_e32 v3, v65, v3
	v_fmac_f32_e32 v103, v61, v26
	v_fmac_f32_e32 v112, v63, v28
	;; [unrolled: 1-line block ×3, first 2 shown]
	v_fma_f32 v2, v64, v2, -v3
	v_add_f32_e32 v3, 0, v103
	v_mul_f32_e32 v186, v66, v5
	v_add_f32_e32 v3, v3, v112
	s_waitcnt vmcnt(13) lgkmcnt(9)
	v_mul_f32_e32 v187, v68, v7
	v_fmac_f32_e32 v186, v67, v4
	v_add_f32_e32 v3, v3, v184
	v_mul_f32_e32 v188, v70, v9
	v_fmac_f32_e32 v187, v69, v6
	v_add_f32_e32 v3, v3, v186
	s_waitcnt vmcnt(12) lgkmcnt(8)
	v_mul_f32_e32 v189, v72, v11
	v_fmac_f32_e32 v188, v71, v8
	v_add_f32_e32 v3, v3, v187
	v_mul_f32_e32 v190, v74, v13
	v_fmac_f32_e32 v189, v73, v10
	;; [unrolled: 7-line block ×6, first 2 shown]
	v_add_f32_e32 v3, v3, v196
	s_waitcnt vmcnt(7) lgkmcnt(3)
	v_mul_f32_e32 v199, v92, v43
	v_fmac_f32_e32 v198, v91, v40
	v_add_f32_e32 v3, v3, v197
	v_mul_f32_e32 v200, v94, v45
	v_mul_f32_e32 v27, v61, v27
	v_fmac_f32_e32 v199, v93, v42
	v_add_f32_e32 v3, v3, v198
	s_waitcnt vmcnt(6) lgkmcnt(2)
	v_mul_f32_e32 v201, v96, v51
	v_mul_f32_e32 v29, v63, v29
	v_fmac_f32_e32 v200, v95, v44
	v_fma_f32 v26, v60, v26, -v27
	v_add_f32_e32 v3, v3, v199
	v_fmac_f32_e32 v201, v97, v50
	v_fma_f32 v27, v62, v28, -v29
	v_add_f32_e32 v26, 0, v26
	v_add_f32_e32 v3, v3, v200
	;; [unrolled: 1-line block ×4, first 2 shown]
	v_mul_f32_e32 v3, v67, v5
	v_add_f32_e32 v2, v26, v2
	v_fma_f32 v3, v66, v4, -v3
	v_add_f32_e32 v2, v2, v3
	v_mul_f32_e32 v3, v69, v7
	v_fma_f32 v3, v68, v6, -v3
	v_add_f32_e32 v2, v2, v3
	v_mul_f32_e32 v3, v71, v9
	;; [unrolled: 3-line block ×15, first 2 shown]
	v_fma_f32 v3, v96, v50, -v3
	v_mul_f32_e32 v113, v98, v53
	v_add_f32_e32 v26, v2, v3
	v_mul_f32_e32 v2, v99, v53
	s_waitcnt vmcnt(5)
	v_mov_b32_e32 v14, v57
	s_waitcnt lgkmcnt(1)
	v_mul_f32_e32 v185, v104, v55
	v_fmac_f32_e32 v113, v99, v52
	v_fma_f32 v112, v98, v52, -v2
	v_mul_f32_e32 v2, v105, v55
	v_pk_mul_f32 v[14:15], v[106:107], v[14:15] op_sel:[1,0] op_sel_hi:[0,0]
	v_fmac_f32_e32 v185, v105, v54
	v_fma_f32 v184, v104, v54, -v2
	v_pk_add_f32 v[12:13], v[26:27], v[112:113]
	v_pk_fma_f32 v[16:17], v[106:107], v[56:57], v[14:15] neg_lo:[0,0,1] neg_hi:[0,0,1]
	v_pk_fma_f32 v[14:15], v[106:107], v[56:57], v[14:15] op_sel_hi:[1,0,1]
	v_pk_add_f32 v[12:13], v[12:13], v[184:185]
	v_mov_b32_e32 v17, v15
	s_waitcnt vmcnt(4) lgkmcnt(0)
	v_pk_mul_f32 v[14:15], v[108:109], v[46:47] op_sel:[1,1] op_sel_hi:[0,1]
	v_pk_add_f32 v[12:13], v[12:13], v[16:17]
	v_pk_fma_f32 v[16:17], v[108:109], v[46:47], v[14:15] neg_lo:[0,0,1] neg_hi:[0,0,1]
	v_pk_fma_f32 v[14:15], v[108:109], v[46:47], v[14:15] op_sel_hi:[1,0,1]
	ds_read_b128 v[2:5], v102 offset:528
	ds_read_b128 v[6:9], v102 offset:544
	ds_read_b64 v[10:11], v102 offset:560
	v_mov_b32_e32 v14, v49
	v_mov_b32_e32 v17, v15
	v_pk_mul_f32 v[14:15], v[110:111], v[14:15] op_sel:[1,0] op_sel_hi:[0,0]
	v_pk_add_f32 v[12:13], v[12:13], v[16:17]
	v_pk_fma_f32 v[16:17], v[110:111], v[48:49], v[14:15] neg_lo:[0,0,1] neg_hi:[0,0,1]
	v_pk_fma_f32 v[14:15], v[110:111], v[48:49], v[14:15] op_sel_hi:[1,0,1]
	s_nop 0
	v_mov_b32_e32 v17, v15
	s_waitcnt vmcnt(3) lgkmcnt(2)
	v_pk_mul_f32 v[14:15], v[2:3], v[34:35] op_sel:[1,1] op_sel_hi:[0,1]
	v_pk_add_f32 v[12:13], v[12:13], v[16:17]
	v_pk_fma_f32 v[16:17], v[2:3], v[34:35], v[14:15] neg_lo:[0,0,1] neg_hi:[0,0,1]
	v_pk_fma_f32 v[2:3], v[2:3], v[34:35], v[14:15] op_sel_hi:[1,0,1]
	s_nop 0
	v_mov_b32_e32 v17, v3
	v_pk_add_f32 v[2:3], v[12:13], v[16:17]
	v_mov_b32_e32 v12, v37
	v_pk_mul_f32 v[12:13], v[4:5], v[12:13] op_sel:[1,0] op_sel_hi:[0,0]
	v_pk_fma_f32 v[14:15], v[4:5], v[36:37], v[12:13] neg_lo:[0,0,1] neg_hi:[0,0,1]
	v_pk_fma_f32 v[4:5], v[4:5], v[36:37], v[12:13] op_sel_hi:[1,0,1]
	s_nop 0
	v_mov_b32_e32 v15, v5
	s_waitcnt vmcnt(2) lgkmcnt(1)
	v_pk_mul_f32 v[4:5], v[6:7], v[18:19] op_sel:[1,1] op_sel_hi:[0,1]
	v_pk_fma_f32 v[12:13], v[6:7], v[18:19], v[4:5] neg_lo:[0,0,1] neg_hi:[0,0,1]
	v_pk_fma_f32 v[4:5], v[6:7], v[18:19], v[4:5] op_sel_hi:[1,0,1]
	v_pk_add_f32 v[2:3], v[2:3], v[14:15]
	v_mov_b32_e32 v4, v21
	v_mov_b32_e32 v13, v5
	v_pk_mul_f32 v[4:5], v[8:9], v[4:5] op_sel:[1,0] op_sel_hi:[0,0]
	v_pk_fma_f32 v[6:7], v[8:9], v[20:21], v[4:5] neg_lo:[0,0,1] neg_hi:[0,0,1]
	v_pk_fma_f32 v[4:5], v[8:9], v[20:21], v[4:5] op_sel_hi:[1,0,1]
	v_pk_add_f32 v[2:3], v[2:3], v[12:13]
	v_mov_b32_e32 v7, v5
	s_waitcnt vmcnt(1) lgkmcnt(0)
	v_pk_mul_f32 v[4:5], v[10:11], v[58:59] op_sel:[1,1] op_sel_hi:[0,1]
	v_pk_add_f32 v[2:3], v[2:3], v[6:7]
	v_pk_fma_f32 v[6:7], v[10:11], v[58:59], v[4:5] neg_lo:[0,0,1] neg_hi:[0,0,1]
	v_pk_fma_f32 v[4:5], v[10:11], v[58:59], v[4:5] op_sel_hi:[1,0,1]
	s_nop 0
	v_mov_b32_e32 v7, v5
	v_pk_add_f32 v[2:3], v[2:3], v[6:7]
	s_waitcnt vmcnt(0)
	v_pk_add_f32 v[2:3], v[100:101], v[2:3] neg_lo:[0,1] neg_hi:[0,1]
	scratch_store_dwordx2 off, v[2:3], off offset:40
	s_and_saveexec_b64 s[0:1], vcc
	s_cbranch_execz .LBB34_215
; %bb.214:
	scratch_load_dwordx2 v[2:3], off, off offset:32
	v_mov_b32_e32 v103, v102
	scratch_store_dwordx2 off, v[102:103], off offset:32
	s_waitcnt vmcnt(1)
	ds_write_b64 v1, v[2:3]
.LBB34_215:
	s_or_b64 exec, exec, s[0:1]
	s_waitcnt lgkmcnt(0)
	; wave barrier
	scratch_load_dwordx4 v[18:21], off, off offset:40
	scratch_load_dwordx4 v[2:5], off, off offset:56
	;; [unrolled: 1-line block ×11, first 2 shown]
	ds_read2_b64 v[104:107], v102 offset0:41 offset1:42
	ds_read2_b64 v[98:101], v102 offset0:43 offset1:44
	;; [unrolled: 1-line block ×10, first 2 shown]
	scratch_load_dwordx4 v[58:61], off, off offset:216
	scratch_load_dwordx4 v[50:53], off, off offset:232
	;; [unrolled: 1-line block ×4, first 2 shown]
	ds_read2_b64 v[78:81], v102 offset0:61 offset1:62
	ds_read2_b64 v[108:111], v102 offset0:63 offset1:64
	scratch_load_dwordx2 v[112:113], off, off offset:32
	v_cmp_lt_u32_e32 vcc, 3, v0
	s_waitcnt vmcnt(15) lgkmcnt(11)
	v_mul_f32_e32 v103, v104, v19
	v_mul_f32_e32 v184, v106, v21
	s_waitcnt vmcnt(14) lgkmcnt(10)
	v_mul_f32_e32 v186, v98, v3
	v_mul_f32_e32 v3, v99, v3
	v_fmac_f32_e32 v103, v105, v18
	v_fmac_f32_e32 v184, v107, v20
	;; [unrolled: 1-line block ×3, first 2 shown]
	v_fma_f32 v2, v98, v2, -v3
	v_add_f32_e32 v3, 0, v103
	v_mul_f32_e32 v188, v100, v5
	v_add_f32_e32 v3, v3, v184
	s_waitcnt vmcnt(13) lgkmcnt(9)
	v_mul_f32_e32 v189, v94, v7
	v_fmac_f32_e32 v188, v101, v4
	v_add_f32_e32 v3, v3, v186
	v_mul_f32_e32 v190, v96, v9
	v_fmac_f32_e32 v189, v95, v6
	v_add_f32_e32 v3, v3, v188
	s_waitcnt vmcnt(12) lgkmcnt(8)
	v_mul_f32_e32 v191, v90, v11
	v_fmac_f32_e32 v190, v97, v8
	v_add_f32_e32 v3, v3, v189
	v_mul_f32_e32 v192, v92, v13
	v_fmac_f32_e32 v191, v91, v10
	;; [unrolled: 7-line block ×7, first 2 shown]
	v_add_f32_e32 v3, v3, v200
	s_waitcnt vmcnt(6) lgkmcnt(2)
	v_mul_f32_e32 v203, v62, v47
	v_mul_f32_e32 v19, v105, v19
	v_fmac_f32_e32 v202, v69, v44
	v_add_f32_e32 v3, v3, v201
	v_mul_f32_e32 v204, v64, v49
	v_mul_f32_e32 v21, v107, v21
	v_fmac_f32_e32 v203, v63, v46
	v_fma_f32 v18, v104, v18, -v19
	v_add_f32_e32 v3, v3, v202
	v_fmac_f32_e32 v204, v65, v48
	v_fma_f32 v19, v106, v20, -v21
	v_add_f32_e32 v18, 0, v18
	v_add_f32_e32 v3, v3, v203
	;; [unrolled: 1-line block ×4, first 2 shown]
	v_mul_f32_e32 v3, v101, v5
	v_add_f32_e32 v2, v18, v2
	v_fma_f32 v3, v100, v4, -v3
	v_add_f32_e32 v2, v2, v3
	v_mul_f32_e32 v3, v95, v7
	v_fma_f32 v3, v94, v6, -v3
	v_add_f32_e32 v2, v2, v3
	v_mul_f32_e32 v3, v97, v9
	;; [unrolled: 3-line block ×16, first 2 shown]
	v_fma_f32 v3, v64, v48, -v3
	s_waitcnt vmcnt(5) lgkmcnt(1)
	v_mul_f32_e32 v185, v78, v55
	v_add_f32_e32 v18, v2, v3
	v_mul_f32_e32 v2, v79, v55
	v_fmac_f32_e32 v185, v79, v54
	v_fma_f32 v184, v78, v54, -v2
	s_waitcnt vmcnt(4) lgkmcnt(0)
	v_pk_mul_f32 v[16:17], v[108:109], v[58:59] op_sel:[1,1] op_sel_hi:[0,1]
	v_mul_f32_e32 v187, v80, v57
	v_mul_f32_e32 v2, v81, v57
	v_pk_add_f32 v[14:15], v[18:19], v[184:185]
	v_pk_fma_f32 v[18:19], v[108:109], v[58:59], v[16:17] neg_lo:[0,0,1] neg_hi:[0,0,1]
	v_pk_fma_f32 v[16:17], v[108:109], v[58:59], v[16:17] op_sel_hi:[1,0,1]
	v_fmac_f32_e32 v187, v81, v56
	v_fma_f32 v186, v80, v56, -v2
	ds_read2_b64 v[2:5], v102 offset0:65 offset1:66
	ds_read2_b64 v[6:9], v102 offset0:67 offset1:68
	;; [unrolled: 1-line block ×3, first 2 shown]
	v_mov_b32_e32 v16, v61
	v_pk_add_f32 v[14:15], v[14:15], v[186:187]
	v_mov_b32_e32 v19, v17
	v_pk_mul_f32 v[16:17], v[110:111], v[16:17] op_sel:[1,0] op_sel_hi:[0,0]
	v_pk_add_f32 v[14:15], v[14:15], v[18:19]
	v_pk_fma_f32 v[18:19], v[110:111], v[60:61], v[16:17] neg_lo:[0,0,1] neg_hi:[0,0,1]
	v_pk_fma_f32 v[16:17], v[110:111], v[60:61], v[16:17] op_sel_hi:[1,0,1]
	s_nop 0
	v_mov_b32_e32 v19, v17
	s_waitcnt vmcnt(3) lgkmcnt(2)
	v_pk_mul_f32 v[16:17], v[2:3], v[50:51] op_sel:[1,1] op_sel_hi:[0,1]
	v_pk_add_f32 v[14:15], v[14:15], v[18:19]
	v_pk_fma_f32 v[18:19], v[2:3], v[50:51], v[16:17] neg_lo:[0,0,1] neg_hi:[0,0,1]
	v_pk_fma_f32 v[2:3], v[2:3], v[50:51], v[16:17] op_sel_hi:[1,0,1]
	s_nop 0
	v_mov_b32_e32 v19, v3
	v_pk_add_f32 v[2:3], v[14:15], v[18:19]
	v_mov_b32_e32 v14, v53
	v_pk_mul_f32 v[14:15], v[4:5], v[14:15] op_sel:[1,0] op_sel_hi:[0,0]
	v_pk_fma_f32 v[16:17], v[4:5], v[52:53], v[14:15] neg_lo:[0,0,1] neg_hi:[0,0,1]
	v_pk_fma_f32 v[4:5], v[4:5], v[52:53], v[14:15] op_sel_hi:[1,0,1]
	s_nop 0
	v_mov_b32_e32 v17, v5
	s_waitcnt vmcnt(2) lgkmcnt(1)
	v_pk_mul_f32 v[4:5], v[6:7], v[38:39] op_sel:[1,1] op_sel_hi:[0,1]
	v_pk_fma_f32 v[14:15], v[6:7], v[38:39], v[4:5] neg_lo:[0,0,1] neg_hi:[0,0,1]
	v_pk_fma_f32 v[4:5], v[6:7], v[38:39], v[4:5] op_sel_hi:[1,0,1]
	v_pk_add_f32 v[2:3], v[2:3], v[16:17]
	v_mov_b32_e32 v4, v41
	v_mov_b32_e32 v15, v5
	v_pk_mul_f32 v[4:5], v[8:9], v[4:5] op_sel:[1,0] op_sel_hi:[0,0]
	v_pk_fma_f32 v[6:7], v[8:9], v[40:41], v[4:5] neg_lo:[0,0,1] neg_hi:[0,0,1]
	v_pk_fma_f32 v[4:5], v[8:9], v[40:41], v[4:5] op_sel_hi:[1,0,1]
	v_pk_add_f32 v[2:3], v[2:3], v[14:15]
	v_mov_b32_e32 v7, v5
	s_waitcnt vmcnt(1) lgkmcnt(0)
	v_pk_mul_f32 v[4:5], v[10:11], v[26:27] op_sel:[1,1] op_sel_hi:[0,1]
	v_pk_add_f32 v[2:3], v[2:3], v[6:7]
	v_pk_fma_f32 v[6:7], v[10:11], v[26:27], v[4:5] neg_lo:[0,0,1] neg_hi:[0,0,1]
	v_pk_fma_f32 v[4:5], v[10:11], v[26:27], v[4:5] op_sel_hi:[1,0,1]
	s_nop 0
	v_mov_b32_e32 v4, v29
	v_mov_b32_e32 v7, v5
	v_pk_mul_f32 v[4:5], v[12:13], v[4:5] op_sel:[1,0] op_sel_hi:[0,0]
	v_pk_add_f32 v[2:3], v[2:3], v[6:7]
	v_pk_fma_f32 v[6:7], v[12:13], v[28:29], v[4:5] neg_lo:[0,0,1] neg_hi:[0,0,1]
	v_pk_fma_f32 v[4:5], v[12:13], v[28:29], v[4:5] op_sel_hi:[1,0,1]
	s_nop 0
	v_mov_b32_e32 v7, v5
	v_pk_add_f32 v[2:3], v[2:3], v[6:7]
	s_waitcnt vmcnt(0)
	v_pk_add_f32 v[2:3], v[112:113], v[2:3] neg_lo:[0,1] neg_hi:[0,1]
	scratch_store_dwordx2 off, v[2:3], off offset:32
	s_and_saveexec_b64 s[0:1], vcc
	s_cbranch_execz .LBB34_217
; %bb.216:
	scratch_load_dwordx2 v[2:3], off, off offset:24
	v_mov_b32_e32 v4, 0
	v_mov_b32_e32 v5, v4
	scratch_store_dwordx2 off, v[4:5], off offset:24
	s_waitcnt vmcnt(1)
	ds_write_b64 v1, v[2:3]
.LBB34_217:
	s_or_b64 exec, exec, s[0:1]
	s_waitcnt lgkmcnt(0)
	; wave barrier
	scratch_load_dwordx4 v[2:5], off, off offset:32
	scratch_load_dwordx4 v[6:9], off, off offset:48
	;; [unrolled: 1-line block ×15, first 2 shown]
	scratch_load_dwordx2 v[62:63], off, off offset:272
	scratch_load_dwordx2 v[112:113], off, off offset:24
	v_mov_b32_e32 v184, 0
	ds_read_b128 v[64:67], v184 offset:320
	ds_read_b128 v[68:71], v184 offset:336
	;; [unrolled: 1-line block ×12, first 2 shown]
	v_cmp_lt_u32_e32 vcc, 2, v0
	s_waitcnt vmcnt(16) lgkmcnt(11)
	v_mul_f32_e32 v185, v64, v3
	v_mul_f32_e32 v186, v66, v5
	;; [unrolled: 1-line block ×3, first 2 shown]
	v_fmac_f32_e32 v185, v65, v2
	s_waitcnt vmcnt(15) lgkmcnt(10)
	v_mul_f32_e32 v188, v68, v7
	v_fmac_f32_e32 v186, v67, v4
	v_fma_f32 v2, v64, v2, -v3
	v_add_f32_e32 v3, 0, v185
	v_mul_f32_e32 v190, v70, v9
	v_fmac_f32_e32 v188, v69, v6
	v_add_f32_e32 v3, v3, v186
	s_waitcnt vmcnt(14) lgkmcnt(9)
	v_mul_f32_e32 v191, v72, v11
	v_fmac_f32_e32 v190, v71, v8
	v_add_f32_e32 v3, v3, v188
	v_mul_f32_e32 v192, v74, v13
	v_fmac_f32_e32 v191, v73, v10
	v_add_f32_e32 v3, v3, v190
	s_waitcnt vmcnt(13) lgkmcnt(8)
	v_mul_f32_e32 v193, v76, v15
	v_fmac_f32_e32 v192, v75, v12
	;; [unrolled: 7-line block ×9, first 2 shown]
	v_add_f32_e32 v3, v3, v205
	v_mul_f32_e32 v5, v67, v5
	v_fmac_f32_e32 v207, v105, v58
	v_add_f32_e32 v3, v3, v206
	v_add_f32_e32 v2, 0, v2
	;; [unrolled: 1-line block ×3, first 2 shown]
	v_fma_f32 v3, v66, v4, -v5
	v_add_f32_e32 v2, v2, v3
	v_mul_f32_e32 v3, v69, v7
	v_fma_f32 v3, v68, v6, -v3
	v_add_f32_e32 v2, v2, v3
	v_mul_f32_e32 v3, v71, v9
	;; [unrolled: 3-line block ×20, first 2 shown]
	v_mul_f32_e32 v187, v106, v61
	v_fma_f32 v186, v106, v60, -v2
	s_waitcnt vmcnt(5) lgkmcnt(0)
	v_mul_f32_e32 v2, v109, v55
	v_mov_b32_e32 v18, v57
	v_mul_f32_e32 v189, v108, v55
	v_fmac_f32_e32 v187, v107, v60
	v_fma_f32 v188, v108, v54, -v2
	ds_read_b128 v[2:5], v184 offset:512
	ds_read_b128 v[6:9], v184 offset:528
	;; [unrolled: 1-line block ×3, first 2 shown]
	ds_read_b64 v[14:15], v184 offset:560
	v_pk_mul_f32 v[18:19], v[110:111], v[18:19] op_sel:[1,0] op_sel_hi:[0,0]
	v_fmac_f32_e32 v189, v109, v54
	v_pk_add_f32 v[16:17], v[64:65], v[186:187]
	v_pk_fma_f32 v[20:21], v[110:111], v[56:57], v[18:19] neg_lo:[0,0,1] neg_hi:[0,0,1]
	v_pk_fma_f32 v[18:19], v[110:111], v[56:57], v[18:19] op_sel_hi:[1,0,1]
	v_pk_add_f32 v[16:17], v[16:17], v[188:189]
	v_mov_b32_e32 v21, v19
	s_waitcnt vmcnt(4) lgkmcnt(3)
	v_pk_mul_f32 v[18:19], v[2:3], v[50:51] op_sel:[1,1] op_sel_hi:[0,1]
	v_pk_add_f32 v[16:17], v[16:17], v[20:21]
	v_pk_fma_f32 v[20:21], v[2:3], v[50:51], v[18:19] neg_lo:[0,0,1] neg_hi:[0,0,1]
	v_pk_fma_f32 v[2:3], v[2:3], v[50:51], v[18:19] op_sel_hi:[1,0,1]
	s_nop 0
	v_mov_b32_e32 v21, v3
	v_pk_add_f32 v[2:3], v[16:17], v[20:21]
	v_mov_b32_e32 v16, v53
	v_pk_mul_f32 v[16:17], v[4:5], v[16:17] op_sel:[1,0] op_sel_hi:[0,0]
	v_pk_fma_f32 v[18:19], v[4:5], v[52:53], v[16:17] neg_lo:[0,0,1] neg_hi:[0,0,1]
	v_pk_fma_f32 v[4:5], v[4:5], v[52:53], v[16:17] op_sel_hi:[1,0,1]
	s_nop 0
	v_mov_b32_e32 v19, v5
	s_waitcnt vmcnt(3) lgkmcnt(2)
	v_pk_mul_f32 v[4:5], v[6:7], v[38:39] op_sel:[1,1] op_sel_hi:[0,1]
	v_pk_fma_f32 v[16:17], v[6:7], v[38:39], v[4:5] neg_lo:[0,0,1] neg_hi:[0,0,1]
	v_pk_fma_f32 v[4:5], v[6:7], v[38:39], v[4:5] op_sel_hi:[1,0,1]
	v_pk_add_f32 v[2:3], v[2:3], v[18:19]
	v_mov_b32_e32 v4, v41
	v_mov_b32_e32 v17, v5
	v_pk_mul_f32 v[4:5], v[8:9], v[4:5] op_sel:[1,0] op_sel_hi:[0,0]
	v_pk_fma_f32 v[6:7], v[8:9], v[40:41], v[4:5] neg_lo:[0,0,1] neg_hi:[0,0,1]
	v_pk_fma_f32 v[4:5], v[8:9], v[40:41], v[4:5] op_sel_hi:[1,0,1]
	v_pk_add_f32 v[2:3], v[2:3], v[16:17]
	v_mov_b32_e32 v7, v5
	s_waitcnt vmcnt(2) lgkmcnt(1)
	v_pk_mul_f32 v[4:5], v[10:11], v[26:27] op_sel:[1,1] op_sel_hi:[0,1]
	v_pk_add_f32 v[2:3], v[2:3], v[6:7]
	v_pk_fma_f32 v[6:7], v[10:11], v[26:27], v[4:5] neg_lo:[0,0,1] neg_hi:[0,0,1]
	v_pk_fma_f32 v[4:5], v[10:11], v[26:27], v[4:5] op_sel_hi:[1,0,1]
	s_nop 0
	v_mov_b32_e32 v4, v29
	v_mov_b32_e32 v7, v5
	v_pk_mul_f32 v[4:5], v[12:13], v[4:5] op_sel:[1,0] op_sel_hi:[0,0]
	v_pk_add_f32 v[2:3], v[2:3], v[6:7]
	v_pk_fma_f32 v[6:7], v[12:13], v[28:29], v[4:5] neg_lo:[0,0,1] neg_hi:[0,0,1]
	v_pk_fma_f32 v[4:5], v[12:13], v[28:29], v[4:5] op_sel_hi:[1,0,1]
	s_nop 0
	v_mov_b32_e32 v7, v5
	s_waitcnt vmcnt(1) lgkmcnt(0)
	v_pk_mul_f32 v[4:5], v[14:15], v[62:63] op_sel:[1,1] op_sel_hi:[0,1]
	v_pk_add_f32 v[2:3], v[2:3], v[6:7]
	v_pk_fma_f32 v[6:7], v[14:15], v[62:63], v[4:5] neg_lo:[0,0,1] neg_hi:[0,0,1]
	v_pk_fma_f32 v[4:5], v[14:15], v[62:63], v[4:5] op_sel_hi:[1,0,1]
	s_nop 0
	v_mov_b32_e32 v7, v5
	v_pk_add_f32 v[2:3], v[2:3], v[6:7]
	s_waitcnt vmcnt(0)
	v_pk_add_f32 v[2:3], v[112:113], v[2:3] neg_lo:[0,1] neg_hi:[0,1]
	scratch_store_dwordx2 off, v[2:3], off offset:24
	s_and_saveexec_b64 s[0:1], vcc
	s_cbranch_execz .LBB34_219
; %bb.218:
	scratch_load_dwordx2 v[2:3], off, off offset:16
	v_mov_b32_e32 v185, v184
	scratch_store_dwordx2 off, v[184:185], off offset:16
	s_waitcnt vmcnt(1)
	ds_write_b64 v1, v[2:3]
.LBB34_219:
	s_or_b64 exec, exec, s[0:1]
	s_waitcnt lgkmcnt(0)
	; wave barrier
	scratch_load_dwordx4 v[2:5], off, off offset:24
	scratch_load_dwordx4 v[6:9], off, off offset:40
	;; [unrolled: 1-line block ×12, first 2 shown]
	ds_read2_b64 v[110:113], v184 offset0:39 offset1:40
	ds_read2_b64 v[106:109], v184 offset0:41 offset1:42
	;; [unrolled: 1-line block ×12, first 2 shown]
	scratch_load_dwordx4 v[62:65], off, off offset:216
	scratch_load_dwordx4 v[54:57], off, off offset:232
	;; [unrolled: 1-line block ×4, first 2 shown]
	scratch_load_dwordx2 v[186:187], off, off offset:16
	v_cmp_lt_u32_e32 vcc, 1, v0
	s_waitcnt vmcnt(16) lgkmcnt(11)
	v_mul_f32_e32 v185, v110, v3
	v_mul_f32_e32 v188, v112, v5
	;; [unrolled: 1-line block ×3, first 2 shown]
	v_fmac_f32_e32 v185, v111, v2
	s_waitcnt vmcnt(15) lgkmcnt(10)
	v_mul_f32_e32 v190, v106, v7
	v_fmac_f32_e32 v188, v113, v4
	v_fma_f32 v2, v110, v2, -v3
	v_add_f32_e32 v3, 0, v185
	v_mul_f32_e32 v192, v108, v9
	v_fmac_f32_e32 v190, v107, v6
	v_add_f32_e32 v3, v3, v188
	s_waitcnt vmcnt(14) lgkmcnt(9)
	v_mul_f32_e32 v193, v102, v11
	v_fmac_f32_e32 v192, v109, v8
	v_add_f32_e32 v3, v3, v190
	v_mul_f32_e32 v194, v104, v13
	v_fmac_f32_e32 v193, v103, v10
	v_add_f32_e32 v3, v3, v192
	s_waitcnt vmcnt(13) lgkmcnt(8)
	v_mul_f32_e32 v195, v98, v15
	v_fmac_f32_e32 v194, v105, v12
	;; [unrolled: 7-line block ×9, first 2 shown]
	v_add_f32_e32 v3, v3, v207
	v_mul_f32_e32 v210, v72, v53
	v_fmac_f32_e32 v209, v71, v50
	v_add_f32_e32 v3, v3, v208
	v_fmac_f32_e32 v210, v73, v52
	v_add_f32_e32 v3, v3, v209
	v_add_f32_e32 v111, v3, v210
	v_mul_f32_e32 v3, v113, v5
	v_add_f32_e32 v2, 0, v2
	v_fma_f32 v3, v112, v4, -v3
	v_add_f32_e32 v2, v2, v3
	v_mul_f32_e32 v3, v107, v7
	v_fma_f32 v3, v106, v6, -v3
	v_add_f32_e32 v2, v2, v3
	v_mul_f32_e32 v3, v109, v9
	;; [unrolled: 3-line block ×20, first 2 shown]
	v_fma_f32 v3, v72, v52, -v3
	v_add_f32_e32 v110, v2, v3
	s_waitcnt vmcnt(5) lgkmcnt(0)
	v_mul_f32_e32 v2, v67, v59
	v_fma_f32 v188, v66, v58, -v2
	v_mul_f32_e32 v2, v69, v61
	v_fma_f32 v190, v68, v60, -v2
	ds_read2_b64 v[2:5], v184 offset0:63 offset1:64
	ds_read2_b64 v[6:9], v184 offset0:65 offset1:66
	;; [unrolled: 1-line block ×4, first 2 shown]
	v_mul_f32_e32 v189, v66, v59
	v_mul_f32_e32 v191, v68, v61
	v_fmac_f32_e32 v189, v67, v58
	s_waitcnt vmcnt(4) lgkmcnt(3)
	v_pk_mul_f32 v[20:21], v[2:3], v[62:63] op_sel:[1,1] op_sel_hi:[0,1]
	v_fmac_f32_e32 v191, v69, v60
	v_pk_add_f32 v[18:19], v[110:111], v[188:189]
	v_pk_fma_f32 v[22:23], v[2:3], v[62:63], v[20:21] neg_lo:[0,0,1] neg_hi:[0,0,1]
	v_pk_fma_f32 v[2:3], v[2:3], v[62:63], v[20:21] op_sel_hi:[1,0,1]
	v_pk_add_f32 v[18:19], v[18:19], v[190:191]
	v_mov_b32_e32 v23, v3
	v_pk_add_f32 v[2:3], v[18:19], v[22:23]
	v_mov_b32_e32 v18, v65
	v_pk_mul_f32 v[18:19], v[4:5], v[18:19] op_sel:[1,0] op_sel_hi:[0,0]
	v_pk_fma_f32 v[20:21], v[4:5], v[64:65], v[18:19] neg_lo:[0,0,1] neg_hi:[0,0,1]
	v_pk_fma_f32 v[4:5], v[4:5], v[64:65], v[18:19] op_sel_hi:[1,0,1]
	s_nop 0
	v_mov_b32_e32 v21, v5
	s_waitcnt vmcnt(3) lgkmcnt(2)
	v_pk_mul_f32 v[4:5], v[6:7], v[54:55] op_sel:[1,1] op_sel_hi:[0,1]
	v_pk_fma_f32 v[18:19], v[6:7], v[54:55], v[4:5] neg_lo:[0,0,1] neg_hi:[0,0,1]
	v_pk_fma_f32 v[4:5], v[6:7], v[54:55], v[4:5] op_sel_hi:[1,0,1]
	v_pk_add_f32 v[2:3], v[2:3], v[20:21]
	v_mov_b32_e32 v4, v57
	v_mov_b32_e32 v19, v5
	v_pk_mul_f32 v[4:5], v[8:9], v[4:5] op_sel:[1,0] op_sel_hi:[0,0]
	v_pk_fma_f32 v[6:7], v[8:9], v[56:57], v[4:5] neg_lo:[0,0,1] neg_hi:[0,0,1]
	v_pk_fma_f32 v[4:5], v[8:9], v[56:57], v[4:5] op_sel_hi:[1,0,1]
	v_pk_add_f32 v[2:3], v[2:3], v[18:19]
	v_mov_b32_e32 v7, v5
	s_waitcnt vmcnt(2) lgkmcnt(1)
	v_pk_mul_f32 v[4:5], v[10:11], v[42:43] op_sel:[1,1] op_sel_hi:[0,1]
	v_pk_add_f32 v[2:3], v[2:3], v[6:7]
	v_pk_fma_f32 v[6:7], v[10:11], v[42:43], v[4:5] neg_lo:[0,0,1] neg_hi:[0,0,1]
	v_pk_fma_f32 v[4:5], v[10:11], v[42:43], v[4:5] op_sel_hi:[1,0,1]
	s_nop 0
	v_mov_b32_e32 v4, v45
	v_mov_b32_e32 v7, v5
	v_pk_mul_f32 v[4:5], v[12:13], v[4:5] op_sel:[1,0] op_sel_hi:[0,0]
	v_pk_add_f32 v[2:3], v[2:3], v[6:7]
	v_pk_fma_f32 v[6:7], v[12:13], v[44:45], v[4:5] neg_lo:[0,0,1] neg_hi:[0,0,1]
	v_pk_fma_f32 v[4:5], v[12:13], v[44:45], v[4:5] op_sel_hi:[1,0,1]
	s_nop 0
	v_mov_b32_e32 v7, v5
	s_waitcnt vmcnt(1) lgkmcnt(0)
	v_pk_mul_f32 v[4:5], v[14:15], v[34:35] op_sel:[1,1] op_sel_hi:[0,1]
	v_pk_add_f32 v[2:3], v[2:3], v[6:7]
	v_pk_fma_f32 v[6:7], v[14:15], v[34:35], v[4:5] neg_lo:[0,0,1] neg_hi:[0,0,1]
	v_pk_fma_f32 v[4:5], v[14:15], v[34:35], v[4:5] op_sel_hi:[1,0,1]
	s_nop 0
	v_mov_b32_e32 v4, v37
	v_mov_b32_e32 v7, v5
	v_pk_mul_f32 v[4:5], v[16:17], v[4:5] op_sel:[1,0] op_sel_hi:[0,0]
	v_pk_add_f32 v[2:3], v[2:3], v[6:7]
	v_pk_fma_f32 v[6:7], v[16:17], v[36:37], v[4:5] neg_lo:[0,0,1] neg_hi:[0,0,1]
	v_pk_fma_f32 v[4:5], v[16:17], v[36:37], v[4:5] op_sel_hi:[1,0,1]
	s_nop 0
	v_mov_b32_e32 v7, v5
	v_pk_add_f32 v[2:3], v[2:3], v[6:7]
	s_waitcnt vmcnt(0)
	v_pk_add_f32 v[2:3], v[186:187], v[2:3] neg_lo:[0,1] neg_hi:[0,1]
	scratch_store_dwordx2 off, v[2:3], off offset:16
	s_and_saveexec_b64 s[0:1], vcc
	s_cbranch_execz .LBB34_221
; %bb.220:
	scratch_load_dwordx2 v[2:3], off, off offset:8
	v_mov_b32_e32 v4, 0
	v_mov_b32_e32 v5, v4
	scratch_store_dwordx2 off, v[4:5], off offset:8
	s_waitcnt vmcnt(1)
	ds_write_b64 v1, v[2:3]
.LBB34_221:
	s_or_b64 exec, exec, s[0:1]
	s_waitcnt lgkmcnt(0)
	; wave barrier
	scratch_load_dwordx4 v[2:5], off, off offset:16
	scratch_load_dwordx4 v[6:9], off, off offset:32
	;; [unrolled: 1-line block ×13, first 2 shown]
	v_mov_b32_e32 v104, 0
	scratch_load_dwordx2 v[102:103], off, off offset:8
	ds_read_b128 v[54:57], v104 offset:304
	ds_read_b128 v[58:61], v104 offset:320
	;; [unrolled: 1-line block ×14, first 2 shown]
	v_cmp_ne_u32_e32 vcc, 0, v0
	s_waitcnt vmcnt(13) lgkmcnt(13)
	v_mul_f32_e32 v105, v54, v3
	v_mul_f32_e32 v184, v56, v5
	v_fmac_f32_e32 v105, v55, v2
	s_waitcnt vmcnt(12) lgkmcnt(12)
	v_mul_f32_e32 v185, v58, v7
	v_fmac_f32_e32 v184, v57, v4
	v_add_f32_e32 v105, 0, v105
	v_mul_f32_e32 v186, v60, v9
	v_fmac_f32_e32 v185, v59, v6
	v_add_f32_e32 v105, v105, v184
	s_waitcnt vmcnt(11) lgkmcnt(11)
	v_mul_f32_e32 v187, v62, v11
	v_fmac_f32_e32 v186, v61, v8
	v_add_f32_e32 v105, v105, v185
	v_mul_f32_e32 v188, v64, v13
	v_fmac_f32_e32 v187, v63, v10
	v_add_f32_e32 v105, v105, v186
	;; [unrolled: 7-line block ×8, first 2 shown]
	s_waitcnt vmcnt(4) lgkmcnt(4)
	v_mul_f32_e32 v203, v90, v39
	v_fmac_f32_e32 v202, v89, v36
	v_add_f32_e32 v105, v105, v201
	v_fmac_f32_e32 v203, v91, v38
	v_add_f32_e32 v105, v105, v202
	v_add_f32_e32 v105, v105, v203
	scratch_load_dwordx4 v[184:187], off, off offset:224
	scratch_load_dwordx4 v[188:191], off, off offset:240
	;; [unrolled: 1-line block ×3, first 2 shown]
	scratch_load_dwordx2 v[202:203], off, off offset:272
	v_mul_f32_e32 v3, v55, v3
	v_fma_f32 v2, v54, v2, -v3
	v_mul_f32_e32 v3, v57, v5
	v_add_f32_e32 v2, 0, v2
	v_fma_f32 v3, v56, v4, -v3
	v_add_f32_e32 v2, v2, v3
	v_mul_f32_e32 v3, v59, v7
	v_fma_f32 v3, v58, v6, -v3
	v_add_f32_e32 v2, v2, v3
	v_mul_f32_e32 v3, v61, v9
	;; [unrolled: 3-line block ×18, first 2 shown]
	v_fma_f32 v3, v92, v40, -v3
	v_add_f32_e32 v2, v2, v3
	s_waitcnt vmcnt(7) lgkmcnt(3)
	v_mul_f32_e32 v3, v95, v43
	v_fma_f32 v3, v94, v42, -v3
	v_mul_f32_e32 v204, v92, v41
	v_add_f32_e32 v2, v2, v3
	v_mul_f32_e32 v3, v97, v45
	v_mul_f32_e32 v205, v94, v43
	v_fmac_f32_e32 v204, v93, v40
	v_fma_f32 v3, v96, v44, -v3
	v_mul_f32_e32 v206, v96, v45
	v_fmac_f32_e32 v205, v95, v42
	v_add_f32_e32 v105, v105, v204
	v_add_f32_e32 v2, v2, v3
	s_waitcnt vmcnt(6) lgkmcnt(2)
	v_mul_f32_e32 v3, v99, v47
	v_mul_f32_e32 v207, v98, v47
	v_fmac_f32_e32 v206, v97, v44
	v_add_f32_e32 v105, v105, v205
	v_fma_f32 v3, v98, v46, -v3
	v_mul_f32_e32 v197, v100, v49
	v_fmac_f32_e32 v207, v99, v46
	v_add_f32_e32 v105, v105, v206
	v_add_f32_e32 v200, v2, v3
	v_mul_f32_e32 v2, v101, v49
	s_waitcnt vmcnt(5)
	v_mov_b32_e32 v14, v53
	s_waitcnt lgkmcnt(1)
	v_mul_f32_e32 v199, v106, v51
	v_fmac_f32_e32 v197, v101, v48
	v_add_f32_e32 v201, v105, v207
	v_fma_f32 v196, v100, v48, -v2
	v_mul_f32_e32 v2, v107, v51
	v_pk_mul_f32 v[14:15], v[108:109], v[14:15] op_sel:[1,0] op_sel_hi:[0,0]
	v_fmac_f32_e32 v199, v107, v50
	v_fma_f32 v198, v106, v50, -v2
	v_pk_add_f32 v[12:13], v[200:201], v[196:197]
	v_pk_fma_f32 v[16:17], v[108:109], v[52:53], v[14:15] neg_lo:[0,0,1] neg_hi:[0,0,1]
	v_pk_fma_f32 v[14:15], v[108:109], v[52:53], v[14:15] op_sel_hi:[1,0,1]
	v_pk_add_f32 v[12:13], v[12:13], v[198:199]
	v_mov_b32_e32 v17, v15
	s_waitcnt vmcnt(3) lgkmcnt(0)
	v_pk_mul_f32 v[14:15], v[110:111], v[184:185] op_sel:[1,1] op_sel_hi:[0,1]
	v_pk_add_f32 v[12:13], v[12:13], v[16:17]
	v_pk_fma_f32 v[16:17], v[110:111], v[184:185], v[14:15] neg_lo:[0,0,1] neg_hi:[0,0,1]
	v_pk_fma_f32 v[14:15], v[110:111], v[184:185], v[14:15] op_sel_hi:[1,0,1]
	ds_read_b128 v[2:5], v104 offset:528
	ds_read_b128 v[6:9], v104 offset:544
	ds_read_b64 v[10:11], v104 offset:560
	v_mov_b32_e32 v14, v187
	v_mov_b32_e32 v17, v15
	v_pk_mul_f32 v[14:15], v[112:113], v[14:15] op_sel:[1,0] op_sel_hi:[0,0]
	v_pk_add_f32 v[12:13], v[12:13], v[16:17]
	v_pk_fma_f32 v[16:17], v[112:113], v[186:187], v[14:15] neg_lo:[0,0,1] neg_hi:[0,0,1]
	v_pk_fma_f32 v[14:15], v[112:113], v[186:187], v[14:15] op_sel_hi:[1,0,1]
	s_nop 0
	v_mov_b32_e32 v17, v15
	s_waitcnt vmcnt(2) lgkmcnt(2)
	v_pk_mul_f32 v[14:15], v[2:3], v[188:189] op_sel:[1,1] op_sel_hi:[0,1]
	v_pk_add_f32 v[12:13], v[12:13], v[16:17]
	v_pk_fma_f32 v[16:17], v[2:3], v[188:189], v[14:15] neg_lo:[0,0,1] neg_hi:[0,0,1]
	v_pk_fma_f32 v[2:3], v[2:3], v[188:189], v[14:15] op_sel_hi:[1,0,1]
	s_nop 0
	v_mov_b32_e32 v17, v3
	v_pk_add_f32 v[2:3], v[12:13], v[16:17]
	v_mov_b32_e32 v12, v191
	v_pk_mul_f32 v[12:13], v[4:5], v[12:13] op_sel:[1,0] op_sel_hi:[0,0]
	v_pk_fma_f32 v[14:15], v[4:5], v[190:191], v[12:13] neg_lo:[0,0,1] neg_hi:[0,0,1]
	v_pk_fma_f32 v[4:5], v[4:5], v[190:191], v[12:13] op_sel_hi:[1,0,1]
	s_nop 0
	v_mov_b32_e32 v15, v5
	s_waitcnt vmcnt(1) lgkmcnt(1)
	v_pk_mul_f32 v[4:5], v[6:7], v[192:193] op_sel:[1,1] op_sel_hi:[0,1]
	v_pk_fma_f32 v[12:13], v[6:7], v[192:193], v[4:5] neg_lo:[0,0,1] neg_hi:[0,0,1]
	v_pk_fma_f32 v[4:5], v[6:7], v[192:193], v[4:5] op_sel_hi:[1,0,1]
	v_pk_add_f32 v[2:3], v[2:3], v[14:15]
	v_mov_b32_e32 v4, v195
	v_mov_b32_e32 v13, v5
	v_pk_mul_f32 v[4:5], v[8:9], v[4:5] op_sel:[1,0] op_sel_hi:[0,0]
	v_pk_fma_f32 v[6:7], v[8:9], v[194:195], v[4:5] neg_lo:[0,0,1] neg_hi:[0,0,1]
	v_pk_fma_f32 v[4:5], v[8:9], v[194:195], v[4:5] op_sel_hi:[1,0,1]
	v_pk_add_f32 v[2:3], v[2:3], v[12:13]
	v_mov_b32_e32 v7, v5
	s_waitcnt vmcnt(0) lgkmcnt(0)
	v_pk_mul_f32 v[4:5], v[10:11], v[202:203] op_sel:[1,1] op_sel_hi:[0,1]
	v_pk_add_f32 v[2:3], v[2:3], v[6:7]
	v_pk_fma_f32 v[6:7], v[10:11], v[202:203], v[4:5] neg_lo:[0,0,1] neg_hi:[0,0,1]
	v_pk_fma_f32 v[4:5], v[10:11], v[202:203], v[4:5] op_sel_hi:[1,0,1]
	s_nop 0
	v_mov_b32_e32 v7, v5
	v_pk_add_f32 v[2:3], v[2:3], v[6:7]
	s_nop 0
	v_pk_add_f32 v[2:3], v[102:103], v[2:3] neg_lo:[0,1] neg_hi:[0,1]
	scratch_store_dwordx2 off, v[2:3], off offset:8
	s_and_saveexec_b64 s[0:1], vcc
	s_cbranch_execz .LBB34_223
; %bb.222:
	scratch_load_dwordx2 v[2:3], off, off
	v_mov_b32_e32 v105, v104
	scratch_store_dwordx2 off, v[104:105], off
	s_waitcnt vmcnt(1)
	ds_write_b64 v1, v[2:3]
.LBB34_223:
	s_or_b64 exec, exec, s[0:1]
	s_waitcnt lgkmcnt(0)
	; wave barrier
	scratch_load_dwordx4 v[0:3], off, off offset:8
	scratch_load_dwordx4 v[4:7], off, off offset:24
	;; [unrolled: 1-line block ×13, first 2 shown]
	ds_read2_b64 v[100:103], v104 offset0:37 offset1:38
	ds_read2_b64 v[96:99], v104 offset0:39 offset1:40
	;; [unrolled: 1-line block ×14, first 2 shown]
	scratch_load_dwordx2 v[196:197], off, off
	s_and_b64 vcc, exec, s[18:19]
	s_waitcnt vmcnt(13) lgkmcnt(13)
	v_mul_f32_e32 v105, v100, v1
	v_mul_f32_e32 v110, v102, v3
	v_fmac_f32_e32 v105, v101, v0
	s_waitcnt vmcnt(12) lgkmcnt(12)
	v_mul_f32_e32 v111, v96, v5
	v_fmac_f32_e32 v110, v103, v2
	v_add_f32_e32 v105, 0, v105
	v_mul_f32_e32 v112, v98, v7
	v_fmac_f32_e32 v111, v97, v4
	v_add_f32_e32 v105, v105, v110
	s_waitcnt vmcnt(11) lgkmcnt(11)
	v_mul_f32_e32 v113, v92, v9
	v_fmac_f32_e32 v112, v99, v6
	v_add_f32_e32 v105, v105, v111
	v_mul_f32_e32 v184, v94, v11
	v_fmac_f32_e32 v113, v93, v8
	v_add_f32_e32 v105, v105, v112
	;; [unrolled: 7-line block ×7, first 2 shown]
	s_waitcnt vmcnt(5) lgkmcnt(5)
	v_mul_f32_e32 v195, v68, v33
	v_fmac_f32_e32 v194, v75, v30
	v_add_f32_e32 v105, v105, v193
	v_fmac_f32_e32 v195, v69, v32
	v_add_f32_e32 v105, v105, v194
	v_add_f32_e32 v105, v105, v195
	scratch_load_dwordx4 v[110:113], off, off offset:216
	scratch_load_dwordx4 v[184:187], off, off offset:232
	;; [unrolled: 1-line block ×4, first 2 shown]
	v_mul_f32_e32 v1, v101, v1
	v_fma_f32 v0, v100, v0, -v1
	v_mul_f32_e32 v1, v103, v3
	v_add_f32_e32 v0, 0, v0
	v_fma_f32 v1, v102, v2, -v1
	v_add_f32_e32 v0, v0, v1
	v_mul_f32_e32 v1, v97, v5
	v_fma_f32 v1, v96, v4, -v1
	v_add_f32_e32 v0, v0, v1
	v_mul_f32_e32 v1, v99, v7
	;; [unrolled: 3-line block ×16, first 2 shown]
	v_fma_f32 v1, v70, v34, -v1
	v_add_f32_e32 v0, v0, v1
	s_waitcnt vmcnt(8) lgkmcnt(4)
	v_mul_f32_e32 v1, v65, v37
	v_fma_f32 v1, v64, v36, -v1
	v_add_f32_e32 v0, v0, v1
	v_mul_f32_e32 v1, v67, v39
	v_fma_f32 v1, v66, v38, -v1
	v_add_f32_e32 v0, v0, v1
	s_waitcnt vmcnt(7) lgkmcnt(3)
	v_mul_f32_e32 v1, v61, v41
	v_mul_f32_e32 v198, v70, v35
	v_fma_f32 v1, v60, v40, -v1
	v_mul_f32_e32 v200, v64, v37
	v_fmac_f32_e32 v198, v71, v34
	v_add_f32_e32 v0, v0, v1
	v_mul_f32_e32 v1, v63, v43
	v_mul_f32_e32 v202, v66, v39
	v_fmac_f32_e32 v200, v65, v36
	v_add_f32_e32 v105, v105, v198
	v_fma_f32 v1, v62, v42, -v1
	v_mul_f32_e32 v203, v60, v41
	v_fmac_f32_e32 v202, v67, v38
	v_add_f32_e32 v105, v105, v200
	v_add_f32_e32 v0, v0, v1
	s_waitcnt vmcnt(6) lgkmcnt(2)
	v_mul_f32_e32 v1, v57, v45
	v_mul_f32_e32 v204, v62, v43
	v_fmac_f32_e32 v203, v61, v40
	v_add_f32_e32 v105, v105, v202
	v_fma_f32 v1, v56, v44, -v1
	v_mul_f32_e32 v205, v56, v45
	v_fmac_f32_e32 v204, v63, v42
	v_add_f32_e32 v105, v105, v203
	v_add_f32_e32 v0, v0, v1
	v_mul_f32_e32 v1, v59, v47
	v_mul_f32_e32 v206, v58, v47
	v_fmac_f32_e32 v205, v57, v44
	v_add_f32_e32 v105, v105, v204
	v_fma_f32 v1, v58, v46, -v1
	s_waitcnt vmcnt(5) lgkmcnt(1)
	v_mul_f32_e32 v199, v52, v49
	v_fmac_f32_e32 v206, v59, v46
	v_add_f32_e32 v105, v105, v205
	v_add_f32_e32 v202, v0, v1
	v_mul_f32_e32 v0, v53, v49
	s_waitcnt vmcnt(3) lgkmcnt(0)
	v_pk_mul_f32 v[14:15], v[106:107], v[110:111] op_sel:[1,1] op_sel_hi:[0,1]
	v_mul_f32_e32 v201, v54, v51
	v_fmac_f32_e32 v199, v53, v48
	v_add_f32_e32 v203, v105, v206
	v_fma_f32 v198, v52, v48, -v0
	v_mul_f32_e32 v0, v55, v51
	v_pk_fma_f32 v[16:17], v[106:107], v[110:111], v[14:15] neg_lo:[0,0,1] neg_hi:[0,0,1]
	v_pk_fma_f32 v[14:15], v[106:107], v[110:111], v[14:15] op_sel_hi:[1,0,1]
	v_fmac_f32_e32 v201, v55, v50
	v_fma_f32 v200, v54, v50, -v0
	ds_read2_b64 v[0:3], v104 offset0:65 offset1:66
	ds_read2_b64 v[4:7], v104 offset0:67 offset1:68
	;; [unrolled: 1-line block ×3, first 2 shown]
	v_pk_add_f32 v[12:13], v[202:203], v[198:199]
	v_mov_b32_e32 v14, v113
	v_pk_add_f32 v[12:13], v[12:13], v[200:201]
	v_mov_b32_e32 v17, v15
	v_pk_mul_f32 v[14:15], v[108:109], v[14:15] op_sel:[1,0] op_sel_hi:[0,0]
	v_pk_add_f32 v[12:13], v[12:13], v[16:17]
	v_pk_fma_f32 v[16:17], v[108:109], v[112:113], v[14:15] neg_lo:[0,0,1] neg_hi:[0,0,1]
	v_pk_fma_f32 v[14:15], v[108:109], v[112:113], v[14:15] op_sel_hi:[1,0,1]
	s_nop 0
	v_mov_b32_e32 v17, v15
	s_waitcnt vmcnt(2) lgkmcnt(2)
	v_pk_mul_f32 v[14:15], v[0:1], v[184:185] op_sel:[1,1] op_sel_hi:[0,1]
	v_pk_add_f32 v[12:13], v[12:13], v[16:17]
	v_pk_fma_f32 v[16:17], v[0:1], v[184:185], v[14:15] neg_lo:[0,0,1] neg_hi:[0,0,1]
	v_pk_fma_f32 v[0:1], v[0:1], v[184:185], v[14:15] op_sel_hi:[1,0,1]
	s_nop 0
	v_mov_b32_e32 v17, v1
	v_pk_add_f32 v[0:1], v[12:13], v[16:17]
	v_mov_b32_e32 v12, v187
	v_pk_mul_f32 v[12:13], v[2:3], v[12:13] op_sel:[1,0] op_sel_hi:[0,0]
	v_pk_fma_f32 v[14:15], v[2:3], v[186:187], v[12:13] neg_lo:[0,0,1] neg_hi:[0,0,1]
	v_pk_fma_f32 v[2:3], v[2:3], v[186:187], v[12:13] op_sel_hi:[1,0,1]
	s_nop 0
	v_mov_b32_e32 v15, v3
	s_waitcnt vmcnt(1) lgkmcnt(1)
	v_pk_mul_f32 v[2:3], v[4:5], v[188:189] op_sel:[1,1] op_sel_hi:[0,1]
	v_pk_fma_f32 v[12:13], v[4:5], v[188:189], v[2:3] neg_lo:[0,0,1] neg_hi:[0,0,1]
	v_pk_fma_f32 v[2:3], v[4:5], v[188:189], v[2:3] op_sel_hi:[1,0,1]
	v_pk_add_f32 v[0:1], v[0:1], v[14:15]
	v_mov_b32_e32 v2, v191
	v_mov_b32_e32 v13, v3
	v_pk_mul_f32 v[2:3], v[6:7], v[2:3] op_sel:[1,0] op_sel_hi:[0,0]
	v_pk_fma_f32 v[4:5], v[6:7], v[190:191], v[2:3] neg_lo:[0,0,1] neg_hi:[0,0,1]
	v_pk_fma_f32 v[2:3], v[6:7], v[190:191], v[2:3] op_sel_hi:[1,0,1]
	v_pk_add_f32 v[0:1], v[0:1], v[12:13]
	v_mov_b32_e32 v5, v3
	s_waitcnt vmcnt(0) lgkmcnt(0)
	v_pk_mul_f32 v[2:3], v[8:9], v[192:193] op_sel:[1,1] op_sel_hi:[0,1]
	v_pk_add_f32 v[0:1], v[0:1], v[4:5]
	v_pk_fma_f32 v[4:5], v[8:9], v[192:193], v[2:3] neg_lo:[0,0,1] neg_hi:[0,0,1]
	v_pk_fma_f32 v[2:3], v[8:9], v[192:193], v[2:3] op_sel_hi:[1,0,1]
	s_nop 0
	v_mov_b32_e32 v2, v195
	v_mov_b32_e32 v5, v3
	v_pk_mul_f32 v[2:3], v[10:11], v[2:3] op_sel:[1,0] op_sel_hi:[0,0]
	v_pk_add_f32 v[0:1], v[0:1], v[4:5]
	v_pk_fma_f32 v[4:5], v[10:11], v[194:195], v[2:3] neg_lo:[0,0,1] neg_hi:[0,0,1]
	v_pk_fma_f32 v[2:3], v[10:11], v[194:195], v[2:3] op_sel_hi:[1,0,1]
	s_nop 0
	v_mov_b32_e32 v5, v3
	v_pk_add_f32 v[0:1], v[0:1], v[4:5]
	s_nop 0
	v_pk_add_f32 v[0:1], v[196:197], v[0:1] neg_lo:[0,1] neg_hi:[0,1]
	scratch_store_dwordx2 off, v[0:1], off
	s_cbranch_vccz .LBB34_292
; %bb.224:
	v_mov_b32_e32 v0, 0
	global_load_dword v1, v0, s[16:17] offset:132
	s_waitcnt vmcnt(0)
	v_readfirstlane_b32 s0, v1
	s_add_i32 s0, s0, -1
	s_cmp_lg_u32 s0, 33
	s_cbranch_scc0 .LBB34_226
; %bb.225:
	s_lshl_b32 s0, s0, 3
	s_nop 0
	scratch_load_dwordx2 v[2:3], off, s0
	scratch_load_dwordx2 v[4:5], off, off offset:264
	s_waitcnt vmcnt(1)
	scratch_store_dwordx2 off, v[2:3], off offset:264
	s_waitcnt vmcnt(1)
	scratch_store_dwordx2 off, v[4:5], s0
.LBB34_226:
	global_load_dword v0, v0, s[16:17] offset:128
	s_waitcnt vmcnt(0)
	v_readfirstlane_b32 s0, v0
	s_add_i32 s0, s0, -1
	s_cmp_eq_u32 s0, 32
	s_cbranch_scc1 .LBB34_228
; %bb.227:
	s_lshl_b32 s0, s0, 3
	s_nop 0
	scratch_load_dwordx2 v[0:1], off, s0
	scratch_load_dwordx2 v[2:3], off, off offset:256
	s_waitcnt vmcnt(1)
	scratch_store_dwordx2 off, v[0:1], off offset:256
	s_waitcnt vmcnt(1)
	scratch_store_dwordx2 off, v[2:3], s0
.LBB34_228:
	v_mov_b32_e32 v0, 0
	global_load_dword v1, v0, s[16:17] offset:124
	s_waitcnt vmcnt(0)
	v_readfirstlane_b32 s0, v1
	s_add_i32 s0, s0, -1
	s_cmp_eq_u32 s0, 31
	s_cbranch_scc1 .LBB34_230
; %bb.229:
	s_lshl_b32 s0, s0, 3
	s_nop 0
	scratch_load_dwordx2 v[2:3], off, s0
	scratch_load_dwordx2 v[4:5], off, off offset:248
	s_waitcnt vmcnt(1)
	scratch_store_dwordx2 off, v[2:3], off offset:248
	s_waitcnt vmcnt(1)
	scratch_store_dwordx2 off, v[4:5], s0
.LBB34_230:
	global_load_dword v0, v0, s[16:17] offset:120
	s_waitcnt vmcnt(0)
	v_readfirstlane_b32 s0, v0
	s_add_i32 s0, s0, -1
	s_cmp_eq_u32 s0, 30
	s_cbranch_scc1 .LBB34_232
; %bb.231:
	s_lshl_b32 s0, s0, 3
	s_nop 0
	scratch_load_dwordx2 v[0:1], off, s0
	scratch_load_dwordx2 v[2:3], off, off offset:240
	s_waitcnt vmcnt(1)
	scratch_store_dwordx2 off, v[0:1], off offset:240
	s_waitcnt vmcnt(1)
	scratch_store_dwordx2 off, v[2:3], s0
.LBB34_232:
	v_mov_b32_e32 v0, 0
	global_load_dword v1, v0, s[16:17] offset:116
	s_waitcnt vmcnt(0)
	v_readfirstlane_b32 s0, v1
	s_add_i32 s0, s0, -1
	s_cmp_eq_u32 s0, 29
	s_cbranch_scc1 .LBB34_234
; %bb.233:
	s_lshl_b32 s0, s0, 3
	s_nop 0
	scratch_load_dwordx2 v[2:3], off, s0
	scratch_load_dwordx2 v[4:5], off, off offset:232
	s_waitcnt vmcnt(1)
	scratch_store_dwordx2 off, v[2:3], off offset:232
	s_waitcnt vmcnt(1)
	scratch_store_dwordx2 off, v[4:5], s0
.LBB34_234:
	;; [unrolled: 33-line block ×16, first 2 shown]
	global_load_dword v2, v0, s[16:17]
	s_nop 0
	scratch_load_dwordx2 v[0:1], off, off
	s_waitcnt vmcnt(1)
	v_readfirstlane_b32 s0, v2
	s_add_i32 s0, s0, -1
	s_cmp_eq_u32 s0, 0
	s_cbranch_scc1 .LBB34_292
; %bb.291:
	s_lshl_b32 s0, s0, 3
	s_nop 0
	scratch_load_dwordx2 v[2:3], off, s0
	s_waitcnt vmcnt(0)
	scratch_store_dwordx2 off, v[2:3], off
	scratch_store_dwordx2 off, v[0:1], s0
	scratch_load_dwordx2 v[0:1], off, off
.LBB34_292:
	s_nop 0
	scratch_load_dwordx4 v[2:5], off, off offset:8
	scratch_load_dwordx4 v[6:9], off, off offset:24
	;; [unrolled: 1-line block ×17, first 2 shown]
	s_waitcnt vmcnt(17)
	global_store_dwordx2 v[114:115], v[0:1], off
	s_waitcnt vmcnt(17)
	global_store_dwordx2 v[116:117], v[2:3], off
	global_store_dwordx2 v[118:119], v[4:5], off
	s_waitcnt vmcnt(18)
	global_store_dwordx2 v[120:121], v[6:7], off
	;; [unrolled: 3-line block ×17, first 2 shown]
	global_store_dwordx2 v[182:183], v[68:69], off
	s_endpgm
	.section	.rodata,"a",@progbits
	.p2align	6, 0x0
	.amdhsa_kernel _ZN9rocsolver6v33100L18getri_kernel_smallILi35E19rocblas_complex_numIfEPS3_EEvT1_iilPiilS6_bb
		.amdhsa_group_segment_fixed_size 568
		.amdhsa_private_segment_fixed_size 288
		.amdhsa_kernarg_size 60
		.amdhsa_user_sgpr_count 2
		.amdhsa_user_sgpr_dispatch_ptr 0
		.amdhsa_user_sgpr_queue_ptr 0
		.amdhsa_user_sgpr_kernarg_segment_ptr 1
		.amdhsa_user_sgpr_dispatch_id 0
		.amdhsa_user_sgpr_kernarg_preload_length 0
		.amdhsa_user_sgpr_kernarg_preload_offset 0
		.amdhsa_user_sgpr_private_segment_size 0
		.amdhsa_uses_dynamic_stack 0
		.amdhsa_enable_private_segment 1
		.amdhsa_system_sgpr_workgroup_id_x 1
		.amdhsa_system_sgpr_workgroup_id_y 0
		.amdhsa_system_sgpr_workgroup_id_z 0
		.amdhsa_system_sgpr_workgroup_info 0
		.amdhsa_system_vgpr_workitem_id 0
		.amdhsa_next_free_vgpr 211
		.amdhsa_next_free_sgpr 20
		.amdhsa_accum_offset 212
		.amdhsa_reserve_vcc 1
		.amdhsa_float_round_mode_32 0
		.amdhsa_float_round_mode_16_64 0
		.amdhsa_float_denorm_mode_32 3
		.amdhsa_float_denorm_mode_16_64 3
		.amdhsa_dx10_clamp 1
		.amdhsa_ieee_mode 1
		.amdhsa_fp16_overflow 0
		.amdhsa_tg_split 0
		.amdhsa_exception_fp_ieee_invalid_op 0
		.amdhsa_exception_fp_denorm_src 0
		.amdhsa_exception_fp_ieee_div_zero 0
		.amdhsa_exception_fp_ieee_overflow 0
		.amdhsa_exception_fp_ieee_underflow 0
		.amdhsa_exception_fp_ieee_inexact 0
		.amdhsa_exception_int_div_zero 0
	.end_amdhsa_kernel
	.section	.text._ZN9rocsolver6v33100L18getri_kernel_smallILi35E19rocblas_complex_numIfEPS3_EEvT1_iilPiilS6_bb,"axG",@progbits,_ZN9rocsolver6v33100L18getri_kernel_smallILi35E19rocblas_complex_numIfEPS3_EEvT1_iilPiilS6_bb,comdat
.Lfunc_end34:
	.size	_ZN9rocsolver6v33100L18getri_kernel_smallILi35E19rocblas_complex_numIfEPS3_EEvT1_iilPiilS6_bb, .Lfunc_end34-_ZN9rocsolver6v33100L18getri_kernel_smallILi35E19rocblas_complex_numIfEPS3_EEvT1_iilPiilS6_bb
                                        ; -- End function
	.set _ZN9rocsolver6v33100L18getri_kernel_smallILi35E19rocblas_complex_numIfEPS3_EEvT1_iilPiilS6_bb.num_vgpr, 211
	.set _ZN9rocsolver6v33100L18getri_kernel_smallILi35E19rocblas_complex_numIfEPS3_EEvT1_iilPiilS6_bb.num_agpr, 0
	.set _ZN9rocsolver6v33100L18getri_kernel_smallILi35E19rocblas_complex_numIfEPS3_EEvT1_iilPiilS6_bb.numbered_sgpr, 20
	.set _ZN9rocsolver6v33100L18getri_kernel_smallILi35E19rocblas_complex_numIfEPS3_EEvT1_iilPiilS6_bb.num_named_barrier, 0
	.set _ZN9rocsolver6v33100L18getri_kernel_smallILi35E19rocblas_complex_numIfEPS3_EEvT1_iilPiilS6_bb.private_seg_size, 288
	.set _ZN9rocsolver6v33100L18getri_kernel_smallILi35E19rocblas_complex_numIfEPS3_EEvT1_iilPiilS6_bb.uses_vcc, 1
	.set _ZN9rocsolver6v33100L18getri_kernel_smallILi35E19rocblas_complex_numIfEPS3_EEvT1_iilPiilS6_bb.uses_flat_scratch, 0
	.set _ZN9rocsolver6v33100L18getri_kernel_smallILi35E19rocblas_complex_numIfEPS3_EEvT1_iilPiilS6_bb.has_dyn_sized_stack, 0
	.set _ZN9rocsolver6v33100L18getri_kernel_smallILi35E19rocblas_complex_numIfEPS3_EEvT1_iilPiilS6_bb.has_recursion, 0
	.set _ZN9rocsolver6v33100L18getri_kernel_smallILi35E19rocblas_complex_numIfEPS3_EEvT1_iilPiilS6_bb.has_indirect_call, 0
	.section	.AMDGPU.csdata,"",@progbits
; Kernel info:
; codeLenInByte = 41020
; TotalNumSgprs: 26
; NumVgprs: 211
; NumAgprs: 0
; TotalNumVgprs: 211
; ScratchSize: 288
; MemoryBound: 0
; FloatMode: 240
; IeeeMode: 1
; LDSByteSize: 568 bytes/workgroup (compile time only)
; SGPRBlocks: 3
; VGPRBlocks: 26
; NumSGPRsForWavesPerEU: 26
; NumVGPRsForWavesPerEU: 211
; AccumOffset: 212
; Occupancy: 2
; WaveLimiterHint : 1
; COMPUTE_PGM_RSRC2:SCRATCH_EN: 1
; COMPUTE_PGM_RSRC2:USER_SGPR: 2
; COMPUTE_PGM_RSRC2:TRAP_HANDLER: 0
; COMPUTE_PGM_RSRC2:TGID_X_EN: 1
; COMPUTE_PGM_RSRC2:TGID_Y_EN: 0
; COMPUTE_PGM_RSRC2:TGID_Z_EN: 0
; COMPUTE_PGM_RSRC2:TIDIG_COMP_CNT: 0
; COMPUTE_PGM_RSRC3_GFX90A:ACCUM_OFFSET: 52
; COMPUTE_PGM_RSRC3_GFX90A:TG_SPLIT: 0
	.section	.text._ZN9rocsolver6v33100L18getri_kernel_smallILi36E19rocblas_complex_numIfEPS3_EEvT1_iilPiilS6_bb,"axG",@progbits,_ZN9rocsolver6v33100L18getri_kernel_smallILi36E19rocblas_complex_numIfEPS3_EEvT1_iilPiilS6_bb,comdat
	.globl	_ZN9rocsolver6v33100L18getri_kernel_smallILi36E19rocblas_complex_numIfEPS3_EEvT1_iilPiilS6_bb ; -- Begin function _ZN9rocsolver6v33100L18getri_kernel_smallILi36E19rocblas_complex_numIfEPS3_EEvT1_iilPiilS6_bb
	.p2align	8
	.type	_ZN9rocsolver6v33100L18getri_kernel_smallILi36E19rocblas_complex_numIfEPS3_EEvT1_iilPiilS6_bb,@function
_ZN9rocsolver6v33100L18getri_kernel_smallILi36E19rocblas_complex_numIfEPS3_EEvT1_iilPiilS6_bb: ; @_ZN9rocsolver6v33100L18getri_kernel_smallILi36E19rocblas_complex_numIfEPS3_EEvT1_iilPiilS6_bb
; %bb.0:
	v_cmp_gt_u32_e32 vcc, 36, v0
	s_and_saveexec_b64 s[4:5], vcc
	s_cbranch_execz .LBB35_158
; %bb.1:
	s_load_dword s8, s[0:1], 0x38
	s_load_dwordx4 s[12:15], s[0:1], 0x10
	s_load_dwordx4 s[4:7], s[0:1], 0x28
                                        ; implicit-def: $sgpr16_sgpr17
	s_waitcnt lgkmcnt(0)
	s_bitcmp1_b32 s8, 8
	s_cselect_b64 s[18:19], -1, 0
	s_ashr_i32 s3, s2, 31
	s_bfe_u32 s8, s8, 0x10008
	s_cmp_eq_u32 s8, 0
	s_cbranch_scc1 .LBB35_3
; %bb.2:
	s_load_dword s8, s[0:1], 0x20
	s_mul_i32 s9, s4, s3
	s_mul_hi_u32 s10, s4, s2
	s_mul_i32 s5, s5, s2
	s_add_i32 s10, s10, s9
	s_add_i32 s5, s10, s5
	s_mul_i32 s4, s4, s2
	s_waitcnt lgkmcnt(0)
	s_ashr_i32 s9, s8, 31
	s_lshl_b64 s[4:5], s[4:5], 2
	s_add_u32 s10, s14, s4
	s_addc_u32 s11, s15, s5
	s_lshl_b64 s[4:5], s[8:9], 2
	s_add_u32 s16, s10, s4
	s_addc_u32 s17, s11, s5
.LBB35_3:
	s_load_dwordx4 s[8:11], s[0:1], 0x0
	s_load_dword s4, s[0:1], 0x38
	s_mul_i32 s5, s12, s3
	s_mul_hi_u32 s14, s12, s2
	s_add_i32 s5, s14, s5
	s_waitcnt lgkmcnt(0)
	s_ashr_i32 s1, s10, 31
	s_mov_b32 s0, s10
	s_mul_i32 s10, s13, s2
	s_add_i32 s13, s5, s10
	s_mul_i32 s12, s12, s2
	s_lshl_b64 s[12:13], s[12:13], 3
	s_add_u32 s5, s8, s12
	s_addc_u32 s8, s9, s13
	s_lshl_b64 s[0:1], s[0:1], 3
	s_add_u32 s0, s5, s0
	s_addc_u32 s1, s8, s1
	s_add_i32 s5, s11, s11
	v_add_u32_e32 v4, s5, v0
	v_ashrrev_i32_e32 v5, 31, v4
	v_lshl_add_u64 v[118:119], v[4:5], 3, s[0:1]
	v_add_u32_e32 v4, s11, v4
	v_ashrrev_i32_e32 v5, 31, v4
	v_lshl_add_u64 v[120:121], v[4:5], 3, s[0:1]
	;; [unrolled: 3-line block ×32, first 2 shown]
	v_add_u32_e32 v4, s11, v4
	v_lshlrev_b32_e32 v2, 3, v0
	v_mov_b32_e32 v3, 0
	v_ashrrev_i32_e32 v5, 31, v4
	v_lshl_add_u64 v[114:115], s[0:1], 0, v[2:3]
	s_ashr_i32 s9, s11, 31
	s_mov_b32 s8, s11
	v_lshl_add_u64 v[182:183], v[4:5], 3, s[0:1]
	v_add_u32_e32 v4, s11, v4
	v_lshl_add_u64 v[116:117], s[8:9], 3, v[114:115]
	v_ashrrev_i32_e32 v5, 31, v4
	global_load_dwordx2 v[6:7], v2, s[0:1]
	global_load_dwordx2 v[8:9], v[116:117], off
	global_load_dwordx2 v[10:11], v[118:119], off
	;; [unrolled: 1-line block ×32, first 2 shown]
	v_lshl_add_u64 v[184:185], v[4:5], 3, s[0:1]
	global_load_dwordx2 v[72:73], v[180:181], off
	global_load_dwordx2 v[74:75], v[182:183], off
	;; [unrolled: 1-line block ×3, first 2 shown]
	s_bitcmp0_b32 s4, 0
	s_mov_b64 s[4:5], -1
	s_waitcnt vmcnt(34)
	scratch_store_dwordx4 off, v[6:9], off
	s_waitcnt vmcnt(33)
	scratch_store_dwordx4 off, v[10:13], off offset:16
	s_waitcnt vmcnt(32)
	scratch_store_dwordx4 off, v[14:17], off offset:32
	;; [unrolled: 2-line block ×17, first 2 shown]
	s_cbranch_scc1 .LBB35_156
; %bb.4:
	v_cmp_eq_u32_e64 s[0:1], 0, v0
	s_and_saveexec_b64 s[4:5], s[0:1]
; %bb.5:
	v_mov_b32_e32 v1, 0
	ds_write_b32 v1, v1 offset:576
; %bb.6:
	s_or_b64 exec, exec, s[4:5]
	s_waitcnt lgkmcnt(0)
	; wave barrier
	scratch_load_dwordx2 v[4:5], v2, off
	s_waitcnt vmcnt(0)
	v_cmp_eq_f32_e32 vcc, 0, v4
	v_cmp_eq_f32_e64 s[4:5], 0, v5
	s_and_b64 s[4:5], vcc, s[4:5]
	s_and_saveexec_b64 s[8:9], s[4:5]
	s_cbranch_execz .LBB35_10
; %bb.7:
	v_mov_b32_e32 v1, 0
	ds_read_b32 v4, v1 offset:576
	v_add_u32_e32 v3, 1, v0
	s_waitcnt lgkmcnt(0)
	v_readfirstlane_b32 s4, v4
	s_cmp_eq_u32 s4, 0
	s_cselect_b64 s[10:11], -1, 0
	v_cmp_gt_i32_e32 vcc, s4, v3
	s_or_b64 s[10:11], s[10:11], vcc
	s_and_b64 exec, exec, s[10:11]
	s_cbranch_execz .LBB35_10
; %bb.8:
	s_mov_b64 s[10:11], 0
	v_mov_b32_e32 v4, s4
.LBB35_9:                               ; =>This Inner Loop Header: Depth=1
	ds_cmpst_rtn_b32 v4, v1, v4, v3 offset:576
	s_waitcnt lgkmcnt(0)
	v_cmp_ne_u32_e32 vcc, 0, v4
	v_cmp_le_i32_e64 s[4:5], v4, v3
	s_and_b64 s[4:5], vcc, s[4:5]
	s_and_b64 s[4:5], exec, s[4:5]
	s_or_b64 s[10:11], s[4:5], s[10:11]
	s_andn2_b64 exec, exec, s[10:11]
	s_cbranch_execnz .LBB35_9
.LBB35_10:
	s_or_b64 exec, exec, s[8:9]
	v_mov_b32_e32 v3, 0
	; wave barrier
	ds_read_b32 v1, v3 offset:576
	s_and_saveexec_b64 s[4:5], s[0:1]
	s_cbranch_execz .LBB35_12
; %bb.11:
	s_lshl_b64 s[8:9], s[2:3], 2
	s_add_u32 s8, s6, s8
	s_addc_u32 s9, s7, s9
	s_waitcnt lgkmcnt(0)
	global_store_dword v3, v1, s[8:9]
.LBB35_12:
	s_or_b64 exec, exec, s[4:5]
	s_waitcnt lgkmcnt(0)
	v_cmp_ne_u32_e32 vcc, 0, v1
	s_mov_b64 s[4:5], 0
	s_cbranch_vccnz .LBB35_156
; %bb.13:
	v_mov_b32_e32 v3, v2
	scratch_load_dwordx2 v[4:5], v3, off
                                        ; implicit-def: $vgpr7
                                        ; implicit-def: $vgpr8
	s_waitcnt vmcnt(0)
	v_cmp_ngt_f32_e64 s[4:5], |v4|, |v5|
	s_and_saveexec_b64 s[8:9], s[4:5]
	s_xor_b64 s[4:5], exec, s[8:9]
	s_cbranch_execz .LBB35_15
; %bb.14:
	v_div_scale_f32 v1, s[8:9], v5, v5, v4
	v_rcp_f32_e32 v6, v1
	v_div_scale_f32 v7, vcc, v4, v5, v4
	v_fma_f32 v8, -v1, v6, 1.0
	v_fmac_f32_e32 v6, v8, v6
	v_mul_f32_e32 v8, v7, v6
	v_fma_f32 v9, -v1, v8, v7
	v_fmac_f32_e32 v8, v9, v6
	v_fma_f32 v1, -v1, v8, v7
	v_div_fmas_f32 v1, v1, v6, v8
	v_div_fixup_f32 v1, v1, v5, v4
	v_fmac_f32_e32 v5, v4, v1
	v_div_scale_f32 v4, s[8:9], v5, v5, -1.0
	v_rcp_f32_e32 v6, v4
	s_nop 0
	v_fma_f32 v7, -v4, v6, 1.0
	v_fmac_f32_e32 v6, v7, v6
	v_div_scale_f32 v7, vcc, -1.0, v5, -1.0
	v_mul_f32_e32 v8, v7, v6
	v_fma_f32 v9, -v4, v8, v7
	v_fmac_f32_e32 v8, v9, v6
	v_fma_f32 v4, -v4, v8, v7
	v_div_fmas_f32 v4, v4, v6, v8
	v_div_fixup_f32 v7, v4, v5, -1.0
	v_mul_f32_e32 v8, v1, v7
	v_xor_b32_e32 v6, 0x80000000, v8
                                        ; implicit-def: $vgpr4_vgpr5
.LBB35_15:
	s_andn2_saveexec_b64 s[4:5], s[4:5]
	s_cbranch_execz .LBB35_17
; %bb.16:
	v_div_scale_f32 v1, s[8:9], v4, v4, v5
	v_rcp_f32_e32 v6, v1
	v_div_scale_f32 v7, vcc, v5, v4, v5
	v_fma_f32 v8, -v1, v6, 1.0
	v_fmac_f32_e32 v6, v8, v6
	v_mul_f32_e32 v8, v7, v6
	v_fma_f32 v9, -v1, v8, v7
	v_fmac_f32_e32 v8, v9, v6
	v_fma_f32 v1, -v1, v8, v7
	v_div_fmas_f32 v1, v1, v6, v8
	v_div_fixup_f32 v1, v1, v4, v5
	v_fmac_f32_e32 v4, v5, v1
	v_div_scale_f32 v5, s[8:9], v4, v4, 1.0
	v_rcp_f32_e32 v6, v5
	s_nop 0
	v_fma_f32 v7, -v5, v6, 1.0
	v_fmac_f32_e32 v6, v7, v6
	v_div_scale_f32 v7, vcc, 1.0, v4, 1.0
	v_mul_f32_e32 v8, v7, v6
	v_fma_f32 v9, -v5, v8, v7
	v_fmac_f32_e32 v8, v9, v6
	v_fma_f32 v5, -v5, v8, v7
	v_div_fmas_f32 v5, v5, v6, v8
	v_div_fixup_f32 v6, v5, v4, 1.0
	v_xor_b32_e32 v8, 0x80000000, v6
	v_mul_f32_e64 v7, v1, -v6
.LBB35_17:
	s_or_b64 exec, exec, s[4:5]
	scratch_store_dwordx2 v3, v[6:7], off
	scratch_load_dwordx2 v[4:5], off, off offset:8
	v_xor_b32_e32 v9, 0x80000000, v7
	v_add_u32_e32 v1, 0x120, v2
	s_waitcnt vmcnt(0)
	ds_write2_b64 v2, v[8:9], v[4:5] offset1:36
	s_waitcnt lgkmcnt(0)
	; wave barrier
	s_and_saveexec_b64 s[4:5], s[0:1]
	s_cbranch_execz .LBB35_19
; %bb.18:
	scratch_load_dwordx2 v[4:5], v3, off
	ds_read_b64 v[6:7], v1
	v_mov_b32_e32 v8, 0
	ds_read_b64 v[8:9], v8 offset:8
	s_waitcnt vmcnt(0) lgkmcnt(1)
	v_pk_mul_f32 v[10:11], v[6:7], v[4:5] op_sel:[1,1] op_sel_hi:[0,1]
	v_pk_fma_f32 v[12:13], v[6:7], v[4:5], v[10:11] neg_lo:[0,0,1] neg_hi:[0,0,1]
	v_pk_fma_f32 v[4:5], v[6:7], v[4:5], v[10:11] op_sel_hi:[1,0,1]
	s_nop 0
	v_mov_b32_e32 v13, v5
	v_pk_add_f32 v[4:5], v[12:13], 0 op_sel_hi:[1,0]
	s_waitcnt lgkmcnt(0)
	v_pk_mul_f32 v[6:7], v[4:5], v[8:9] op_sel:[1,1] op_sel_hi:[0,1]
	v_pk_fma_f32 v[10:11], v[4:5], v[8:9], v[6:7] neg_lo:[0,0,1] neg_hi:[0,0,1]
	v_pk_fma_f32 v[4:5], v[4:5], v[8:9], v[6:7] op_sel_hi:[1,0,1]
	s_nop 0
	v_mov_b32_e32 v11, v5
	scratch_store_dwordx2 off, v[10:11], off offset:8
.LBB35_19:
	s_or_b64 exec, exec, s[4:5]
	; wave barrier
	scratch_load_dwordx2 v[4:5], off, off offset:16
	v_cmp_gt_u32_e32 vcc, 2, v0
	s_waitcnt vmcnt(0)
	ds_write_b64 v1, v[4:5]
	s_waitcnt lgkmcnt(0)
	; wave barrier
	s_and_saveexec_b64 s[4:5], vcc
	s_cbranch_execz .LBB35_23
; %bb.20:
	scratch_load_dwordx2 v[4:5], v3, off
	ds_read_b64 v[6:7], v1
	s_waitcnt vmcnt(0) lgkmcnt(0)
	v_pk_mul_f32 v[8:9], v[6:7], v[4:5] op_sel:[1,1] op_sel_hi:[0,1]
	v_pk_fma_f32 v[10:11], v[6:7], v[4:5], v[8:9] neg_lo:[0,0,1] neg_hi:[0,0,1]
	v_pk_fma_f32 v[4:5], v[6:7], v[4:5], v[8:9] op_sel_hi:[1,0,1]
	s_nop 0
	v_mov_b32_e32 v11, v5
	v_pk_add_f32 v[4:5], v[10:11], 0 op_sel_hi:[1,0]
	s_and_saveexec_b64 s[8:9], s[0:1]
	s_cbranch_execz .LBB35_22
; %bb.21:
	scratch_load_dwordx2 v[6:7], off, off offset:8
	v_mov_b32_e32 v3, 0
	ds_read_b64 v[8:9], v3 offset:296
	s_waitcnt vmcnt(0) lgkmcnt(0)
	v_pk_mul_f32 v[10:11], v[8:9], v[6:7] op_sel:[1,1] op_sel_hi:[0,1]
	v_pk_fma_f32 v[12:13], v[8:9], v[6:7], v[10:11] neg_lo:[0,0,1] neg_hi:[0,0,1]
	v_pk_fma_f32 v[6:7], v[8:9], v[6:7], v[10:11] op_sel_hi:[1,0,1]
	s_nop 0
	v_mov_b32_e32 v13, v7
	v_pk_add_f32 v[4:5], v[4:5], v[12:13]
.LBB35_22:
	s_or_b64 exec, exec, s[8:9]
	v_mov_b32_e32 v3, 0
	ds_read_b64 v[6:7], v3 offset:16
	s_waitcnt lgkmcnt(0)
	v_pk_mul_f32 v[8:9], v[4:5], v[6:7] op_sel:[1,1] op_sel_hi:[0,1]
	v_pk_fma_f32 v[10:11], v[4:5], v[6:7], v[8:9] neg_lo:[0,0,1] neg_hi:[0,0,1]
	v_pk_fma_f32 v[4:5], v[4:5], v[6:7], v[8:9] op_sel_hi:[1,0,1]
	s_nop 0
	v_mov_b32_e32 v11, v5
	scratch_store_dwordx2 off, v[10:11], off offset:16
.LBB35_23:
	s_or_b64 exec, exec, s[4:5]
	; wave barrier
	scratch_load_dwordx2 v[4:5], off, off offset:24
	v_cmp_gt_u32_e32 vcc, 3, v0
	v_add_u32_e32 v6, -1, v0
	s_waitcnt vmcnt(0)
	ds_write_b64 v1, v[4:5]
	s_waitcnt lgkmcnt(0)
	; wave barrier
	s_and_saveexec_b64 s[0:1], vcc
	s_cbranch_execz .LBB35_27
; %bb.24:
	v_mov_b32_e32 v4, 0
	v_add_u32_e32 v3, -1, v0
	v_add_u32_e32 v7, 0x120, v2
	v_mov_b32_e32 v8, v2
	s_mov_b64 s[4:5], 0
	v_mov_b32_e32 v5, v4
.LBB35_25:                              ; =>This Inner Loop Header: Depth=1
	scratch_load_dwordx2 v[10:11], v8, off
	ds_read_b64 v[12:13], v7
	v_add_u32_e32 v3, 1, v3
	v_cmp_lt_u32_e32 vcc, 1, v3
	v_add_u32_e32 v7, 8, v7
	v_add_u32_e32 v8, 8, v8
	s_or_b64 s[4:5], vcc, s[4:5]
	s_waitcnt vmcnt(0) lgkmcnt(0)
	v_pk_mul_f32 v[14:15], v[12:13], v[10:11] op_sel:[1,1] op_sel_hi:[0,1]
	v_pk_fma_f32 v[16:17], v[12:13], v[10:11], v[14:15] neg_lo:[0,0,1] neg_hi:[0,0,1]
	v_pk_fma_f32 v[10:11], v[12:13], v[10:11], v[14:15] op_sel_hi:[1,0,1]
	s_nop 0
	v_mov_b32_e32 v17, v11
	v_pk_add_f32 v[4:5], v[4:5], v[16:17]
	s_andn2_b64 exec, exec, s[4:5]
	s_cbranch_execnz .LBB35_25
; %bb.26:
	s_or_b64 exec, exec, s[4:5]
	v_mov_b32_e32 v3, 0
	ds_read_b64 v[8:9], v3 offset:24
	s_waitcnt lgkmcnt(0)
	v_pk_mul_f32 v[10:11], v[4:5], v[8:9] op_sel:[1,1] op_sel_hi:[0,1]
	v_pk_fma_f32 v[12:13], v[4:5], v[8:9], v[10:11] neg_lo:[0,0,1] neg_hi:[0,0,1]
	v_pk_fma_f32 v[4:5], v[4:5], v[8:9], v[10:11] op_sel_hi:[1,0,1]
	s_nop 0
	v_mov_b32_e32 v13, v5
	scratch_store_dwordx2 off, v[12:13], off offset:24
.LBB35_27:
	s_or_b64 exec, exec, s[0:1]
	; wave barrier
	scratch_load_dwordx2 v[4:5], off, off offset:32
	v_cmp_gt_u32_e32 vcc, 4, v0
	s_waitcnt vmcnt(0)
	ds_write_b64 v1, v[4:5]
	s_waitcnt lgkmcnt(0)
	; wave barrier
	s_and_saveexec_b64 s[0:1], vcc
	s_cbranch_execz .LBB35_31
; %bb.28:
	v_mov_b32_e32 v4, 0
	v_add_u32_e32 v3, -1, v0
	v_add_u32_e32 v7, 0x120, v2
	v_mov_b32_e32 v8, v2
	s_mov_b64 s[4:5], 0
	v_mov_b32_e32 v5, v4
.LBB35_29:                              ; =>This Inner Loop Header: Depth=1
	scratch_load_dwordx2 v[10:11], v8, off
	ds_read_b64 v[12:13], v7
	v_add_u32_e32 v3, 1, v3
	v_cmp_lt_u32_e32 vcc, 2, v3
	v_add_u32_e32 v7, 8, v7
	v_add_u32_e32 v8, 8, v8
	s_or_b64 s[4:5], vcc, s[4:5]
	s_waitcnt vmcnt(0) lgkmcnt(0)
	v_pk_mul_f32 v[14:15], v[12:13], v[10:11] op_sel:[1,1] op_sel_hi:[0,1]
	v_pk_fma_f32 v[16:17], v[12:13], v[10:11], v[14:15] neg_lo:[0,0,1] neg_hi:[0,0,1]
	v_pk_fma_f32 v[10:11], v[12:13], v[10:11], v[14:15] op_sel_hi:[1,0,1]
	s_nop 0
	v_mov_b32_e32 v17, v11
	v_pk_add_f32 v[4:5], v[4:5], v[16:17]
	s_andn2_b64 exec, exec, s[4:5]
	s_cbranch_execnz .LBB35_29
; %bb.30:
	s_or_b64 exec, exec, s[4:5]
	v_mov_b32_e32 v3, 0
	ds_read_b64 v[8:9], v3 offset:32
	s_waitcnt lgkmcnt(0)
	v_pk_mul_f32 v[10:11], v[4:5], v[8:9] op_sel:[1,1] op_sel_hi:[0,1]
	v_pk_fma_f32 v[12:13], v[4:5], v[8:9], v[10:11] neg_lo:[0,0,1] neg_hi:[0,0,1]
	v_pk_fma_f32 v[4:5], v[4:5], v[8:9], v[10:11] op_sel_hi:[1,0,1]
	s_nop 0
	v_mov_b32_e32 v13, v5
	scratch_store_dwordx2 off, v[12:13], off offset:32
.LBB35_31:
	s_or_b64 exec, exec, s[0:1]
	; wave barrier
	scratch_load_dwordx2 v[4:5], off, off offset:40
	v_cmp_gt_u32_e32 vcc, 5, v0
	;; [unrolled: 46-line block ×19, first 2 shown]
	s_waitcnt vmcnt(0)
	ds_write_b64 v1, v[4:5]
	s_waitcnt lgkmcnt(0)
	; wave barrier
	s_and_saveexec_b64 s[0:1], vcc
	s_cbranch_execz .LBB35_103
; %bb.100:
	v_mov_b32_e32 v4, 0
	v_add_u32_e32 v3, -1, v0
	v_add_u32_e32 v7, 0x120, v2
	v_mov_b32_e32 v8, v2
	s_mov_b64 s[4:5], 0
	v_mov_b32_e32 v5, v4
.LBB35_101:                             ; =>This Inner Loop Header: Depth=1
	scratch_load_dwordx2 v[10:11], v8, off
	ds_read_b64 v[12:13], v7
	v_add_u32_e32 v3, 1, v3
	v_cmp_lt_u32_e32 vcc, 20, v3
	v_add_u32_e32 v7, 8, v7
	v_add_u32_e32 v8, 8, v8
	s_or_b64 s[4:5], vcc, s[4:5]
	s_waitcnt vmcnt(0) lgkmcnt(0)
	v_pk_mul_f32 v[14:15], v[12:13], v[10:11] op_sel:[1,1] op_sel_hi:[0,1]
	v_pk_fma_f32 v[16:17], v[12:13], v[10:11], v[14:15] neg_lo:[0,0,1] neg_hi:[0,0,1]
	v_pk_fma_f32 v[10:11], v[12:13], v[10:11], v[14:15] op_sel_hi:[1,0,1]
	s_nop 0
	v_mov_b32_e32 v17, v11
	v_pk_add_f32 v[4:5], v[4:5], v[16:17]
	s_andn2_b64 exec, exec, s[4:5]
	s_cbranch_execnz .LBB35_101
; %bb.102:
	s_or_b64 exec, exec, s[4:5]
	v_mov_b32_e32 v3, 0
	ds_read_b64 v[8:9], v3 offset:176
	s_waitcnt lgkmcnt(0)
	v_pk_mul_f32 v[10:11], v[4:5], v[8:9] op_sel:[1,1] op_sel_hi:[0,1]
	v_pk_fma_f32 v[12:13], v[4:5], v[8:9], v[10:11] neg_lo:[0,0,1] neg_hi:[0,0,1]
	v_pk_fma_f32 v[4:5], v[4:5], v[8:9], v[10:11] op_sel_hi:[1,0,1]
	s_nop 0
	v_mov_b32_e32 v13, v5
	scratch_store_dwordx2 off, v[12:13], off offset:176
.LBB35_103:
	s_or_b64 exec, exec, s[0:1]
	; wave barrier
	scratch_load_dwordx2 v[4:5], off, off offset:184
	v_cmp_gt_u32_e32 vcc, 23, v0
	s_waitcnt vmcnt(0)
	ds_write_b64 v1, v[4:5]
	s_waitcnt lgkmcnt(0)
	; wave barrier
	s_and_saveexec_b64 s[0:1], vcc
	s_cbranch_execz .LBB35_107
; %bb.104:
	v_mov_b32_e32 v4, 0
	v_add_u32_e32 v3, -1, v0
	v_add_u32_e32 v7, 0x120, v2
	v_mov_b32_e32 v8, v2
	s_mov_b64 s[4:5], 0
	v_mov_b32_e32 v5, v4
.LBB35_105:                             ; =>This Inner Loop Header: Depth=1
	scratch_load_dwordx2 v[10:11], v8, off
	ds_read_b64 v[12:13], v7
	v_add_u32_e32 v3, 1, v3
	v_cmp_lt_u32_e32 vcc, 21, v3
	v_add_u32_e32 v7, 8, v7
	v_add_u32_e32 v8, 8, v8
	s_or_b64 s[4:5], vcc, s[4:5]
	s_waitcnt vmcnt(0) lgkmcnt(0)
	v_pk_mul_f32 v[14:15], v[12:13], v[10:11] op_sel:[1,1] op_sel_hi:[0,1]
	v_pk_fma_f32 v[16:17], v[12:13], v[10:11], v[14:15] neg_lo:[0,0,1] neg_hi:[0,0,1]
	v_pk_fma_f32 v[10:11], v[12:13], v[10:11], v[14:15] op_sel_hi:[1,0,1]
	s_nop 0
	v_mov_b32_e32 v17, v11
	v_pk_add_f32 v[4:5], v[4:5], v[16:17]
	s_andn2_b64 exec, exec, s[4:5]
	s_cbranch_execnz .LBB35_105
; %bb.106:
	s_or_b64 exec, exec, s[4:5]
	v_mov_b32_e32 v3, 0
	ds_read_b64 v[8:9], v3 offset:184
	s_waitcnt lgkmcnt(0)
	v_pk_mul_f32 v[10:11], v[4:5], v[8:9] op_sel:[1,1] op_sel_hi:[0,1]
	v_pk_fma_f32 v[12:13], v[4:5], v[8:9], v[10:11] neg_lo:[0,0,1] neg_hi:[0,0,1]
	v_pk_fma_f32 v[4:5], v[4:5], v[8:9], v[10:11] op_sel_hi:[1,0,1]
	s_nop 0
	v_mov_b32_e32 v13, v5
	scratch_store_dwordx2 off, v[12:13], off offset:184
.LBB35_107:
	s_or_b64 exec, exec, s[0:1]
	; wave barrier
	scratch_load_dwordx2 v[4:5], off, off offset:192
	v_cmp_gt_u32_e32 vcc, 24, v0
	;; [unrolled: 46-line block ×12, first 2 shown]
	s_waitcnt vmcnt(0)
	ds_write_b64 v1, v[4:5]
	s_waitcnt lgkmcnt(0)
	; wave barrier
	s_and_saveexec_b64 s[0:1], vcc
	s_cbranch_execz .LBB35_151
; %bb.148:
	v_mov_b32_e32 v4, 0
	v_add_u32_e32 v3, -1, v0
	v_add_u32_e32 v7, 0x120, v2
	v_mov_b32_e32 v8, v2
	s_mov_b64 s[4:5], 0
	v_mov_b32_e32 v5, v4
.LBB35_149:                             ; =>This Inner Loop Header: Depth=1
	scratch_load_dwordx2 v[10:11], v8, off
	ds_read_b64 v[12:13], v7
	v_add_u32_e32 v3, 1, v3
	v_cmp_lt_u32_e32 vcc, 32, v3
	v_add_u32_e32 v7, 8, v7
	v_add_u32_e32 v8, 8, v8
	s_or_b64 s[4:5], vcc, s[4:5]
	s_waitcnt vmcnt(0) lgkmcnt(0)
	v_pk_mul_f32 v[14:15], v[12:13], v[10:11] op_sel:[1,1] op_sel_hi:[0,1]
	v_pk_fma_f32 v[16:17], v[12:13], v[10:11], v[14:15] neg_lo:[0,0,1] neg_hi:[0,0,1]
	v_pk_fma_f32 v[10:11], v[12:13], v[10:11], v[14:15] op_sel_hi:[1,0,1]
	s_nop 0
	v_mov_b32_e32 v17, v11
	v_pk_add_f32 v[4:5], v[4:5], v[16:17]
	s_andn2_b64 exec, exec, s[4:5]
	s_cbranch_execnz .LBB35_149
; %bb.150:
	s_or_b64 exec, exec, s[4:5]
	v_mov_b32_e32 v3, 0
	ds_read_b64 v[8:9], v3 offset:272
	s_waitcnt lgkmcnt(0)
	v_pk_mul_f32 v[10:11], v[4:5], v[8:9] op_sel:[1,1] op_sel_hi:[0,1]
	v_pk_fma_f32 v[12:13], v[4:5], v[8:9], v[10:11] neg_lo:[0,0,1] neg_hi:[0,0,1]
	v_pk_fma_f32 v[4:5], v[4:5], v[8:9], v[10:11] op_sel_hi:[1,0,1]
	s_nop 0
	v_mov_b32_e32 v13, v5
	scratch_store_dwordx2 off, v[12:13], off offset:272
.LBB35_151:
	s_or_b64 exec, exec, s[0:1]
	; wave barrier
	scratch_load_dwordx2 v[4:5], off, off offset:280
	v_cmp_ne_u32_e32 vcc, 35, v0
	s_waitcnt vmcnt(0)
	ds_write_b64 v1, v[4:5]
	s_waitcnt lgkmcnt(0)
	; wave barrier
	s_and_saveexec_b64 s[0:1], vcc
	s_cbranch_execz .LBB35_155
; %bb.152:
	v_add_u32_e32 v1, 0x120, v2
	v_mov_b32_e32 v4, v2
	v_mov_b32_e32 v2, 0
	s_mov_b64 s[4:5], 0
	v_mov_b32_e32 v3, v2
.LBB35_153:                             ; =>This Inner Loop Header: Depth=1
	scratch_load_dwordx2 v[8:9], v4, off
	ds_read_b64 v[10:11], v1
	v_add_u32_e32 v6, 1, v6
	v_cmp_lt_u32_e32 vcc, 33, v6
	v_add_u32_e32 v1, 8, v1
	v_add_u32_e32 v4, 8, v4
	s_or_b64 s[4:5], vcc, s[4:5]
	s_waitcnt vmcnt(0) lgkmcnt(0)
	v_pk_mul_f32 v[12:13], v[10:11], v[8:9] op_sel:[1,1] op_sel_hi:[0,1]
	v_pk_fma_f32 v[14:15], v[10:11], v[8:9], v[12:13] neg_lo:[0,0,1] neg_hi:[0,0,1]
	v_pk_fma_f32 v[8:9], v[10:11], v[8:9], v[12:13] op_sel_hi:[1,0,1]
	s_nop 0
	v_mov_b32_e32 v15, v9
	v_pk_add_f32 v[2:3], v[2:3], v[14:15]
	s_andn2_b64 exec, exec, s[4:5]
	s_cbranch_execnz .LBB35_153
; %bb.154:
	s_or_b64 exec, exec, s[4:5]
	v_mov_b32_e32 v1, 0
	ds_read_b64 v[4:5], v1 offset:280
	s_waitcnt lgkmcnt(0)
	v_pk_mul_f32 v[6:7], v[2:3], v[4:5] op_sel:[1,1] op_sel_hi:[0,1]
	v_pk_fma_f32 v[8:9], v[2:3], v[4:5], v[6:7] neg_lo:[0,0,1] neg_hi:[0,0,1]
	v_pk_fma_f32 v[2:3], v[2:3], v[4:5], v[6:7] op_sel_hi:[1,0,1]
	s_nop 0
	v_mov_b32_e32 v9, v3
	scratch_store_dwordx2 off, v[8:9], off offset:280
.LBB35_155:
	s_or_b64 exec, exec, s[0:1]
	s_mov_b64 s[4:5], -1
	; wave barrier
.LBB35_156:
	s_and_b64 vcc, exec, s[4:5]
	s_cbranch_vccz .LBB35_158
; %bb.157:
	s_lshl_b64 s[0:1], s[2:3], 2
	s_add_u32 s0, s6, s0
	s_addc_u32 s1, s7, s1
	v_mov_b32_e32 v1, 0
	global_load_dword v1, v1, s[0:1]
	s_waitcnt vmcnt(0)
	v_cmp_ne_u32_e32 vcc, 0, v1
	s_cbranch_vccz .LBB35_159
.LBB35_158:
	s_endpgm
.LBB35_159:
	v_mov_b32_e32 v1, 0x120
	v_lshl_add_u32 v1, v0, 3, v1
	v_cmp_eq_u32_e32 vcc, 35, v0
	s_and_saveexec_b64 s[0:1], vcc
	s_cbranch_execz .LBB35_161
; %bb.160:
	scratch_load_dwordx2 v[2:3], off, off offset:272
	v_mov_b32_e32 v4, 0
	v_mov_b32_e32 v5, v4
	scratch_store_dwordx2 off, v[4:5], off offset:272
	s_waitcnt vmcnt(1)
	ds_write_b64 v1, v[2:3]
.LBB35_161:
	s_or_b64 exec, exec, s[0:1]
	s_waitcnt lgkmcnt(0)
	; wave barrier
	scratch_load_dwordx2 v[4:5], off, off offset:280
	scratch_load_dwordx2 v[6:7], off, off offset:272
	v_mov_b32_e32 v2, 0
	ds_read_b64 v[8:9], v2 offset:568
	v_cmp_lt_u32_e32 vcc, 33, v0
	s_waitcnt vmcnt(1) lgkmcnt(0)
	v_pk_mul_f32 v[10:11], v[8:9], v[4:5] op_sel:[1,1] op_sel_hi:[0,1]
	v_pk_fma_f32 v[12:13], v[8:9], v[4:5], v[10:11] neg_lo:[0,0,1] neg_hi:[0,0,1]
	v_pk_fma_f32 v[4:5], v[8:9], v[4:5], v[10:11] op_sel_hi:[1,0,1]
	s_nop 0
	v_mov_b32_e32 v13, v5
	v_pk_add_f32 v[4:5], v[12:13], 0 op_sel_hi:[1,0]
	s_waitcnt vmcnt(0)
	v_pk_add_f32 v[4:5], v[6:7], v[4:5] neg_lo:[0,1] neg_hi:[0,1]
	scratch_store_dwordx2 off, v[4:5], off offset:272
	s_and_saveexec_b64 s[0:1], vcc
	s_cbranch_execz .LBB35_163
; %bb.162:
	scratch_load_dwordx2 v[4:5], off, off offset:264
	v_mov_b32_e32 v3, v2
	scratch_store_dwordx2 off, v[2:3], off offset:264
	s_waitcnt vmcnt(1)
	ds_write_b64 v1, v[4:5]
.LBB35_163:
	s_or_b64 exec, exec, s[0:1]
	s_waitcnt lgkmcnt(0)
	; wave barrier
	scratch_load_dwordx4 v[4:7], off, off offset:272
	scratch_load_dwordx2 v[12:13], off, off offset:264
	ds_read_b128 v[8:11], v2 offset:560
	v_cmp_lt_u32_e32 vcc, 32, v0
	s_waitcnt vmcnt(1) lgkmcnt(0)
	v_pk_mul_f32 v[2:3], v[8:9], v[4:5] op_sel:[1,1] op_sel_hi:[0,1]
	v_mov_b32_e32 v14, v7
	v_pk_fma_f32 v[16:17], v[8:9], v[4:5], v[2:3] neg_lo:[0,0,1] neg_hi:[0,0,1]
	v_pk_fma_f32 v[2:3], v[8:9], v[4:5], v[2:3] op_sel_hi:[1,0,1]
	v_pk_mul_f32 v[4:5], v[10:11], v[14:15] op_sel:[1,0] op_sel_hi:[0,0]
	v_mov_b32_e32 v17, v3
	v_pk_fma_f32 v[2:3], v[10:11], v[6:7], v[4:5] neg_lo:[0,0,1] neg_hi:[0,0,1]
	v_pk_fma_f32 v[4:5], v[10:11], v[6:7], v[4:5] op_sel_hi:[1,0,1]
	v_pk_add_f32 v[6:7], v[16:17], 0 op_sel_hi:[1,0]
	v_mov_b32_e32 v3, v5
	v_pk_add_f32 v[2:3], v[6:7], v[2:3]
	s_waitcnt vmcnt(0)
	v_pk_add_f32 v[2:3], v[12:13], v[2:3] neg_lo:[0,1] neg_hi:[0,1]
	scratch_store_dwordx2 off, v[2:3], off offset:264
	s_and_saveexec_b64 s[0:1], vcc
	s_cbranch_execz .LBB35_165
; %bb.164:
	scratch_load_dwordx2 v[2:3], off, off offset:256
	v_mov_b32_e32 v4, 0
	v_mov_b32_e32 v5, v4
	scratch_store_dwordx2 off, v[4:5], off offset:256
	s_waitcnt vmcnt(1)
	ds_write_b64 v1, v[2:3]
.LBB35_165:
	s_or_b64 exec, exec, s[0:1]
	s_waitcnt lgkmcnt(0)
	; wave barrier
	scratch_load_dwordx4 v[4:7], off, off offset:264
	scratch_load_dwordx2 v[12:13], off, off offset:280
	scratch_load_dwordx2 v[14:15], off, off offset:256
	v_mov_b32_e32 v2, 0
	ds_read2_b64 v[8:11], v2 offset0:69 offset1:70
	ds_read_b64 v[16:17], v2 offset:568
	v_cmp_lt_u32_e32 vcc, 31, v0
	s_waitcnt vmcnt(2) lgkmcnt(1)
	v_pk_mul_f32 v[18:19], v[8:9], v[4:5] op_sel:[1,1] op_sel_hi:[0,1]
	v_mov_b32_e32 v20, v7
	v_pk_fma_f32 v[24:25], v[8:9], v[4:5], v[18:19] neg_lo:[0,0,1] neg_hi:[0,0,1]
	v_pk_fma_f32 v[4:5], v[8:9], v[4:5], v[18:19] op_sel_hi:[1,0,1]
	v_pk_mul_f32 v[8:9], v[10:11], v[20:21] op_sel:[1,0] op_sel_hi:[0,0]
	s_waitcnt vmcnt(1) lgkmcnt(0)
	v_pk_mul_f32 v[22:23], v[16:17], v[12:13] op_sel:[1,1] op_sel_hi:[0,1]
	v_mov_b32_e32 v25, v5
	v_pk_fma_f32 v[4:5], v[10:11], v[6:7], v[8:9] neg_lo:[0,0,1] neg_hi:[0,0,1]
	v_pk_fma_f32 v[6:7], v[10:11], v[6:7], v[8:9] op_sel_hi:[1,0,1]
	v_pk_fma_f32 v[18:19], v[16:17], v[12:13], v[22:23] neg_lo:[0,0,1] neg_hi:[0,0,1]
	v_pk_fma_f32 v[12:13], v[16:17], v[12:13], v[22:23] op_sel_hi:[1,0,1]
	v_pk_add_f32 v[8:9], v[24:25], 0 op_sel_hi:[1,0]
	v_mov_b32_e32 v5, v7
	v_mov_b32_e32 v19, v13
	v_pk_add_f32 v[4:5], v[8:9], v[4:5]
	s_nop 0
	v_pk_add_f32 v[4:5], v[4:5], v[18:19]
	s_waitcnt vmcnt(0)
	v_pk_add_f32 v[4:5], v[14:15], v[4:5] neg_lo:[0,1] neg_hi:[0,1]
	scratch_store_dwordx2 off, v[4:5], off offset:256
	s_and_saveexec_b64 s[0:1], vcc
	s_cbranch_execz .LBB35_167
; %bb.166:
	scratch_load_dwordx2 v[4:5], off, off offset:248
	v_mov_b32_e32 v3, v2
	scratch_store_dwordx2 off, v[2:3], off offset:248
	s_waitcnt vmcnt(1)
	ds_write_b64 v1, v[4:5]
.LBB35_167:
	s_or_b64 exec, exec, s[0:1]
	s_waitcnt lgkmcnt(0)
	; wave barrier
	scratch_load_dwordx4 v[4:7], off, off offset:256
	scratch_load_dwordx4 v[8:11], off, off offset:272
	scratch_load_dwordx2 v[20:21], off, off offset:248
	ds_read_b128 v[12:15], v2 offset:544
	ds_read_b128 v[16:19], v2 offset:560
	v_cmp_lt_u32_e32 vcc, 30, v0
	s_waitcnt vmcnt(2) lgkmcnt(1)
	v_pk_mul_f32 v[2:3], v[12:13], v[4:5] op_sel:[1,1] op_sel_hi:[0,1]
	v_mov_b32_e32 v22, v7
	s_waitcnt vmcnt(1) lgkmcnt(0)
	v_pk_mul_f32 v[24:25], v[16:17], v[8:9] op_sel:[1,1] op_sel_hi:[0,1]
	v_mov_b32_e32 v26, v11
	v_pk_fma_f32 v[28:29], v[12:13], v[4:5], v[2:3] neg_lo:[0,0,1] neg_hi:[0,0,1]
	v_pk_fma_f32 v[2:3], v[12:13], v[4:5], v[2:3] op_sel_hi:[1,0,1]
	v_pk_mul_f32 v[4:5], v[14:15], v[22:23] op_sel:[1,0] op_sel_hi:[0,0]
	v_pk_fma_f32 v[12:13], v[16:17], v[8:9], v[24:25] neg_lo:[0,0,1] neg_hi:[0,0,1]
	v_pk_fma_f32 v[8:9], v[16:17], v[8:9], v[24:25] op_sel_hi:[1,0,1]
	v_pk_mul_f32 v[16:17], v[18:19], v[26:27] op_sel:[1,0] op_sel_hi:[0,0]
	v_mov_b32_e32 v29, v3
	v_pk_fma_f32 v[2:3], v[14:15], v[6:7], v[4:5] neg_lo:[0,0,1] neg_hi:[0,0,1]
	v_pk_fma_f32 v[4:5], v[14:15], v[6:7], v[4:5] op_sel_hi:[1,0,1]
	v_mov_b32_e32 v13, v9
	v_pk_fma_f32 v[6:7], v[18:19], v[10:11], v[16:17] neg_lo:[0,0,1] neg_hi:[0,0,1]
	v_pk_fma_f32 v[8:9], v[18:19], v[10:11], v[16:17] op_sel_hi:[1,0,1]
	v_pk_add_f32 v[10:11], v[28:29], 0 op_sel_hi:[1,0]
	v_mov_b32_e32 v3, v5
	v_pk_add_f32 v[2:3], v[10:11], v[2:3]
	v_mov_b32_e32 v7, v9
	v_pk_add_f32 v[2:3], v[2:3], v[12:13]
	s_nop 0
	v_pk_add_f32 v[2:3], v[2:3], v[6:7]
	s_waitcnt vmcnt(0)
	v_pk_add_f32 v[2:3], v[20:21], v[2:3] neg_lo:[0,1] neg_hi:[0,1]
	scratch_store_dwordx2 off, v[2:3], off offset:248
	s_and_saveexec_b64 s[0:1], vcc
	s_cbranch_execz .LBB35_169
; %bb.168:
	scratch_load_dwordx2 v[2:3], off, off offset:240
	v_mov_b32_e32 v4, 0
	v_mov_b32_e32 v5, v4
	scratch_store_dwordx2 off, v[4:5], off offset:240
	s_waitcnt vmcnt(1)
	ds_write_b64 v1, v[2:3]
.LBB35_169:
	s_or_b64 exec, exec, s[0:1]
	s_waitcnt lgkmcnt(0)
	; wave barrier
	scratch_load_dwordx4 v[4:7], off, off offset:248
	scratch_load_dwordx4 v[8:11], off, off offset:264
	scratch_load_dwordx2 v[20:21], off, off offset:280
	scratch_load_dwordx2 v[22:23], off, off offset:240
	v_mov_b32_e32 v2, 0
	ds_read2_b64 v[12:15], v2 offset0:67 offset1:68
	ds_read2_b64 v[16:19], v2 offset0:69 offset1:70
	ds_read_b64 v[24:25], v2 offset:568
	v_cmp_lt_u32_e32 vcc, 29, v0
	s_waitcnt vmcnt(3) lgkmcnt(2)
	v_pk_mul_f32 v[26:27], v[12:13], v[4:5] op_sel:[1,1] op_sel_hi:[0,1]
	v_mov_b32_e32 v28, v7
	v_pk_fma_f32 v[36:37], v[12:13], v[4:5], v[26:27] neg_lo:[0,0,1] neg_hi:[0,0,1]
	v_pk_fma_f32 v[4:5], v[12:13], v[4:5], v[26:27] op_sel_hi:[1,0,1]
	v_pk_mul_f32 v[12:13], v[14:15], v[28:29] op_sel:[1,0] op_sel_hi:[0,0]
	s_waitcnt vmcnt(2) lgkmcnt(1)
	v_pk_mul_f32 v[30:31], v[16:17], v[8:9] op_sel:[1,1] op_sel_hi:[0,1]
	v_mov_b32_e32 v32, v11
	v_mov_b32_e32 v37, v5
	v_pk_fma_f32 v[4:5], v[14:15], v[6:7], v[12:13] neg_lo:[0,0,1] neg_hi:[0,0,1]
	v_pk_fma_f32 v[6:7], v[14:15], v[6:7], v[12:13] op_sel_hi:[1,0,1]
	v_pk_fma_f32 v[26:27], v[16:17], v[8:9], v[30:31] neg_lo:[0,0,1] neg_hi:[0,0,1]
	v_pk_fma_f32 v[8:9], v[16:17], v[8:9], v[30:31] op_sel_hi:[1,0,1]
	v_pk_mul_f32 v[16:17], v[18:19], v[32:33] op_sel:[1,0] op_sel_hi:[0,0]
	v_pk_add_f32 v[12:13], v[36:37], 0 op_sel_hi:[1,0]
	v_mov_b32_e32 v5, v7
	s_waitcnt vmcnt(1) lgkmcnt(0)
	v_pk_mul_f32 v[34:35], v[24:25], v[20:21] op_sel:[1,1] op_sel_hi:[0,1]
	v_mov_b32_e32 v27, v9
	v_pk_fma_f32 v[8:9], v[18:19], v[10:11], v[16:17] neg_lo:[0,0,1] neg_hi:[0,0,1]
	v_pk_fma_f32 v[10:11], v[18:19], v[10:11], v[16:17] op_sel_hi:[1,0,1]
	v_pk_add_f32 v[4:5], v[12:13], v[4:5]
	v_pk_fma_f32 v[28:29], v[24:25], v[20:21], v[34:35] neg_lo:[0,0,1] neg_hi:[0,0,1]
	v_pk_fma_f32 v[20:21], v[24:25], v[20:21], v[34:35] op_sel_hi:[1,0,1]
	v_mov_b32_e32 v9, v11
	v_pk_add_f32 v[4:5], v[4:5], v[26:27]
	v_mov_b32_e32 v29, v21
	v_pk_add_f32 v[4:5], v[4:5], v[8:9]
	s_nop 0
	v_pk_add_f32 v[4:5], v[4:5], v[28:29]
	s_waitcnt vmcnt(0)
	v_pk_add_f32 v[4:5], v[22:23], v[4:5] neg_lo:[0,1] neg_hi:[0,1]
	scratch_store_dwordx2 off, v[4:5], off offset:240
	s_and_saveexec_b64 s[0:1], vcc
	s_cbranch_execz .LBB35_171
; %bb.170:
	scratch_load_dwordx2 v[4:5], off, off offset:232
	v_mov_b32_e32 v3, v2
	scratch_store_dwordx2 off, v[2:3], off offset:232
	s_waitcnt vmcnt(1)
	ds_write_b64 v1, v[4:5]
.LBB35_171:
	s_or_b64 exec, exec, s[0:1]
	s_waitcnt lgkmcnt(0)
	; wave barrier
	scratch_load_dwordx4 v[4:7], off, off offset:240
	scratch_load_dwordx4 v[8:11], off, off offset:256
	scratch_load_dwordx4 v[12:15], off, off offset:272
	scratch_load_dwordx2 v[28:29], off, off offset:232
	ds_read_b128 v[16:19], v2 offset:528
	ds_read_b128 v[20:23], v2 offset:544
	;; [unrolled: 1-line block ×3, first 2 shown]
	v_cmp_lt_u32_e32 vcc, 28, v0
	s_waitcnt vmcnt(3) lgkmcnt(2)
	v_pk_mul_f32 v[2:3], v[16:17], v[4:5] op_sel:[1,1] op_sel_hi:[0,1]
	v_mov_b32_e32 v30, v7
	s_waitcnt vmcnt(2) lgkmcnt(1)
	v_pk_mul_f32 v[32:33], v[20:21], v[8:9] op_sel:[1,1] op_sel_hi:[0,1]
	v_mov_b32_e32 v34, v11
	;; [unrolled: 3-line block ×3, first 2 shown]
	v_pk_fma_f32 v[40:41], v[16:17], v[4:5], v[2:3] neg_lo:[0,0,1] neg_hi:[0,0,1]
	v_pk_fma_f32 v[2:3], v[16:17], v[4:5], v[2:3] op_sel_hi:[1,0,1]
	v_pk_mul_f32 v[4:5], v[18:19], v[30:31] op_sel:[1,0] op_sel_hi:[0,0]
	v_pk_fma_f32 v[16:17], v[20:21], v[8:9], v[32:33] neg_lo:[0,0,1] neg_hi:[0,0,1]
	v_pk_fma_f32 v[8:9], v[20:21], v[8:9], v[32:33] op_sel_hi:[1,0,1]
	v_pk_mul_f32 v[20:21], v[22:23], v[34:35] op_sel:[1,0] op_sel_hi:[0,0]
	;; [unrolled: 3-line block ×3, first 2 shown]
	v_mov_b32_e32 v41, v3
	v_pk_fma_f32 v[2:3], v[18:19], v[6:7], v[4:5] neg_lo:[0,0,1] neg_hi:[0,0,1]
	v_pk_fma_f32 v[4:5], v[18:19], v[6:7], v[4:5] op_sel_hi:[1,0,1]
	v_mov_b32_e32 v17, v9
	v_pk_fma_f32 v[6:7], v[22:23], v[10:11], v[20:21] neg_lo:[0,0,1] neg_hi:[0,0,1]
	v_pk_fma_f32 v[8:9], v[22:23], v[10:11], v[20:21] op_sel_hi:[1,0,1]
	;; [unrolled: 3-line block ×3, first 2 shown]
	v_pk_add_f32 v[14:15], v[40:41], 0 op_sel_hi:[1,0]
	v_mov_b32_e32 v3, v5
	v_pk_add_f32 v[2:3], v[14:15], v[2:3]
	v_mov_b32_e32 v7, v9
	v_pk_add_f32 v[2:3], v[2:3], v[16:17]
	;; [unrolled: 2-line block ×3, first 2 shown]
	s_nop 0
	v_pk_add_f32 v[2:3], v[2:3], v[30:31]
	s_nop 0
	v_pk_add_f32 v[2:3], v[2:3], v[10:11]
	s_waitcnt vmcnt(0)
	v_pk_add_f32 v[2:3], v[28:29], v[2:3] neg_lo:[0,1] neg_hi:[0,1]
	scratch_store_dwordx2 off, v[2:3], off offset:232
	s_and_saveexec_b64 s[0:1], vcc
	s_cbranch_execz .LBB35_173
; %bb.172:
	scratch_load_dwordx2 v[2:3], off, off offset:224
	v_mov_b32_e32 v4, 0
	v_mov_b32_e32 v5, v4
	scratch_store_dwordx2 off, v[4:5], off offset:224
	s_waitcnt vmcnt(1)
	ds_write_b64 v1, v[2:3]
.LBB35_173:
	s_or_b64 exec, exec, s[0:1]
	s_waitcnt lgkmcnt(0)
	; wave barrier
	scratch_load_dwordx4 v[4:7], off, off offset:232
	scratch_load_dwordx4 v[8:11], off, off offset:248
	;; [unrolled: 1-line block ×3, first 2 shown]
	scratch_load_dwordx2 v[28:29], off, off offset:280
	scratch_load_dwordx2 v[30:31], off, off offset:224
	v_mov_b32_e32 v2, 0
	ds_read2_b64 v[16:19], v2 offset0:65 offset1:66
	ds_read2_b64 v[20:23], v2 offset0:67 offset1:68
	;; [unrolled: 1-line block ×3, first 2 shown]
	ds_read_b64 v[32:33], v2 offset:568
	v_cmp_lt_u32_e32 vcc, 27, v0
	s_waitcnt vmcnt(4) lgkmcnt(3)
	v_pk_mul_f32 v[34:35], v[16:17], v[4:5] op_sel:[1,1] op_sel_hi:[0,1]
	v_mov_b32_e32 v36, v7
	v_pk_fma_f32 v[48:49], v[16:17], v[4:5], v[34:35] neg_lo:[0,0,1] neg_hi:[0,0,1]
	v_pk_fma_f32 v[4:5], v[16:17], v[4:5], v[34:35] op_sel_hi:[1,0,1]
	v_pk_mul_f32 v[16:17], v[18:19], v[36:37] op_sel:[1,0] op_sel_hi:[0,0]
	s_waitcnt vmcnt(3) lgkmcnt(2)
	v_pk_mul_f32 v[38:39], v[20:21], v[8:9] op_sel:[1,1] op_sel_hi:[0,1]
	v_mov_b32_e32 v40, v11
	v_mov_b32_e32 v49, v5
	v_pk_fma_f32 v[4:5], v[18:19], v[6:7], v[16:17] neg_lo:[0,0,1] neg_hi:[0,0,1]
	v_pk_fma_f32 v[6:7], v[18:19], v[6:7], v[16:17] op_sel_hi:[1,0,1]
	v_pk_fma_f32 v[34:35], v[20:21], v[8:9], v[38:39] neg_lo:[0,0,1] neg_hi:[0,0,1]
	v_pk_fma_f32 v[8:9], v[20:21], v[8:9], v[38:39] op_sel_hi:[1,0,1]
	v_pk_mul_f32 v[20:21], v[22:23], v[40:41] op_sel:[1,0] op_sel_hi:[0,0]
	v_pk_add_f32 v[16:17], v[48:49], 0 op_sel_hi:[1,0]
	v_mov_b32_e32 v5, v7
	s_waitcnt vmcnt(2) lgkmcnt(1)
	v_pk_mul_f32 v[42:43], v[24:25], v[12:13] op_sel:[1,1] op_sel_hi:[0,1]
	v_mov_b32_e32 v44, v15
	v_mov_b32_e32 v35, v9
	v_pk_fma_f32 v[8:9], v[22:23], v[10:11], v[20:21] neg_lo:[0,0,1] neg_hi:[0,0,1]
	v_pk_fma_f32 v[10:11], v[22:23], v[10:11], v[20:21] op_sel_hi:[1,0,1]
	v_pk_add_f32 v[4:5], v[16:17], v[4:5]
	v_pk_fma_f32 v[36:37], v[24:25], v[12:13], v[42:43] neg_lo:[0,0,1] neg_hi:[0,0,1]
	v_pk_fma_f32 v[12:13], v[24:25], v[12:13], v[42:43] op_sel_hi:[1,0,1]
	v_pk_mul_f32 v[24:25], v[26:27], v[44:45] op_sel:[1,0] op_sel_hi:[0,0]
	v_mov_b32_e32 v9, v11
	v_pk_add_f32 v[4:5], v[4:5], v[34:35]
	s_waitcnt vmcnt(1) lgkmcnt(0)
	v_pk_mul_f32 v[46:47], v[32:33], v[28:29] op_sel:[1,1] op_sel_hi:[0,1]
	v_mov_b32_e32 v37, v13
	v_pk_fma_f32 v[12:13], v[26:27], v[14:15], v[24:25] neg_lo:[0,0,1] neg_hi:[0,0,1]
	v_pk_fma_f32 v[14:15], v[26:27], v[14:15], v[24:25] op_sel_hi:[1,0,1]
	v_pk_add_f32 v[4:5], v[4:5], v[8:9]
	v_pk_fma_f32 v[38:39], v[32:33], v[28:29], v[46:47] neg_lo:[0,0,1] neg_hi:[0,0,1]
	v_pk_fma_f32 v[28:29], v[32:33], v[28:29], v[46:47] op_sel_hi:[1,0,1]
	v_mov_b32_e32 v13, v15
	v_pk_add_f32 v[4:5], v[4:5], v[36:37]
	v_mov_b32_e32 v39, v29
	v_pk_add_f32 v[4:5], v[4:5], v[12:13]
	s_nop 0
	v_pk_add_f32 v[4:5], v[4:5], v[38:39]
	s_waitcnt vmcnt(0)
	v_pk_add_f32 v[4:5], v[30:31], v[4:5] neg_lo:[0,1] neg_hi:[0,1]
	scratch_store_dwordx2 off, v[4:5], off offset:224
	s_and_saveexec_b64 s[0:1], vcc
	s_cbranch_execz .LBB35_175
; %bb.174:
	scratch_load_dwordx2 v[4:5], off, off offset:216
	v_mov_b32_e32 v3, v2
	scratch_store_dwordx2 off, v[2:3], off offset:216
	s_waitcnt vmcnt(1)
	ds_write_b64 v1, v[4:5]
.LBB35_175:
	s_or_b64 exec, exec, s[0:1]
	s_waitcnt lgkmcnt(0)
	; wave barrier
	scratch_load_dwordx4 v[4:7], off, off offset:224
	scratch_load_dwordx4 v[8:11], off, off offset:240
	;; [unrolled: 1-line block ×4, first 2 shown]
	scratch_load_dwordx2 v[36:37], off, off offset:216
	ds_read_b128 v[20:23], v2 offset:512
	ds_read_b128 v[24:27], v2 offset:528
	ds_read_b128 v[28:31], v2 offset:544
	ds_read_b128 v[32:35], v2 offset:560
	v_cmp_lt_u32_e32 vcc, 26, v0
	s_waitcnt vmcnt(4) lgkmcnt(3)
	v_pk_mul_f32 v[2:3], v[20:21], v[4:5] op_sel:[1,1] op_sel_hi:[0,1]
	v_mov_b32_e32 v38, v7
	s_waitcnt vmcnt(3) lgkmcnt(2)
	v_pk_mul_f32 v[40:41], v[24:25], v[8:9] op_sel:[1,1] op_sel_hi:[0,1]
	v_mov_b32_e32 v42, v11
	;; [unrolled: 3-line block ×4, first 2 shown]
	v_pk_fma_f32 v[52:53], v[20:21], v[4:5], v[2:3] neg_lo:[0,0,1] neg_hi:[0,0,1]
	v_pk_fma_f32 v[2:3], v[20:21], v[4:5], v[2:3] op_sel_hi:[1,0,1]
	v_pk_mul_f32 v[4:5], v[22:23], v[38:39] op_sel:[1,0] op_sel_hi:[0,0]
	v_pk_fma_f32 v[20:21], v[24:25], v[8:9], v[40:41] neg_lo:[0,0,1] neg_hi:[0,0,1]
	v_pk_fma_f32 v[8:9], v[24:25], v[8:9], v[40:41] op_sel_hi:[1,0,1]
	v_pk_mul_f32 v[24:25], v[26:27], v[42:43] op_sel:[1,0] op_sel_hi:[0,0]
	v_pk_fma_f32 v[38:39], v[28:29], v[12:13], v[44:45] neg_lo:[0,0,1] neg_hi:[0,0,1]
	v_pk_fma_f32 v[12:13], v[28:29], v[12:13], v[44:45] op_sel_hi:[1,0,1]
	v_pk_mul_f32 v[28:29], v[30:31], v[46:47] op_sel:[1,0] op_sel_hi:[0,0]
	v_pk_fma_f32 v[40:41], v[32:33], v[16:17], v[48:49] neg_lo:[0,0,1] neg_hi:[0,0,1]
	v_pk_fma_f32 v[16:17], v[32:33], v[16:17], v[48:49] op_sel_hi:[1,0,1]
	v_pk_mul_f32 v[32:33], v[34:35], v[50:51] op_sel:[1,0] op_sel_hi:[0,0]
	v_mov_b32_e32 v53, v3
	v_pk_fma_f32 v[2:3], v[22:23], v[6:7], v[4:5] neg_lo:[0,0,1] neg_hi:[0,0,1]
	v_pk_fma_f32 v[4:5], v[22:23], v[6:7], v[4:5] op_sel_hi:[1,0,1]
	v_mov_b32_e32 v21, v9
	v_pk_fma_f32 v[6:7], v[26:27], v[10:11], v[24:25] neg_lo:[0,0,1] neg_hi:[0,0,1]
	v_pk_fma_f32 v[8:9], v[26:27], v[10:11], v[24:25] op_sel_hi:[1,0,1]
	v_mov_b32_e32 v39, v13
	v_pk_fma_f32 v[10:11], v[30:31], v[14:15], v[28:29] neg_lo:[0,0,1] neg_hi:[0,0,1]
	v_pk_fma_f32 v[12:13], v[30:31], v[14:15], v[28:29] op_sel_hi:[1,0,1]
	v_mov_b32_e32 v41, v17
	v_pk_fma_f32 v[14:15], v[34:35], v[18:19], v[32:33] neg_lo:[0,0,1] neg_hi:[0,0,1]
	v_pk_fma_f32 v[16:17], v[34:35], v[18:19], v[32:33] op_sel_hi:[1,0,1]
	v_pk_add_f32 v[18:19], v[52:53], 0 op_sel_hi:[1,0]
	v_mov_b32_e32 v3, v5
	v_pk_add_f32 v[2:3], v[18:19], v[2:3]
	v_mov_b32_e32 v7, v9
	v_pk_add_f32 v[2:3], v[2:3], v[20:21]
	;; [unrolled: 2-line block ×4, first 2 shown]
	s_nop 0
	v_pk_add_f32 v[2:3], v[2:3], v[10:11]
	s_nop 0
	v_pk_add_f32 v[2:3], v[2:3], v[40:41]
	;; [unrolled: 2-line block ×3, first 2 shown]
	s_waitcnt vmcnt(0)
	v_pk_add_f32 v[2:3], v[36:37], v[2:3] neg_lo:[0,1] neg_hi:[0,1]
	scratch_store_dwordx2 off, v[2:3], off offset:216
	s_and_saveexec_b64 s[0:1], vcc
	s_cbranch_execz .LBB35_177
; %bb.176:
	scratch_load_dwordx2 v[2:3], off, off offset:208
	v_mov_b32_e32 v4, 0
	v_mov_b32_e32 v5, v4
	scratch_store_dwordx2 off, v[4:5], off offset:208
	s_waitcnt vmcnt(1)
	ds_write_b64 v1, v[2:3]
.LBB35_177:
	s_or_b64 exec, exec, s[0:1]
	s_waitcnt lgkmcnt(0)
	; wave barrier
	scratch_load_dwordx4 v[4:7], off, off offset:216
	scratch_load_dwordx4 v[8:11], off, off offset:232
	;; [unrolled: 1-line block ×4, first 2 shown]
	scratch_load_dwordx2 v[36:37], off, off offset:280
	scratch_load_dwordx2 v[38:39], off, off offset:208
	v_mov_b32_e32 v2, 0
	ds_read2_b64 v[20:23], v2 offset0:63 offset1:64
	ds_read2_b64 v[24:27], v2 offset0:65 offset1:66
	;; [unrolled: 1-line block ×4, first 2 shown]
	ds_read_b64 v[40:41], v2 offset:568
	v_cmp_lt_u32_e32 vcc, 25, v0
	s_waitcnt vmcnt(5) lgkmcnt(4)
	v_mul_f32_e32 v43, v20, v5
	v_mul_f32_e32 v3, v21, v5
	v_mov_b32_e32 v44, v7
	s_waitcnt vmcnt(4) lgkmcnt(3)
	v_pk_mul_f32 v[46:47], v[24:25], v[8:9] op_sel:[1,1] op_sel_hi:[0,1]
	v_mov_b32_e32 v48, v11
	s_waitcnt vmcnt(1) lgkmcnt(0)
	v_pk_mul_f32 v[58:59], v[40:41], v[36:37] op_sel:[1,1] op_sel_hi:[0,1]
	v_fmac_f32_e32 v43, v21, v4
	v_fma_f32 v42, v20, v4, -v3
	v_pk_mul_f32 v[4:5], v[22:23], v[44:45] op_sel:[1,0] op_sel_hi:[0,0]
	v_pk_fma_f32 v[20:21], v[24:25], v[8:9], v[46:47] neg_lo:[0,0,1] neg_hi:[0,0,1]
	v_pk_fma_f32 v[8:9], v[24:25], v[8:9], v[46:47] op_sel_hi:[1,0,1]
	v_pk_mul_f32 v[24:25], v[26:27], v[48:49] op_sel:[1,0] op_sel_hi:[0,0]
	v_pk_fma_f32 v[48:49], v[40:41], v[36:37], v[58:59] neg_lo:[0,0,1] neg_hi:[0,0,1]
	v_pk_fma_f32 v[36:37], v[40:41], v[36:37], v[58:59] op_sel_hi:[1,0,1]
	v_pk_add_f32 v[40:41], v[42:43], 0 op_sel_hi:[1,0]
	v_pk_fma_f32 v[42:43], v[22:23], v[6:7], v[4:5] neg_lo:[0,0,1] neg_hi:[0,0,1]
	v_pk_fma_f32 v[4:5], v[22:23], v[6:7], v[4:5] op_sel_hi:[1,0,1]
	v_pk_mul_f32 v[50:51], v[28:29], v[12:13] op_sel:[1,1] op_sel_hi:[0,1]
	v_mov_b32_e32 v43, v5
	v_mov_b32_e32 v52, v15
	;; [unrolled: 1-line block ×3, first 2 shown]
	v_pk_fma_f32 v[6:7], v[26:27], v[10:11], v[24:25] neg_lo:[0,0,1] neg_hi:[0,0,1]
	v_pk_fma_f32 v[8:9], v[26:27], v[10:11], v[24:25] op_sel_hi:[1,0,1]
	v_pk_add_f32 v[4:5], v[40:41], v[42:43]
	v_pk_fma_f32 v[44:45], v[28:29], v[12:13], v[50:51] neg_lo:[0,0,1] neg_hi:[0,0,1]
	v_pk_fma_f32 v[12:13], v[28:29], v[12:13], v[50:51] op_sel_hi:[1,0,1]
	v_pk_mul_f32 v[28:29], v[30:31], v[52:53] op_sel:[1,0] op_sel_hi:[0,0]
	v_mov_b32_e32 v7, v9
	v_pk_add_f32 v[4:5], v[4:5], v[20:21]
	v_pk_mul_f32 v[54:55], v[32:33], v[16:17] op_sel:[1,1] op_sel_hi:[0,1]
	v_mov_b32_e32 v56, v19
	v_mov_b32_e32 v45, v13
	v_pk_fma_f32 v[10:11], v[30:31], v[14:15], v[28:29] neg_lo:[0,0,1] neg_hi:[0,0,1]
	v_pk_fma_f32 v[12:13], v[30:31], v[14:15], v[28:29] op_sel_hi:[1,0,1]
	v_pk_add_f32 v[4:5], v[4:5], v[6:7]
	v_pk_fma_f32 v[46:47], v[32:33], v[16:17], v[54:55] neg_lo:[0,0,1] neg_hi:[0,0,1]
	v_pk_fma_f32 v[16:17], v[32:33], v[16:17], v[54:55] op_sel_hi:[1,0,1]
	v_pk_mul_f32 v[32:33], v[34:35], v[56:57] op_sel:[1,0] op_sel_hi:[0,0]
	v_mov_b32_e32 v11, v13
	v_pk_add_f32 v[4:5], v[4:5], v[44:45]
	v_mov_b32_e32 v47, v17
	v_pk_fma_f32 v[14:15], v[34:35], v[18:19], v[32:33] neg_lo:[0,0,1] neg_hi:[0,0,1]
	v_pk_fma_f32 v[16:17], v[34:35], v[18:19], v[32:33] op_sel_hi:[1,0,1]
	v_pk_add_f32 v[4:5], v[4:5], v[10:11]
	v_mov_b32_e32 v15, v17
	v_pk_add_f32 v[4:5], v[4:5], v[46:47]
	v_mov_b32_e32 v49, v37
	v_pk_add_f32 v[4:5], v[4:5], v[14:15]
	s_nop 0
	v_pk_add_f32 v[4:5], v[4:5], v[48:49]
	s_waitcnt vmcnt(0)
	v_pk_add_f32 v[4:5], v[38:39], v[4:5] neg_lo:[0,1] neg_hi:[0,1]
	scratch_store_dwordx2 off, v[4:5], off offset:208
	s_and_saveexec_b64 s[0:1], vcc
	s_cbranch_execz .LBB35_179
; %bb.178:
	scratch_load_dwordx2 v[4:5], off, off offset:200
	v_mov_b32_e32 v3, v2
	scratch_store_dwordx2 off, v[2:3], off offset:200
	s_waitcnt vmcnt(1)
	ds_write_b64 v1, v[4:5]
.LBB35_179:
	s_or_b64 exec, exec, s[0:1]
	s_waitcnt lgkmcnt(0)
	; wave barrier
	ds_read_b128 v[4:7], v2 offset:496
	ds_read_b128 v[8:11], v2 offset:512
	;; [unrolled: 1-line block ×4, first 2 shown]
	scratch_load_dwordx4 v[20:23], off, off offset:208
	scratch_load_dwordx4 v[24:27], off, off offset:224
	;; [unrolled: 1-line block ×5, first 2 shown]
	v_cmp_lt_u32_e32 vcc, 24, v0
	s_waitcnt vmcnt(4) lgkmcnt(3)
	v_mul_f32_e32 v41, v4, v21
	v_mul_f32_e32 v3, v5, v21
	v_fmac_f32_e32 v41, v5, v20
	v_mul_f32_e32 v43, v6, v23
	v_fma_f32 v40, v4, v20, -v3
	v_mul_f32_e32 v3, v7, v23
	s_waitcnt vmcnt(3) lgkmcnt(2)
	v_pk_mul_f32 v[20:21], v[8:9], v[24:25] op_sel:[1,1] op_sel_hi:[0,1]
	v_fmac_f32_e32 v43, v7, v22
	v_fma_f32 v42, v6, v22, -v3
	v_pk_fma_f32 v[22:23], v[8:9], v[24:25], v[20:21] neg_lo:[0,0,1] neg_hi:[0,0,1]
	v_pk_fma_f32 v[8:9], v[8:9], v[24:25], v[20:21] op_sel_hi:[1,0,1]
	v_pk_add_f32 v[6:7], v[40:41], 0 op_sel_hi:[1,0]
	v_mov_b32_e32 v8, v27
	v_mov_b32_e32 v23, v9
	v_pk_mul_f32 v[8:9], v[10:11], v[8:9] op_sel:[1,0] op_sel_hi:[0,0]
	v_pk_fma_f32 v[20:21], v[10:11], v[26:27], v[8:9] neg_lo:[0,0,1] neg_hi:[0,0,1]
	v_pk_fma_f32 v[8:9], v[10:11], v[26:27], v[8:9] op_sel_hi:[1,0,1]
	v_pk_add_f32 v[6:7], v[6:7], v[42:43]
	v_mov_b32_e32 v21, v9
	s_waitcnt vmcnt(2) lgkmcnt(1)
	v_pk_mul_f32 v[8:9], v[12:13], v[28:29] op_sel:[1,1] op_sel_hi:[0,1]
	v_pk_fma_f32 v[10:11], v[12:13], v[28:29], v[8:9] neg_lo:[0,0,1] neg_hi:[0,0,1]
	v_pk_fma_f32 v[8:9], v[12:13], v[28:29], v[8:9] op_sel_hi:[1,0,1]
	v_pk_add_f32 v[6:7], v[6:7], v[22:23]
	v_mov_b32_e32 v8, v31
	v_pk_add_f32 v[6:7], v[6:7], v[20:21]
	v_mov_b32_e32 v11, v9
	v_pk_mul_f32 v[8:9], v[14:15], v[8:9] op_sel:[1,0] op_sel_hi:[0,0]
	v_pk_add_f32 v[6:7], v[6:7], v[10:11]
	v_pk_fma_f32 v[10:11], v[14:15], v[30:31], v[8:9] neg_lo:[0,0,1] neg_hi:[0,0,1]
	v_pk_fma_f32 v[8:9], v[14:15], v[30:31], v[8:9] op_sel_hi:[1,0,1]
	ds_read_b128 v[2:5], v2 offset:560
	v_mov_b32_e32 v11, v9
	s_waitcnt vmcnt(1) lgkmcnt(1)
	v_pk_mul_f32 v[8:9], v[16:17], v[32:33] op_sel:[1,1] op_sel_hi:[0,1]
	v_pk_add_f32 v[6:7], v[6:7], v[10:11]
	v_pk_fma_f32 v[10:11], v[16:17], v[32:33], v[8:9] neg_lo:[0,0,1] neg_hi:[0,0,1]
	v_pk_fma_f32 v[8:9], v[16:17], v[32:33], v[8:9] op_sel_hi:[1,0,1]
	s_nop 0
	v_mov_b32_e32 v8, v35
	v_mov_b32_e32 v11, v9
	v_pk_mul_f32 v[8:9], v[18:19], v[8:9] op_sel:[1,0] op_sel_hi:[0,0]
	v_pk_add_f32 v[6:7], v[6:7], v[10:11]
	v_pk_fma_f32 v[10:11], v[18:19], v[34:35], v[8:9] neg_lo:[0,0,1] neg_hi:[0,0,1]
	v_pk_fma_f32 v[8:9], v[18:19], v[34:35], v[8:9] op_sel_hi:[1,0,1]
	s_nop 0
	v_mov_b32_e32 v11, v9
	s_waitcnt vmcnt(0) lgkmcnt(0)
	v_pk_mul_f32 v[8:9], v[2:3], v[36:37] op_sel:[1,1] op_sel_hi:[0,1]
	v_pk_add_f32 v[6:7], v[6:7], v[10:11]
	v_pk_fma_f32 v[10:11], v[2:3], v[36:37], v[8:9] neg_lo:[0,0,1] neg_hi:[0,0,1]
	v_pk_fma_f32 v[2:3], v[2:3], v[36:37], v[8:9] op_sel_hi:[1,0,1]
	s_nop 0
	v_mov_b32_e32 v11, v3
	v_pk_add_f32 v[2:3], v[6:7], v[10:11]
	v_mov_b32_e32 v6, v39
	v_pk_mul_f32 v[6:7], v[4:5], v[6:7] op_sel:[1,0] op_sel_hi:[0,0]
	v_pk_fma_f32 v[8:9], v[4:5], v[38:39], v[6:7] neg_lo:[0,0,1] neg_hi:[0,0,1]
	v_pk_fma_f32 v[4:5], v[4:5], v[38:39], v[6:7] op_sel_hi:[1,0,1]
	s_nop 0
	v_mov_b32_e32 v9, v5
	scratch_load_dwordx2 v[4:5], off, off offset:200
	v_pk_add_f32 v[2:3], v[2:3], v[8:9]
	s_waitcnt vmcnt(0)
	v_pk_add_f32 v[2:3], v[4:5], v[2:3] neg_lo:[0,1] neg_hi:[0,1]
	scratch_store_dwordx2 off, v[2:3], off offset:200
	s_and_saveexec_b64 s[0:1], vcc
	s_cbranch_execz .LBB35_181
; %bb.180:
	scratch_load_dwordx2 v[2:3], off, off offset:192
	v_mov_b32_e32 v4, 0
	v_mov_b32_e32 v5, v4
	scratch_store_dwordx2 off, v[4:5], off offset:192
	s_waitcnt vmcnt(1)
	ds_write_b64 v1, v[2:3]
.LBB35_181:
	s_or_b64 exec, exec, s[0:1]
	s_waitcnt lgkmcnt(0)
	; wave barrier
	scratch_load_dwordx4 v[8:11], off, off offset:200
	scratch_load_dwordx4 v[16:19], off, off offset:216
	v_mov_b32_e32 v2, 0
	ds_read2_b64 v[4:7], v2 offset0:61 offset1:62
	ds_read2_b64 v[12:15], v2 offset0:63 offset1:64
	scratch_load_dwordx4 v[20:23], off, off offset:232
	scratch_load_dwordx4 v[24:27], off, off offset:248
	;; [unrolled: 1-line block ×3, first 2 shown]
	scratch_load_dwordx2 v[42:43], off, off offset:280
	v_cmp_lt_u32_e32 vcc, 23, v0
	s_waitcnt vmcnt(5) lgkmcnt(1)
	v_mul_f32_e32 v3, v4, v9
	v_fmac_f32_e32 v3, v5, v8
	v_add_f32_e32 v37, 0, v3
	v_mul_f32_e32 v3, v5, v9
	v_fma_f32 v3, v4, v8, -v3
	v_mul_f32_e32 v39, v6, v11
	v_add_f32_e32 v36, 0, v3
	v_mul_f32_e32 v3, v7, v11
	v_fmac_f32_e32 v39, v7, v10
	s_waitcnt vmcnt(4) lgkmcnt(0)
	v_mul_f32_e32 v41, v12, v17
	v_fma_f32 v38, v6, v10, -v3
	v_mul_f32_e32 v3, v13, v17
	v_fmac_f32_e32 v41, v13, v16
	v_fma_f32 v40, v12, v16, -v3
	v_pk_add_f32 v[16:17], v[36:37], v[38:39]
	v_mov_b32_e32 v36, v19
	v_pk_mul_f32 v[36:37], v[14:15], v[36:37] op_sel:[1,0] op_sel_hi:[0,0]
	ds_read2_b64 v[4:7], v2 offset0:65 offset1:66
	ds_read2_b64 v[8:11], v2 offset0:67 offset1:68
	;; [unrolled: 1-line block ×3, first 2 shown]
	ds_read_b64 v[12:13], v2 offset:568
	v_pk_fma_f32 v[38:39], v[14:15], v[18:19], v[36:37] neg_lo:[0,0,1] neg_hi:[0,0,1]
	v_pk_fma_f32 v[14:15], v[14:15], v[18:19], v[36:37] op_sel_hi:[1,0,1]
	v_pk_add_f32 v[16:17], v[16:17], v[40:41]
	v_mov_b32_e32 v39, v15
	v_pk_add_f32 v[14:15], v[16:17], v[38:39]
	s_waitcnt vmcnt(3) lgkmcnt(3)
	v_pk_mul_f32 v[16:17], v[4:5], v[20:21] op_sel:[1,1] op_sel_hi:[0,1]
	v_pk_fma_f32 v[18:19], v[4:5], v[20:21], v[16:17] neg_lo:[0,0,1] neg_hi:[0,0,1]
	v_pk_fma_f32 v[4:5], v[4:5], v[20:21], v[16:17] op_sel_hi:[1,0,1]
	s_nop 0
	v_mov_b32_e32 v19, v5
	v_pk_add_f32 v[4:5], v[14:15], v[18:19]
	v_mov_b32_e32 v14, v23
	v_pk_mul_f32 v[14:15], v[6:7], v[14:15] op_sel:[1,0] op_sel_hi:[0,0]
	v_pk_fma_f32 v[16:17], v[6:7], v[22:23], v[14:15] neg_lo:[0,0,1] neg_hi:[0,0,1]
	v_pk_fma_f32 v[6:7], v[6:7], v[22:23], v[14:15] op_sel_hi:[1,0,1]
	s_nop 0
	v_mov_b32_e32 v17, v7
	s_waitcnt vmcnt(2) lgkmcnt(2)
	v_pk_mul_f32 v[6:7], v[8:9], v[24:25] op_sel:[1,1] op_sel_hi:[0,1]
	v_pk_fma_f32 v[14:15], v[8:9], v[24:25], v[6:7] neg_lo:[0,0,1] neg_hi:[0,0,1]
	v_pk_fma_f32 v[6:7], v[8:9], v[24:25], v[6:7] op_sel_hi:[1,0,1]
	v_pk_add_f32 v[4:5], v[4:5], v[16:17]
	v_mov_b32_e32 v6, v27
	v_mov_b32_e32 v15, v7
	v_pk_mul_f32 v[6:7], v[10:11], v[6:7] op_sel:[1,0] op_sel_hi:[0,0]
	v_pk_fma_f32 v[8:9], v[10:11], v[26:27], v[6:7] neg_lo:[0,0,1] neg_hi:[0,0,1]
	v_pk_fma_f32 v[6:7], v[10:11], v[26:27], v[6:7] op_sel_hi:[1,0,1]
	v_pk_add_f32 v[4:5], v[4:5], v[14:15]
	v_mov_b32_e32 v9, v7
	s_waitcnt vmcnt(1) lgkmcnt(1)
	v_pk_mul_f32 v[6:7], v[32:33], v[28:29] op_sel:[1,1] op_sel_hi:[0,1]
	v_pk_add_f32 v[4:5], v[4:5], v[8:9]
	v_pk_fma_f32 v[8:9], v[32:33], v[28:29], v[6:7] neg_lo:[0,0,1] neg_hi:[0,0,1]
	v_pk_fma_f32 v[6:7], v[32:33], v[28:29], v[6:7] op_sel_hi:[1,0,1]
	s_nop 0
	v_mov_b32_e32 v6, v31
	v_mov_b32_e32 v9, v7
	v_pk_mul_f32 v[6:7], v[34:35], v[6:7] op_sel:[1,0] op_sel_hi:[0,0]
	v_pk_add_f32 v[4:5], v[4:5], v[8:9]
	v_pk_fma_f32 v[8:9], v[34:35], v[30:31], v[6:7] neg_lo:[0,0,1] neg_hi:[0,0,1]
	v_pk_fma_f32 v[6:7], v[34:35], v[30:31], v[6:7] op_sel_hi:[1,0,1]
	s_nop 0
	v_mov_b32_e32 v9, v7
	s_waitcnt vmcnt(0) lgkmcnt(0)
	v_pk_mul_f32 v[6:7], v[12:13], v[42:43] op_sel:[1,1] op_sel_hi:[0,1]
	v_pk_add_f32 v[4:5], v[4:5], v[8:9]
	v_pk_fma_f32 v[8:9], v[12:13], v[42:43], v[6:7] neg_lo:[0,0,1] neg_hi:[0,0,1]
	v_pk_fma_f32 v[6:7], v[12:13], v[42:43], v[6:7] op_sel_hi:[1,0,1]
	s_nop 0
	v_mov_b32_e32 v9, v7
	scratch_load_dwordx2 v[6:7], off, off offset:192
	v_pk_add_f32 v[4:5], v[4:5], v[8:9]
	s_waitcnt vmcnt(0)
	v_pk_add_f32 v[4:5], v[6:7], v[4:5] neg_lo:[0,1] neg_hi:[0,1]
	scratch_store_dwordx2 off, v[4:5], off offset:192
	s_and_saveexec_b64 s[0:1], vcc
	s_cbranch_execz .LBB35_183
; %bb.182:
	scratch_load_dwordx2 v[4:5], off, off offset:184
	v_mov_b32_e32 v3, v2
	scratch_store_dwordx2 off, v[2:3], off offset:184
	s_waitcnt vmcnt(1)
	ds_write_b64 v1, v[4:5]
.LBB35_183:
	s_or_b64 exec, exec, s[0:1]
	s_waitcnt lgkmcnt(0)
	; wave barrier
	ds_read_b128 v[4:7], v2 offset:480
	ds_read_b128 v[8:11], v2 offset:496
	;; [unrolled: 1-line block ×4, first 2 shown]
	scratch_load_dwordx4 v[20:23], off, off offset:192
	v_cmp_lt_u32_e32 vcc, 22, v0
	s_waitcnt vmcnt(0) lgkmcnt(3)
	v_mul_f32_e32 v3, v4, v21
	v_fmac_f32_e32 v3, v5, v20
	v_mul_f32_e32 v24, v6, v23
	v_add_f32_e32 v3, 0, v3
	v_fmac_f32_e32 v24, v7, v22
	v_add_f32_e32 v45, v3, v24
	scratch_load_dwordx4 v[24:27], off, off offset:208
	scratch_load_dwordx4 v[28:31], off, off offset:224
	;; [unrolled: 1-line block ×5, first 2 shown]
	v_mul_f32_e32 v3, v5, v21
	v_fma_f32 v3, v4, v20, -v3
	v_mul_f32_e32 v4, v7, v23
	v_fma_f32 v4, v6, v22, -v4
	v_add_f32_e32 v3, 0, v3
	v_add_f32_e32 v44, v3, v4
	s_waitcnt vmcnt(3) lgkmcnt(1)
	v_pk_mul_f32 v[20:21], v[12:13], v[28:29] op_sel:[1,1] op_sel_hi:[0,1]
	v_pk_fma_f32 v[22:23], v[12:13], v[28:29], v[20:21] neg_lo:[0,0,1] neg_hi:[0,0,1]
	v_pk_fma_f32 v[12:13], v[12:13], v[28:29], v[20:21] op_sel_hi:[1,0,1]
	v_mul_f32_e32 v47, v8, v25
	v_mov_b32_e32 v12, v31
	v_mul_f32_e32 v3, v9, v25
	v_mov_b32_e32 v23, v13
	v_pk_mul_f32 v[12:13], v[14:15], v[12:13] op_sel:[1,0] op_sel_hi:[0,0]
	v_fmac_f32_e32 v47, v9, v24
	v_mul_f32_e32 v49, v10, v27
	v_fma_f32 v46, v8, v24, -v3
	v_mul_f32_e32 v3, v11, v27
	v_pk_fma_f32 v[20:21], v[14:15], v[30:31], v[12:13] neg_lo:[0,0,1] neg_hi:[0,0,1]
	v_pk_fma_f32 v[12:13], v[14:15], v[30:31], v[12:13] op_sel_hi:[1,0,1]
	v_fmac_f32_e32 v49, v11, v26
	v_fma_f32 v48, v10, v26, -v3
	ds_read_b128 v[4:7], v2 offset:544
	ds_read_b128 v[8:11], v2 offset:560
	v_pk_add_f32 v[2:3], v[44:45], v[46:47]
	v_mov_b32_e32 v21, v13
	s_waitcnt vmcnt(2) lgkmcnt(2)
	v_pk_mul_f32 v[12:13], v[16:17], v[32:33] op_sel:[1,1] op_sel_hi:[0,1]
	v_pk_add_f32 v[2:3], v[2:3], v[48:49]
	v_pk_fma_f32 v[14:15], v[16:17], v[32:33], v[12:13] neg_lo:[0,0,1] neg_hi:[0,0,1]
	v_pk_fma_f32 v[12:13], v[16:17], v[32:33], v[12:13] op_sel_hi:[1,0,1]
	v_pk_add_f32 v[2:3], v[2:3], v[22:23]
	v_mov_b32_e32 v12, v35
	v_pk_add_f32 v[2:3], v[2:3], v[20:21]
	v_mov_b32_e32 v15, v13
	v_pk_mul_f32 v[12:13], v[18:19], v[12:13] op_sel:[1,0] op_sel_hi:[0,0]
	v_pk_add_f32 v[2:3], v[2:3], v[14:15]
	v_pk_fma_f32 v[14:15], v[18:19], v[34:35], v[12:13] neg_lo:[0,0,1] neg_hi:[0,0,1]
	v_pk_fma_f32 v[12:13], v[18:19], v[34:35], v[12:13] op_sel_hi:[1,0,1]
	s_nop 0
	v_mov_b32_e32 v15, v13
	s_waitcnt vmcnt(1) lgkmcnt(1)
	v_pk_mul_f32 v[12:13], v[4:5], v[36:37] op_sel:[1,1] op_sel_hi:[0,1]
	v_pk_add_f32 v[2:3], v[2:3], v[14:15]
	v_pk_fma_f32 v[14:15], v[4:5], v[36:37], v[12:13] neg_lo:[0,0,1] neg_hi:[0,0,1]
	v_pk_fma_f32 v[4:5], v[4:5], v[36:37], v[12:13] op_sel_hi:[1,0,1]
	s_nop 0
	v_mov_b32_e32 v4, v39
	v_mov_b32_e32 v15, v5
	v_pk_mul_f32 v[4:5], v[6:7], v[4:5] op_sel:[1,0] op_sel_hi:[0,0]
	v_pk_fma_f32 v[12:13], v[6:7], v[38:39], v[4:5] neg_lo:[0,0,1] neg_hi:[0,0,1]
	v_pk_fma_f32 v[4:5], v[6:7], v[38:39], v[4:5] op_sel_hi:[1,0,1]
	v_pk_add_f32 v[2:3], v[2:3], v[14:15]
	v_mov_b32_e32 v13, v5
	s_waitcnt vmcnt(0) lgkmcnt(0)
	v_pk_mul_f32 v[4:5], v[8:9], v[40:41] op_sel:[1,1] op_sel_hi:[0,1]
	v_pk_fma_f32 v[6:7], v[8:9], v[40:41], v[4:5] neg_lo:[0,0,1] neg_hi:[0,0,1]
	v_pk_fma_f32 v[4:5], v[8:9], v[40:41], v[4:5] op_sel_hi:[1,0,1]
	v_pk_add_f32 v[2:3], v[2:3], v[12:13]
	v_mov_b32_e32 v4, v43
	v_mov_b32_e32 v7, v5
	v_pk_mul_f32 v[4:5], v[10:11], v[4:5] op_sel:[1,0] op_sel_hi:[0,0]
	v_pk_add_f32 v[2:3], v[2:3], v[6:7]
	v_pk_fma_f32 v[6:7], v[10:11], v[42:43], v[4:5] neg_lo:[0,0,1] neg_hi:[0,0,1]
	v_pk_fma_f32 v[4:5], v[10:11], v[42:43], v[4:5] op_sel_hi:[1,0,1]
	s_nop 0
	v_mov_b32_e32 v7, v5
	scratch_load_dwordx2 v[4:5], off, off offset:184
	v_pk_add_f32 v[2:3], v[2:3], v[6:7]
	s_waitcnt vmcnt(0)
	v_pk_add_f32 v[2:3], v[4:5], v[2:3] neg_lo:[0,1] neg_hi:[0,1]
	scratch_store_dwordx2 off, v[2:3], off offset:184
	s_and_saveexec_b64 s[0:1], vcc
	s_cbranch_execz .LBB35_185
; %bb.184:
	scratch_load_dwordx2 v[2:3], off, off offset:176
	v_mov_b32_e32 v4, 0
	v_mov_b32_e32 v5, v4
	scratch_store_dwordx2 off, v[4:5], off offset:176
	s_waitcnt vmcnt(1)
	ds_write_b64 v1, v[2:3]
.LBB35_185:
	s_or_b64 exec, exec, s[0:1]
	s_waitcnt lgkmcnt(0)
	; wave barrier
	scratch_load_dwordx4 v[8:11], off, off offset:184
	scratch_load_dwordx4 v[16:19], off, off offset:200
	v_mov_b32_e32 v2, 0
	ds_read2_b64 v[4:7], v2 offset0:59 offset1:60
	scratch_load_dwordx4 v[24:27], off, off offset:216
	v_cmp_lt_u32_e32 vcc, 21, v0
	s_waitcnt vmcnt(2) lgkmcnt(0)
	v_mul_f32_e32 v3, v4, v9
	v_fmac_f32_e32 v3, v5, v8
	v_mul_f32_e32 v12, v6, v11
	v_add_f32_e32 v3, 0, v3
	v_fmac_f32_e32 v12, v7, v10
	v_add_f32_e32 v3, v3, v12
	ds_read2_b64 v[12:15], v2 offset0:61 offset1:62
	s_waitcnt vmcnt(1) lgkmcnt(0)
	v_mul_f32_e32 v20, v12, v17
	v_fmac_f32_e32 v20, v13, v16
	v_add_f32_e32 v41, v3, v20
	ds_read2_b64 v[20:23], v2 offset0:63 offset1:64
	scratch_load_dwordx4 v[28:31], off, off offset:232
	scratch_load_dwordx4 v[32:35], off, off offset:248
	;; [unrolled: 1-line block ×3, first 2 shown]
	scratch_load_dwordx2 v[46:47], off, off offset:280
	v_mul_f32_e32 v3, v5, v9
	v_fma_f32 v3, v4, v8, -v3
	v_mul_f32_e32 v4, v7, v11
	v_add_f32_e32 v3, 0, v3
	v_fma_f32 v4, v6, v10, -v4
	v_add_f32_e32 v3, v3, v4
	v_mul_f32_e32 v4, v13, v17
	v_fma_f32 v4, v12, v16, -v4
	v_add_f32_e32 v40, v3, v4
	v_mul_f32_e32 v3, v15, v19
	v_fma_f32 v42, v14, v18, -v3
	s_waitcnt vmcnt(4) lgkmcnt(0)
	v_mul_f32_e32 v3, v21, v25
	v_mul_f32_e32 v43, v14, v19
	;; [unrolled: 1-line block ×3, first 2 shown]
	v_fma_f32 v44, v20, v24, -v3
	v_mov_b32_e32 v20, v27
	v_fmac_f32_e32 v43, v15, v18
	v_fmac_f32_e32 v45, v21, v24
	ds_read2_b64 v[4:7], v2 offset0:65 offset1:66
	ds_read2_b64 v[8:11], v2 offset0:67 offset1:68
	;; [unrolled: 1-line block ×3, first 2 shown]
	ds_read_b64 v[16:17], v2 offset:568
	v_pk_mul_f32 v[20:21], v[22:23], v[20:21] op_sel:[1,0] op_sel_hi:[0,0]
	v_pk_fma_f32 v[24:25], v[22:23], v[26:27], v[20:21] neg_lo:[0,0,1] neg_hi:[0,0,1]
	v_pk_fma_f32 v[20:21], v[22:23], v[26:27], v[20:21] op_sel_hi:[1,0,1]
	v_pk_add_f32 v[18:19], v[40:41], v[42:43]
	v_mov_b32_e32 v25, v21
	v_pk_add_f32 v[18:19], v[18:19], v[44:45]
	s_waitcnt vmcnt(3) lgkmcnt(3)
	v_pk_mul_f32 v[20:21], v[4:5], v[28:29] op_sel:[1,1] op_sel_hi:[0,1]
	v_pk_fma_f32 v[22:23], v[4:5], v[28:29], v[20:21] neg_lo:[0,0,1] neg_hi:[0,0,1]
	v_pk_fma_f32 v[4:5], v[4:5], v[28:29], v[20:21] op_sel_hi:[1,0,1]
	v_pk_add_f32 v[18:19], v[18:19], v[24:25]
	v_mov_b32_e32 v23, v5
	v_pk_add_f32 v[4:5], v[18:19], v[22:23]
	v_mov_b32_e32 v18, v31
	v_pk_mul_f32 v[18:19], v[6:7], v[18:19] op_sel:[1,0] op_sel_hi:[0,0]
	v_pk_fma_f32 v[20:21], v[6:7], v[30:31], v[18:19] neg_lo:[0,0,1] neg_hi:[0,0,1]
	v_pk_fma_f32 v[6:7], v[6:7], v[30:31], v[18:19] op_sel_hi:[1,0,1]
	s_nop 0
	v_mov_b32_e32 v21, v7
	s_waitcnt vmcnt(2) lgkmcnt(2)
	v_pk_mul_f32 v[6:7], v[8:9], v[32:33] op_sel:[1,1] op_sel_hi:[0,1]
	v_pk_fma_f32 v[18:19], v[8:9], v[32:33], v[6:7] neg_lo:[0,0,1] neg_hi:[0,0,1]
	v_pk_fma_f32 v[6:7], v[8:9], v[32:33], v[6:7] op_sel_hi:[1,0,1]
	v_pk_add_f32 v[4:5], v[4:5], v[20:21]
	v_mov_b32_e32 v6, v35
	v_mov_b32_e32 v19, v7
	v_pk_mul_f32 v[6:7], v[10:11], v[6:7] op_sel:[1,0] op_sel_hi:[0,0]
	v_pk_fma_f32 v[8:9], v[10:11], v[34:35], v[6:7] neg_lo:[0,0,1] neg_hi:[0,0,1]
	v_pk_fma_f32 v[6:7], v[10:11], v[34:35], v[6:7] op_sel_hi:[1,0,1]
	v_pk_add_f32 v[4:5], v[4:5], v[18:19]
	v_mov_b32_e32 v9, v7
	s_waitcnt vmcnt(1) lgkmcnt(1)
	v_pk_mul_f32 v[6:7], v[12:13], v[36:37] op_sel:[1,1] op_sel_hi:[0,1]
	v_pk_add_f32 v[4:5], v[4:5], v[8:9]
	v_pk_fma_f32 v[8:9], v[12:13], v[36:37], v[6:7] neg_lo:[0,0,1] neg_hi:[0,0,1]
	v_pk_fma_f32 v[6:7], v[12:13], v[36:37], v[6:7] op_sel_hi:[1,0,1]
	s_nop 0
	v_mov_b32_e32 v6, v39
	v_mov_b32_e32 v9, v7
	v_pk_mul_f32 v[6:7], v[14:15], v[6:7] op_sel:[1,0] op_sel_hi:[0,0]
	v_pk_add_f32 v[4:5], v[4:5], v[8:9]
	v_pk_fma_f32 v[8:9], v[14:15], v[38:39], v[6:7] neg_lo:[0,0,1] neg_hi:[0,0,1]
	v_pk_fma_f32 v[6:7], v[14:15], v[38:39], v[6:7] op_sel_hi:[1,0,1]
	s_nop 0
	v_mov_b32_e32 v9, v7
	s_waitcnt vmcnt(0) lgkmcnt(0)
	v_pk_mul_f32 v[6:7], v[16:17], v[46:47] op_sel:[1,1] op_sel_hi:[0,1]
	v_pk_add_f32 v[4:5], v[4:5], v[8:9]
	v_pk_fma_f32 v[8:9], v[16:17], v[46:47], v[6:7] neg_lo:[0,0,1] neg_hi:[0,0,1]
	v_pk_fma_f32 v[6:7], v[16:17], v[46:47], v[6:7] op_sel_hi:[1,0,1]
	s_nop 0
	v_mov_b32_e32 v9, v7
	scratch_load_dwordx2 v[6:7], off, off offset:176
	v_pk_add_f32 v[4:5], v[4:5], v[8:9]
	s_waitcnt vmcnt(0)
	v_pk_add_f32 v[4:5], v[6:7], v[4:5] neg_lo:[0,1] neg_hi:[0,1]
	scratch_store_dwordx2 off, v[4:5], off offset:176
	s_and_saveexec_b64 s[0:1], vcc
	s_cbranch_execz .LBB35_187
; %bb.186:
	scratch_load_dwordx2 v[4:5], off, off offset:168
	v_mov_b32_e32 v3, v2
	scratch_store_dwordx2 off, v[2:3], off offset:168
	s_waitcnt vmcnt(1)
	ds_write_b64 v1, v[4:5]
.LBB35_187:
	s_or_b64 exec, exec, s[0:1]
	s_waitcnt lgkmcnt(0)
	; wave barrier
	ds_read_b128 v[4:7], v2 offset:464
	ds_read_b128 v[8:11], v2 offset:480
	;; [unrolled: 1-line block ×4, first 2 shown]
	scratch_load_dwordx4 v[20:23], off, off offset:176
	v_cmp_lt_u32_e32 vcc, 20, v0
	s_waitcnt vmcnt(0) lgkmcnt(3)
	v_mul_f32_e32 v3, v4, v21
	v_fmac_f32_e32 v3, v5, v20
	v_mul_f32_e32 v24, v6, v23
	v_add_f32_e32 v3, 0, v3
	v_fmac_f32_e32 v24, v7, v22
	v_add_f32_e32 v3, v3, v24
	scratch_load_dwordx4 v[24:27], off, off offset:192
	s_waitcnt vmcnt(0) lgkmcnt(2)
	v_mul_f32_e32 v28, v8, v25
	v_fmac_f32_e32 v28, v9, v24
	v_add_f32_e32 v3, v3, v28
	v_mul_f32_e32 v28, v10, v27
	v_fmac_f32_e32 v28, v11, v26
	v_add_f32_e32 v49, v3, v28
	scratch_load_dwordx4 v[28:31], off, off offset:208
	scratch_load_dwordx4 v[32:35], off, off offset:224
	scratch_load_dwordx4 v[36:39], off, off offset:240
	scratch_load_dwordx4 v[40:43], off, off offset:256
	scratch_load_dwordx4 v[44:47], off, off offset:272
	v_mul_f32_e32 v3, v5, v21
	v_fma_f32 v3, v4, v20, -v3
	v_mul_f32_e32 v4, v7, v23
	v_add_f32_e32 v3, 0, v3
	v_fma_f32 v4, v6, v22, -v4
	v_add_f32_e32 v3, v3, v4
	v_mul_f32_e32 v4, v9, v25
	v_fma_f32 v4, v8, v24, -v4
	v_add_f32_e32 v3, v3, v4
	v_mul_f32_e32 v4, v11, v27
	v_fma_f32 v4, v10, v26, -v4
	v_add_f32_e32 v48, v3, v4
	s_waitcnt vmcnt(3) lgkmcnt(0)
	v_pk_mul_f32 v[20:21], v[16:17], v[32:33] op_sel:[1,1] op_sel_hi:[0,1]
	v_pk_fma_f32 v[22:23], v[16:17], v[32:33], v[20:21] neg_lo:[0,0,1] neg_hi:[0,0,1]
	v_mul_f32_e32 v3, v13, v29
	v_mul_f32_e32 v51, v12, v29
	;; [unrolled: 1-line block ×3, first 2 shown]
	v_fma_f32 v50, v12, v28, -v3
	v_mul_f32_e32 v3, v15, v31
	v_pk_fma_f32 v[16:17], v[16:17], v[32:33], v[20:21] op_sel_hi:[1,0,1]
	v_fmac_f32_e32 v51, v13, v28
	v_fmac_f32_e32 v53, v15, v30
	v_fma_f32 v52, v14, v30, -v3
	ds_read_b128 v[4:7], v2 offset:528
	ds_read_b128 v[8:11], v2 offset:544
	;; [unrolled: 1-line block ×3, first 2 shown]
	v_mov_b32_e32 v16, v35
	v_mov_b32_e32 v23, v17
	v_pk_mul_f32 v[16:17], v[18:19], v[16:17] op_sel:[1,0] op_sel_hi:[0,0]
	v_pk_fma_f32 v[20:21], v[18:19], v[34:35], v[16:17] neg_lo:[0,0,1] neg_hi:[0,0,1]
	v_pk_fma_f32 v[16:17], v[18:19], v[34:35], v[16:17] op_sel_hi:[1,0,1]
	v_pk_add_f32 v[2:3], v[48:49], v[50:51]
	v_mov_b32_e32 v21, v17
	s_waitcnt vmcnt(2) lgkmcnt(2)
	v_pk_mul_f32 v[16:17], v[4:5], v[36:37] op_sel:[1,1] op_sel_hi:[0,1]
	v_pk_fma_f32 v[18:19], v[4:5], v[36:37], v[16:17] neg_lo:[0,0,1] neg_hi:[0,0,1]
	v_pk_fma_f32 v[4:5], v[4:5], v[36:37], v[16:17] op_sel_hi:[1,0,1]
	v_pk_add_f32 v[2:3], v[2:3], v[52:53]
	v_mov_b32_e32 v4, v39
	v_mov_b32_e32 v19, v5
	v_pk_mul_f32 v[4:5], v[6:7], v[4:5] op_sel:[1,0] op_sel_hi:[0,0]
	v_pk_fma_f32 v[16:17], v[6:7], v[38:39], v[4:5] neg_lo:[0,0,1] neg_hi:[0,0,1]
	v_pk_fma_f32 v[4:5], v[6:7], v[38:39], v[4:5] op_sel_hi:[1,0,1]
	v_pk_add_f32 v[2:3], v[2:3], v[22:23]
	v_mov_b32_e32 v17, v5
	s_waitcnt vmcnt(1) lgkmcnt(1)
	v_pk_mul_f32 v[4:5], v[8:9], v[40:41] op_sel:[1,1] op_sel_hi:[0,1]
	v_pk_add_f32 v[2:3], v[2:3], v[20:21]
	v_pk_fma_f32 v[6:7], v[8:9], v[40:41], v[4:5] neg_lo:[0,0,1] neg_hi:[0,0,1]
	v_pk_fma_f32 v[4:5], v[8:9], v[40:41], v[4:5] op_sel_hi:[1,0,1]
	v_pk_add_f32 v[2:3], v[2:3], v[18:19]
	v_mov_b32_e32 v4, v43
	v_pk_add_f32 v[2:3], v[2:3], v[16:17]
	v_mov_b32_e32 v7, v5
	v_pk_mul_f32 v[4:5], v[10:11], v[4:5] op_sel:[1,0] op_sel_hi:[0,0]
	v_pk_add_f32 v[2:3], v[2:3], v[6:7]
	v_pk_fma_f32 v[6:7], v[10:11], v[42:43], v[4:5] neg_lo:[0,0,1] neg_hi:[0,0,1]
	v_pk_fma_f32 v[4:5], v[10:11], v[42:43], v[4:5] op_sel_hi:[1,0,1]
	s_nop 0
	v_mov_b32_e32 v7, v5
	s_waitcnt vmcnt(0) lgkmcnt(0)
	v_pk_mul_f32 v[4:5], v[12:13], v[44:45] op_sel:[1,1] op_sel_hi:[0,1]
	v_pk_add_f32 v[2:3], v[2:3], v[6:7]
	v_pk_fma_f32 v[6:7], v[12:13], v[44:45], v[4:5] neg_lo:[0,0,1] neg_hi:[0,0,1]
	v_pk_fma_f32 v[4:5], v[12:13], v[44:45], v[4:5] op_sel_hi:[1,0,1]
	s_nop 0
	v_mov_b32_e32 v4, v47
	v_mov_b32_e32 v7, v5
	v_pk_mul_f32 v[4:5], v[14:15], v[4:5] op_sel:[1,0] op_sel_hi:[0,0]
	v_pk_add_f32 v[2:3], v[2:3], v[6:7]
	v_pk_fma_f32 v[6:7], v[14:15], v[46:47], v[4:5] neg_lo:[0,0,1] neg_hi:[0,0,1]
	v_pk_fma_f32 v[4:5], v[14:15], v[46:47], v[4:5] op_sel_hi:[1,0,1]
	s_nop 0
	v_mov_b32_e32 v7, v5
	scratch_load_dwordx2 v[4:5], off, off offset:168
	v_pk_add_f32 v[2:3], v[2:3], v[6:7]
	s_waitcnt vmcnt(0)
	v_pk_add_f32 v[2:3], v[4:5], v[2:3] neg_lo:[0,1] neg_hi:[0,1]
	scratch_store_dwordx2 off, v[2:3], off offset:168
	s_and_saveexec_b64 s[0:1], vcc
	s_cbranch_execz .LBB35_189
; %bb.188:
	scratch_load_dwordx2 v[2:3], off, off offset:160
	v_mov_b32_e32 v4, 0
	v_mov_b32_e32 v5, v4
	scratch_store_dwordx2 off, v[4:5], off offset:160
	s_waitcnt vmcnt(1)
	ds_write_b64 v1, v[2:3]
.LBB35_189:
	s_or_b64 exec, exec, s[0:1]
	s_waitcnt lgkmcnt(0)
	; wave barrier
	scratch_load_dwordx4 v[8:11], off, off offset:168
	scratch_load_dwordx4 v[16:19], off, off offset:184
	;; [unrolled: 1-line block ×4, first 2 shown]
	v_mov_b32_e32 v2, 0
	ds_read2_b64 v[4:7], v2 offset0:57 offset1:58
	v_cmp_lt_u32_e32 vcc, 19, v0
	s_waitcnt vmcnt(3) lgkmcnt(0)
	v_mul_f32_e32 v3, v4, v9
	v_fmac_f32_e32 v3, v5, v8
	v_mul_f32_e32 v12, v6, v11
	v_add_f32_e32 v3, 0, v3
	v_fmac_f32_e32 v12, v7, v10
	v_add_f32_e32 v3, v3, v12
	ds_read2_b64 v[12:15], v2 offset0:59 offset1:60
	s_waitcnt vmcnt(2) lgkmcnt(0)
	v_mul_f32_e32 v20, v12, v17
	v_fmac_f32_e32 v20, v13, v16
	v_add_f32_e32 v3, v3, v20
	v_mul_f32_e32 v20, v14, v19
	v_fmac_f32_e32 v20, v15, v18
	v_add_f32_e32 v3, v3, v20
	ds_read2_b64 v[20:23], v2 offset0:61 offset1:62
	s_waitcnt vmcnt(1) lgkmcnt(0)
	v_mul_f32_e32 v28, v20, v25
	v_fmac_f32_e32 v28, v21, v24
	v_add_f32_e32 v49, v3, v28
	ds_read2_b64 v[28:31], v2 offset0:63 offset1:64
	scratch_load_dwordx4 v[36:39], off, off offset:232
	scratch_load_dwordx4 v[40:43], off, off offset:248
	;; [unrolled: 1-line block ×3, first 2 shown]
	scratch_load_dwordx2 v[54:55], off, off offset:280
	v_mul_f32_e32 v3, v5, v9
	v_fma_f32 v3, v4, v8, -v3
	v_mul_f32_e32 v4, v7, v11
	v_add_f32_e32 v3, 0, v3
	v_fma_f32 v4, v6, v10, -v4
	v_add_f32_e32 v3, v3, v4
	v_mul_f32_e32 v4, v13, v17
	v_fma_f32 v4, v12, v16, -v4
	v_add_f32_e32 v3, v3, v4
	v_mul_f32_e32 v4, v15, v19
	;; [unrolled: 3-line block ×3, first 2 shown]
	v_fma_f32 v4, v20, v24, -v4
	v_mul_f32_e32 v51, v22, v27
	v_add_f32_e32 v48, v3, v4
	v_mul_f32_e32 v3, v23, v27
	s_waitcnt vmcnt(4)
	v_mov_b32_e32 v20, v35
	v_fmac_f32_e32 v51, v23, v26
	s_waitcnt lgkmcnt(0)
	v_mul_f32_e32 v53, v28, v33
	v_fma_f32 v50, v22, v26, -v3
	v_mul_f32_e32 v3, v29, v33
	ds_read2_b64 v[4:7], v2 offset0:65 offset1:66
	ds_read2_b64 v[8:11], v2 offset0:67 offset1:68
	;; [unrolled: 1-line block ×3, first 2 shown]
	ds_read_b64 v[16:17], v2 offset:568
	v_pk_mul_f32 v[20:21], v[30:31], v[20:21] op_sel:[1,0] op_sel_hi:[0,0]
	v_fmac_f32_e32 v53, v29, v32
	v_fma_f32 v52, v28, v32, -v3
	v_pk_add_f32 v[18:19], v[48:49], v[50:51]
	v_pk_fma_f32 v[22:23], v[30:31], v[34:35], v[20:21] neg_lo:[0,0,1] neg_hi:[0,0,1]
	v_pk_fma_f32 v[20:21], v[30:31], v[34:35], v[20:21] op_sel_hi:[1,0,1]
	v_pk_add_f32 v[18:19], v[18:19], v[52:53]
	v_mov_b32_e32 v23, v21
	v_pk_add_f32 v[18:19], v[18:19], v[22:23]
	s_waitcnt vmcnt(3) lgkmcnt(3)
	v_pk_mul_f32 v[20:21], v[4:5], v[36:37] op_sel:[1,1] op_sel_hi:[0,1]
	v_pk_fma_f32 v[22:23], v[4:5], v[36:37], v[20:21] neg_lo:[0,0,1] neg_hi:[0,0,1]
	v_pk_fma_f32 v[4:5], v[4:5], v[36:37], v[20:21] op_sel_hi:[1,0,1]
	s_nop 0
	v_mov_b32_e32 v23, v5
	v_pk_add_f32 v[4:5], v[18:19], v[22:23]
	v_mov_b32_e32 v18, v39
	v_pk_mul_f32 v[18:19], v[6:7], v[18:19] op_sel:[1,0] op_sel_hi:[0,0]
	v_pk_fma_f32 v[20:21], v[6:7], v[38:39], v[18:19] neg_lo:[0,0,1] neg_hi:[0,0,1]
	v_pk_fma_f32 v[6:7], v[6:7], v[38:39], v[18:19] op_sel_hi:[1,0,1]
	s_nop 0
	v_mov_b32_e32 v21, v7
	s_waitcnt vmcnt(2) lgkmcnt(2)
	v_pk_mul_f32 v[6:7], v[8:9], v[40:41] op_sel:[1,1] op_sel_hi:[0,1]
	v_pk_fma_f32 v[18:19], v[8:9], v[40:41], v[6:7] neg_lo:[0,0,1] neg_hi:[0,0,1]
	v_pk_fma_f32 v[6:7], v[8:9], v[40:41], v[6:7] op_sel_hi:[1,0,1]
	v_pk_add_f32 v[4:5], v[4:5], v[20:21]
	v_mov_b32_e32 v6, v43
	v_mov_b32_e32 v19, v7
	v_pk_mul_f32 v[6:7], v[10:11], v[6:7] op_sel:[1,0] op_sel_hi:[0,0]
	v_pk_fma_f32 v[8:9], v[10:11], v[42:43], v[6:7] neg_lo:[0,0,1] neg_hi:[0,0,1]
	v_pk_fma_f32 v[6:7], v[10:11], v[42:43], v[6:7] op_sel_hi:[1,0,1]
	v_pk_add_f32 v[4:5], v[4:5], v[18:19]
	v_mov_b32_e32 v9, v7
	s_waitcnt vmcnt(1) lgkmcnt(1)
	v_pk_mul_f32 v[6:7], v[12:13], v[44:45] op_sel:[1,1] op_sel_hi:[0,1]
	v_pk_add_f32 v[4:5], v[4:5], v[8:9]
	v_pk_fma_f32 v[8:9], v[12:13], v[44:45], v[6:7] neg_lo:[0,0,1] neg_hi:[0,0,1]
	v_pk_fma_f32 v[6:7], v[12:13], v[44:45], v[6:7] op_sel_hi:[1,0,1]
	s_nop 0
	v_mov_b32_e32 v6, v47
	v_mov_b32_e32 v9, v7
	v_pk_mul_f32 v[6:7], v[14:15], v[6:7] op_sel:[1,0] op_sel_hi:[0,0]
	v_pk_add_f32 v[4:5], v[4:5], v[8:9]
	v_pk_fma_f32 v[8:9], v[14:15], v[46:47], v[6:7] neg_lo:[0,0,1] neg_hi:[0,0,1]
	v_pk_fma_f32 v[6:7], v[14:15], v[46:47], v[6:7] op_sel_hi:[1,0,1]
	s_nop 0
	v_mov_b32_e32 v9, v7
	s_waitcnt vmcnt(0) lgkmcnt(0)
	v_pk_mul_f32 v[6:7], v[16:17], v[54:55] op_sel:[1,1] op_sel_hi:[0,1]
	v_pk_add_f32 v[4:5], v[4:5], v[8:9]
	v_pk_fma_f32 v[8:9], v[16:17], v[54:55], v[6:7] neg_lo:[0,0,1] neg_hi:[0,0,1]
	v_pk_fma_f32 v[6:7], v[16:17], v[54:55], v[6:7] op_sel_hi:[1,0,1]
	s_nop 0
	v_mov_b32_e32 v9, v7
	scratch_load_dwordx2 v[6:7], off, off offset:160
	v_pk_add_f32 v[4:5], v[4:5], v[8:9]
	s_waitcnt vmcnt(0)
	v_pk_add_f32 v[4:5], v[6:7], v[4:5] neg_lo:[0,1] neg_hi:[0,1]
	scratch_store_dwordx2 off, v[4:5], off offset:160
	s_and_saveexec_b64 s[0:1], vcc
	s_cbranch_execz .LBB35_191
; %bb.190:
	scratch_load_dwordx2 v[4:5], off, off offset:152
	v_mov_b32_e32 v3, v2
	scratch_store_dwordx2 off, v[2:3], off offset:152
	s_waitcnt vmcnt(1)
	ds_write_b64 v1, v[4:5]
.LBB35_191:
	s_or_b64 exec, exec, s[0:1]
	s_waitcnt lgkmcnt(0)
	; wave barrier
	ds_read_b128 v[4:7], v2 offset:448
	ds_read_b128 v[8:11], v2 offset:464
	;; [unrolled: 1-line block ×4, first 2 shown]
	scratch_load_dwordx4 v[20:23], off, off offset:160
	v_cmp_lt_u32_e32 vcc, 18, v0
	s_waitcnt vmcnt(0) lgkmcnt(3)
	v_mul_f32_e32 v3, v4, v21
	v_fmac_f32_e32 v3, v5, v20
	v_mul_f32_e32 v24, v6, v23
	v_add_f32_e32 v3, 0, v3
	v_fmac_f32_e32 v24, v7, v22
	v_add_f32_e32 v3, v3, v24
	scratch_load_dwordx4 v[24:27], off, off offset:176
	s_waitcnt vmcnt(0) lgkmcnt(2)
	v_mul_f32_e32 v28, v8, v25
	v_fmac_f32_e32 v28, v9, v24
	v_add_f32_e32 v3, v3, v28
	v_mul_f32_e32 v28, v10, v27
	v_fmac_f32_e32 v28, v11, v26
	v_add_f32_e32 v3, v3, v28
	scratch_load_dwordx4 v[28:31], off, off offset:192
	s_waitcnt vmcnt(0) lgkmcnt(1)
	v_mul_f32_e32 v32, v12, v29
	v_fmac_f32_e32 v32, v13, v28
	v_add_f32_e32 v3, v3, v32
	v_mul_f32_e32 v32, v14, v31
	v_fmac_f32_e32 v32, v15, v30
	v_add_f32_e32 v53, v3, v32
	scratch_load_dwordx4 v[32:35], off, off offset:208
	scratch_load_dwordx4 v[36:39], off, off offset:224
	;; [unrolled: 1-line block ×5, first 2 shown]
	v_mul_f32_e32 v3, v5, v21
	v_fma_f32 v3, v4, v20, -v3
	v_mul_f32_e32 v4, v7, v23
	v_add_f32_e32 v3, 0, v3
	v_fma_f32 v4, v6, v22, -v4
	v_add_f32_e32 v3, v3, v4
	v_mul_f32_e32 v4, v9, v25
	v_fma_f32 v4, v8, v24, -v4
	v_add_f32_e32 v3, v3, v4
	v_mul_f32_e32 v4, v11, v27
	;; [unrolled: 3-line block ×4, first 2 shown]
	v_fma_f32 v4, v14, v30, -v4
	v_add_f32_e32 v52, v3, v4
	s_waitcnt vmcnt(4) lgkmcnt(0)
	v_mul_f32_e32 v3, v17, v33
	v_mul_f32_e32 v55, v16, v33
	;; [unrolled: 1-line block ×3, first 2 shown]
	v_fma_f32 v54, v16, v32, -v3
	v_mul_f32_e32 v3, v19, v35
	v_fmac_f32_e32 v55, v17, v32
	v_fmac_f32_e32 v57, v19, v34
	v_fma_f32 v56, v18, v34, -v3
	ds_read_b128 v[4:7], v2 offset:512
	ds_read_b128 v[8:11], v2 offset:528
	;; [unrolled: 1-line block ×4, first 2 shown]
	v_pk_add_f32 v[2:3], v[52:53], v[54:55]
	s_waitcnt vmcnt(3) lgkmcnt(3)
	v_pk_mul_f32 v[20:21], v[4:5], v[36:37] op_sel:[1,1] op_sel_hi:[0,1]
	v_pk_fma_f32 v[22:23], v[4:5], v[36:37], v[20:21] neg_lo:[0,0,1] neg_hi:[0,0,1]
	v_pk_fma_f32 v[4:5], v[4:5], v[36:37], v[20:21] op_sel_hi:[1,0,1]
	v_pk_add_f32 v[2:3], v[2:3], v[56:57]
	v_mov_b32_e32 v4, v39
	v_mov_b32_e32 v23, v5
	v_pk_mul_f32 v[4:5], v[6:7], v[4:5] op_sel:[1,0] op_sel_hi:[0,0]
	v_pk_fma_f32 v[20:21], v[6:7], v[38:39], v[4:5] neg_lo:[0,0,1] neg_hi:[0,0,1]
	v_pk_fma_f32 v[4:5], v[6:7], v[38:39], v[4:5] op_sel_hi:[1,0,1]
	v_pk_add_f32 v[2:3], v[2:3], v[22:23]
	v_mov_b32_e32 v21, v5
	s_waitcnt vmcnt(2) lgkmcnt(2)
	v_pk_mul_f32 v[4:5], v[8:9], v[40:41] op_sel:[1,1] op_sel_hi:[0,1]
	v_pk_fma_f32 v[6:7], v[8:9], v[40:41], v[4:5] neg_lo:[0,0,1] neg_hi:[0,0,1]
	v_pk_fma_f32 v[4:5], v[8:9], v[40:41], v[4:5] op_sel_hi:[1,0,1]
	v_pk_add_f32 v[2:3], v[2:3], v[20:21]
	v_mov_b32_e32 v4, v43
	v_mov_b32_e32 v7, v5
	v_pk_mul_f32 v[4:5], v[10:11], v[4:5] op_sel:[1,0] op_sel_hi:[0,0]
	v_pk_add_f32 v[2:3], v[2:3], v[6:7]
	v_pk_fma_f32 v[6:7], v[10:11], v[42:43], v[4:5] neg_lo:[0,0,1] neg_hi:[0,0,1]
	v_pk_fma_f32 v[4:5], v[10:11], v[42:43], v[4:5] op_sel_hi:[1,0,1]
	s_nop 0
	v_mov_b32_e32 v7, v5
	s_waitcnt vmcnt(1) lgkmcnt(1)
	v_pk_mul_f32 v[4:5], v[12:13], v[44:45] op_sel:[1,1] op_sel_hi:[0,1]
	v_pk_add_f32 v[2:3], v[2:3], v[6:7]
	v_pk_fma_f32 v[6:7], v[12:13], v[44:45], v[4:5] neg_lo:[0,0,1] neg_hi:[0,0,1]
	v_pk_fma_f32 v[4:5], v[12:13], v[44:45], v[4:5] op_sel_hi:[1,0,1]
	s_nop 0
	v_mov_b32_e32 v4, v47
	v_mov_b32_e32 v7, v5
	v_pk_mul_f32 v[4:5], v[14:15], v[4:5] op_sel:[1,0] op_sel_hi:[0,0]
	v_pk_add_f32 v[2:3], v[2:3], v[6:7]
	v_pk_fma_f32 v[6:7], v[14:15], v[46:47], v[4:5] neg_lo:[0,0,1] neg_hi:[0,0,1]
	v_pk_fma_f32 v[4:5], v[14:15], v[46:47], v[4:5] op_sel_hi:[1,0,1]
	s_nop 0
	v_mov_b32_e32 v7, v5
	s_waitcnt vmcnt(0) lgkmcnt(0)
	v_pk_mul_f32 v[4:5], v[16:17], v[48:49] op_sel:[1,1] op_sel_hi:[0,1]
	v_pk_add_f32 v[2:3], v[2:3], v[6:7]
	v_pk_fma_f32 v[6:7], v[16:17], v[48:49], v[4:5] neg_lo:[0,0,1] neg_hi:[0,0,1]
	v_pk_fma_f32 v[4:5], v[16:17], v[48:49], v[4:5] op_sel_hi:[1,0,1]
	s_nop 0
	v_mov_b32_e32 v4, v51
	v_mov_b32_e32 v7, v5
	v_pk_mul_f32 v[4:5], v[18:19], v[4:5] op_sel:[1,0] op_sel_hi:[0,0]
	v_pk_add_f32 v[2:3], v[2:3], v[6:7]
	v_pk_fma_f32 v[6:7], v[18:19], v[50:51], v[4:5] neg_lo:[0,0,1] neg_hi:[0,0,1]
	v_pk_fma_f32 v[4:5], v[18:19], v[50:51], v[4:5] op_sel_hi:[1,0,1]
	s_nop 0
	v_mov_b32_e32 v7, v5
	scratch_load_dwordx2 v[4:5], off, off offset:152
	v_pk_add_f32 v[2:3], v[2:3], v[6:7]
	s_waitcnt vmcnt(0)
	v_pk_add_f32 v[2:3], v[4:5], v[2:3] neg_lo:[0,1] neg_hi:[0,1]
	scratch_store_dwordx2 off, v[2:3], off offset:152
	s_and_saveexec_b64 s[0:1], vcc
	s_cbranch_execz .LBB35_193
; %bb.192:
	scratch_load_dwordx2 v[2:3], off, off offset:144
	v_mov_b32_e32 v4, 0
	v_mov_b32_e32 v5, v4
	scratch_store_dwordx2 off, v[4:5], off offset:144
	s_waitcnt vmcnt(1)
	ds_write_b64 v1, v[2:3]
.LBB35_193:
	s_or_b64 exec, exec, s[0:1]
	s_waitcnt lgkmcnt(0)
	; wave barrier
	scratch_load_dwordx4 v[4:7], off, off offset:152
	scratch_load_dwordx4 v[8:11], off, off offset:168
	;; [unrolled: 1-line block ×8, first 2 shown]
	scratch_load_dwordx2 v[68:69], off, off offset:280
	scratch_load_dwordx2 v[70:71], off, off offset:144
	v_mov_b32_e32 v2, 0
	ds_read2_b64 v[36:39], v2 offset0:55 offset1:56
	ds_read2_b64 v[40:43], v2 offset0:57 offset1:58
	ds_read2_b64 v[44:47], v2 offset0:59 offset1:60
	ds_read2_b64 v[48:51], v2 offset0:61 offset1:62
	ds_read2_b64 v[52:55], v2 offset0:63 offset1:64
	ds_read2_b64 v[56:59], v2 offset0:65 offset1:66
	ds_read2_b64 v[60:63], v2 offset0:67 offset1:68
	ds_read2_b64 v[64:67], v2 offset0:69 offset1:70
	ds_read_b64 v[72:73], v2 offset:568
	v_cmp_lt_u32_e32 vcc, 17, v0
	s_waitcnt vmcnt(9) lgkmcnt(8)
	v_mul_f32_e32 v79, v38, v7
	v_mul_f32_e32 v3, v36, v5
	s_waitcnt vmcnt(8) lgkmcnt(7)
	v_mul_f32_e32 v83, v40, v9
	s_waitcnt vmcnt(7) lgkmcnt(6)
	v_mul_f32_e32 v87, v44, v13
	v_mul_f32_e32 v5, v37, v5
	;; [unrolled: 1-line block ×5, first 2 shown]
	s_waitcnt vmcnt(5)
	v_mov_b32_e32 v78, v23
	s_waitcnt vmcnt(3) lgkmcnt(2)
	v_pk_mul_f32 v[84:85], v[60:61], v[28:29] op_sel:[1,1] op_sel_hi:[0,1]
	v_fmac_f32_e32 v79, v39, v6
	v_mul_f32_e32 v86, v42, v11
	v_mul_f32_e32 v89, v48, v17
	;; [unrolled: 1-line block ×4, first 2 shown]
	v_fmac_f32_e32 v3, v37, v4
	v_fmac_f32_e32 v87, v45, v12
	v_fma_f32 v36, v36, v4, -v5
	v_fma_f32 v37, v38, v6, -v7
	;; [unrolled: 1-line block ×4, first 2 shown]
	v_pk_mul_f32 v[4:5], v[54:55], v[78:79] op_sel:[1,0] op_sel_hi:[0,0]
	v_pk_fma_f32 v[12:13], v[60:61], v[28:29], v[84:85] neg_lo:[0,0,1] neg_hi:[0,0,1]
	v_fmac_f32_e32 v89, v49, v16
	v_fma_f32 v39, v42, v10, -v11
	v_fma_f32 v42, v48, v16, -v17
	v_add_f32_e32 v3, 0, v3
	v_add_f32_e32 v13, 0, v36
	v_pk_fma_f32 v[16:17], v[54:55], v[22:23], v[4:5] neg_lo:[0,0,1] neg_hi:[0,0,1]
	v_pk_fma_f32 v[4:5], v[54:55], v[22:23], v[4:5] op_sel_hi:[1,0,1]
	v_fmac_f32_e32 v83, v41, v8
	v_add_f32_e32 v3, v3, v79
	v_add_f32_e32 v4, v13, v37
	v_fmac_f32_e32 v86, v43, v10
	v_add_f32_e32 v3, v3, v83
	v_add_f32_e32 v4, v4, v38
	v_mul_f32_e32 v88, v46, v15
	v_mul_f32_e32 v15, v47, v15
	v_add_f32_e32 v3, v3, v86
	v_add_f32_e32 v4, v4, v39
	v_fmac_f32_e32 v88, v47, v14
	v_fma_f32 v41, v46, v14, -v15
	v_add_f32_e32 v3, v3, v87
	v_add_f32_e32 v4, v4, v40
	v_mul_f32_e32 v75, v50, v19
	v_mul_f32_e32 v19, v51, v19
	v_add_f32_e32 v3, v3, v88
	v_add_f32_e32 v4, v4, v41
	v_mul_f32_e32 v77, v52, v21
	v_mul_f32_e32 v21, v53, v21
	v_fmac_f32_e32 v75, v51, v18
	v_fma_f32 v74, v50, v18, -v19
	v_mov_b32_e32 v17, v5
	v_add_f32_e32 v5, v3, v89
	v_add_f32_e32 v4, v4, v42
	v_pk_mul_f32 v[80:81], v[56:57], v[24:25] op_sel:[1,1] op_sel_hi:[0,1]
	v_fmac_f32_e32 v77, v53, v20
	v_fma_f32 v76, v52, v20, -v21
	v_pk_add_f32 v[4:5], v[4:5], v[74:75]
	v_mov_b32_e32 v82, v27
	v_pk_fma_f32 v[6:7], v[56:57], v[24:25], v[80:81] neg_lo:[0,0,1] neg_hi:[0,0,1]
	v_pk_fma_f32 v[8:9], v[56:57], v[24:25], v[80:81] op_sel_hi:[1,0,1]
	v_pk_add_f32 v[4:5], v[4:5], v[76:77]
	v_pk_mul_f32 v[10:11], v[58:59], v[82:83] op_sel:[1,0] op_sel_hi:[0,0]
	v_mov_b32_e32 v7, v9
	v_pk_add_f32 v[4:5], v[4:5], v[16:17]
	v_pk_fma_f32 v[8:9], v[58:59], v[26:27], v[10:11] neg_lo:[0,0,1] neg_hi:[0,0,1]
	v_pk_fma_f32 v[10:11], v[58:59], v[26:27], v[10:11] op_sel_hi:[1,0,1]
	v_pk_add_f32 v[4:5], v[4:5], v[6:7]
	v_mov_b32_e32 v6, v31
	v_pk_fma_f32 v[14:15], v[60:61], v[28:29], v[84:85] op_sel_hi:[1,0,1]
	v_mov_b32_e32 v9, v11
	v_pk_mul_f32 v[6:7], v[62:63], v[6:7] op_sel:[1,0] op_sel_hi:[0,0]
	v_pk_add_f32 v[4:5], v[4:5], v[8:9]
	v_mov_b32_e32 v13, v15
	v_pk_fma_f32 v[8:9], v[62:63], v[30:31], v[6:7] neg_lo:[0,0,1] neg_hi:[0,0,1]
	v_pk_fma_f32 v[6:7], v[62:63], v[30:31], v[6:7] op_sel_hi:[1,0,1]
	v_pk_add_f32 v[4:5], v[4:5], v[12:13]
	v_mov_b32_e32 v9, v7
	s_waitcnt vmcnt(2) lgkmcnt(1)
	v_pk_mul_f32 v[6:7], v[64:65], v[32:33] op_sel:[1,1] op_sel_hi:[0,1]
	v_pk_add_f32 v[4:5], v[4:5], v[8:9]
	v_pk_fma_f32 v[8:9], v[64:65], v[32:33], v[6:7] neg_lo:[0,0,1] neg_hi:[0,0,1]
	v_pk_fma_f32 v[6:7], v[64:65], v[32:33], v[6:7] op_sel_hi:[1,0,1]
	s_nop 0
	v_mov_b32_e32 v6, v35
	v_mov_b32_e32 v9, v7
	v_pk_mul_f32 v[6:7], v[66:67], v[6:7] op_sel:[1,0] op_sel_hi:[0,0]
	v_pk_add_f32 v[4:5], v[4:5], v[8:9]
	v_pk_fma_f32 v[8:9], v[66:67], v[34:35], v[6:7] neg_lo:[0,0,1] neg_hi:[0,0,1]
	v_pk_fma_f32 v[6:7], v[66:67], v[34:35], v[6:7] op_sel_hi:[1,0,1]
	s_nop 0
	v_mov_b32_e32 v9, v7
	s_waitcnt vmcnt(1) lgkmcnt(0)
	v_pk_mul_f32 v[6:7], v[72:73], v[68:69] op_sel:[1,1] op_sel_hi:[0,1]
	v_pk_add_f32 v[4:5], v[4:5], v[8:9]
	v_pk_fma_f32 v[8:9], v[72:73], v[68:69], v[6:7] neg_lo:[0,0,1] neg_hi:[0,0,1]
	v_pk_fma_f32 v[6:7], v[72:73], v[68:69], v[6:7] op_sel_hi:[1,0,1]
	s_nop 0
	v_mov_b32_e32 v9, v7
	v_pk_add_f32 v[4:5], v[4:5], v[8:9]
	s_waitcnt vmcnt(0)
	v_pk_add_f32 v[4:5], v[70:71], v[4:5] neg_lo:[0,1] neg_hi:[0,1]
	scratch_store_dwordx2 off, v[4:5], off offset:144
	s_and_saveexec_b64 s[0:1], vcc
	s_cbranch_execz .LBB35_195
; %bb.194:
	scratch_load_dwordx2 v[4:5], off, off offset:136
	v_mov_b32_e32 v3, v2
	scratch_store_dwordx2 off, v[2:3], off offset:136
	s_waitcnt vmcnt(1)
	ds_write_b64 v1, v[4:5]
.LBB35_195:
	s_or_b64 exec, exec, s[0:1]
	s_waitcnt lgkmcnt(0)
	; wave barrier
	scratch_load_dwordx4 v[4:7], off, off offset:144
	scratch_load_dwordx4 v[8:11], off, off offset:160
	;; [unrolled: 1-line block ×7, first 2 shown]
	ds_read_b128 v[32:35], v2 offset:432
	ds_read_b128 v[36:39], v2 offset:448
	;; [unrolled: 1-line block ×4, first 2 shown]
	scratch_load_dwordx4 v[48:51], off, off offset:256
	scratch_load_dwordx4 v[52:55], off, off offset:272
	ds_read_b128 v[56:59], v2 offset:496
	ds_read_b128 v[60:63], v2 offset:512
	;; [unrolled: 1-line block ×5, first 2 shown]
	scratch_load_dwordx2 v[2:3], off, off offset:136
	v_cmp_lt_u32_e32 vcc, 16, v0
	s_waitcnt vmcnt(9) lgkmcnt(8)
	v_mul_f32_e32 v83, v32, v5
	v_mul_f32_e32 v86, v34, v7
	s_waitcnt vmcnt(8) lgkmcnt(7)
	v_mul_f32_e32 v87, v36, v9
	s_waitcnt vmcnt(7) lgkmcnt(6)
	v_mul_f32_e32 v89, v40, v13
	v_mul_f32_e32 v5, v33, v5
	;; [unrolled: 1-line block ×5, first 2 shown]
	s_waitcnt vmcnt(4) lgkmcnt(3)
	v_pk_mul_f32 v[80:81], v[60:61], v[24:25] op_sel:[1,1] op_sel_hi:[0,1]
	v_mov_b32_e32 v82, v27
	s_waitcnt vmcnt(3) lgkmcnt(2)
	v_pk_mul_f32 v[84:85], v[64:65], v[28:29] op_sel:[1,1] op_sel_hi:[0,1]
	v_fmac_f32_e32 v83, v33, v4
	v_mul_f32_e32 v90, v42, v15
	v_mul_f32_e32 v91, v44, v17
	;; [unrolled: 1-line block ×4, first 2 shown]
	v_fmac_f32_e32 v86, v35, v6
	v_fmac_f32_e32 v87, v37, v8
	;; [unrolled: 1-line block ×3, first 2 shown]
	v_fma_f32 v32, v32, v4, -v5
	v_fma_f32 v33, v34, v6, -v7
	;; [unrolled: 1-line block ×4, first 2 shown]
	v_pk_fma_f32 v[4:5], v[60:61], v[24:25], v[80:81] neg_lo:[0,0,1] neg_hi:[0,0,1]
	v_pk_fma_f32 v[6:7], v[60:61], v[24:25], v[80:81] op_sel_hi:[1,0,1]
	v_pk_mul_f32 v[8:9], v[62:63], v[82:83] op_sel:[1,0] op_sel_hi:[0,0]
	v_pk_fma_f32 v[12:13], v[64:65], v[28:29], v[84:85] op_sel_hi:[1,0,1]
	v_fmac_f32_e32 v90, v43, v14
	v_fma_f32 v14, v42, v14, -v15
	v_fma_f32 v15, v44, v16, -v17
	v_add_f32_e32 v12, 0, v83
	v_add_f32_e32 v17, 0, v32
	v_mov_b32_e32 v5, v7
	v_pk_fma_f32 v[6:7], v[62:63], v[26:27], v[8:9] neg_lo:[0,0,1] neg_hi:[0,0,1]
	v_pk_fma_f32 v[8:9], v[62:63], v[26:27], v[8:9] op_sel_hi:[1,0,1]
	v_mul_f32_e32 v88, v38, v11
	v_mul_f32_e32 v11, v39, v11
	v_add_f32_e32 v8, v12, v86
	v_add_f32_e32 v12, v17, v33
	v_fmac_f32_e32 v88, v39, v10
	v_fma_f32 v35, v38, v10, -v11
	v_mov_b32_e32 v7, v9
	v_add_f32_e32 v8, v8, v87
	v_add_f32_e32 v9, v12, v34
	;; [unrolled: 1-line block ×6, first 2 shown]
	v_mul_f32_e32 v92, v46, v19
	v_mul_f32_e32 v19, v47, v19
	v_fmac_f32_e32 v91, v45, v16
	v_add_f32_e32 v8, v8, v90
	v_add_f32_e32 v9, v9, v14
	v_mul_f32_e32 v77, v56, v21
	v_mul_f32_e32 v21, v57, v21
	v_fmac_f32_e32 v92, v47, v18
	v_fma_f32 v16, v46, v18, -v19
	v_add_f32_e32 v8, v8, v91
	v_add_f32_e32 v12, v9, v15
	v_mul_f32_e32 v79, v58, v23
	v_mul_f32_e32 v23, v59, v23
	v_fmac_f32_e32 v77, v57, v20
	v_fma_f32 v76, v56, v20, -v21
	v_add_f32_e32 v9, v8, v92
	v_add_f32_e32 v8, v12, v16
	v_fmac_f32_e32 v79, v59, v22
	v_fma_f32 v78, v58, v22, -v23
	v_pk_add_f32 v[8:9], v[8:9], v[76:77]
	v_pk_fma_f32 v[10:11], v[64:65], v[28:29], v[84:85] neg_lo:[0,0,1] neg_hi:[0,0,1]
	v_pk_add_f32 v[8:9], v[8:9], v[78:79]
	v_mov_b32_e32 v11, v13
	v_pk_add_f32 v[4:5], v[8:9], v[4:5]
	s_nop 0
	v_pk_add_f32 v[4:5], v[4:5], v[6:7]
	v_mov_b32_e32 v6, v31
	v_pk_mul_f32 v[6:7], v[66:67], v[6:7] op_sel:[1,0] op_sel_hi:[0,0]
	v_pk_fma_f32 v[8:9], v[66:67], v[30:31], v[6:7] neg_lo:[0,0,1] neg_hi:[0,0,1]
	v_pk_fma_f32 v[6:7], v[66:67], v[30:31], v[6:7] op_sel_hi:[1,0,1]
	v_pk_add_f32 v[4:5], v[4:5], v[10:11]
	v_mov_b32_e32 v9, v7
	s_waitcnt vmcnt(2) lgkmcnt(1)
	v_pk_mul_f32 v[6:7], v[68:69], v[48:49] op_sel:[1,1] op_sel_hi:[0,1]
	v_pk_add_f32 v[4:5], v[4:5], v[8:9]
	v_pk_fma_f32 v[8:9], v[68:69], v[48:49], v[6:7] neg_lo:[0,0,1] neg_hi:[0,0,1]
	v_pk_fma_f32 v[6:7], v[68:69], v[48:49], v[6:7] op_sel_hi:[1,0,1]
	s_nop 0
	v_mov_b32_e32 v6, v51
	v_mov_b32_e32 v9, v7
	v_pk_mul_f32 v[6:7], v[70:71], v[6:7] op_sel:[1,0] op_sel_hi:[0,0]
	v_pk_add_f32 v[4:5], v[4:5], v[8:9]
	v_pk_fma_f32 v[8:9], v[70:71], v[50:51], v[6:7] neg_lo:[0,0,1] neg_hi:[0,0,1]
	v_pk_fma_f32 v[6:7], v[70:71], v[50:51], v[6:7] op_sel_hi:[1,0,1]
	s_nop 0
	v_mov_b32_e32 v9, v7
	s_waitcnt vmcnt(1) lgkmcnt(0)
	v_pk_mul_f32 v[6:7], v[72:73], v[52:53] op_sel:[1,1] op_sel_hi:[0,1]
	v_pk_add_f32 v[4:5], v[4:5], v[8:9]
	v_pk_fma_f32 v[8:9], v[72:73], v[52:53], v[6:7] neg_lo:[0,0,1] neg_hi:[0,0,1]
	v_pk_fma_f32 v[6:7], v[72:73], v[52:53], v[6:7] op_sel_hi:[1,0,1]
	s_nop 0
	v_mov_b32_e32 v6, v55
	v_mov_b32_e32 v9, v7
	v_pk_mul_f32 v[6:7], v[74:75], v[6:7] op_sel:[1,0] op_sel_hi:[0,0]
	v_pk_add_f32 v[4:5], v[4:5], v[8:9]
	v_pk_fma_f32 v[8:9], v[74:75], v[54:55], v[6:7] neg_lo:[0,0,1] neg_hi:[0,0,1]
	v_pk_fma_f32 v[6:7], v[74:75], v[54:55], v[6:7] op_sel_hi:[1,0,1]
	s_nop 0
	v_mov_b32_e32 v9, v7
	v_pk_add_f32 v[4:5], v[4:5], v[8:9]
	s_waitcnt vmcnt(0)
	v_pk_add_f32 v[2:3], v[2:3], v[4:5] neg_lo:[0,1] neg_hi:[0,1]
	scratch_store_dwordx2 off, v[2:3], off offset:136
	s_and_saveexec_b64 s[0:1], vcc
	s_cbranch_execz .LBB35_197
; %bb.196:
	scratch_load_dwordx2 v[2:3], off, off offset:128
	v_mov_b32_e32 v4, 0
	v_mov_b32_e32 v5, v4
	scratch_store_dwordx2 off, v[4:5], off offset:128
	s_waitcnt vmcnt(1)
	ds_write_b64 v1, v[2:3]
.LBB35_197:
	s_or_b64 exec, exec, s[0:1]
	s_waitcnt lgkmcnt(0)
	; wave barrier
	scratch_load_dwordx4 v[4:7], off, off offset:136
	scratch_load_dwordx4 v[8:11], off, off offset:152
	scratch_load_dwordx4 v[12:15], off, off offset:168
	scratch_load_dwordx4 v[16:19], off, off offset:184
	scratch_load_dwordx4 v[20:23], off, off offset:200
	scratch_load_dwordx4 v[24:27], off, off offset:216
	scratch_load_dwordx4 v[28:31], off, off offset:232
	scratch_load_dwordx4 v[32:35], off, off offset:248
	scratch_load_dwordx4 v[36:39], off, off offset:264
	scratch_load_dwordx2 v[76:77], off, off offset:280
	scratch_load_dwordx2 v[78:79], off, off offset:128
	v_mov_b32_e32 v2, 0
	ds_read2_b64 v[40:43], v2 offset0:53 offset1:54
	ds_read2_b64 v[44:47], v2 offset0:55 offset1:56
	;; [unrolled: 1-line block ×9, first 2 shown]
	ds_read_b64 v[80:81], v2 offset:568
	v_cmp_lt_u32_e32 vcc, 15, v0
	s_waitcnt vmcnt(10) lgkmcnt(9)
	v_mul_f32_e32 v87, v42, v7
	v_mul_f32_e32 v3, v40, v5
	;; [unrolled: 1-line block ×3, first 2 shown]
	v_fmac_f32_e32 v87, v43, v6
	s_waitcnt vmcnt(9) lgkmcnt(8)
	v_mul_f32_e32 v88, v44, v9
	s_waitcnt vmcnt(5)
	v_mov_b32_e32 v86, v27
	v_mul_f32_e32 v89, v46, v11
	s_waitcnt lgkmcnt(7)
	v_mul_f32_e32 v91, v50, v15
	v_mul_f32_e32 v7, v43, v7
	v_mul_f32_e32 v9, v45, v9
	v_mul_f32_e32 v11, v47, v11
	v_mul_f32_e32 v15, v51, v15
	v_fmac_f32_e32 v3, v41, v4
	v_fma_f32 v40, v40, v4, -v5
	s_waitcnt lgkmcnt(4)
	v_pk_mul_f32 v[4:5], v[62:63], v[86:87] op_sel:[1,0] op_sel_hi:[0,0]
	v_fmac_f32_e32 v88, v45, v8
	v_fma_f32 v41, v42, v6, -v7
	v_fma_f32 v8, v44, v8, -v9
	;; [unrolled: 1-line block ×4, first 2 shown]
	v_add_f32_e32 v3, 0, v3
	v_add_f32_e32 v15, 0, v40
	v_pk_fma_f32 v[6:7], v[62:63], v[26:27], v[4:5] neg_lo:[0,0,1] neg_hi:[0,0,1]
	v_pk_fma_f32 v[4:5], v[62:63], v[26:27], v[4:5] op_sel_hi:[1,0,1]
	v_add_f32_e32 v3, v3, v87
	v_add_f32_e32 v4, v15, v41
	v_mul_f32_e32 v90, v48, v13
	v_mul_f32_e32 v13, v49, v13
	v_fmac_f32_e32 v89, v47, v10
	v_add_f32_e32 v3, v3, v88
	v_add_f32_e32 v4, v4, v8
	v_fmac_f32_e32 v90, v49, v12
	v_fma_f32 v10, v48, v12, -v13
	v_add_f32_e32 v3, v3, v89
	v_add_f32_e32 v4, v4, v9
	v_mul_f32_e32 v92, v52, v17
	v_mul_f32_e32 v17, v53, v17
	v_fmac_f32_e32 v91, v51, v14
	v_add_f32_e32 v3, v3, v90
	v_add_f32_e32 v4, v4, v10
	v_mul_f32_e32 v93, v54, v19
	v_mul_f32_e32 v19, v55, v19
	v_fmac_f32_e32 v92, v53, v16
	v_fma_f32 v12, v52, v16, -v17
	v_add_f32_e32 v3, v3, v91
	v_add_f32_e32 v4, v4, v11
	v_mul_f32_e32 v94, v56, v21
	v_mul_f32_e32 v21, v57, v21
	v_fmac_f32_e32 v93, v55, v18
	v_fma_f32 v13, v54, v18, -v19
	v_add_f32_e32 v3, v3, v92
	v_add_f32_e32 v4, v4, v12
	v_mul_f32_e32 v83, v58, v23
	v_mul_f32_e32 v23, v59, v23
	v_fmac_f32_e32 v94, v57, v20
	v_fma_f32 v14, v56, v20, -v21
	v_add_f32_e32 v3, v3, v93
	v_add_f32_e32 v4, v4, v13
	v_mul_f32_e32 v85, v60, v25
	v_mul_f32_e32 v25, v61, v25
	v_fmac_f32_e32 v83, v59, v22
	v_fma_f32 v82, v58, v22, -v23
	v_mov_b32_e32 v7, v5
	v_add_f32_e32 v5, v3, v94
	v_add_f32_e32 v4, v4, v14
	v_fmac_f32_e32 v85, v61, v24
	v_fma_f32 v84, v60, v24, -v25
	v_pk_add_f32 v[4:5], v[4:5], v[82:83]
	s_nop 0
	v_pk_add_f32 v[4:5], v[4:5], v[84:85]
	s_nop 0
	v_pk_add_f32 v[4:5], v[4:5], v[6:7]
	s_waitcnt vmcnt(4) lgkmcnt(3)
	v_pk_mul_f32 v[6:7], v[64:65], v[28:29] op_sel:[1,1] op_sel_hi:[0,1]
	v_pk_fma_f32 v[8:9], v[64:65], v[28:29], v[6:7] neg_lo:[0,0,1] neg_hi:[0,0,1]
	v_pk_fma_f32 v[6:7], v[64:65], v[28:29], v[6:7] op_sel_hi:[1,0,1]
	s_nop 0
	v_mov_b32_e32 v6, v31
	v_mov_b32_e32 v9, v7
	v_pk_mul_f32 v[6:7], v[66:67], v[6:7] op_sel:[1,0] op_sel_hi:[0,0]
	v_pk_add_f32 v[4:5], v[4:5], v[8:9]
	v_pk_fma_f32 v[8:9], v[66:67], v[30:31], v[6:7] neg_lo:[0,0,1] neg_hi:[0,0,1]
	v_pk_fma_f32 v[6:7], v[66:67], v[30:31], v[6:7] op_sel_hi:[1,0,1]
	s_nop 0
	v_mov_b32_e32 v9, v7
	s_waitcnt vmcnt(3) lgkmcnt(2)
	v_pk_mul_f32 v[6:7], v[68:69], v[32:33] op_sel:[1,1] op_sel_hi:[0,1]
	v_pk_add_f32 v[4:5], v[4:5], v[8:9]
	v_pk_fma_f32 v[8:9], v[68:69], v[32:33], v[6:7] neg_lo:[0,0,1] neg_hi:[0,0,1]
	v_pk_fma_f32 v[6:7], v[68:69], v[32:33], v[6:7] op_sel_hi:[1,0,1]
	s_nop 0
	v_mov_b32_e32 v6, v35
	v_mov_b32_e32 v9, v7
	v_pk_mul_f32 v[6:7], v[70:71], v[6:7] op_sel:[1,0] op_sel_hi:[0,0]
	v_pk_add_f32 v[4:5], v[4:5], v[8:9]
	v_pk_fma_f32 v[8:9], v[70:71], v[34:35], v[6:7] neg_lo:[0,0,1] neg_hi:[0,0,1]
	v_pk_fma_f32 v[6:7], v[70:71], v[34:35], v[6:7] op_sel_hi:[1,0,1]
	s_nop 0
	v_mov_b32_e32 v9, v7
	s_waitcnt vmcnt(2) lgkmcnt(1)
	v_pk_mul_f32 v[6:7], v[72:73], v[36:37] op_sel:[1,1] op_sel_hi:[0,1]
	v_pk_add_f32 v[4:5], v[4:5], v[8:9]
	;; [unrolled: 14-line block ×3, first 2 shown]
	v_pk_fma_f32 v[8:9], v[80:81], v[76:77], v[6:7] neg_lo:[0,0,1] neg_hi:[0,0,1]
	v_pk_fma_f32 v[6:7], v[80:81], v[76:77], v[6:7] op_sel_hi:[1,0,1]
	s_nop 0
	v_mov_b32_e32 v9, v7
	v_pk_add_f32 v[4:5], v[4:5], v[8:9]
	s_waitcnt vmcnt(0)
	v_pk_add_f32 v[4:5], v[78:79], v[4:5] neg_lo:[0,1] neg_hi:[0,1]
	scratch_store_dwordx2 off, v[4:5], off offset:128
	s_and_saveexec_b64 s[0:1], vcc
	s_cbranch_execz .LBB35_199
; %bb.198:
	scratch_load_dwordx2 v[4:5], off, off offset:120
	v_mov_b32_e32 v3, v2
	scratch_store_dwordx2 off, v[2:3], off offset:120
	s_waitcnt vmcnt(1)
	ds_write_b64 v1, v[4:5]
.LBB35_199:
	s_or_b64 exec, exec, s[0:1]
	s_waitcnt lgkmcnt(0)
	; wave barrier
	ds_read_b128 v[4:7], v2 offset:416
	ds_read_b128 v[8:11], v2 offset:432
	;; [unrolled: 1-line block ×4, first 2 shown]
	scratch_load_dwordx4 v[20:23], off, off offset:128
	scratch_load_dwordx4 v[40:43], off, off offset:192
	v_cmp_lt_u32_e32 vcc, 14, v0
	scratch_load_dwordx4 v[48:51], off, off offset:208
	s_waitcnt vmcnt(2) lgkmcnt(3)
	v_mul_f32_e32 v3, v4, v21
	v_fmac_f32_e32 v3, v5, v20
	v_mul_f32_e32 v24, v6, v23
	v_add_f32_e32 v3, 0, v3
	v_fmac_f32_e32 v24, v7, v22
	v_add_f32_e32 v3, v3, v24
	scratch_load_dwordx4 v[24:27], off, off offset:144
	s_waitcnt vmcnt(0) lgkmcnt(2)
	v_mul_f32_e32 v28, v8, v25
	v_fmac_f32_e32 v28, v9, v24
	v_add_f32_e32 v3, v3, v28
	v_mul_f32_e32 v28, v10, v27
	v_fmac_f32_e32 v28, v11, v26
	v_add_f32_e32 v3, v3, v28
	scratch_load_dwordx4 v[28:31], off, off offset:160
	s_waitcnt vmcnt(0) lgkmcnt(1)
	v_mul_f32_e32 v32, v12, v29
	v_fmac_f32_e32 v32, v13, v28
	v_add_f32_e32 v3, v3, v32
	v_mul_f32_e32 v32, v14, v31
	;; [unrolled: 8-line block ×3, first 2 shown]
	v_fmac_f32_e32 v36, v19, v34
	v_add_f32_e32 v3, v3, v36
	ds_read_b128 v[36:39], v2 offset:480
	s_waitcnt lgkmcnt(0)
	v_mul_f32_e32 v44, v36, v41
	v_fmac_f32_e32 v44, v37, v40
	v_add_f32_e32 v3, v3, v44
	v_mul_f32_e32 v44, v38, v43
	v_fmac_f32_e32 v44, v39, v42
	v_add_f32_e32 v69, v3, v44
	ds_read_b128 v[44:47], v2 offset:496
	scratch_load_dwordx4 v[52:55], off, off offset:224
	scratch_load_dwordx4 v[56:59], off, off offset:240
	;; [unrolled: 1-line block ×4, first 2 shown]
	v_mul_f32_e32 v3, v5, v21
	v_fma_f32 v3, v4, v20, -v3
	v_mul_f32_e32 v4, v7, v23
	v_add_f32_e32 v3, 0, v3
	v_fma_f32 v4, v6, v22, -v4
	v_add_f32_e32 v3, v3, v4
	v_mul_f32_e32 v4, v9, v25
	v_fma_f32 v4, v8, v24, -v4
	v_add_f32_e32 v3, v3, v4
	v_mul_f32_e32 v4, v11, v27
	;; [unrolled: 3-line block ×8, first 2 shown]
	v_fma_f32 v4, v38, v42, -v4
	v_add_f32_e32 v68, v3, v4
	ds_read_b128 v[4:7], v2 offset:512
	ds_read_b128 v[8:11], v2 offset:528
	;; [unrolled: 1-line block ×4, first 2 shown]
	s_waitcnt lgkmcnt(4)
	v_mul_f32_e32 v71, v44, v49
	v_mul_f32_e32 v3, v45, v49
	v_fmac_f32_e32 v71, v45, v48
	v_mul_f32_e32 v73, v46, v51
	v_fma_f32 v70, v44, v48, -v3
	v_mul_f32_e32 v3, v47, v51
	v_fmac_f32_e32 v73, v47, v50
	v_fma_f32 v72, v46, v50, -v3
	v_pk_add_f32 v[2:3], v[68:69], v[70:71]
	s_waitcnt vmcnt(3) lgkmcnt(3)
	v_pk_mul_f32 v[20:21], v[4:5], v[52:53] op_sel:[1,1] op_sel_hi:[0,1]
	v_pk_fma_f32 v[22:23], v[4:5], v[52:53], v[20:21] neg_lo:[0,0,1] neg_hi:[0,0,1]
	v_pk_fma_f32 v[4:5], v[4:5], v[52:53], v[20:21] op_sel_hi:[1,0,1]
	v_pk_add_f32 v[2:3], v[2:3], v[72:73]
	v_mov_b32_e32 v4, v55
	v_mov_b32_e32 v23, v5
	v_pk_mul_f32 v[4:5], v[6:7], v[4:5] op_sel:[1,0] op_sel_hi:[0,0]
	v_pk_fma_f32 v[20:21], v[6:7], v[54:55], v[4:5] neg_lo:[0,0,1] neg_hi:[0,0,1]
	v_pk_fma_f32 v[4:5], v[6:7], v[54:55], v[4:5] op_sel_hi:[1,0,1]
	v_pk_add_f32 v[2:3], v[2:3], v[22:23]
	v_mov_b32_e32 v21, v5
	s_waitcnt vmcnt(2) lgkmcnt(2)
	v_pk_mul_f32 v[4:5], v[8:9], v[56:57] op_sel:[1,1] op_sel_hi:[0,1]
	v_pk_fma_f32 v[6:7], v[8:9], v[56:57], v[4:5] neg_lo:[0,0,1] neg_hi:[0,0,1]
	v_pk_fma_f32 v[4:5], v[8:9], v[56:57], v[4:5] op_sel_hi:[1,0,1]
	v_pk_add_f32 v[2:3], v[2:3], v[20:21]
	v_mov_b32_e32 v4, v59
	v_mov_b32_e32 v7, v5
	v_pk_mul_f32 v[4:5], v[10:11], v[4:5] op_sel:[1,0] op_sel_hi:[0,0]
	v_pk_add_f32 v[2:3], v[2:3], v[6:7]
	v_pk_fma_f32 v[6:7], v[10:11], v[58:59], v[4:5] neg_lo:[0,0,1] neg_hi:[0,0,1]
	v_pk_fma_f32 v[4:5], v[10:11], v[58:59], v[4:5] op_sel_hi:[1,0,1]
	s_nop 0
	v_mov_b32_e32 v7, v5
	s_waitcnt vmcnt(1) lgkmcnt(1)
	v_pk_mul_f32 v[4:5], v[12:13], v[60:61] op_sel:[1,1] op_sel_hi:[0,1]
	v_pk_add_f32 v[2:3], v[2:3], v[6:7]
	v_pk_fma_f32 v[6:7], v[12:13], v[60:61], v[4:5] neg_lo:[0,0,1] neg_hi:[0,0,1]
	v_pk_fma_f32 v[4:5], v[12:13], v[60:61], v[4:5] op_sel_hi:[1,0,1]
	s_nop 0
	v_mov_b32_e32 v4, v63
	v_mov_b32_e32 v7, v5
	v_pk_mul_f32 v[4:5], v[14:15], v[4:5] op_sel:[1,0] op_sel_hi:[0,0]
	v_pk_add_f32 v[2:3], v[2:3], v[6:7]
	v_pk_fma_f32 v[6:7], v[14:15], v[62:63], v[4:5] neg_lo:[0,0,1] neg_hi:[0,0,1]
	v_pk_fma_f32 v[4:5], v[14:15], v[62:63], v[4:5] op_sel_hi:[1,0,1]
	s_nop 0
	v_mov_b32_e32 v7, v5
	s_waitcnt vmcnt(0) lgkmcnt(0)
	v_pk_mul_f32 v[4:5], v[16:17], v[64:65] op_sel:[1,1] op_sel_hi:[0,1]
	v_pk_add_f32 v[2:3], v[2:3], v[6:7]
	v_pk_fma_f32 v[6:7], v[16:17], v[64:65], v[4:5] neg_lo:[0,0,1] neg_hi:[0,0,1]
	v_pk_fma_f32 v[4:5], v[16:17], v[64:65], v[4:5] op_sel_hi:[1,0,1]
	s_nop 0
	v_mov_b32_e32 v4, v67
	v_mov_b32_e32 v7, v5
	v_pk_mul_f32 v[4:5], v[18:19], v[4:5] op_sel:[1,0] op_sel_hi:[0,0]
	v_pk_add_f32 v[2:3], v[2:3], v[6:7]
	v_pk_fma_f32 v[6:7], v[18:19], v[66:67], v[4:5] neg_lo:[0,0,1] neg_hi:[0,0,1]
	v_pk_fma_f32 v[4:5], v[18:19], v[66:67], v[4:5] op_sel_hi:[1,0,1]
	s_nop 0
	v_mov_b32_e32 v7, v5
	scratch_load_dwordx2 v[4:5], off, off offset:120
	v_pk_add_f32 v[2:3], v[2:3], v[6:7]
	s_waitcnt vmcnt(0)
	v_pk_add_f32 v[2:3], v[4:5], v[2:3] neg_lo:[0,1] neg_hi:[0,1]
	scratch_store_dwordx2 off, v[2:3], off offset:120
	s_and_saveexec_b64 s[0:1], vcc
	s_cbranch_execz .LBB35_201
; %bb.200:
	scratch_load_dwordx2 v[2:3], off, off offset:112
	v_mov_b32_e32 v4, 0
	v_mov_b32_e32 v5, v4
	scratch_store_dwordx2 off, v[4:5], off offset:112
	s_waitcnt vmcnt(1)
	ds_write_b64 v1, v[2:3]
.LBB35_201:
	s_or_b64 exec, exec, s[0:1]
	s_waitcnt lgkmcnt(0)
	; wave barrier
	scratch_load_dwordx4 v[2:5], off, off offset:120
	scratch_load_dwordx4 v[8:11], off, off offset:136
	;; [unrolled: 1-line block ×10, first 2 shown]
	scratch_load_dwordx2 v[76:77], off, off offset:280
	scratch_load_dwordx2 v[78:79], off, off offset:112
	v_mov_b32_e32 v6, 0
	ds_read2_b64 v[44:47], v6 offset0:51 offset1:52
	ds_read2_b64 v[48:51], v6 offset0:53 offset1:54
	;; [unrolled: 1-line block ×8, first 2 shown]
	v_cmp_lt_u32_e32 vcc, 13, v0
	s_waitcnt vmcnt(11) lgkmcnt(7)
	v_mul_f32_e32 v7, v44, v3
	v_mul_f32_e32 v3, v45, v3
	;; [unrolled: 1-line block ×4, first 2 shown]
	v_fmac_f32_e32 v7, v45, v2
	v_fma_f32 v2, v44, v2, -v3
	s_waitcnt vmcnt(10) lgkmcnt(6)
	v_mul_f32_e32 v82, v48, v9
	v_mul_f32_e32 v9, v49, v9
	v_fma_f32 v3, v46, v4, -v5
	v_add_f32_e32 v2, 0, v2
	v_mul_f32_e32 v84, v50, v11
	v_mul_f32_e32 v11, v51, v11
	v_fmac_f32_e32 v80, v47, v4
	v_fma_f32 v4, v48, v8, -v9
	v_add_f32_e32 v7, 0, v7
	v_add_f32_e32 v2, v2, v3
	s_waitcnt vmcnt(9) lgkmcnt(5)
	v_mul_f32_e32 v85, v52, v13
	v_mul_f32_e32 v13, v53, v13
	v_fmac_f32_e32 v82, v49, v8
	v_fma_f32 v5, v50, v10, -v11
	v_add_f32_e32 v7, v7, v80
	v_add_f32_e32 v2, v2, v4
	v_mul_f32_e32 v86, v54, v15
	v_mul_f32_e32 v15, v55, v15
	v_fmac_f32_e32 v84, v51, v10
	v_fma_f32 v8, v52, v12, -v13
	v_add_f32_e32 v3, v7, v82
	v_add_f32_e32 v2, v2, v5
	s_waitcnt vmcnt(8) lgkmcnt(4)
	v_mul_f32_e32 v87, v56, v17
	v_mul_f32_e32 v17, v57, v17
	v_fmac_f32_e32 v85, v53, v12
	v_fma_f32 v9, v54, v14, -v15
	v_add_f32_e32 v3, v3, v84
	;; [unrolled: 13-line block ×4, first 2 shown]
	v_add_f32_e32 v2, v2, v12
	v_fmac_f32_e32 v90, v63, v22
	v_fma_f32 v14, v64, v24, -v25
	v_add_f32_e32 v3, v3, v89
	v_add_f32_e32 v2, v2, v13
	v_mul_f32_e32 v81, v66, v27
	v_fmac_f32_e32 v91, v65, v24
	v_add_f32_e32 v3, v3, v90
	v_add_f32_e32 v12, v2, v14
	v_mul_f32_e32 v2, v67, v27
	s_waitcnt vmcnt(5)
	v_mov_b32_e32 v16, v31
	s_waitcnt lgkmcnt(1)
	v_mul_f32_e32 v83, v68, v29
	v_fmac_f32_e32 v81, v67, v26
	v_add_f32_e32 v13, v3, v91
	v_fma_f32 v80, v66, v26, -v2
	v_mul_f32_e32 v2, v69, v29
	v_pk_mul_f32 v[16:17], v[70:71], v[16:17] op_sel:[1,0] op_sel_hi:[0,0]
	v_fmac_f32_e32 v83, v69, v28
	v_fma_f32 v82, v68, v28, -v2
	v_pk_add_f32 v[12:13], v[12:13], v[80:81]
	v_pk_fma_f32 v[18:19], v[70:71], v[30:31], v[16:17] neg_lo:[0,0,1] neg_hi:[0,0,1]
	v_pk_fma_f32 v[16:17], v[70:71], v[30:31], v[16:17] op_sel_hi:[1,0,1]
	v_pk_add_f32 v[12:13], v[12:13], v[82:83]
	v_mov_b32_e32 v19, v17
	s_waitcnt vmcnt(4) lgkmcnt(0)
	v_pk_mul_f32 v[16:17], v[72:73], v[32:33] op_sel:[1,1] op_sel_hi:[0,1]
	v_pk_add_f32 v[12:13], v[12:13], v[18:19]
	v_pk_fma_f32 v[18:19], v[72:73], v[32:33], v[16:17] neg_lo:[0,0,1] neg_hi:[0,0,1]
	v_pk_fma_f32 v[16:17], v[72:73], v[32:33], v[16:17] op_sel_hi:[1,0,1]
	ds_read2_b64 v[2:5], v6 offset0:67 offset1:68
	ds_read2_b64 v[8:11], v6 offset0:69 offset1:70
	ds_read_b64 v[14:15], v6 offset:568
	v_mov_b32_e32 v16, v35
	v_mov_b32_e32 v19, v17
	v_pk_mul_f32 v[16:17], v[74:75], v[16:17] op_sel:[1,0] op_sel_hi:[0,0]
	v_pk_add_f32 v[12:13], v[12:13], v[18:19]
	v_pk_fma_f32 v[18:19], v[74:75], v[34:35], v[16:17] neg_lo:[0,0,1] neg_hi:[0,0,1]
	v_pk_fma_f32 v[16:17], v[74:75], v[34:35], v[16:17] op_sel_hi:[1,0,1]
	s_nop 0
	v_mov_b32_e32 v19, v17
	s_waitcnt vmcnt(3) lgkmcnt(2)
	v_pk_mul_f32 v[16:17], v[2:3], v[36:37] op_sel:[1,1] op_sel_hi:[0,1]
	v_pk_add_f32 v[12:13], v[12:13], v[18:19]
	v_pk_fma_f32 v[18:19], v[2:3], v[36:37], v[16:17] neg_lo:[0,0,1] neg_hi:[0,0,1]
	v_pk_fma_f32 v[2:3], v[2:3], v[36:37], v[16:17] op_sel_hi:[1,0,1]
	s_nop 0
	v_mov_b32_e32 v19, v3
	v_pk_add_f32 v[2:3], v[12:13], v[18:19]
	v_mov_b32_e32 v12, v39
	v_pk_mul_f32 v[12:13], v[4:5], v[12:13] op_sel:[1,0] op_sel_hi:[0,0]
	v_pk_fma_f32 v[16:17], v[4:5], v[38:39], v[12:13] neg_lo:[0,0,1] neg_hi:[0,0,1]
	v_pk_fma_f32 v[4:5], v[4:5], v[38:39], v[12:13] op_sel_hi:[1,0,1]
	s_nop 0
	v_mov_b32_e32 v17, v5
	s_waitcnt vmcnt(2) lgkmcnt(1)
	v_pk_mul_f32 v[4:5], v[8:9], v[40:41] op_sel:[1,1] op_sel_hi:[0,1]
	v_pk_fma_f32 v[12:13], v[8:9], v[40:41], v[4:5] neg_lo:[0,0,1] neg_hi:[0,0,1]
	v_pk_fma_f32 v[4:5], v[8:9], v[40:41], v[4:5] op_sel_hi:[1,0,1]
	v_pk_add_f32 v[2:3], v[2:3], v[16:17]
	v_mov_b32_e32 v4, v43
	v_mov_b32_e32 v13, v5
	v_pk_mul_f32 v[4:5], v[10:11], v[4:5] op_sel:[1,0] op_sel_hi:[0,0]
	v_pk_fma_f32 v[8:9], v[10:11], v[42:43], v[4:5] neg_lo:[0,0,1] neg_hi:[0,0,1]
	v_pk_fma_f32 v[4:5], v[10:11], v[42:43], v[4:5] op_sel_hi:[1,0,1]
	v_pk_add_f32 v[2:3], v[2:3], v[12:13]
	v_mov_b32_e32 v9, v5
	s_waitcnt vmcnt(1) lgkmcnt(0)
	v_pk_mul_f32 v[4:5], v[14:15], v[76:77] op_sel:[1,1] op_sel_hi:[0,1]
	v_pk_add_f32 v[2:3], v[2:3], v[8:9]
	v_pk_fma_f32 v[8:9], v[14:15], v[76:77], v[4:5] neg_lo:[0,0,1] neg_hi:[0,0,1]
	v_pk_fma_f32 v[4:5], v[14:15], v[76:77], v[4:5] op_sel_hi:[1,0,1]
	s_nop 0
	v_mov_b32_e32 v9, v5
	v_pk_add_f32 v[2:3], v[2:3], v[8:9]
	s_waitcnt vmcnt(0)
	v_pk_add_f32 v[2:3], v[78:79], v[2:3] neg_lo:[0,1] neg_hi:[0,1]
	scratch_store_dwordx2 off, v[2:3], off offset:112
	s_and_saveexec_b64 s[0:1], vcc
	s_cbranch_execz .LBB35_203
; %bb.202:
	scratch_load_dwordx2 v[2:3], off, off offset:104
	v_mov_b32_e32 v7, v6
	scratch_store_dwordx2 off, v[6:7], off offset:104
	s_waitcnt vmcnt(1)
	ds_write_b64 v1, v[2:3]
.LBB35_203:
	s_or_b64 exec, exec, s[0:1]
	s_waitcnt lgkmcnt(0)
	; wave barrier
	scratch_load_dwordx4 v[8:11], off, off offset:112
	scratch_load_dwordx4 v[12:15], off, off offset:128
	;; [unrolled: 1-line block ×7, first 2 shown]
	ds_read_b128 v[36:39], v6 offset:400
	ds_read_b128 v[40:43], v6 offset:416
	;; [unrolled: 1-line block ×6, first 2 shown]
	scratch_load_dwordx4 v[60:63], off, off offset:224
	scratch_load_dwordx4 v[64:67], off, off offset:240
	;; [unrolled: 1-line block ×4, first 2 shown]
	ds_read_b128 v[72:75], v6 offset:496
	ds_read_b128 v[76:79], v6 offset:512
	scratch_load_dwordx2 v[80:81], off, off offset:104
	v_cmp_lt_u32_e32 vcc, 12, v0
	s_waitcnt vmcnt(11) lgkmcnt(7)
	v_mul_f32_e32 v7, v36, v9
	v_mul_f32_e32 v82, v38, v11
	;; [unrolled: 1-line block ×3, first 2 shown]
	v_fmac_f32_e32 v7, v37, v8
	s_waitcnt vmcnt(10) lgkmcnt(6)
	v_mul_f32_e32 v84, v40, v13
	v_mul_f32_e32 v11, v39, v11
	v_fmac_f32_e32 v82, v39, v10
	v_fma_f32 v8, v36, v8, -v9
	v_add_f32_e32 v7, 0, v7
	v_mul_f32_e32 v86, v42, v15
	v_mul_f32_e32 v13, v41, v13
	v_fmac_f32_e32 v84, v41, v12
	v_fma_f32 v9, v38, v10, -v11
	v_add_f32_e32 v8, 0, v8
	v_add_f32_e32 v7, v7, v82
	s_waitcnt vmcnt(9) lgkmcnt(5)
	v_mul_f32_e32 v87, v44, v17
	v_mul_f32_e32 v15, v43, v15
	v_fmac_f32_e32 v86, v43, v14
	v_fma_f32 v10, v40, v12, -v13
	v_add_f32_e32 v8, v8, v9
	v_add_f32_e32 v7, v7, v84
	v_mul_f32_e32 v88, v46, v19
	v_mul_f32_e32 v17, v45, v17
	v_fmac_f32_e32 v87, v45, v16
	v_fma_f32 v11, v42, v14, -v15
	v_add_f32_e32 v8, v8, v10
	v_add_f32_e32 v7, v7, v86
	s_waitcnt vmcnt(8) lgkmcnt(4)
	v_mul_f32_e32 v89, v48, v21
	v_mul_f32_e32 v19, v47, v19
	v_fmac_f32_e32 v88, v47, v18
	v_fma_f32 v12, v44, v16, -v17
	v_add_f32_e32 v8, v8, v11
	;; [unrolled: 13-line block ×4, first 2 shown]
	v_add_f32_e32 v7, v7, v91
	v_mul_f32_e32 v94, v58, v31
	v_mul_f32_e32 v29, v57, v29
	v_fmac_f32_e32 v93, v57, v28
	v_fma_f32 v17, v54, v26, -v27
	v_add_f32_e32 v8, v8, v16
	v_add_f32_e32 v7, v7, v92
	v_fmac_f32_e32 v94, v59, v30
	v_fma_f32 v18, v56, v28, -v29
	v_add_f32_e32 v8, v8, v17
	v_add_f32_e32 v7, v7, v93
	;; [unrolled: 1-line block ×4, first 2 shown]
	v_mul_f32_e32 v8, v59, v31
	v_fma_f32 v8, v58, v30, -v8
	s_waitcnt vmcnt(5) lgkmcnt(1)
	v_mul_f32_e32 v83, v72, v33
	v_add_f32_e32 v20, v7, v8
	v_mul_f32_e32 v7, v73, v33
	v_fmac_f32_e32 v83, v73, v32
	v_fma_f32 v82, v72, v32, -v7
	v_mul_f32_e32 v7, v75, v35
	v_fma_f32 v84, v74, v34, -v7
	ds_read_b128 v[8:11], v6 offset:528
	ds_read_b128 v[12:15], v6 offset:544
	;; [unrolled: 1-line block ×3, first 2 shown]
	v_pk_add_f32 v[6:7], v[20:21], v[82:83]
	s_waitcnt vmcnt(4) lgkmcnt(3)
	v_pk_mul_f32 v[20:21], v[76:77], v[60:61] op_sel:[1,1] op_sel_hi:[0,1]
	v_mul_f32_e32 v85, v74, v35
	v_pk_fma_f32 v[22:23], v[76:77], v[60:61], v[20:21] neg_lo:[0,0,1] neg_hi:[0,0,1]
	v_pk_fma_f32 v[20:21], v[76:77], v[60:61], v[20:21] op_sel_hi:[1,0,1]
	v_fmac_f32_e32 v85, v75, v34
	v_mov_b32_e32 v20, v63
	v_pk_add_f32 v[6:7], v[6:7], v[84:85]
	v_mov_b32_e32 v23, v21
	v_pk_mul_f32 v[20:21], v[78:79], v[20:21] op_sel:[1,0] op_sel_hi:[0,0]
	v_pk_add_f32 v[6:7], v[6:7], v[22:23]
	v_pk_fma_f32 v[22:23], v[78:79], v[62:63], v[20:21] neg_lo:[0,0,1] neg_hi:[0,0,1]
	v_pk_fma_f32 v[20:21], v[78:79], v[62:63], v[20:21] op_sel_hi:[1,0,1]
	s_nop 0
	v_mov_b32_e32 v23, v21
	s_waitcnt vmcnt(3) lgkmcnt(2)
	v_pk_mul_f32 v[20:21], v[8:9], v[64:65] op_sel:[1,1] op_sel_hi:[0,1]
	v_pk_add_f32 v[6:7], v[6:7], v[22:23]
	v_pk_fma_f32 v[22:23], v[8:9], v[64:65], v[20:21] neg_lo:[0,0,1] neg_hi:[0,0,1]
	v_pk_fma_f32 v[8:9], v[8:9], v[64:65], v[20:21] op_sel_hi:[1,0,1]
	s_nop 0
	v_mov_b32_e32 v8, v67
	v_mov_b32_e32 v23, v9
	v_pk_mul_f32 v[8:9], v[10:11], v[8:9] op_sel:[1,0] op_sel_hi:[0,0]
	v_pk_fma_f32 v[20:21], v[10:11], v[66:67], v[8:9] neg_lo:[0,0,1] neg_hi:[0,0,1]
	v_pk_fma_f32 v[8:9], v[10:11], v[66:67], v[8:9] op_sel_hi:[1,0,1]
	v_pk_add_f32 v[6:7], v[6:7], v[22:23]
	v_mov_b32_e32 v21, v9
	s_waitcnt vmcnt(2) lgkmcnt(1)
	v_pk_mul_f32 v[8:9], v[12:13], v[68:69] op_sel:[1,1] op_sel_hi:[0,1]
	v_pk_fma_f32 v[10:11], v[12:13], v[68:69], v[8:9] neg_lo:[0,0,1] neg_hi:[0,0,1]
	v_pk_fma_f32 v[8:9], v[12:13], v[68:69], v[8:9] op_sel_hi:[1,0,1]
	v_pk_add_f32 v[6:7], v[6:7], v[20:21]
	v_mov_b32_e32 v8, v71
	v_mov_b32_e32 v11, v9
	v_pk_mul_f32 v[8:9], v[14:15], v[8:9] op_sel:[1,0] op_sel_hi:[0,0]
	v_pk_add_f32 v[6:7], v[6:7], v[10:11]
	v_pk_fma_f32 v[10:11], v[14:15], v[70:71], v[8:9] neg_lo:[0,0,1] neg_hi:[0,0,1]
	v_pk_fma_f32 v[8:9], v[14:15], v[70:71], v[8:9] op_sel_hi:[1,0,1]
	s_nop 0
	v_mov_b32_e32 v11, v9
	s_waitcnt vmcnt(1) lgkmcnt(0)
	v_pk_mul_f32 v[8:9], v[16:17], v[2:3] op_sel:[1,1] op_sel_hi:[0,1]
	v_pk_add_f32 v[6:7], v[6:7], v[10:11]
	v_pk_fma_f32 v[10:11], v[16:17], v[2:3], v[8:9] neg_lo:[0,0,1] neg_hi:[0,0,1]
	v_pk_fma_f32 v[2:3], v[16:17], v[2:3], v[8:9] op_sel_hi:[1,0,1]
	s_nop 0
	v_mov_b32_e32 v11, v3
	v_pk_add_f32 v[2:3], v[6:7], v[10:11]
	v_mov_b32_e32 v6, v5
	v_pk_mul_f32 v[6:7], v[18:19], v[6:7] op_sel:[1,0] op_sel_hi:[0,0]
	v_pk_fma_f32 v[8:9], v[18:19], v[4:5], v[6:7] neg_lo:[0,0,1] neg_hi:[0,0,1]
	v_pk_fma_f32 v[4:5], v[18:19], v[4:5], v[6:7] op_sel_hi:[1,0,1]
	s_nop 0
	v_mov_b32_e32 v9, v5
	v_pk_add_f32 v[2:3], v[2:3], v[8:9]
	s_waitcnt vmcnt(0)
	v_pk_add_f32 v[2:3], v[80:81], v[2:3] neg_lo:[0,1] neg_hi:[0,1]
	scratch_store_dwordx2 off, v[2:3], off offset:104
	s_and_saveexec_b64 s[0:1], vcc
	s_cbranch_execz .LBB35_205
; %bb.204:
	scratch_load_dwordx2 v[2:3], off, off offset:96
	v_mov_b32_e32 v4, 0
	v_mov_b32_e32 v5, v4
	scratch_store_dwordx2 off, v[4:5], off offset:96
	s_waitcnt vmcnt(1)
	ds_write_b64 v1, v[2:3]
.LBB35_205:
	s_or_b64 exec, exec, s[0:1]
	s_waitcnt lgkmcnt(0)
	; wave barrier
	scratch_load_dwordx4 v[8:11], off, off offset:104
	scratch_load_dwordx4 v[16:19], off, off offset:120
	;; [unrolled: 1-line block ×8, first 2 shown]
	v_mov_b32_e32 v2, 0
	ds_read2_b64 v[4:7], v2 offset0:49 offset1:50
	v_cmp_lt_u32_e32 vcc, 11, v0
	s_waitcnt vmcnt(7) lgkmcnt(0)
	v_mul_f32_e32 v3, v4, v9
	v_fmac_f32_e32 v3, v5, v8
	v_mul_f32_e32 v12, v6, v11
	v_add_f32_e32 v3, 0, v3
	v_fmac_f32_e32 v12, v7, v10
	v_add_f32_e32 v3, v3, v12
	ds_read2_b64 v[12:15], v2 offset0:51 offset1:52
	s_waitcnt vmcnt(6) lgkmcnt(0)
	v_mul_f32_e32 v20, v12, v17
	v_fmac_f32_e32 v20, v13, v16
	v_add_f32_e32 v3, v3, v20
	v_mul_f32_e32 v20, v14, v19
	v_fmac_f32_e32 v20, v15, v18
	v_add_f32_e32 v3, v3, v20
	ds_read2_b64 v[20:23], v2 offset0:53 offset1:54
	s_waitcnt vmcnt(5) lgkmcnt(0)
	v_mul_f32_e32 v28, v20, v25
	v_fmac_f32_e32 v28, v21, v24
	v_add_f32_e32 v3, v3, v28
	v_mul_f32_e32 v28, v22, v27
	;; [unrolled: 8-line block ×5, first 2 shown]
	v_fmac_f32_e32 v52, v47, v50
	v_add_f32_e32 v3, v3, v52
	ds_read2_b64 v[52:55], v2 offset0:61 offset1:62
	s_waitcnt vmcnt(1) lgkmcnt(0)
	v_mul_f32_e32 v60, v52, v57
	v_fmac_f32_e32 v60, v53, v56
	v_add_f32_e32 v81, v3, v60
	ds_read2_b64 v[60:63], v2 offset0:63 offset1:64
	scratch_load_dwordx4 v[68:71], off, off offset:232
	scratch_load_dwordx4 v[72:75], off, off offset:248
	;; [unrolled: 1-line block ×3, first 2 shown]
	scratch_load_dwordx2 v[86:87], off, off offset:280
	v_mul_f32_e32 v3, v5, v9
	v_fma_f32 v3, v4, v8, -v3
	v_mul_f32_e32 v4, v7, v11
	v_add_f32_e32 v3, 0, v3
	v_fma_f32 v4, v6, v10, -v4
	v_add_f32_e32 v3, v3, v4
	v_mul_f32_e32 v4, v13, v17
	v_fma_f32 v4, v12, v16, -v4
	v_add_f32_e32 v3, v3, v4
	v_mul_f32_e32 v4, v15, v19
	;; [unrolled: 3-line block ×11, first 2 shown]
	v_fma_f32 v4, v52, v56, -v4
	v_mul_f32_e32 v83, v54, v59
	v_add_f32_e32 v80, v3, v4
	v_mul_f32_e32 v3, v55, v59
	s_waitcnt vmcnt(4)
	v_mov_b32_e32 v20, v67
	v_fmac_f32_e32 v83, v55, v58
	s_waitcnt lgkmcnt(0)
	v_mul_f32_e32 v85, v60, v65
	v_fma_f32 v82, v54, v58, -v3
	v_mul_f32_e32 v3, v61, v65
	ds_read2_b64 v[4:7], v2 offset0:65 offset1:66
	ds_read2_b64 v[8:11], v2 offset0:67 offset1:68
	;; [unrolled: 1-line block ×3, first 2 shown]
	ds_read_b64 v[16:17], v2 offset:568
	v_pk_mul_f32 v[20:21], v[62:63], v[20:21] op_sel:[1,0] op_sel_hi:[0,0]
	v_fmac_f32_e32 v85, v61, v64
	v_fma_f32 v84, v60, v64, -v3
	v_pk_add_f32 v[18:19], v[80:81], v[82:83]
	v_pk_fma_f32 v[22:23], v[62:63], v[66:67], v[20:21] neg_lo:[0,0,1] neg_hi:[0,0,1]
	v_pk_fma_f32 v[20:21], v[62:63], v[66:67], v[20:21] op_sel_hi:[1,0,1]
	v_pk_add_f32 v[18:19], v[18:19], v[84:85]
	v_mov_b32_e32 v23, v21
	v_pk_add_f32 v[18:19], v[18:19], v[22:23]
	s_waitcnt vmcnt(3) lgkmcnt(3)
	v_pk_mul_f32 v[20:21], v[4:5], v[68:69] op_sel:[1,1] op_sel_hi:[0,1]
	v_pk_fma_f32 v[22:23], v[4:5], v[68:69], v[20:21] neg_lo:[0,0,1] neg_hi:[0,0,1]
	v_pk_fma_f32 v[4:5], v[4:5], v[68:69], v[20:21] op_sel_hi:[1,0,1]
	s_nop 0
	v_mov_b32_e32 v23, v5
	v_pk_add_f32 v[4:5], v[18:19], v[22:23]
	v_mov_b32_e32 v18, v71
	v_pk_mul_f32 v[18:19], v[6:7], v[18:19] op_sel:[1,0] op_sel_hi:[0,0]
	v_pk_fma_f32 v[20:21], v[6:7], v[70:71], v[18:19] neg_lo:[0,0,1] neg_hi:[0,0,1]
	v_pk_fma_f32 v[6:7], v[6:7], v[70:71], v[18:19] op_sel_hi:[1,0,1]
	s_nop 0
	v_mov_b32_e32 v21, v7
	s_waitcnt vmcnt(2) lgkmcnt(2)
	v_pk_mul_f32 v[6:7], v[8:9], v[72:73] op_sel:[1,1] op_sel_hi:[0,1]
	v_pk_fma_f32 v[18:19], v[8:9], v[72:73], v[6:7] neg_lo:[0,0,1] neg_hi:[0,0,1]
	v_pk_fma_f32 v[6:7], v[8:9], v[72:73], v[6:7] op_sel_hi:[1,0,1]
	v_pk_add_f32 v[4:5], v[4:5], v[20:21]
	v_mov_b32_e32 v6, v75
	v_mov_b32_e32 v19, v7
	v_pk_mul_f32 v[6:7], v[10:11], v[6:7] op_sel:[1,0] op_sel_hi:[0,0]
	v_pk_fma_f32 v[8:9], v[10:11], v[74:75], v[6:7] neg_lo:[0,0,1] neg_hi:[0,0,1]
	v_pk_fma_f32 v[6:7], v[10:11], v[74:75], v[6:7] op_sel_hi:[1,0,1]
	v_pk_add_f32 v[4:5], v[4:5], v[18:19]
	v_mov_b32_e32 v9, v7
	s_waitcnt vmcnt(1) lgkmcnt(1)
	v_pk_mul_f32 v[6:7], v[12:13], v[76:77] op_sel:[1,1] op_sel_hi:[0,1]
	v_pk_add_f32 v[4:5], v[4:5], v[8:9]
	v_pk_fma_f32 v[8:9], v[12:13], v[76:77], v[6:7] neg_lo:[0,0,1] neg_hi:[0,0,1]
	v_pk_fma_f32 v[6:7], v[12:13], v[76:77], v[6:7] op_sel_hi:[1,0,1]
	s_nop 0
	v_mov_b32_e32 v6, v79
	v_mov_b32_e32 v9, v7
	v_pk_mul_f32 v[6:7], v[14:15], v[6:7] op_sel:[1,0] op_sel_hi:[0,0]
	v_pk_add_f32 v[4:5], v[4:5], v[8:9]
	v_pk_fma_f32 v[8:9], v[14:15], v[78:79], v[6:7] neg_lo:[0,0,1] neg_hi:[0,0,1]
	v_pk_fma_f32 v[6:7], v[14:15], v[78:79], v[6:7] op_sel_hi:[1,0,1]
	s_nop 0
	v_mov_b32_e32 v9, v7
	s_waitcnt vmcnt(0) lgkmcnt(0)
	v_pk_mul_f32 v[6:7], v[16:17], v[86:87] op_sel:[1,1] op_sel_hi:[0,1]
	v_pk_add_f32 v[4:5], v[4:5], v[8:9]
	v_pk_fma_f32 v[8:9], v[16:17], v[86:87], v[6:7] neg_lo:[0,0,1] neg_hi:[0,0,1]
	v_pk_fma_f32 v[6:7], v[16:17], v[86:87], v[6:7] op_sel_hi:[1,0,1]
	s_nop 0
	v_mov_b32_e32 v9, v7
	scratch_load_dwordx2 v[6:7], off, off offset:96
	v_pk_add_f32 v[4:5], v[4:5], v[8:9]
	s_waitcnt vmcnt(0)
	v_pk_add_f32 v[4:5], v[6:7], v[4:5] neg_lo:[0,1] neg_hi:[0,1]
	scratch_store_dwordx2 off, v[4:5], off offset:96
	s_and_saveexec_b64 s[0:1], vcc
	s_cbranch_execz .LBB35_207
; %bb.206:
	scratch_load_dwordx2 v[4:5], off, off offset:88
	v_mov_b32_e32 v3, v2
	scratch_store_dwordx2 off, v[2:3], off offset:88
	s_waitcnt vmcnt(1)
	ds_write_b64 v1, v[4:5]
.LBB35_207:
	s_or_b64 exec, exec, s[0:1]
	s_waitcnt lgkmcnt(0)
	; wave barrier
	ds_read_b128 v[4:7], v2 offset:384
	ds_read_b128 v[8:11], v2 offset:400
	;; [unrolled: 1-line block ×4, first 2 shown]
	scratch_load_dwordx4 v[20:23], off, off offset:96
	scratch_load_dwordx4 v[40:43], off, off offset:160
	v_cmp_lt_u32_e32 vcc, 10, v0
	scratch_load_dwordx4 v[48:51], off, off offset:176
	scratch_load_dwordx4 v[56:59], off, off offset:192
	;; [unrolled: 1-line block ×3, first 2 shown]
	s_waitcnt vmcnt(4) lgkmcnt(3)
	v_mul_f32_e32 v3, v4, v21
	v_fmac_f32_e32 v3, v5, v20
	v_mul_f32_e32 v24, v6, v23
	v_add_f32_e32 v3, 0, v3
	v_fmac_f32_e32 v24, v7, v22
	v_add_f32_e32 v3, v3, v24
	scratch_load_dwordx4 v[24:27], off, off offset:112
	s_waitcnt vmcnt(0) lgkmcnt(2)
	v_mul_f32_e32 v28, v8, v25
	v_fmac_f32_e32 v28, v9, v24
	v_add_f32_e32 v3, v3, v28
	v_mul_f32_e32 v28, v10, v27
	v_fmac_f32_e32 v28, v11, v26
	v_add_f32_e32 v3, v3, v28
	scratch_load_dwordx4 v[28:31], off, off offset:128
	s_waitcnt vmcnt(0) lgkmcnt(1)
	v_mul_f32_e32 v32, v12, v29
	v_fmac_f32_e32 v32, v13, v28
	v_add_f32_e32 v3, v3, v32
	v_mul_f32_e32 v32, v14, v31
	;; [unrolled: 8-line block ×3, first 2 shown]
	v_fmac_f32_e32 v36, v19, v34
	v_add_f32_e32 v3, v3, v36
	ds_read_b128 v[36:39], v2 offset:448
	s_waitcnt lgkmcnt(0)
	v_mul_f32_e32 v44, v36, v41
	v_fmac_f32_e32 v44, v37, v40
	v_add_f32_e32 v3, v3, v44
	v_mul_f32_e32 v44, v38, v43
	v_fmac_f32_e32 v44, v39, v42
	v_add_f32_e32 v3, v3, v44
	ds_read_b128 v[44:47], v2 offset:464
	s_waitcnt lgkmcnt(0)
	v_mul_f32_e32 v52, v44, v49
	v_fmac_f32_e32 v52, v45, v48
	v_add_f32_e32 v3, v3, v52
	v_mul_f32_e32 v52, v46, v51
	;; [unrolled: 8-line block ×3, first 2 shown]
	v_fmac_f32_e32 v60, v55, v58
	v_add_f32_e32 v85, v3, v60
	ds_read_b128 v[60:63], v2 offset:496
	scratch_load_dwordx4 v[68:71], off, off offset:224
	scratch_load_dwordx4 v[72:75], off, off offset:240
	;; [unrolled: 1-line block ×4, first 2 shown]
	v_mul_f32_e32 v3, v5, v21
	v_fma_f32 v3, v4, v20, -v3
	v_mul_f32_e32 v4, v7, v23
	v_add_f32_e32 v3, 0, v3
	v_fma_f32 v4, v6, v22, -v4
	v_add_f32_e32 v3, v3, v4
	v_mul_f32_e32 v4, v9, v25
	v_fma_f32 v4, v8, v24, -v4
	v_add_f32_e32 v3, v3, v4
	v_mul_f32_e32 v4, v11, v27
	;; [unrolled: 3-line block ×12, first 2 shown]
	v_fma_f32 v4, v54, v58, -v4
	v_add_f32_e32 v84, v3, v4
	ds_read_b128 v[4:7], v2 offset:512
	ds_read_b128 v[8:11], v2 offset:528
	;; [unrolled: 1-line block ×4, first 2 shown]
	s_waitcnt lgkmcnt(4)
	v_mul_f32_e32 v87, v60, v65
	v_mul_f32_e32 v3, v61, v65
	v_fmac_f32_e32 v87, v61, v64
	v_mul_f32_e32 v89, v62, v67
	v_fma_f32 v86, v60, v64, -v3
	v_mul_f32_e32 v3, v63, v67
	v_fmac_f32_e32 v89, v63, v66
	v_fma_f32 v88, v62, v66, -v3
	v_pk_add_f32 v[2:3], v[84:85], v[86:87]
	s_waitcnt vmcnt(3) lgkmcnt(3)
	v_pk_mul_f32 v[20:21], v[4:5], v[68:69] op_sel:[1,1] op_sel_hi:[0,1]
	v_pk_fma_f32 v[22:23], v[4:5], v[68:69], v[20:21] neg_lo:[0,0,1] neg_hi:[0,0,1]
	v_pk_fma_f32 v[4:5], v[4:5], v[68:69], v[20:21] op_sel_hi:[1,0,1]
	v_pk_add_f32 v[2:3], v[2:3], v[88:89]
	v_mov_b32_e32 v4, v71
	v_mov_b32_e32 v23, v5
	v_pk_mul_f32 v[4:5], v[6:7], v[4:5] op_sel:[1,0] op_sel_hi:[0,0]
	v_pk_fma_f32 v[20:21], v[6:7], v[70:71], v[4:5] neg_lo:[0,0,1] neg_hi:[0,0,1]
	v_pk_fma_f32 v[4:5], v[6:7], v[70:71], v[4:5] op_sel_hi:[1,0,1]
	v_pk_add_f32 v[2:3], v[2:3], v[22:23]
	v_mov_b32_e32 v21, v5
	s_waitcnt vmcnt(2) lgkmcnt(2)
	v_pk_mul_f32 v[4:5], v[8:9], v[72:73] op_sel:[1,1] op_sel_hi:[0,1]
	v_pk_fma_f32 v[6:7], v[8:9], v[72:73], v[4:5] neg_lo:[0,0,1] neg_hi:[0,0,1]
	v_pk_fma_f32 v[4:5], v[8:9], v[72:73], v[4:5] op_sel_hi:[1,0,1]
	v_pk_add_f32 v[2:3], v[2:3], v[20:21]
	v_mov_b32_e32 v4, v75
	v_mov_b32_e32 v7, v5
	v_pk_mul_f32 v[4:5], v[10:11], v[4:5] op_sel:[1,0] op_sel_hi:[0,0]
	v_pk_add_f32 v[2:3], v[2:3], v[6:7]
	v_pk_fma_f32 v[6:7], v[10:11], v[74:75], v[4:5] neg_lo:[0,0,1] neg_hi:[0,0,1]
	v_pk_fma_f32 v[4:5], v[10:11], v[74:75], v[4:5] op_sel_hi:[1,0,1]
	s_nop 0
	v_mov_b32_e32 v7, v5
	s_waitcnt vmcnt(1) lgkmcnt(1)
	v_pk_mul_f32 v[4:5], v[12:13], v[76:77] op_sel:[1,1] op_sel_hi:[0,1]
	v_pk_add_f32 v[2:3], v[2:3], v[6:7]
	v_pk_fma_f32 v[6:7], v[12:13], v[76:77], v[4:5] neg_lo:[0,0,1] neg_hi:[0,0,1]
	v_pk_fma_f32 v[4:5], v[12:13], v[76:77], v[4:5] op_sel_hi:[1,0,1]
	s_nop 0
	v_mov_b32_e32 v4, v79
	v_mov_b32_e32 v7, v5
	v_pk_mul_f32 v[4:5], v[14:15], v[4:5] op_sel:[1,0] op_sel_hi:[0,0]
	v_pk_add_f32 v[2:3], v[2:3], v[6:7]
	v_pk_fma_f32 v[6:7], v[14:15], v[78:79], v[4:5] neg_lo:[0,0,1] neg_hi:[0,0,1]
	v_pk_fma_f32 v[4:5], v[14:15], v[78:79], v[4:5] op_sel_hi:[1,0,1]
	s_nop 0
	v_mov_b32_e32 v7, v5
	s_waitcnt vmcnt(0) lgkmcnt(0)
	v_pk_mul_f32 v[4:5], v[16:17], v[80:81] op_sel:[1,1] op_sel_hi:[0,1]
	v_pk_add_f32 v[2:3], v[2:3], v[6:7]
	v_pk_fma_f32 v[6:7], v[16:17], v[80:81], v[4:5] neg_lo:[0,0,1] neg_hi:[0,0,1]
	v_pk_fma_f32 v[4:5], v[16:17], v[80:81], v[4:5] op_sel_hi:[1,0,1]
	s_nop 0
	v_mov_b32_e32 v4, v83
	v_mov_b32_e32 v7, v5
	v_pk_mul_f32 v[4:5], v[18:19], v[4:5] op_sel:[1,0] op_sel_hi:[0,0]
	v_pk_add_f32 v[2:3], v[2:3], v[6:7]
	v_pk_fma_f32 v[6:7], v[18:19], v[82:83], v[4:5] neg_lo:[0,0,1] neg_hi:[0,0,1]
	v_pk_fma_f32 v[4:5], v[18:19], v[82:83], v[4:5] op_sel_hi:[1,0,1]
	s_nop 0
	v_mov_b32_e32 v7, v5
	scratch_load_dwordx2 v[4:5], off, off offset:88
	v_pk_add_f32 v[2:3], v[2:3], v[6:7]
	s_waitcnt vmcnt(0)
	v_pk_add_f32 v[2:3], v[4:5], v[2:3] neg_lo:[0,1] neg_hi:[0,1]
	scratch_store_dwordx2 off, v[2:3], off offset:88
	s_and_saveexec_b64 s[0:1], vcc
	s_cbranch_execz .LBB35_209
; %bb.208:
	scratch_load_dwordx2 v[2:3], off, off offset:80
	v_mov_b32_e32 v4, 0
	v_mov_b32_e32 v5, v4
	scratch_store_dwordx2 off, v[4:5], off offset:80
	s_waitcnt vmcnt(1)
	ds_write_b64 v1, v[2:3]
.LBB35_209:
	s_or_b64 exec, exec, s[0:1]
	s_waitcnt lgkmcnt(0)
	; wave barrier
	scratch_load_dwordx4 v[8:11], off, off offset:88
	scratch_load_dwordx4 v[16:19], off, off offset:104
	;; [unrolled: 1-line block ×8, first 2 shown]
	v_mov_b32_e32 v2, 0
	ds_read2_b64 v[4:7], v2 offset0:47 offset1:48
	scratch_load_dwordx4 v[72:75], off, off offset:216
	v_cmp_lt_u32_e32 vcc, 9, v0
	s_waitcnt vmcnt(8) lgkmcnt(0)
	v_mul_f32_e32 v3, v4, v9
	v_fmac_f32_e32 v3, v5, v8
	v_mul_f32_e32 v12, v6, v11
	v_add_f32_e32 v3, 0, v3
	v_fmac_f32_e32 v12, v7, v10
	v_add_f32_e32 v3, v3, v12
	ds_read2_b64 v[12:15], v2 offset0:49 offset1:50
	s_waitcnt vmcnt(7) lgkmcnt(0)
	v_mul_f32_e32 v20, v12, v17
	v_fmac_f32_e32 v20, v13, v16
	v_add_f32_e32 v3, v3, v20
	v_mul_f32_e32 v20, v14, v19
	v_fmac_f32_e32 v20, v15, v18
	v_add_f32_e32 v3, v3, v20
	ds_read2_b64 v[20:23], v2 offset0:51 offset1:52
	s_waitcnt vmcnt(6) lgkmcnt(0)
	v_mul_f32_e32 v28, v20, v25
	v_fmac_f32_e32 v28, v21, v24
	v_add_f32_e32 v3, v3, v28
	v_mul_f32_e32 v28, v22, v27
	;; [unrolled: 8-line block ×6, first 2 shown]
	v_fmac_f32_e32 v60, v55, v58
	v_add_f32_e32 v3, v3, v60
	ds_read2_b64 v[60:63], v2 offset0:61 offset1:62
	s_waitcnt vmcnt(1) lgkmcnt(0)
	v_mul_f32_e32 v68, v60, v65
	v_fmac_f32_e32 v68, v61, v64
	v_add_f32_e32 v89, v3, v68
	ds_read2_b64 v[68:71], v2 offset0:63 offset1:64
	scratch_load_dwordx4 v[76:79], off, off offset:232
	scratch_load_dwordx4 v[80:83], off, off offset:248
	;; [unrolled: 1-line block ×3, first 2 shown]
	scratch_load_dwordx2 v[94:95], off, off offset:280
	v_mul_f32_e32 v3, v5, v9
	v_fma_f32 v3, v4, v8, -v3
	v_mul_f32_e32 v4, v7, v11
	v_add_f32_e32 v3, 0, v3
	v_fma_f32 v4, v6, v10, -v4
	v_add_f32_e32 v3, v3, v4
	v_mul_f32_e32 v4, v13, v17
	v_fma_f32 v4, v12, v16, -v4
	v_add_f32_e32 v3, v3, v4
	v_mul_f32_e32 v4, v15, v19
	;; [unrolled: 3-line block ×13, first 2 shown]
	v_fma_f32 v4, v60, v64, -v4
	v_mul_f32_e32 v91, v62, v67
	v_add_f32_e32 v88, v3, v4
	v_mul_f32_e32 v3, v63, v67
	s_waitcnt vmcnt(4)
	v_mov_b32_e32 v20, v75
	v_fmac_f32_e32 v91, v63, v66
	s_waitcnt lgkmcnt(0)
	v_mul_f32_e32 v93, v68, v73
	v_fma_f32 v90, v62, v66, -v3
	v_mul_f32_e32 v3, v69, v73
	ds_read2_b64 v[4:7], v2 offset0:65 offset1:66
	ds_read2_b64 v[8:11], v2 offset0:67 offset1:68
	;; [unrolled: 1-line block ×3, first 2 shown]
	ds_read_b64 v[16:17], v2 offset:568
	v_pk_mul_f32 v[20:21], v[70:71], v[20:21] op_sel:[1,0] op_sel_hi:[0,0]
	v_fmac_f32_e32 v93, v69, v72
	v_fma_f32 v92, v68, v72, -v3
	v_pk_add_f32 v[18:19], v[88:89], v[90:91]
	v_pk_fma_f32 v[22:23], v[70:71], v[74:75], v[20:21] neg_lo:[0,0,1] neg_hi:[0,0,1]
	v_pk_fma_f32 v[20:21], v[70:71], v[74:75], v[20:21] op_sel_hi:[1,0,1]
	v_pk_add_f32 v[18:19], v[18:19], v[92:93]
	v_mov_b32_e32 v23, v21
	v_pk_add_f32 v[18:19], v[18:19], v[22:23]
	s_waitcnt vmcnt(3) lgkmcnt(3)
	v_pk_mul_f32 v[20:21], v[4:5], v[76:77] op_sel:[1,1] op_sel_hi:[0,1]
	v_pk_fma_f32 v[22:23], v[4:5], v[76:77], v[20:21] neg_lo:[0,0,1] neg_hi:[0,0,1]
	v_pk_fma_f32 v[4:5], v[4:5], v[76:77], v[20:21] op_sel_hi:[1,0,1]
	s_nop 0
	v_mov_b32_e32 v23, v5
	v_pk_add_f32 v[4:5], v[18:19], v[22:23]
	v_mov_b32_e32 v18, v79
	v_pk_mul_f32 v[18:19], v[6:7], v[18:19] op_sel:[1,0] op_sel_hi:[0,0]
	v_pk_fma_f32 v[20:21], v[6:7], v[78:79], v[18:19] neg_lo:[0,0,1] neg_hi:[0,0,1]
	v_pk_fma_f32 v[6:7], v[6:7], v[78:79], v[18:19] op_sel_hi:[1,0,1]
	s_nop 0
	v_mov_b32_e32 v21, v7
	s_waitcnt vmcnt(2) lgkmcnt(2)
	v_pk_mul_f32 v[6:7], v[8:9], v[80:81] op_sel:[1,1] op_sel_hi:[0,1]
	v_pk_fma_f32 v[18:19], v[8:9], v[80:81], v[6:7] neg_lo:[0,0,1] neg_hi:[0,0,1]
	v_pk_fma_f32 v[6:7], v[8:9], v[80:81], v[6:7] op_sel_hi:[1,0,1]
	v_pk_add_f32 v[4:5], v[4:5], v[20:21]
	v_mov_b32_e32 v6, v83
	v_mov_b32_e32 v19, v7
	v_pk_mul_f32 v[6:7], v[10:11], v[6:7] op_sel:[1,0] op_sel_hi:[0,0]
	v_pk_fma_f32 v[8:9], v[10:11], v[82:83], v[6:7] neg_lo:[0,0,1] neg_hi:[0,0,1]
	v_pk_fma_f32 v[6:7], v[10:11], v[82:83], v[6:7] op_sel_hi:[1,0,1]
	v_pk_add_f32 v[4:5], v[4:5], v[18:19]
	v_mov_b32_e32 v9, v7
	s_waitcnt vmcnt(1) lgkmcnt(1)
	v_pk_mul_f32 v[6:7], v[12:13], v[84:85] op_sel:[1,1] op_sel_hi:[0,1]
	v_pk_add_f32 v[4:5], v[4:5], v[8:9]
	v_pk_fma_f32 v[8:9], v[12:13], v[84:85], v[6:7] neg_lo:[0,0,1] neg_hi:[0,0,1]
	v_pk_fma_f32 v[6:7], v[12:13], v[84:85], v[6:7] op_sel_hi:[1,0,1]
	s_nop 0
	v_mov_b32_e32 v6, v87
	v_mov_b32_e32 v9, v7
	v_pk_mul_f32 v[6:7], v[14:15], v[6:7] op_sel:[1,0] op_sel_hi:[0,0]
	v_pk_add_f32 v[4:5], v[4:5], v[8:9]
	v_pk_fma_f32 v[8:9], v[14:15], v[86:87], v[6:7] neg_lo:[0,0,1] neg_hi:[0,0,1]
	v_pk_fma_f32 v[6:7], v[14:15], v[86:87], v[6:7] op_sel_hi:[1,0,1]
	s_nop 0
	v_mov_b32_e32 v9, v7
	s_waitcnt vmcnt(0) lgkmcnt(0)
	v_pk_mul_f32 v[6:7], v[16:17], v[94:95] op_sel:[1,1] op_sel_hi:[0,1]
	v_pk_add_f32 v[4:5], v[4:5], v[8:9]
	v_pk_fma_f32 v[8:9], v[16:17], v[94:95], v[6:7] neg_lo:[0,0,1] neg_hi:[0,0,1]
	v_pk_fma_f32 v[6:7], v[16:17], v[94:95], v[6:7] op_sel_hi:[1,0,1]
	s_nop 0
	v_mov_b32_e32 v9, v7
	scratch_load_dwordx2 v[6:7], off, off offset:80
	v_pk_add_f32 v[4:5], v[4:5], v[8:9]
	s_waitcnt vmcnt(0)
	v_pk_add_f32 v[4:5], v[6:7], v[4:5] neg_lo:[0,1] neg_hi:[0,1]
	scratch_store_dwordx2 off, v[4:5], off offset:80
	s_and_saveexec_b64 s[0:1], vcc
	s_cbranch_execz .LBB35_211
; %bb.210:
	scratch_load_dwordx2 v[4:5], off, off offset:72
	v_mov_b32_e32 v3, v2
	scratch_store_dwordx2 off, v[2:3], off offset:72
	s_waitcnt vmcnt(1)
	ds_write_b64 v1, v[4:5]
.LBB35_211:
	s_or_b64 exec, exec, s[0:1]
	s_waitcnt lgkmcnt(0)
	; wave barrier
	ds_read_b128 v[4:7], v2 offset:368
	ds_read_b128 v[8:11], v2 offset:384
	;; [unrolled: 1-line block ×4, first 2 shown]
	scratch_load_dwordx4 v[20:23], off, off offset:80
	scratch_load_dwordx4 v[40:43], off, off offset:144
	;; [unrolled: 1-line block ×3, first 2 shown]
	v_cmp_lt_u32_e32 vcc, 8, v0
	scratch_load_dwordx4 v[48:51], off, off offset:160
	scratch_load_dwordx4 v[56:59], off, off offset:176
	;; [unrolled: 1-line block ×3, first 2 shown]
	s_waitcnt vmcnt(5) lgkmcnt(3)
	v_mul_f32_e32 v3, v4, v21
	v_fmac_f32_e32 v3, v5, v20
	v_mul_f32_e32 v24, v6, v23
	v_add_f32_e32 v3, 0, v3
	v_fmac_f32_e32 v24, v7, v22
	v_add_f32_e32 v3, v3, v24
	scratch_load_dwordx4 v[24:27], off, off offset:96
	s_waitcnt vmcnt(0) lgkmcnt(2)
	v_mul_f32_e32 v28, v8, v25
	v_fmac_f32_e32 v28, v9, v24
	v_add_f32_e32 v3, v3, v28
	v_mul_f32_e32 v28, v10, v27
	v_fmac_f32_e32 v28, v11, v26
	v_add_f32_e32 v3, v3, v28
	scratch_load_dwordx4 v[28:31], off, off offset:112
	s_waitcnt vmcnt(0) lgkmcnt(1)
	v_mul_f32_e32 v32, v12, v29
	v_fmac_f32_e32 v32, v13, v28
	v_add_f32_e32 v3, v3, v32
	v_mul_f32_e32 v32, v14, v31
	;; [unrolled: 8-line block ×3, first 2 shown]
	v_fmac_f32_e32 v36, v19, v34
	v_add_f32_e32 v3, v3, v36
	ds_read_b128 v[36:39], v2 offset:432
	s_waitcnt lgkmcnt(0)
	v_mul_f32_e32 v44, v36, v41
	v_fmac_f32_e32 v44, v37, v40
	v_add_f32_e32 v3, v3, v44
	v_mul_f32_e32 v44, v38, v43
	v_fmac_f32_e32 v44, v39, v42
	v_add_f32_e32 v3, v3, v44
	ds_read_b128 v[44:47], v2 offset:448
	s_waitcnt lgkmcnt(0)
	v_mul_f32_e32 v52, v44, v49
	v_fmac_f32_e32 v52, v45, v48
	v_add_f32_e32 v3, v3, v52
	v_mul_f32_e32 v52, v46, v51
	;; [unrolled: 8-line block ×4, first 2 shown]
	v_fmac_f32_e32 v68, v63, v66
	v_add_f32_e32 v93, v3, v68
	ds_read_b128 v[68:71], v2 offset:496
	scratch_load_dwordx4 v[76:79], off, off offset:224
	scratch_load_dwordx4 v[80:83], off, off offset:240
	;; [unrolled: 1-line block ×4, first 2 shown]
	v_mul_f32_e32 v3, v5, v21
	v_fma_f32 v3, v4, v20, -v3
	v_mul_f32_e32 v4, v7, v23
	v_add_f32_e32 v3, 0, v3
	v_fma_f32 v4, v6, v22, -v4
	v_add_f32_e32 v3, v3, v4
	v_mul_f32_e32 v4, v9, v25
	v_fma_f32 v4, v8, v24, -v4
	v_add_f32_e32 v3, v3, v4
	v_mul_f32_e32 v4, v11, v27
	;; [unrolled: 3-line block ×14, first 2 shown]
	v_fma_f32 v4, v62, v66, -v4
	v_add_f32_e32 v92, v3, v4
	ds_read_b128 v[4:7], v2 offset:512
	ds_read_b128 v[8:11], v2 offset:528
	;; [unrolled: 1-line block ×4, first 2 shown]
	s_waitcnt lgkmcnt(4)
	v_mul_f32_e32 v95, v68, v73
	v_mul_f32_e32 v3, v69, v73
	v_fmac_f32_e32 v95, v69, v72
	v_mul_f32_e32 v97, v70, v75
	v_fma_f32 v94, v68, v72, -v3
	v_mul_f32_e32 v3, v71, v75
	v_fmac_f32_e32 v97, v71, v74
	v_fma_f32 v96, v70, v74, -v3
	v_pk_add_f32 v[2:3], v[92:93], v[94:95]
	s_waitcnt vmcnt(3) lgkmcnt(3)
	v_pk_mul_f32 v[20:21], v[4:5], v[76:77] op_sel:[1,1] op_sel_hi:[0,1]
	v_pk_fma_f32 v[22:23], v[4:5], v[76:77], v[20:21] neg_lo:[0,0,1] neg_hi:[0,0,1]
	v_pk_fma_f32 v[4:5], v[4:5], v[76:77], v[20:21] op_sel_hi:[1,0,1]
	v_pk_add_f32 v[2:3], v[2:3], v[96:97]
	v_mov_b32_e32 v4, v79
	v_mov_b32_e32 v23, v5
	v_pk_mul_f32 v[4:5], v[6:7], v[4:5] op_sel:[1,0] op_sel_hi:[0,0]
	v_pk_fma_f32 v[20:21], v[6:7], v[78:79], v[4:5] neg_lo:[0,0,1] neg_hi:[0,0,1]
	v_pk_fma_f32 v[4:5], v[6:7], v[78:79], v[4:5] op_sel_hi:[1,0,1]
	v_pk_add_f32 v[2:3], v[2:3], v[22:23]
	v_mov_b32_e32 v21, v5
	s_waitcnt vmcnt(2) lgkmcnt(2)
	v_pk_mul_f32 v[4:5], v[8:9], v[80:81] op_sel:[1,1] op_sel_hi:[0,1]
	v_pk_fma_f32 v[6:7], v[8:9], v[80:81], v[4:5] neg_lo:[0,0,1] neg_hi:[0,0,1]
	v_pk_fma_f32 v[4:5], v[8:9], v[80:81], v[4:5] op_sel_hi:[1,0,1]
	v_pk_add_f32 v[2:3], v[2:3], v[20:21]
	v_mov_b32_e32 v4, v83
	v_mov_b32_e32 v7, v5
	v_pk_mul_f32 v[4:5], v[10:11], v[4:5] op_sel:[1,0] op_sel_hi:[0,0]
	v_pk_add_f32 v[2:3], v[2:3], v[6:7]
	v_pk_fma_f32 v[6:7], v[10:11], v[82:83], v[4:5] neg_lo:[0,0,1] neg_hi:[0,0,1]
	v_pk_fma_f32 v[4:5], v[10:11], v[82:83], v[4:5] op_sel_hi:[1,0,1]
	s_nop 0
	v_mov_b32_e32 v7, v5
	s_waitcnt vmcnt(1) lgkmcnt(1)
	v_pk_mul_f32 v[4:5], v[12:13], v[84:85] op_sel:[1,1] op_sel_hi:[0,1]
	v_pk_add_f32 v[2:3], v[2:3], v[6:7]
	v_pk_fma_f32 v[6:7], v[12:13], v[84:85], v[4:5] neg_lo:[0,0,1] neg_hi:[0,0,1]
	v_pk_fma_f32 v[4:5], v[12:13], v[84:85], v[4:5] op_sel_hi:[1,0,1]
	s_nop 0
	v_mov_b32_e32 v4, v87
	v_mov_b32_e32 v7, v5
	v_pk_mul_f32 v[4:5], v[14:15], v[4:5] op_sel:[1,0] op_sel_hi:[0,0]
	v_pk_add_f32 v[2:3], v[2:3], v[6:7]
	v_pk_fma_f32 v[6:7], v[14:15], v[86:87], v[4:5] neg_lo:[0,0,1] neg_hi:[0,0,1]
	v_pk_fma_f32 v[4:5], v[14:15], v[86:87], v[4:5] op_sel_hi:[1,0,1]
	s_nop 0
	v_mov_b32_e32 v7, v5
	s_waitcnt vmcnt(0) lgkmcnt(0)
	v_pk_mul_f32 v[4:5], v[16:17], v[88:89] op_sel:[1,1] op_sel_hi:[0,1]
	v_pk_add_f32 v[2:3], v[2:3], v[6:7]
	v_pk_fma_f32 v[6:7], v[16:17], v[88:89], v[4:5] neg_lo:[0,0,1] neg_hi:[0,0,1]
	v_pk_fma_f32 v[4:5], v[16:17], v[88:89], v[4:5] op_sel_hi:[1,0,1]
	s_nop 0
	v_mov_b32_e32 v4, v91
	v_mov_b32_e32 v7, v5
	v_pk_mul_f32 v[4:5], v[18:19], v[4:5] op_sel:[1,0] op_sel_hi:[0,0]
	v_pk_add_f32 v[2:3], v[2:3], v[6:7]
	v_pk_fma_f32 v[6:7], v[18:19], v[90:91], v[4:5] neg_lo:[0,0,1] neg_hi:[0,0,1]
	v_pk_fma_f32 v[4:5], v[18:19], v[90:91], v[4:5] op_sel_hi:[1,0,1]
	s_nop 0
	v_mov_b32_e32 v7, v5
	scratch_load_dwordx2 v[4:5], off, off offset:72
	v_pk_add_f32 v[2:3], v[2:3], v[6:7]
	s_waitcnt vmcnt(0)
	v_pk_add_f32 v[2:3], v[4:5], v[2:3] neg_lo:[0,1] neg_hi:[0,1]
	scratch_store_dwordx2 off, v[2:3], off offset:72
	s_and_saveexec_b64 s[0:1], vcc
	s_cbranch_execz .LBB35_213
; %bb.212:
	scratch_load_dwordx2 v[2:3], off, off offset:64
	v_mov_b32_e32 v4, 0
	v_mov_b32_e32 v5, v4
	scratch_store_dwordx2 off, v[4:5], off offset:64
	s_waitcnt vmcnt(1)
	ds_write_b64 v1, v[2:3]
.LBB35_213:
	s_or_b64 exec, exec, s[0:1]
	s_waitcnt lgkmcnt(0)
	; wave barrier
	scratch_load_dwordx4 v[10:13], off, off offset:72
	scratch_load_dwordx4 v[30:33], off, off offset:88
	;; [unrolled: 1-line block ×13, first 2 shown]
	scratch_load_dwordx2 v[54:55], off, off offset:280
	scratch_load_dwordx2 v[80:81], off, off offset:64
	v_mov_b32_e32 v82, 0
	ds_read2_b64 v[56:59], v82 offset0:45 offset1:46
	ds_read2_b64 v[60:63], v82 offset0:47 offset1:48
	;; [unrolled: 1-line block ×10, first 2 shown]
	v_cmp_lt_u32_e32 vcc, 7, v0
	s_waitcnt vmcnt(14) lgkmcnt(9)
	v_mul_f32_e32 v83, v56, v11
	v_mul_f32_e32 v100, v58, v13
	s_waitcnt vmcnt(12) lgkmcnt(7)
	v_mul_f32_e32 v105, v64, v3
	v_mul_f32_e32 v3, v65, v3
	v_fmac_f32_e32 v83, v57, v10
	v_mul_f32_e32 v102, v60, v31
	v_fmac_f32_e32 v100, v59, v12
	v_fmac_f32_e32 v105, v65, v2
	v_fma_f32 v2, v64, v2, -v3
	v_add_f32_e32 v3, 0, v83
	v_mul_f32_e32 v104, v62, v33
	v_fmac_f32_e32 v102, v61, v30
	v_add_f32_e32 v3, v3, v100
	v_fmac_f32_e32 v104, v63, v32
	v_add_f32_e32 v3, v3, v102
	v_mul_f32_e32 v106, v66, v5
	v_add_f32_e32 v3, v3, v104
	s_waitcnt vmcnt(11) lgkmcnt(6)
	v_mul_f32_e32 v107, v68, v7
	v_fmac_f32_e32 v106, v67, v4
	v_add_f32_e32 v3, v3, v105
	v_mul_f32_e32 v108, v70, v9
	v_fmac_f32_e32 v107, v69, v6
	v_add_f32_e32 v3, v3, v106
	s_waitcnt vmcnt(10) lgkmcnt(5)
	v_mul_f32_e32 v109, v72, v19
	v_fmac_f32_e32 v108, v71, v8
	v_add_f32_e32 v3, v3, v107
	v_mul_f32_e32 v110, v74, v21
	v_fmac_f32_e32 v109, v73, v18
	;; [unrolled: 7-line block ×3, first 2 shown]
	v_add_f32_e32 v3, v3, v110
	s_waitcnt vmcnt(8) lgkmcnt(3)
	v_mul_f32_e32 v113, v84, v35
	v_mul_f32_e32 v11, v57, v11
	v_fmac_f32_e32 v112, v79, v24
	v_add_f32_e32 v3, v3, v111
	v_mul_f32_e32 v186, v86, v37
	v_mul_f32_e32 v13, v59, v13
	v_fmac_f32_e32 v113, v85, v34
	v_fma_f32 v10, v56, v10, -v11
	v_add_f32_e32 v3, v3, v112
	s_waitcnt vmcnt(7) lgkmcnt(2)
	v_mul_f32_e32 v187, v88, v39
	v_mul_f32_e32 v31, v61, v31
	v_fmac_f32_e32 v186, v87, v36
	v_fma_f32 v11, v58, v12, -v13
	v_add_f32_e32 v10, 0, v10
	v_add_f32_e32 v3, v3, v113
	v_mul_f32_e32 v188, v90, v41
	v_mul_f32_e32 v33, v63, v33
	v_fmac_f32_e32 v187, v89, v38
	v_fma_f32 v12, v60, v30, -v31
	v_add_f32_e32 v10, v10, v11
	v_add_f32_e32 v3, v3, v186
	s_waitcnt vmcnt(6) lgkmcnt(1)
	v_mul_f32_e32 v189, v92, v51
	v_fmac_f32_e32 v188, v91, v40
	v_fma_f32 v13, v62, v32, -v33
	v_add_f32_e32 v10, v10, v12
	v_add_f32_e32 v3, v3, v187
	v_mul_f32_e32 v5, v67, v5
	v_fmac_f32_e32 v189, v93, v50
	v_add_f32_e32 v10, v10, v13
	v_add_f32_e32 v3, v3, v188
	;; [unrolled: 1-line block ×4, first 2 shown]
	v_fma_f32 v3, v66, v4, -v5
	v_add_f32_e32 v2, v2, v3
	v_mul_f32_e32 v3, v69, v7
	v_fma_f32 v3, v68, v6, -v3
	v_add_f32_e32 v2, v2, v3
	v_mul_f32_e32 v3, v71, v9
	v_fma_f32 v3, v70, v8, -v3
	v_add_f32_e32 v2, v2, v3
	v_mul_f32_e32 v3, v73, v19
	v_fma_f32 v3, v72, v18, -v3
	v_add_f32_e32 v2, v2, v3
	v_mul_f32_e32 v3, v75, v21
	v_fma_f32 v3, v74, v20, -v3
	v_add_f32_e32 v2, v2, v3
	v_mul_f32_e32 v3, v77, v23
	v_fma_f32 v3, v76, v22, -v3
	v_add_f32_e32 v2, v2, v3
	v_mul_f32_e32 v3, v79, v25
	v_fma_f32 v3, v78, v24, -v3
	v_add_f32_e32 v2, v2, v3
	v_mul_f32_e32 v3, v85, v35
	v_fma_f32 v3, v84, v34, -v3
	v_add_f32_e32 v2, v2, v3
	v_mul_f32_e32 v3, v87, v37
	v_fma_f32 v3, v86, v36, -v3
	v_add_f32_e32 v2, v2, v3
	v_mul_f32_e32 v3, v89, v39
	v_fma_f32 v3, v88, v38, -v3
	v_add_f32_e32 v2, v2, v3
	v_mul_f32_e32 v3, v91, v41
	v_fma_f32 v3, v90, v40, -v3
	v_add_f32_e32 v2, v2, v3
	v_mul_f32_e32 v3, v93, v51
	v_fma_f32 v3, v92, v50, -v3
	v_add_f32_e32 v30, v2, v3
	v_mul_f32_e32 v2, v95, v53
	v_mul_f32_e32 v101, v94, v53
	v_fma_f32 v100, v94, v52, -v2
	s_waitcnt vmcnt(5) lgkmcnt(0)
	v_mul_f32_e32 v2, v97, v47
	v_mov_b32_e32 v22, v49
	v_mul_f32_e32 v103, v96, v47
	v_fmac_f32_e32 v101, v95, v52
	v_fma_f32 v102, v96, v46, -v2
	ds_read2_b64 v[2:5], v82 offset0:65 offset1:66
	ds_read2_b64 v[6:9], v82 offset0:67 offset1:68
	;; [unrolled: 1-line block ×3, first 2 shown]
	ds_read_b64 v[18:19], v82 offset:568
	v_pk_mul_f32 v[22:23], v[98:99], v[22:23] op_sel:[1,0] op_sel_hi:[0,0]
	v_fmac_f32_e32 v103, v97, v46
	v_pk_add_f32 v[20:21], v[30:31], v[100:101]
	v_pk_fma_f32 v[24:25], v[98:99], v[48:49], v[22:23] neg_lo:[0,0,1] neg_hi:[0,0,1]
	v_pk_fma_f32 v[22:23], v[98:99], v[48:49], v[22:23] op_sel_hi:[1,0,1]
	v_pk_add_f32 v[20:21], v[20:21], v[102:103]
	v_mov_b32_e32 v25, v23
	s_waitcnt vmcnt(4) lgkmcnt(3)
	v_pk_mul_f32 v[22:23], v[2:3], v[42:43] op_sel:[1,1] op_sel_hi:[0,1]
	v_pk_add_f32 v[20:21], v[20:21], v[24:25]
	v_pk_fma_f32 v[24:25], v[2:3], v[42:43], v[22:23] neg_lo:[0,0,1] neg_hi:[0,0,1]
	v_pk_fma_f32 v[2:3], v[2:3], v[42:43], v[22:23] op_sel_hi:[1,0,1]
	s_nop 0
	v_mov_b32_e32 v25, v3
	v_pk_add_f32 v[2:3], v[20:21], v[24:25]
	v_mov_b32_e32 v20, v45
	v_pk_mul_f32 v[20:21], v[4:5], v[20:21] op_sel:[1,0] op_sel_hi:[0,0]
	v_pk_fma_f32 v[22:23], v[4:5], v[44:45], v[20:21] neg_lo:[0,0,1] neg_hi:[0,0,1]
	v_pk_fma_f32 v[4:5], v[4:5], v[44:45], v[20:21] op_sel_hi:[1,0,1]
	s_nop 0
	v_mov_b32_e32 v23, v5
	s_waitcnt vmcnt(3) lgkmcnt(2)
	v_pk_mul_f32 v[4:5], v[6:7], v[26:27] op_sel:[1,1] op_sel_hi:[0,1]
	v_pk_fma_f32 v[20:21], v[6:7], v[26:27], v[4:5] neg_lo:[0,0,1] neg_hi:[0,0,1]
	v_pk_fma_f32 v[4:5], v[6:7], v[26:27], v[4:5] op_sel_hi:[1,0,1]
	v_pk_add_f32 v[2:3], v[2:3], v[22:23]
	v_mov_b32_e32 v4, v29
	v_mov_b32_e32 v21, v5
	v_pk_mul_f32 v[4:5], v[8:9], v[4:5] op_sel:[1,0] op_sel_hi:[0,0]
	v_pk_fma_f32 v[6:7], v[8:9], v[28:29], v[4:5] neg_lo:[0,0,1] neg_hi:[0,0,1]
	v_pk_fma_f32 v[4:5], v[8:9], v[28:29], v[4:5] op_sel_hi:[1,0,1]
	v_pk_add_f32 v[2:3], v[2:3], v[20:21]
	v_mov_b32_e32 v7, v5
	s_waitcnt vmcnt(2) lgkmcnt(1)
	v_pk_mul_f32 v[4:5], v[10:11], v[14:15] op_sel:[1,1] op_sel_hi:[0,1]
	v_pk_add_f32 v[2:3], v[2:3], v[6:7]
	v_pk_fma_f32 v[6:7], v[10:11], v[14:15], v[4:5] neg_lo:[0,0,1] neg_hi:[0,0,1]
	v_pk_fma_f32 v[4:5], v[10:11], v[14:15], v[4:5] op_sel_hi:[1,0,1]
	s_nop 0
	v_mov_b32_e32 v4, v17
	v_mov_b32_e32 v7, v5
	v_pk_mul_f32 v[4:5], v[12:13], v[4:5] op_sel:[1,0] op_sel_hi:[0,0]
	v_pk_add_f32 v[2:3], v[2:3], v[6:7]
	v_pk_fma_f32 v[6:7], v[12:13], v[16:17], v[4:5] neg_lo:[0,0,1] neg_hi:[0,0,1]
	v_pk_fma_f32 v[4:5], v[12:13], v[16:17], v[4:5] op_sel_hi:[1,0,1]
	s_nop 0
	v_mov_b32_e32 v7, v5
	s_waitcnt vmcnt(1) lgkmcnt(0)
	v_pk_mul_f32 v[4:5], v[18:19], v[54:55] op_sel:[1,1] op_sel_hi:[0,1]
	v_pk_add_f32 v[2:3], v[2:3], v[6:7]
	v_pk_fma_f32 v[6:7], v[18:19], v[54:55], v[4:5] neg_lo:[0,0,1] neg_hi:[0,0,1]
	v_pk_fma_f32 v[4:5], v[18:19], v[54:55], v[4:5] op_sel_hi:[1,0,1]
	s_nop 0
	v_mov_b32_e32 v7, v5
	v_pk_add_f32 v[2:3], v[2:3], v[6:7]
	s_waitcnt vmcnt(0)
	v_pk_add_f32 v[2:3], v[80:81], v[2:3] neg_lo:[0,1] neg_hi:[0,1]
	scratch_store_dwordx2 off, v[2:3], off offset:64
	s_and_saveexec_b64 s[0:1], vcc
	s_cbranch_execz .LBB35_215
; %bb.214:
	scratch_load_dwordx2 v[2:3], off, off offset:56
	v_mov_b32_e32 v83, v82
	scratch_store_dwordx2 off, v[82:83], off offset:56
	s_waitcnt vmcnt(1)
	ds_write_b64 v1, v[2:3]
.LBB35_215:
	s_or_b64 exec, exec, s[0:1]
	s_waitcnt lgkmcnt(0)
	; wave barrier
	scratch_load_dwordx4 v[18:21], off, off offset:64
	scratch_load_dwordx4 v[34:37], off, off offset:80
	;; [unrolled: 1-line block ×10, first 2 shown]
	ds_read_b128 v[84:87], v82 offset:352
	ds_read_b128 v[88:91], v82 offset:368
	;; [unrolled: 1-line block ×10, first 2 shown]
	scratch_load_dwordx4 v[54:57], off, off offset:224
	scratch_load_dwordx4 v[46:49], off, off offset:240
	;; [unrolled: 1-line block ×4, first 2 shown]
	scratch_load_dwordx2 v[100:101], off, off offset:56
	v_cmp_lt_u32_e32 vcc, 6, v0
	s_waitcnt vmcnt(14) lgkmcnt(9)
	v_mul_f32_e32 v83, v84, v19
	v_mul_f32_e32 v102, v86, v21
	s_waitcnt vmcnt(12) lgkmcnt(7)
	v_mul_f32_e32 v107, v92, v3
	v_mul_f32_e32 v3, v93, v3
	v_fmac_f32_e32 v83, v85, v18
	v_mul_f32_e32 v104, v88, v35
	v_fmac_f32_e32 v102, v87, v20
	v_fmac_f32_e32 v107, v93, v2
	v_fma_f32 v2, v92, v2, -v3
	v_add_f32_e32 v3, 0, v83
	v_mul_f32_e32 v106, v90, v37
	v_fmac_f32_e32 v104, v89, v34
	v_add_f32_e32 v3, v3, v102
	v_fmac_f32_e32 v106, v91, v36
	v_add_f32_e32 v3, v3, v104
	v_mul_f32_e32 v108, v94, v5
	v_add_f32_e32 v3, v3, v106
	s_waitcnt vmcnt(11) lgkmcnt(6)
	v_mul_f32_e32 v109, v96, v7
	v_fmac_f32_e32 v108, v95, v4
	v_add_f32_e32 v3, v3, v107
	v_mul_f32_e32 v110, v98, v9
	v_fmac_f32_e32 v109, v97, v6
	v_add_f32_e32 v3, v3, v108
	s_waitcnt vmcnt(10) lgkmcnt(5)
	v_mul_f32_e32 v111, v78, v11
	v_fmac_f32_e32 v110, v99, v8
	v_add_f32_e32 v3, v3, v109
	v_mul_f32_e32 v112, v80, v13
	v_fmac_f32_e32 v111, v79, v10
	v_add_f32_e32 v3, v3, v110
	s_waitcnt vmcnt(9) lgkmcnt(4)
	v_mul_f32_e32 v113, v74, v23
	v_fmac_f32_e32 v112, v81, v12
	v_add_f32_e32 v3, v3, v111
	v_mul_f32_e32 v186, v76, v25
	v_fmac_f32_e32 v113, v75, v22
	v_add_f32_e32 v3, v3, v112
	s_waitcnt vmcnt(8) lgkmcnt(3)
	v_mul_f32_e32 v187, v70, v27
	v_fmac_f32_e32 v186, v77, v24
	v_add_f32_e32 v3, v3, v113
	v_mul_f32_e32 v188, v72, v29
	v_fmac_f32_e32 v187, v71, v26
	v_add_f32_e32 v3, v3, v186
	s_waitcnt vmcnt(7) lgkmcnt(2)
	v_mul_f32_e32 v189, v66, v39
	v_mul_f32_e32 v19, v85, v19
	v_fmac_f32_e32 v188, v73, v28
	v_add_f32_e32 v3, v3, v187
	v_mul_f32_e32 v190, v68, v41
	v_mul_f32_e32 v21, v87, v21
	v_fmac_f32_e32 v189, v67, v38
	v_fma_f32 v18, v84, v18, -v19
	v_add_f32_e32 v3, v3, v188
	s_waitcnt vmcnt(6) lgkmcnt(1)
	v_mul_f32_e32 v191, v62, v43
	v_mul_f32_e32 v35, v89, v35
	v_fmac_f32_e32 v190, v69, v40
	v_fma_f32 v19, v86, v20, -v21
	v_add_f32_e32 v18, 0, v18
	v_add_f32_e32 v3, v3, v189
	v_mul_f32_e32 v192, v64, v45
	v_mul_f32_e32 v37, v91, v37
	v_fmac_f32_e32 v191, v63, v42
	v_fma_f32 v20, v88, v34, -v35
	v_add_f32_e32 v18, v18, v19
	v_add_f32_e32 v3, v3, v190
	v_fmac_f32_e32 v192, v65, v44
	v_fma_f32 v21, v90, v36, -v37
	v_add_f32_e32 v18, v18, v20
	v_add_f32_e32 v3, v3, v191
	;; [unrolled: 1-line block ×4, first 2 shown]
	v_mul_f32_e32 v3, v95, v5
	v_add_f32_e32 v2, v18, v2
	v_fma_f32 v3, v94, v4, -v3
	v_add_f32_e32 v2, v2, v3
	v_mul_f32_e32 v3, v97, v7
	v_fma_f32 v3, v96, v6, -v3
	v_add_f32_e32 v2, v2, v3
	v_mul_f32_e32 v3, v99, v9
	;; [unrolled: 3-line block ×12, first 2 shown]
	v_fma_f32 v3, v64, v44, -v3
	v_add_f32_e32 v34, v2, v3
	s_waitcnt vmcnt(5) lgkmcnt(0)
	v_mul_f32_e32 v2, v59, v51
	v_fma_f32 v102, v58, v50, -v2
	v_mul_f32_e32 v2, v61, v53
	v_fma_f32 v104, v60, v52, -v2
	ds_read_b128 v[2:5], v82 offset:512
	ds_read_b128 v[6:9], v82 offset:528
	;; [unrolled: 1-line block ×4, first 2 shown]
	v_mul_f32_e32 v103, v58, v51
	v_mul_f32_e32 v105, v60, v53
	v_fmac_f32_e32 v103, v59, v50
	s_waitcnt vmcnt(4) lgkmcnt(3)
	v_pk_mul_f32 v[24:25], v[2:3], v[54:55] op_sel:[1,1] op_sel_hi:[0,1]
	v_fmac_f32_e32 v105, v61, v52
	v_pk_add_f32 v[22:23], v[34:35], v[102:103]
	v_pk_fma_f32 v[26:27], v[2:3], v[54:55], v[24:25] neg_lo:[0,0,1] neg_hi:[0,0,1]
	v_pk_fma_f32 v[2:3], v[2:3], v[54:55], v[24:25] op_sel_hi:[1,0,1]
	v_pk_add_f32 v[22:23], v[22:23], v[104:105]
	v_mov_b32_e32 v27, v3
	v_pk_add_f32 v[2:3], v[22:23], v[26:27]
	v_mov_b32_e32 v22, v57
	v_pk_mul_f32 v[22:23], v[4:5], v[22:23] op_sel:[1,0] op_sel_hi:[0,0]
	v_pk_fma_f32 v[24:25], v[4:5], v[56:57], v[22:23] neg_lo:[0,0,1] neg_hi:[0,0,1]
	v_pk_fma_f32 v[4:5], v[4:5], v[56:57], v[22:23] op_sel_hi:[1,0,1]
	s_nop 0
	v_mov_b32_e32 v25, v5
	s_waitcnt vmcnt(3) lgkmcnt(2)
	v_pk_mul_f32 v[4:5], v[6:7], v[46:47] op_sel:[1,1] op_sel_hi:[0,1]
	v_pk_fma_f32 v[22:23], v[6:7], v[46:47], v[4:5] neg_lo:[0,0,1] neg_hi:[0,0,1]
	v_pk_fma_f32 v[4:5], v[6:7], v[46:47], v[4:5] op_sel_hi:[1,0,1]
	v_pk_add_f32 v[2:3], v[2:3], v[24:25]
	v_mov_b32_e32 v4, v49
	v_mov_b32_e32 v23, v5
	v_pk_mul_f32 v[4:5], v[8:9], v[4:5] op_sel:[1,0] op_sel_hi:[0,0]
	v_pk_fma_f32 v[6:7], v[8:9], v[48:49], v[4:5] neg_lo:[0,0,1] neg_hi:[0,0,1]
	v_pk_fma_f32 v[4:5], v[8:9], v[48:49], v[4:5] op_sel_hi:[1,0,1]
	v_pk_add_f32 v[2:3], v[2:3], v[22:23]
	v_mov_b32_e32 v7, v5
	s_waitcnt vmcnt(2) lgkmcnt(1)
	v_pk_mul_f32 v[4:5], v[10:11], v[30:31] op_sel:[1,1] op_sel_hi:[0,1]
	v_pk_add_f32 v[2:3], v[2:3], v[6:7]
	v_pk_fma_f32 v[6:7], v[10:11], v[30:31], v[4:5] neg_lo:[0,0,1] neg_hi:[0,0,1]
	v_pk_fma_f32 v[4:5], v[10:11], v[30:31], v[4:5] op_sel_hi:[1,0,1]
	s_nop 0
	v_mov_b32_e32 v4, v33
	v_mov_b32_e32 v7, v5
	v_pk_mul_f32 v[4:5], v[12:13], v[4:5] op_sel:[1,0] op_sel_hi:[0,0]
	v_pk_add_f32 v[2:3], v[2:3], v[6:7]
	v_pk_fma_f32 v[6:7], v[12:13], v[32:33], v[4:5] neg_lo:[0,0,1] neg_hi:[0,0,1]
	v_pk_fma_f32 v[4:5], v[12:13], v[32:33], v[4:5] op_sel_hi:[1,0,1]
	s_nop 0
	v_mov_b32_e32 v7, v5
	s_waitcnt vmcnt(1) lgkmcnt(0)
	v_pk_mul_f32 v[4:5], v[18:19], v[14:15] op_sel:[1,1] op_sel_hi:[0,1]
	v_pk_add_f32 v[2:3], v[2:3], v[6:7]
	v_pk_fma_f32 v[6:7], v[18:19], v[14:15], v[4:5] neg_lo:[0,0,1] neg_hi:[0,0,1]
	v_pk_fma_f32 v[4:5], v[18:19], v[14:15], v[4:5] op_sel_hi:[1,0,1]
	s_nop 0
	v_mov_b32_e32 v4, v17
	v_mov_b32_e32 v7, v5
	v_pk_mul_f32 v[4:5], v[20:21], v[4:5] op_sel:[1,0] op_sel_hi:[0,0]
	v_pk_add_f32 v[2:3], v[2:3], v[6:7]
	v_pk_fma_f32 v[6:7], v[20:21], v[16:17], v[4:5] neg_lo:[0,0,1] neg_hi:[0,0,1]
	v_pk_fma_f32 v[4:5], v[20:21], v[16:17], v[4:5] op_sel_hi:[1,0,1]
	s_nop 0
	v_mov_b32_e32 v7, v5
	v_pk_add_f32 v[2:3], v[2:3], v[6:7]
	s_waitcnt vmcnt(0)
	v_pk_add_f32 v[2:3], v[100:101], v[2:3] neg_lo:[0,1] neg_hi:[0,1]
	scratch_store_dwordx2 off, v[2:3], off offset:56
	s_and_saveexec_b64 s[0:1], vcc
	s_cbranch_execz .LBB35_217
; %bb.216:
	scratch_load_dwordx2 v[2:3], off, off offset:48
	v_mov_b32_e32 v4, 0
	v_mov_b32_e32 v5, v4
	scratch_store_dwordx2 off, v[4:5], off offset:48
	s_waitcnt vmcnt(1)
	ds_write_b64 v1, v[2:3]
.LBB35_217:
	s_or_b64 exec, exec, s[0:1]
	s_waitcnt lgkmcnt(0)
	; wave barrier
	scratch_load_dwordx4 v[18:21], off, off offset:56
	scratch_load_dwordx4 v[2:5], off, off offset:72
	;; [unrolled: 1-line block ×14, first 2 shown]
	scratch_load_dwordx2 v[58:59], off, off offset:280
	scratch_load_dwordx2 v[100:101], off, off offset:48
	v_mov_b32_e32 v102, 0
	ds_read2_b64 v[60:63], v102 offset0:43 offset1:44
	ds_read2_b64 v[64:67], v102 offset0:45 offset1:46
	;; [unrolled: 1-line block ×12, first 2 shown]
	v_cmp_lt_u32_e32 vcc, 5, v0
	s_waitcnt vmcnt(15) lgkmcnt(11)
	v_mul_f32_e32 v103, v60, v19
	v_mul_f32_e32 v112, v62, v21
	s_waitcnt vmcnt(14) lgkmcnt(10)
	v_mul_f32_e32 v186, v64, v3
	v_mul_f32_e32 v3, v65, v3
	v_fmac_f32_e32 v103, v61, v18
	v_fmac_f32_e32 v112, v63, v20
	;; [unrolled: 1-line block ×3, first 2 shown]
	v_fma_f32 v2, v64, v2, -v3
	v_add_f32_e32 v3, 0, v103
	v_mul_f32_e32 v188, v66, v5
	v_add_f32_e32 v3, v3, v112
	s_waitcnt vmcnt(13) lgkmcnt(9)
	v_mul_f32_e32 v189, v68, v7
	v_fmac_f32_e32 v188, v67, v4
	v_add_f32_e32 v3, v3, v186
	v_mul_f32_e32 v190, v70, v9
	v_fmac_f32_e32 v189, v69, v6
	v_add_f32_e32 v3, v3, v188
	s_waitcnt vmcnt(12) lgkmcnt(8)
	v_mul_f32_e32 v191, v72, v11
	v_fmac_f32_e32 v190, v71, v8
	v_add_f32_e32 v3, v3, v189
	v_mul_f32_e32 v192, v74, v13
	v_fmac_f32_e32 v191, v73, v10
	;; [unrolled: 7-line block ×6, first 2 shown]
	v_add_f32_e32 v3, v3, v198
	s_waitcnt vmcnt(7) lgkmcnt(3)
	v_mul_f32_e32 v201, v92, v43
	v_fmac_f32_e32 v200, v91, v40
	v_add_f32_e32 v3, v3, v199
	v_mul_f32_e32 v202, v94, v45
	v_mul_f32_e32 v19, v61, v19
	v_fmac_f32_e32 v201, v93, v42
	v_add_f32_e32 v3, v3, v200
	s_waitcnt vmcnt(6) lgkmcnt(2)
	v_mul_f32_e32 v203, v96, v51
	v_mul_f32_e32 v21, v63, v21
	v_fmac_f32_e32 v202, v95, v44
	v_fma_f32 v18, v60, v18, -v19
	v_add_f32_e32 v3, v3, v201
	v_fmac_f32_e32 v203, v97, v50
	v_fma_f32 v19, v62, v20, -v21
	v_add_f32_e32 v18, 0, v18
	v_add_f32_e32 v3, v3, v202
	;; [unrolled: 1-line block ×4, first 2 shown]
	v_mul_f32_e32 v3, v67, v5
	v_add_f32_e32 v2, v18, v2
	v_fma_f32 v3, v66, v4, -v3
	v_add_f32_e32 v2, v2, v3
	v_mul_f32_e32 v3, v69, v7
	v_fma_f32 v3, v68, v6, -v3
	v_add_f32_e32 v2, v2, v3
	v_mul_f32_e32 v3, v71, v9
	;; [unrolled: 3-line block ×15, first 2 shown]
	v_fma_f32 v3, v96, v50, -v3
	v_mul_f32_e32 v113, v98, v53
	v_add_f32_e32 v18, v2, v3
	v_mul_f32_e32 v2, v99, v53
	s_waitcnt vmcnt(5)
	v_mov_b32_e32 v14, v57
	s_waitcnt lgkmcnt(1)
	v_mul_f32_e32 v187, v104, v55
	v_fmac_f32_e32 v113, v99, v52
	v_fma_f32 v112, v98, v52, -v2
	v_mul_f32_e32 v2, v105, v55
	v_pk_mul_f32 v[14:15], v[106:107], v[14:15] op_sel:[1,0] op_sel_hi:[0,0]
	v_fmac_f32_e32 v187, v105, v54
	v_fma_f32 v186, v104, v54, -v2
	v_pk_add_f32 v[12:13], v[18:19], v[112:113]
	v_pk_fma_f32 v[16:17], v[106:107], v[56:57], v[14:15] neg_lo:[0,0,1] neg_hi:[0,0,1]
	v_pk_fma_f32 v[14:15], v[106:107], v[56:57], v[14:15] op_sel_hi:[1,0,1]
	v_pk_add_f32 v[12:13], v[12:13], v[186:187]
	v_mov_b32_e32 v17, v15
	s_waitcnt vmcnt(4) lgkmcnt(0)
	v_pk_mul_f32 v[14:15], v[108:109], v[46:47] op_sel:[1,1] op_sel_hi:[0,1]
	v_pk_add_f32 v[12:13], v[12:13], v[16:17]
	v_pk_fma_f32 v[16:17], v[108:109], v[46:47], v[14:15] neg_lo:[0,0,1] neg_hi:[0,0,1]
	v_pk_fma_f32 v[14:15], v[108:109], v[46:47], v[14:15] op_sel_hi:[1,0,1]
	ds_read2_b64 v[2:5], v102 offset0:67 offset1:68
	ds_read2_b64 v[6:9], v102 offset0:69 offset1:70
	ds_read_b64 v[10:11], v102 offset:568
	v_mov_b32_e32 v14, v49
	v_mov_b32_e32 v17, v15
	v_pk_mul_f32 v[14:15], v[110:111], v[14:15] op_sel:[1,0] op_sel_hi:[0,0]
	v_pk_add_f32 v[12:13], v[12:13], v[16:17]
	v_pk_fma_f32 v[16:17], v[110:111], v[48:49], v[14:15] neg_lo:[0,0,1] neg_hi:[0,0,1]
	v_pk_fma_f32 v[14:15], v[110:111], v[48:49], v[14:15] op_sel_hi:[1,0,1]
	s_nop 0
	v_mov_b32_e32 v17, v15
	s_waitcnt vmcnt(3) lgkmcnt(2)
	v_pk_mul_f32 v[14:15], v[2:3], v[34:35] op_sel:[1,1] op_sel_hi:[0,1]
	v_pk_add_f32 v[12:13], v[12:13], v[16:17]
	v_pk_fma_f32 v[16:17], v[2:3], v[34:35], v[14:15] neg_lo:[0,0,1] neg_hi:[0,0,1]
	v_pk_fma_f32 v[2:3], v[2:3], v[34:35], v[14:15] op_sel_hi:[1,0,1]
	s_nop 0
	v_mov_b32_e32 v17, v3
	v_pk_add_f32 v[2:3], v[12:13], v[16:17]
	v_mov_b32_e32 v12, v37
	v_pk_mul_f32 v[12:13], v[4:5], v[12:13] op_sel:[1,0] op_sel_hi:[0,0]
	v_pk_fma_f32 v[14:15], v[4:5], v[36:37], v[12:13] neg_lo:[0,0,1] neg_hi:[0,0,1]
	v_pk_fma_f32 v[4:5], v[4:5], v[36:37], v[12:13] op_sel_hi:[1,0,1]
	s_nop 0
	v_mov_b32_e32 v15, v5
	s_waitcnt vmcnt(2) lgkmcnt(1)
	v_pk_mul_f32 v[4:5], v[6:7], v[22:23] op_sel:[1,1] op_sel_hi:[0,1]
	v_pk_fma_f32 v[12:13], v[6:7], v[22:23], v[4:5] neg_lo:[0,0,1] neg_hi:[0,0,1]
	v_pk_fma_f32 v[4:5], v[6:7], v[22:23], v[4:5] op_sel_hi:[1,0,1]
	v_pk_add_f32 v[2:3], v[2:3], v[14:15]
	v_mov_b32_e32 v4, v25
	v_mov_b32_e32 v13, v5
	v_pk_mul_f32 v[4:5], v[8:9], v[4:5] op_sel:[1,0] op_sel_hi:[0,0]
	v_pk_fma_f32 v[6:7], v[8:9], v[24:25], v[4:5] neg_lo:[0,0,1] neg_hi:[0,0,1]
	v_pk_fma_f32 v[4:5], v[8:9], v[24:25], v[4:5] op_sel_hi:[1,0,1]
	v_pk_add_f32 v[2:3], v[2:3], v[12:13]
	v_mov_b32_e32 v7, v5
	s_waitcnt vmcnt(1) lgkmcnt(0)
	v_pk_mul_f32 v[4:5], v[10:11], v[58:59] op_sel:[1,1] op_sel_hi:[0,1]
	v_pk_add_f32 v[2:3], v[2:3], v[6:7]
	v_pk_fma_f32 v[6:7], v[10:11], v[58:59], v[4:5] neg_lo:[0,0,1] neg_hi:[0,0,1]
	v_pk_fma_f32 v[4:5], v[10:11], v[58:59], v[4:5] op_sel_hi:[1,0,1]
	s_nop 0
	v_mov_b32_e32 v7, v5
	v_pk_add_f32 v[2:3], v[2:3], v[6:7]
	s_waitcnt vmcnt(0)
	v_pk_add_f32 v[2:3], v[100:101], v[2:3] neg_lo:[0,1] neg_hi:[0,1]
	scratch_store_dwordx2 off, v[2:3], off offset:48
	s_and_saveexec_b64 s[0:1], vcc
	s_cbranch_execz .LBB35_219
; %bb.218:
	scratch_load_dwordx2 v[2:3], off, off offset:40
	v_mov_b32_e32 v103, v102
	scratch_store_dwordx2 off, v[102:103], off offset:40
	s_waitcnt vmcnt(1)
	ds_write_b64 v1, v[2:3]
.LBB35_219:
	s_or_b64 exec, exec, s[0:1]
	s_waitcnt lgkmcnt(0)
	; wave barrier
	scratch_load_dwordx4 v[22:25], off, off offset:48
	scratch_load_dwordx4 v[2:5], off, off offset:64
	;; [unrolled: 1-line block ×11, first 2 shown]
	ds_read_b128 v[104:107], v102 offset:336
	ds_read_b128 v[98:101], v102 offset:352
	;; [unrolled: 1-line block ×10, first 2 shown]
	scratch_load_dwordx4 v[58:61], off, off offset:224
	scratch_load_dwordx4 v[50:53], off, off offset:240
	;; [unrolled: 1-line block ×4, first 2 shown]
	ds_read_b128 v[78:81], v102 offset:496
	ds_read_b128 v[108:111], v102 offset:512
	scratch_load_dwordx2 v[112:113], off, off offset:40
	v_cmp_lt_u32_e32 vcc, 4, v0
	s_waitcnt vmcnt(15) lgkmcnt(11)
	v_mul_f32_e32 v103, v104, v23
	v_mul_f32_e32 v186, v106, v25
	s_waitcnt vmcnt(14) lgkmcnt(10)
	v_mul_f32_e32 v188, v98, v3
	v_mul_f32_e32 v3, v99, v3
	v_fmac_f32_e32 v103, v105, v22
	v_fmac_f32_e32 v186, v107, v24
	;; [unrolled: 1-line block ×3, first 2 shown]
	v_fma_f32 v2, v98, v2, -v3
	v_add_f32_e32 v3, 0, v103
	v_mul_f32_e32 v190, v100, v5
	v_add_f32_e32 v3, v3, v186
	s_waitcnt vmcnt(13) lgkmcnt(9)
	v_mul_f32_e32 v191, v94, v7
	v_fmac_f32_e32 v190, v101, v4
	v_add_f32_e32 v3, v3, v188
	v_mul_f32_e32 v192, v96, v9
	v_fmac_f32_e32 v191, v95, v6
	v_add_f32_e32 v3, v3, v190
	s_waitcnt vmcnt(12) lgkmcnt(8)
	v_mul_f32_e32 v193, v90, v11
	v_fmac_f32_e32 v192, v97, v8
	v_add_f32_e32 v3, v3, v191
	v_mul_f32_e32 v194, v92, v13
	v_fmac_f32_e32 v193, v91, v10
	;; [unrolled: 7-line block ×7, first 2 shown]
	v_add_f32_e32 v3, v3, v202
	s_waitcnt vmcnt(6) lgkmcnt(2)
	v_mul_f32_e32 v205, v62, v47
	v_mul_f32_e32 v23, v105, v23
	v_fmac_f32_e32 v204, v69, v44
	v_add_f32_e32 v3, v3, v203
	v_mul_f32_e32 v206, v64, v49
	v_mul_f32_e32 v25, v107, v25
	v_fmac_f32_e32 v205, v63, v46
	v_fma_f32 v22, v104, v22, -v23
	v_add_f32_e32 v3, v3, v204
	v_fmac_f32_e32 v206, v65, v48
	v_fma_f32 v23, v106, v24, -v25
	v_add_f32_e32 v22, 0, v22
	v_add_f32_e32 v3, v3, v205
	;; [unrolled: 1-line block ×4, first 2 shown]
	v_mul_f32_e32 v3, v101, v5
	v_add_f32_e32 v2, v22, v2
	v_fma_f32 v3, v100, v4, -v3
	v_add_f32_e32 v2, v2, v3
	v_mul_f32_e32 v3, v95, v7
	v_fma_f32 v3, v94, v6, -v3
	v_add_f32_e32 v2, v2, v3
	v_mul_f32_e32 v3, v97, v9
	;; [unrolled: 3-line block ×16, first 2 shown]
	v_fma_f32 v3, v64, v48, -v3
	s_waitcnt vmcnt(5) lgkmcnt(1)
	v_mul_f32_e32 v187, v78, v55
	v_add_f32_e32 v22, v2, v3
	v_mul_f32_e32 v2, v79, v55
	s_waitcnt vmcnt(4) lgkmcnt(0)
	v_pk_mul_f32 v[16:17], v[108:109], v[58:59] op_sel:[1,1] op_sel_hi:[0,1]
	v_mul_f32_e32 v189, v80, v57
	v_fmac_f32_e32 v187, v79, v54
	v_fma_f32 v186, v78, v54, -v2
	v_mul_f32_e32 v2, v81, v57
	v_pk_fma_f32 v[18:19], v[108:109], v[58:59], v[16:17] neg_lo:[0,0,1] neg_hi:[0,0,1]
	v_pk_fma_f32 v[16:17], v[108:109], v[58:59], v[16:17] op_sel_hi:[1,0,1]
	v_fmac_f32_e32 v189, v81, v56
	v_fma_f32 v188, v80, v56, -v2
	ds_read_b128 v[2:5], v102 offset:528
	ds_read_b128 v[6:9], v102 offset:544
	;; [unrolled: 1-line block ×3, first 2 shown]
	v_pk_add_f32 v[14:15], v[22:23], v[186:187]
	v_mov_b32_e32 v16, v61
	v_pk_add_f32 v[14:15], v[14:15], v[188:189]
	v_mov_b32_e32 v19, v17
	v_pk_mul_f32 v[16:17], v[110:111], v[16:17] op_sel:[1,0] op_sel_hi:[0,0]
	v_pk_add_f32 v[14:15], v[14:15], v[18:19]
	v_pk_fma_f32 v[18:19], v[110:111], v[60:61], v[16:17] neg_lo:[0,0,1] neg_hi:[0,0,1]
	v_pk_fma_f32 v[16:17], v[110:111], v[60:61], v[16:17] op_sel_hi:[1,0,1]
	s_nop 0
	v_mov_b32_e32 v19, v17
	s_waitcnt vmcnt(3) lgkmcnt(2)
	v_pk_mul_f32 v[16:17], v[2:3], v[50:51] op_sel:[1,1] op_sel_hi:[0,1]
	v_pk_add_f32 v[14:15], v[14:15], v[18:19]
	v_pk_fma_f32 v[18:19], v[2:3], v[50:51], v[16:17] neg_lo:[0,0,1] neg_hi:[0,0,1]
	v_pk_fma_f32 v[2:3], v[2:3], v[50:51], v[16:17] op_sel_hi:[1,0,1]
	s_nop 0
	v_mov_b32_e32 v19, v3
	v_pk_add_f32 v[2:3], v[14:15], v[18:19]
	v_mov_b32_e32 v14, v53
	v_pk_mul_f32 v[14:15], v[4:5], v[14:15] op_sel:[1,0] op_sel_hi:[0,0]
	v_pk_fma_f32 v[16:17], v[4:5], v[52:53], v[14:15] neg_lo:[0,0,1] neg_hi:[0,0,1]
	v_pk_fma_f32 v[4:5], v[4:5], v[52:53], v[14:15] op_sel_hi:[1,0,1]
	s_nop 0
	v_mov_b32_e32 v17, v5
	s_waitcnt vmcnt(2) lgkmcnt(1)
	v_pk_mul_f32 v[4:5], v[6:7], v[38:39] op_sel:[1,1] op_sel_hi:[0,1]
	v_pk_fma_f32 v[14:15], v[6:7], v[38:39], v[4:5] neg_lo:[0,0,1] neg_hi:[0,0,1]
	v_pk_fma_f32 v[4:5], v[6:7], v[38:39], v[4:5] op_sel_hi:[1,0,1]
	v_pk_add_f32 v[2:3], v[2:3], v[16:17]
	v_mov_b32_e32 v4, v41
	v_mov_b32_e32 v15, v5
	v_pk_mul_f32 v[4:5], v[8:9], v[4:5] op_sel:[1,0] op_sel_hi:[0,0]
	v_pk_fma_f32 v[6:7], v[8:9], v[40:41], v[4:5] neg_lo:[0,0,1] neg_hi:[0,0,1]
	v_pk_fma_f32 v[4:5], v[8:9], v[40:41], v[4:5] op_sel_hi:[1,0,1]
	v_pk_add_f32 v[2:3], v[2:3], v[14:15]
	v_mov_b32_e32 v7, v5
	s_waitcnt vmcnt(1) lgkmcnt(0)
	v_pk_mul_f32 v[4:5], v[10:11], v[26:27] op_sel:[1,1] op_sel_hi:[0,1]
	v_pk_add_f32 v[2:3], v[2:3], v[6:7]
	v_pk_fma_f32 v[6:7], v[10:11], v[26:27], v[4:5] neg_lo:[0,0,1] neg_hi:[0,0,1]
	v_pk_fma_f32 v[4:5], v[10:11], v[26:27], v[4:5] op_sel_hi:[1,0,1]
	s_nop 0
	v_mov_b32_e32 v4, v29
	v_mov_b32_e32 v7, v5
	v_pk_mul_f32 v[4:5], v[12:13], v[4:5] op_sel:[1,0] op_sel_hi:[0,0]
	v_pk_add_f32 v[2:3], v[2:3], v[6:7]
	v_pk_fma_f32 v[6:7], v[12:13], v[28:29], v[4:5] neg_lo:[0,0,1] neg_hi:[0,0,1]
	v_pk_fma_f32 v[4:5], v[12:13], v[28:29], v[4:5] op_sel_hi:[1,0,1]
	s_nop 0
	v_mov_b32_e32 v7, v5
	v_pk_add_f32 v[2:3], v[2:3], v[6:7]
	s_waitcnt vmcnt(0)
	v_pk_add_f32 v[2:3], v[112:113], v[2:3] neg_lo:[0,1] neg_hi:[0,1]
	scratch_store_dwordx2 off, v[2:3], off offset:40
	s_and_saveexec_b64 s[0:1], vcc
	s_cbranch_execz .LBB35_221
; %bb.220:
	scratch_load_dwordx2 v[2:3], off, off offset:32
	v_mov_b32_e32 v4, 0
	v_mov_b32_e32 v5, v4
	scratch_store_dwordx2 off, v[4:5], off offset:32
	s_waitcnt vmcnt(1)
	ds_write_b64 v1, v[2:3]
.LBB35_221:
	s_or_b64 exec, exec, s[0:1]
	s_waitcnt lgkmcnt(0)
	; wave barrier
	scratch_load_dwordx4 v[2:5], off, off offset:40
	scratch_load_dwordx4 v[6:9], off, off offset:56
	;; [unrolled: 1-line block ×15, first 2 shown]
	scratch_load_dwordx2 v[62:63], off, off offset:280
	scratch_load_dwordx2 v[112:113], off, off offset:32
	v_mov_b32_e32 v186, 0
	ds_read2_b64 v[64:67], v186 offset0:41 offset1:42
	ds_read2_b64 v[68:71], v186 offset0:43 offset1:44
	;; [unrolled: 1-line block ×12, first 2 shown]
	v_cmp_lt_u32_e32 vcc, 3, v0
	s_waitcnt vmcnt(16) lgkmcnt(11)
	v_mul_f32_e32 v187, v64, v3
	v_mul_f32_e32 v188, v66, v5
	;; [unrolled: 1-line block ×3, first 2 shown]
	v_fmac_f32_e32 v187, v65, v2
	s_waitcnt vmcnt(15) lgkmcnt(10)
	v_mul_f32_e32 v190, v68, v7
	v_fmac_f32_e32 v188, v67, v4
	v_fma_f32 v2, v64, v2, -v3
	v_add_f32_e32 v3, 0, v187
	v_mul_f32_e32 v192, v70, v9
	v_fmac_f32_e32 v190, v69, v6
	v_add_f32_e32 v3, v3, v188
	s_waitcnt vmcnt(14) lgkmcnt(9)
	v_mul_f32_e32 v193, v72, v11
	v_fmac_f32_e32 v192, v71, v8
	v_add_f32_e32 v3, v3, v190
	v_mul_f32_e32 v194, v74, v13
	v_fmac_f32_e32 v193, v73, v10
	v_add_f32_e32 v3, v3, v192
	s_waitcnt vmcnt(13) lgkmcnt(8)
	v_mul_f32_e32 v195, v76, v15
	v_fmac_f32_e32 v194, v75, v12
	;; [unrolled: 7-line block ×9, first 2 shown]
	v_add_f32_e32 v3, v3, v207
	v_mul_f32_e32 v5, v67, v5
	v_fmac_f32_e32 v209, v105, v58
	v_add_f32_e32 v3, v3, v208
	v_add_f32_e32 v2, 0, v2
	;; [unrolled: 1-line block ×3, first 2 shown]
	v_fma_f32 v3, v66, v4, -v5
	v_add_f32_e32 v2, v2, v3
	v_mul_f32_e32 v3, v69, v7
	v_fma_f32 v3, v68, v6, -v3
	v_add_f32_e32 v2, v2, v3
	v_mul_f32_e32 v3, v71, v9
	;; [unrolled: 3-line block ×20, first 2 shown]
	v_mul_f32_e32 v189, v106, v61
	v_fma_f32 v188, v106, v60, -v2
	s_waitcnt vmcnt(5) lgkmcnt(0)
	v_mul_f32_e32 v2, v109, v55
	v_mov_b32_e32 v18, v57
	v_mul_f32_e32 v191, v108, v55
	v_fmac_f32_e32 v189, v107, v60
	v_fma_f32 v190, v108, v54, -v2
	ds_read2_b64 v[2:5], v186 offset0:65 offset1:66
	ds_read2_b64 v[6:9], v186 offset0:67 offset1:68
	;; [unrolled: 1-line block ×3, first 2 shown]
	ds_read_b64 v[14:15], v186 offset:568
	v_pk_mul_f32 v[18:19], v[110:111], v[18:19] op_sel:[1,0] op_sel_hi:[0,0]
	v_fmac_f32_e32 v191, v109, v54
	v_pk_add_f32 v[16:17], v[64:65], v[188:189]
	v_pk_fma_f32 v[20:21], v[110:111], v[56:57], v[18:19] neg_lo:[0,0,1] neg_hi:[0,0,1]
	v_pk_fma_f32 v[18:19], v[110:111], v[56:57], v[18:19] op_sel_hi:[1,0,1]
	v_pk_add_f32 v[16:17], v[16:17], v[190:191]
	v_mov_b32_e32 v21, v19
	s_waitcnt vmcnt(4) lgkmcnt(3)
	v_pk_mul_f32 v[18:19], v[2:3], v[50:51] op_sel:[1,1] op_sel_hi:[0,1]
	v_pk_add_f32 v[16:17], v[16:17], v[20:21]
	v_pk_fma_f32 v[20:21], v[2:3], v[50:51], v[18:19] neg_lo:[0,0,1] neg_hi:[0,0,1]
	v_pk_fma_f32 v[2:3], v[2:3], v[50:51], v[18:19] op_sel_hi:[1,0,1]
	s_nop 0
	v_mov_b32_e32 v21, v3
	v_pk_add_f32 v[2:3], v[16:17], v[20:21]
	v_mov_b32_e32 v16, v53
	v_pk_mul_f32 v[16:17], v[4:5], v[16:17] op_sel:[1,0] op_sel_hi:[0,0]
	v_pk_fma_f32 v[18:19], v[4:5], v[52:53], v[16:17] neg_lo:[0,0,1] neg_hi:[0,0,1]
	v_pk_fma_f32 v[4:5], v[4:5], v[52:53], v[16:17] op_sel_hi:[1,0,1]
	s_nop 0
	v_mov_b32_e32 v19, v5
	s_waitcnt vmcnt(3) lgkmcnt(2)
	v_pk_mul_f32 v[4:5], v[6:7], v[38:39] op_sel:[1,1] op_sel_hi:[0,1]
	v_pk_fma_f32 v[16:17], v[6:7], v[38:39], v[4:5] neg_lo:[0,0,1] neg_hi:[0,0,1]
	v_pk_fma_f32 v[4:5], v[6:7], v[38:39], v[4:5] op_sel_hi:[1,0,1]
	v_pk_add_f32 v[2:3], v[2:3], v[18:19]
	v_mov_b32_e32 v4, v41
	v_mov_b32_e32 v17, v5
	v_pk_mul_f32 v[4:5], v[8:9], v[4:5] op_sel:[1,0] op_sel_hi:[0,0]
	v_pk_fma_f32 v[6:7], v[8:9], v[40:41], v[4:5] neg_lo:[0,0,1] neg_hi:[0,0,1]
	v_pk_fma_f32 v[4:5], v[8:9], v[40:41], v[4:5] op_sel_hi:[1,0,1]
	v_pk_add_f32 v[2:3], v[2:3], v[16:17]
	v_mov_b32_e32 v7, v5
	s_waitcnt vmcnt(2) lgkmcnt(1)
	v_pk_mul_f32 v[4:5], v[10:11], v[26:27] op_sel:[1,1] op_sel_hi:[0,1]
	v_pk_add_f32 v[2:3], v[2:3], v[6:7]
	v_pk_fma_f32 v[6:7], v[10:11], v[26:27], v[4:5] neg_lo:[0,0,1] neg_hi:[0,0,1]
	v_pk_fma_f32 v[4:5], v[10:11], v[26:27], v[4:5] op_sel_hi:[1,0,1]
	s_nop 0
	v_mov_b32_e32 v4, v29
	v_mov_b32_e32 v7, v5
	v_pk_mul_f32 v[4:5], v[12:13], v[4:5] op_sel:[1,0] op_sel_hi:[0,0]
	v_pk_add_f32 v[2:3], v[2:3], v[6:7]
	v_pk_fma_f32 v[6:7], v[12:13], v[28:29], v[4:5] neg_lo:[0,0,1] neg_hi:[0,0,1]
	v_pk_fma_f32 v[4:5], v[12:13], v[28:29], v[4:5] op_sel_hi:[1,0,1]
	s_nop 0
	v_mov_b32_e32 v7, v5
	s_waitcnt vmcnt(1) lgkmcnt(0)
	v_pk_mul_f32 v[4:5], v[14:15], v[62:63] op_sel:[1,1] op_sel_hi:[0,1]
	v_pk_add_f32 v[2:3], v[2:3], v[6:7]
	v_pk_fma_f32 v[6:7], v[14:15], v[62:63], v[4:5] neg_lo:[0,0,1] neg_hi:[0,0,1]
	v_pk_fma_f32 v[4:5], v[14:15], v[62:63], v[4:5] op_sel_hi:[1,0,1]
	s_nop 0
	v_mov_b32_e32 v7, v5
	v_pk_add_f32 v[2:3], v[2:3], v[6:7]
	s_waitcnt vmcnt(0)
	v_pk_add_f32 v[2:3], v[112:113], v[2:3] neg_lo:[0,1] neg_hi:[0,1]
	scratch_store_dwordx2 off, v[2:3], off offset:32
	s_and_saveexec_b64 s[0:1], vcc
	s_cbranch_execz .LBB35_223
; %bb.222:
	scratch_load_dwordx2 v[2:3], off, off offset:24
	v_mov_b32_e32 v187, v186
	scratch_store_dwordx2 off, v[186:187], off offset:24
	s_waitcnt vmcnt(1)
	ds_write_b64 v1, v[2:3]
.LBB35_223:
	s_or_b64 exec, exec, s[0:1]
	s_waitcnt lgkmcnt(0)
	; wave barrier
	scratch_load_dwordx4 v[2:5], off, off offset:32
	scratch_load_dwordx4 v[6:9], off, off offset:48
	;; [unrolled: 1-line block ×12, first 2 shown]
	ds_read_b128 v[110:113], v186 offset:320
	ds_read_b128 v[106:109], v186 offset:336
	;; [unrolled: 1-line block ×12, first 2 shown]
	scratch_load_dwordx4 v[62:65], off, off offset:224
	scratch_load_dwordx4 v[54:57], off, off offset:240
	;; [unrolled: 1-line block ×4, first 2 shown]
	scratch_load_dwordx2 v[188:189], off, off offset:24
	v_cmp_lt_u32_e32 vcc, 2, v0
	s_waitcnt vmcnt(16) lgkmcnt(11)
	v_mul_f32_e32 v187, v110, v3
	v_mul_f32_e32 v190, v112, v5
	;; [unrolled: 1-line block ×3, first 2 shown]
	v_fmac_f32_e32 v187, v111, v2
	s_waitcnt vmcnt(15) lgkmcnt(10)
	v_mul_f32_e32 v192, v106, v7
	v_fmac_f32_e32 v190, v113, v4
	v_fma_f32 v2, v110, v2, -v3
	v_add_f32_e32 v3, 0, v187
	v_mul_f32_e32 v194, v108, v9
	v_fmac_f32_e32 v192, v107, v6
	v_add_f32_e32 v3, v3, v190
	s_waitcnt vmcnt(14) lgkmcnt(9)
	v_mul_f32_e32 v195, v102, v11
	v_fmac_f32_e32 v194, v109, v8
	v_add_f32_e32 v3, v3, v192
	v_mul_f32_e32 v196, v104, v13
	v_fmac_f32_e32 v195, v103, v10
	v_add_f32_e32 v3, v3, v194
	s_waitcnt vmcnt(13) lgkmcnt(8)
	v_mul_f32_e32 v197, v98, v15
	v_fmac_f32_e32 v196, v105, v12
	v_add_f32_e32 v3, v3, v195
	v_mul_f32_e32 v198, v100, v17
	v_fmac_f32_e32 v197, v99, v14
	v_add_f32_e32 v3, v3, v196
	s_waitcnt vmcnt(12) lgkmcnt(7)
	v_mul_f32_e32 v199, v94, v19
	v_fmac_f32_e32 v198, v101, v16
	v_add_f32_e32 v3, v3, v197
	v_mul_f32_e32 v200, v96, v21
	v_fmac_f32_e32 v199, v95, v18
	v_add_f32_e32 v3, v3, v198
	s_waitcnt vmcnt(11) lgkmcnt(6)
	v_mul_f32_e32 v201, v90, v23
	v_fmac_f32_e32 v200, v97, v20
	v_add_f32_e32 v3, v3, v199
	v_mul_f32_e32 v202, v92, v25
	v_fmac_f32_e32 v201, v91, v22
	v_add_f32_e32 v3, v3, v200
	s_waitcnt vmcnt(10) lgkmcnt(5)
	v_mul_f32_e32 v203, v86, v27
	v_fmac_f32_e32 v202, v93, v24
	v_add_f32_e32 v3, v3, v201
	v_mul_f32_e32 v204, v88, v29
	v_fmac_f32_e32 v203, v87, v26
	v_add_f32_e32 v3, v3, v202
	s_waitcnt vmcnt(9) lgkmcnt(4)
	v_mul_f32_e32 v205, v82, v31
	v_fmac_f32_e32 v204, v89, v28
	v_add_f32_e32 v3, v3, v203
	v_mul_f32_e32 v206, v84, v33
	v_fmac_f32_e32 v205, v83, v30
	v_add_f32_e32 v3, v3, v204
	s_waitcnt vmcnt(8) lgkmcnt(3)
	v_mul_f32_e32 v207, v78, v39
	v_fmac_f32_e32 v206, v85, v32
	v_add_f32_e32 v3, v3, v205
	v_mul_f32_e32 v208, v80, v41
	v_fmac_f32_e32 v207, v79, v38
	v_add_f32_e32 v3, v3, v206
	s_waitcnt vmcnt(7) lgkmcnt(2)
	v_mul_f32_e32 v209, v74, v47
	v_fmac_f32_e32 v208, v81, v40
	v_add_f32_e32 v3, v3, v207
	v_mul_f32_e32 v210, v76, v49
	v_fmac_f32_e32 v209, v75, v46
	v_add_f32_e32 v3, v3, v208
	s_waitcnt vmcnt(6) lgkmcnt(1)
	v_mul_f32_e32 v211, v70, v51
	v_fmac_f32_e32 v210, v77, v48
	v_add_f32_e32 v3, v3, v209
	v_mul_f32_e32 v212, v72, v53
	v_fmac_f32_e32 v211, v71, v50
	v_add_f32_e32 v3, v3, v210
	v_fmac_f32_e32 v212, v73, v52
	v_add_f32_e32 v3, v3, v211
	v_add_f32_e32 v111, v3, v212
	v_mul_f32_e32 v3, v113, v5
	v_add_f32_e32 v2, 0, v2
	v_fma_f32 v3, v112, v4, -v3
	v_add_f32_e32 v2, v2, v3
	v_mul_f32_e32 v3, v107, v7
	v_fma_f32 v3, v106, v6, -v3
	v_add_f32_e32 v2, v2, v3
	v_mul_f32_e32 v3, v109, v9
	;; [unrolled: 3-line block ×20, first 2 shown]
	v_fma_f32 v3, v72, v52, -v3
	v_add_f32_e32 v110, v2, v3
	s_waitcnt vmcnt(5) lgkmcnt(0)
	v_mul_f32_e32 v2, v67, v59
	v_fma_f32 v190, v66, v58, -v2
	v_mul_f32_e32 v2, v69, v61
	v_fma_f32 v192, v68, v60, -v2
	ds_read_b128 v[2:5], v186 offset:512
	ds_read_b128 v[6:9], v186 offset:528
	;; [unrolled: 1-line block ×4, first 2 shown]
	v_mul_f32_e32 v191, v66, v59
	v_mul_f32_e32 v193, v68, v61
	v_fmac_f32_e32 v191, v67, v58
	s_waitcnt vmcnt(4) lgkmcnt(3)
	v_pk_mul_f32 v[20:21], v[2:3], v[62:63] op_sel:[1,1] op_sel_hi:[0,1]
	v_fmac_f32_e32 v193, v69, v60
	v_pk_add_f32 v[18:19], v[110:111], v[190:191]
	v_pk_fma_f32 v[22:23], v[2:3], v[62:63], v[20:21] neg_lo:[0,0,1] neg_hi:[0,0,1]
	v_pk_fma_f32 v[2:3], v[2:3], v[62:63], v[20:21] op_sel_hi:[1,0,1]
	v_pk_add_f32 v[18:19], v[18:19], v[192:193]
	v_mov_b32_e32 v23, v3
	v_pk_add_f32 v[2:3], v[18:19], v[22:23]
	v_mov_b32_e32 v18, v65
	v_pk_mul_f32 v[18:19], v[4:5], v[18:19] op_sel:[1,0] op_sel_hi:[0,0]
	v_pk_fma_f32 v[20:21], v[4:5], v[64:65], v[18:19] neg_lo:[0,0,1] neg_hi:[0,0,1]
	v_pk_fma_f32 v[4:5], v[4:5], v[64:65], v[18:19] op_sel_hi:[1,0,1]
	s_nop 0
	v_mov_b32_e32 v21, v5
	s_waitcnt vmcnt(3) lgkmcnt(2)
	v_pk_mul_f32 v[4:5], v[6:7], v[54:55] op_sel:[1,1] op_sel_hi:[0,1]
	v_pk_fma_f32 v[18:19], v[6:7], v[54:55], v[4:5] neg_lo:[0,0,1] neg_hi:[0,0,1]
	v_pk_fma_f32 v[4:5], v[6:7], v[54:55], v[4:5] op_sel_hi:[1,0,1]
	v_pk_add_f32 v[2:3], v[2:3], v[20:21]
	v_mov_b32_e32 v4, v57
	v_mov_b32_e32 v19, v5
	v_pk_mul_f32 v[4:5], v[8:9], v[4:5] op_sel:[1,0] op_sel_hi:[0,0]
	v_pk_fma_f32 v[6:7], v[8:9], v[56:57], v[4:5] neg_lo:[0,0,1] neg_hi:[0,0,1]
	v_pk_fma_f32 v[4:5], v[8:9], v[56:57], v[4:5] op_sel_hi:[1,0,1]
	v_pk_add_f32 v[2:3], v[2:3], v[18:19]
	v_mov_b32_e32 v7, v5
	s_waitcnt vmcnt(2) lgkmcnt(1)
	v_pk_mul_f32 v[4:5], v[10:11], v[42:43] op_sel:[1,1] op_sel_hi:[0,1]
	v_pk_add_f32 v[2:3], v[2:3], v[6:7]
	v_pk_fma_f32 v[6:7], v[10:11], v[42:43], v[4:5] neg_lo:[0,0,1] neg_hi:[0,0,1]
	v_pk_fma_f32 v[4:5], v[10:11], v[42:43], v[4:5] op_sel_hi:[1,0,1]
	s_nop 0
	v_mov_b32_e32 v4, v45
	v_mov_b32_e32 v7, v5
	v_pk_mul_f32 v[4:5], v[12:13], v[4:5] op_sel:[1,0] op_sel_hi:[0,0]
	v_pk_add_f32 v[2:3], v[2:3], v[6:7]
	v_pk_fma_f32 v[6:7], v[12:13], v[44:45], v[4:5] neg_lo:[0,0,1] neg_hi:[0,0,1]
	v_pk_fma_f32 v[4:5], v[12:13], v[44:45], v[4:5] op_sel_hi:[1,0,1]
	s_nop 0
	v_mov_b32_e32 v7, v5
	s_waitcnt vmcnt(1) lgkmcnt(0)
	v_pk_mul_f32 v[4:5], v[14:15], v[34:35] op_sel:[1,1] op_sel_hi:[0,1]
	v_pk_add_f32 v[2:3], v[2:3], v[6:7]
	v_pk_fma_f32 v[6:7], v[14:15], v[34:35], v[4:5] neg_lo:[0,0,1] neg_hi:[0,0,1]
	v_pk_fma_f32 v[4:5], v[14:15], v[34:35], v[4:5] op_sel_hi:[1,0,1]
	s_nop 0
	v_mov_b32_e32 v4, v37
	v_mov_b32_e32 v7, v5
	v_pk_mul_f32 v[4:5], v[16:17], v[4:5] op_sel:[1,0] op_sel_hi:[0,0]
	v_pk_add_f32 v[2:3], v[2:3], v[6:7]
	v_pk_fma_f32 v[6:7], v[16:17], v[36:37], v[4:5] neg_lo:[0,0,1] neg_hi:[0,0,1]
	v_pk_fma_f32 v[4:5], v[16:17], v[36:37], v[4:5] op_sel_hi:[1,0,1]
	s_nop 0
	v_mov_b32_e32 v7, v5
	v_pk_add_f32 v[2:3], v[2:3], v[6:7]
	s_waitcnt vmcnt(0)
	v_pk_add_f32 v[2:3], v[188:189], v[2:3] neg_lo:[0,1] neg_hi:[0,1]
	scratch_store_dwordx2 off, v[2:3], off offset:24
	s_and_saveexec_b64 s[0:1], vcc
	s_cbranch_execz .LBB35_225
; %bb.224:
	scratch_load_dwordx2 v[2:3], off, off offset:16
	v_mov_b32_e32 v4, 0
	v_mov_b32_e32 v5, v4
	scratch_store_dwordx2 off, v[4:5], off offset:16
	s_waitcnt vmcnt(1)
	ds_write_b64 v1, v[2:3]
.LBB35_225:
	s_or_b64 exec, exec, s[0:1]
	s_waitcnt lgkmcnt(0)
	; wave barrier
	scratch_load_dwordx4 v[2:5], off, off offset:24
	scratch_load_dwordx4 v[6:9], off, off offset:40
	;; [unrolled: 1-line block ×13, first 2 shown]
	v_mov_b32_e32 v106, 0
	scratch_load_dwordx2 v[112:113], off, off offset:16
	ds_read2_b64 v[54:57], v106 offset0:39 offset1:40
	ds_read2_b64 v[58:61], v106 offset0:41 offset1:42
	;; [unrolled: 1-line block ×14, first 2 shown]
	v_cmp_lt_u32_e32 vcc, 1, v0
	s_waitcnt vmcnt(13) lgkmcnt(13)
	v_mul_f32_e32 v107, v54, v3
	v_mul_f32_e32 v186, v56, v5
	v_fmac_f32_e32 v107, v55, v2
	s_waitcnt vmcnt(12) lgkmcnt(12)
	v_mul_f32_e32 v187, v58, v7
	v_fmac_f32_e32 v186, v57, v4
	v_add_f32_e32 v107, 0, v107
	v_mul_f32_e32 v188, v60, v9
	v_fmac_f32_e32 v187, v59, v6
	v_add_f32_e32 v107, v107, v186
	s_waitcnt vmcnt(11) lgkmcnt(11)
	v_mul_f32_e32 v189, v62, v11
	v_fmac_f32_e32 v188, v61, v8
	v_add_f32_e32 v107, v107, v187
	v_mul_f32_e32 v190, v64, v13
	v_fmac_f32_e32 v189, v63, v10
	v_add_f32_e32 v107, v107, v188
	;; [unrolled: 7-line block ×8, first 2 shown]
	s_waitcnt vmcnt(4) lgkmcnt(4)
	v_mul_f32_e32 v205, v90, v39
	v_fmac_f32_e32 v204, v89, v36
	v_add_f32_e32 v107, v107, v203
	v_fmac_f32_e32 v205, v91, v38
	v_add_f32_e32 v107, v107, v204
	v_add_f32_e32 v107, v107, v205
	scratch_load_dwordx4 v[186:189], off, off offset:232
	scratch_load_dwordx4 v[190:193], off, off offset:248
	;; [unrolled: 1-line block ×3, first 2 shown]
	scratch_load_dwordx2 v[204:205], off, off offset:280
	v_mul_f32_e32 v3, v55, v3
	v_fma_f32 v2, v54, v2, -v3
	v_mul_f32_e32 v3, v57, v5
	v_add_f32_e32 v2, 0, v2
	v_fma_f32 v3, v56, v4, -v3
	v_add_f32_e32 v2, v2, v3
	v_mul_f32_e32 v3, v59, v7
	v_fma_f32 v3, v58, v6, -v3
	v_add_f32_e32 v2, v2, v3
	v_mul_f32_e32 v3, v61, v9
	v_fma_f32 v3, v60, v8, -v3
	v_add_f32_e32 v2, v2, v3
	v_mul_f32_e32 v3, v63, v11
	v_fma_f32 v3, v62, v10, -v3
	v_add_f32_e32 v2, v2, v3
	v_mul_f32_e32 v3, v65, v13
	v_fma_f32 v3, v64, v12, -v3
	v_add_f32_e32 v2, v2, v3
	v_mul_f32_e32 v3, v67, v15
	v_fma_f32 v3, v66, v14, -v3
	v_add_f32_e32 v2, v2, v3
	v_mul_f32_e32 v3, v69, v17
	v_fma_f32 v3, v68, v16, -v3
	v_add_f32_e32 v2, v2, v3
	v_mul_f32_e32 v3, v71, v19
	v_fma_f32 v3, v70, v18, -v3
	v_add_f32_e32 v2, v2, v3
	v_mul_f32_e32 v3, v73, v21
	v_fma_f32 v3, v72, v20, -v3
	v_add_f32_e32 v2, v2, v3
	v_mul_f32_e32 v3, v75, v23
	v_fma_f32 v3, v74, v22, -v3
	v_add_f32_e32 v2, v2, v3
	v_mul_f32_e32 v3, v77, v25
	v_fma_f32 v3, v76, v24, -v3
	v_add_f32_e32 v2, v2, v3
	v_mul_f32_e32 v3, v79, v27
	v_fma_f32 v3, v78, v26, -v3
	v_add_f32_e32 v2, v2, v3
	v_mul_f32_e32 v3, v81, v29
	v_fma_f32 v3, v80, v28, -v3
	v_add_f32_e32 v2, v2, v3
	v_mul_f32_e32 v3, v83, v31
	v_fma_f32 v3, v82, v30, -v3
	v_add_f32_e32 v2, v2, v3
	v_mul_f32_e32 v3, v85, v33
	v_fma_f32 v3, v84, v32, -v3
	v_add_f32_e32 v2, v2, v3
	v_mul_f32_e32 v3, v87, v35
	v_fma_f32 v3, v86, v34, -v3
	v_add_f32_e32 v2, v2, v3
	v_mul_f32_e32 v3, v89, v37
	v_fma_f32 v3, v88, v36, -v3
	v_add_f32_e32 v2, v2, v3
	v_mul_f32_e32 v3, v91, v39
	v_fma_f32 v3, v90, v38, -v3
	v_add_f32_e32 v2, v2, v3
	v_mul_f32_e32 v3, v93, v41
	v_fma_f32 v3, v92, v40, -v3
	v_add_f32_e32 v2, v2, v3
	s_waitcnt vmcnt(7) lgkmcnt(3)
	v_mul_f32_e32 v3, v95, v43
	v_fma_f32 v3, v94, v42, -v3
	v_mul_f32_e32 v206, v92, v41
	v_add_f32_e32 v2, v2, v3
	v_mul_f32_e32 v3, v97, v45
	v_mul_f32_e32 v207, v94, v43
	v_fmac_f32_e32 v206, v93, v40
	v_fma_f32 v3, v96, v44, -v3
	v_mul_f32_e32 v208, v96, v45
	v_fmac_f32_e32 v207, v95, v42
	v_add_f32_e32 v107, v107, v206
	v_add_f32_e32 v2, v2, v3
	s_waitcnt vmcnt(6) lgkmcnt(2)
	v_mul_f32_e32 v3, v99, v47
	v_mul_f32_e32 v209, v98, v47
	v_fmac_f32_e32 v208, v97, v44
	v_add_f32_e32 v107, v107, v207
	v_fma_f32 v3, v98, v46, -v3
	v_mul_f32_e32 v199, v100, v49
	v_fmac_f32_e32 v209, v99, v46
	v_add_f32_e32 v107, v107, v208
	v_add_f32_e32 v202, v2, v3
	v_mul_f32_e32 v2, v101, v49
	s_waitcnt vmcnt(5)
	v_mov_b32_e32 v14, v53
	s_waitcnt lgkmcnt(1)
	v_mul_f32_e32 v201, v102, v51
	v_fmac_f32_e32 v199, v101, v48
	v_add_f32_e32 v203, v107, v209
	v_fma_f32 v198, v100, v48, -v2
	v_mul_f32_e32 v2, v103, v51
	v_pk_mul_f32 v[14:15], v[104:105], v[14:15] op_sel:[1,0] op_sel_hi:[0,0]
	v_fmac_f32_e32 v201, v103, v50
	v_fma_f32 v200, v102, v50, -v2
	v_pk_add_f32 v[12:13], v[202:203], v[198:199]
	v_pk_fma_f32 v[16:17], v[104:105], v[52:53], v[14:15] neg_lo:[0,0,1] neg_hi:[0,0,1]
	v_pk_fma_f32 v[14:15], v[104:105], v[52:53], v[14:15] op_sel_hi:[1,0,1]
	v_pk_add_f32 v[12:13], v[12:13], v[200:201]
	v_mov_b32_e32 v17, v15
	s_waitcnt vmcnt(3) lgkmcnt(0)
	v_pk_mul_f32 v[14:15], v[108:109], v[186:187] op_sel:[1,1] op_sel_hi:[0,1]
	v_pk_add_f32 v[12:13], v[12:13], v[16:17]
	v_pk_fma_f32 v[16:17], v[108:109], v[186:187], v[14:15] neg_lo:[0,0,1] neg_hi:[0,0,1]
	v_pk_fma_f32 v[14:15], v[108:109], v[186:187], v[14:15] op_sel_hi:[1,0,1]
	ds_read2_b64 v[2:5], v106 offset0:67 offset1:68
	ds_read2_b64 v[6:9], v106 offset0:69 offset1:70
	ds_read_b64 v[10:11], v106 offset:568
	v_mov_b32_e32 v14, v189
	v_mov_b32_e32 v17, v15
	v_pk_mul_f32 v[14:15], v[110:111], v[14:15] op_sel:[1,0] op_sel_hi:[0,0]
	v_pk_add_f32 v[12:13], v[12:13], v[16:17]
	v_pk_fma_f32 v[16:17], v[110:111], v[188:189], v[14:15] neg_lo:[0,0,1] neg_hi:[0,0,1]
	v_pk_fma_f32 v[14:15], v[110:111], v[188:189], v[14:15] op_sel_hi:[1,0,1]
	s_nop 0
	v_mov_b32_e32 v17, v15
	s_waitcnt vmcnt(2) lgkmcnt(2)
	v_pk_mul_f32 v[14:15], v[2:3], v[190:191] op_sel:[1,1] op_sel_hi:[0,1]
	v_pk_add_f32 v[12:13], v[12:13], v[16:17]
	v_pk_fma_f32 v[16:17], v[2:3], v[190:191], v[14:15] neg_lo:[0,0,1] neg_hi:[0,0,1]
	v_pk_fma_f32 v[2:3], v[2:3], v[190:191], v[14:15] op_sel_hi:[1,0,1]
	s_nop 0
	v_mov_b32_e32 v17, v3
	v_pk_add_f32 v[2:3], v[12:13], v[16:17]
	v_mov_b32_e32 v12, v193
	v_pk_mul_f32 v[12:13], v[4:5], v[12:13] op_sel:[1,0] op_sel_hi:[0,0]
	v_pk_fma_f32 v[14:15], v[4:5], v[192:193], v[12:13] neg_lo:[0,0,1] neg_hi:[0,0,1]
	v_pk_fma_f32 v[4:5], v[4:5], v[192:193], v[12:13] op_sel_hi:[1,0,1]
	s_nop 0
	v_mov_b32_e32 v15, v5
	s_waitcnt vmcnt(1) lgkmcnt(1)
	v_pk_mul_f32 v[4:5], v[6:7], v[194:195] op_sel:[1,1] op_sel_hi:[0,1]
	v_pk_fma_f32 v[12:13], v[6:7], v[194:195], v[4:5] neg_lo:[0,0,1] neg_hi:[0,0,1]
	v_pk_fma_f32 v[4:5], v[6:7], v[194:195], v[4:5] op_sel_hi:[1,0,1]
	v_pk_add_f32 v[2:3], v[2:3], v[14:15]
	v_mov_b32_e32 v4, v197
	v_mov_b32_e32 v13, v5
	v_pk_mul_f32 v[4:5], v[8:9], v[4:5] op_sel:[1,0] op_sel_hi:[0,0]
	v_pk_fma_f32 v[6:7], v[8:9], v[196:197], v[4:5] neg_lo:[0,0,1] neg_hi:[0,0,1]
	v_pk_fma_f32 v[4:5], v[8:9], v[196:197], v[4:5] op_sel_hi:[1,0,1]
	v_pk_add_f32 v[2:3], v[2:3], v[12:13]
	v_mov_b32_e32 v7, v5
	s_waitcnt vmcnt(0) lgkmcnt(0)
	v_pk_mul_f32 v[4:5], v[10:11], v[204:205] op_sel:[1,1] op_sel_hi:[0,1]
	v_pk_add_f32 v[2:3], v[2:3], v[6:7]
	v_pk_fma_f32 v[6:7], v[10:11], v[204:205], v[4:5] neg_lo:[0,0,1] neg_hi:[0,0,1]
	v_pk_fma_f32 v[4:5], v[10:11], v[204:205], v[4:5] op_sel_hi:[1,0,1]
	s_nop 0
	v_mov_b32_e32 v7, v5
	v_pk_add_f32 v[2:3], v[2:3], v[6:7]
	s_nop 0
	v_pk_add_f32 v[2:3], v[112:113], v[2:3] neg_lo:[0,1] neg_hi:[0,1]
	scratch_store_dwordx2 off, v[2:3], off offset:16
	s_and_saveexec_b64 s[0:1], vcc
	s_cbranch_execz .LBB35_227
; %bb.226:
	scratch_load_dwordx2 v[2:3], off, off offset:8
	v_mov_b32_e32 v107, v106
	scratch_store_dwordx2 off, v[106:107], off offset:8
	s_waitcnt vmcnt(1)
	ds_write_b64 v1, v[2:3]
.LBB35_227:
	s_or_b64 exec, exec, s[0:1]
	s_waitcnt lgkmcnt(0)
	; wave barrier
	scratch_load_dwordx4 v[2:5], off, off offset:16
	scratch_load_dwordx4 v[6:9], off, off offset:32
	;; [unrolled: 1-line block ×13, first 2 shown]
	ds_read_b128 v[102:105], v106 offset:304
	ds_read_b128 v[98:101], v106 offset:320
	;; [unrolled: 1-line block ×14, first 2 shown]
	scratch_load_dwordx2 v[112:113], off, off offset:8
	v_cmp_ne_u32_e32 vcc, 0, v0
	s_waitcnt vmcnt(13) lgkmcnt(13)
	v_mul_f32_e32 v107, v102, v3
	v_mul_f32_e32 v186, v104, v5
	v_fmac_f32_e32 v107, v103, v2
	s_waitcnt vmcnt(12) lgkmcnt(12)
	v_mul_f32_e32 v187, v98, v7
	v_fmac_f32_e32 v186, v105, v4
	v_add_f32_e32 v107, 0, v107
	v_mul_f32_e32 v188, v100, v9
	v_fmac_f32_e32 v187, v99, v6
	v_add_f32_e32 v107, v107, v186
	s_waitcnt vmcnt(11) lgkmcnt(11)
	v_mul_f32_e32 v189, v94, v11
	v_fmac_f32_e32 v188, v101, v8
	v_add_f32_e32 v107, v107, v187
	v_mul_f32_e32 v190, v96, v13
	v_fmac_f32_e32 v189, v95, v10
	v_add_f32_e32 v107, v107, v188
	;; [unrolled: 7-line block ×7, first 2 shown]
	s_waitcnt vmcnt(5) lgkmcnt(5)
	v_mul_f32_e32 v201, v70, v35
	v_fmac_f32_e32 v200, v77, v32
	v_add_f32_e32 v107, v107, v199
	v_fmac_f32_e32 v201, v71, v34
	v_add_f32_e32 v107, v107, v200
	v_add_f32_e32 v107, v107, v201
	scratch_load_dwordx4 v[186:189], off, off offset:224
	scratch_load_dwordx4 v[190:193], off, off offset:240
	;; [unrolled: 1-line block ×4, first 2 shown]
	v_mul_f32_e32 v3, v103, v3
	v_fma_f32 v2, v102, v2, -v3
	v_mul_f32_e32 v3, v105, v5
	v_add_f32_e32 v2, 0, v2
	v_fma_f32 v3, v104, v4, -v3
	v_add_f32_e32 v2, v2, v3
	v_mul_f32_e32 v3, v99, v7
	v_fma_f32 v3, v98, v6, -v3
	v_add_f32_e32 v2, v2, v3
	v_mul_f32_e32 v3, v101, v9
	;; [unrolled: 3-line block ×16, first 2 shown]
	v_fma_f32 v3, v72, v36, -v3
	v_add_f32_e32 v2, v2, v3
	s_waitcnt vmcnt(8) lgkmcnt(4)
	v_mul_f32_e32 v3, v67, v39
	v_fma_f32 v3, v66, v38, -v3
	v_add_f32_e32 v2, v2, v3
	v_mul_f32_e32 v3, v69, v41
	v_fma_f32 v3, v68, v40, -v3
	v_add_f32_e32 v2, v2, v3
	s_waitcnt vmcnt(7) lgkmcnt(3)
	v_mul_f32_e32 v3, v63, v43
	v_mul_f32_e32 v202, v72, v37
	v_fma_f32 v3, v62, v42, -v3
	v_mul_f32_e32 v204, v66, v39
	v_fmac_f32_e32 v202, v73, v36
	v_add_f32_e32 v2, v2, v3
	v_mul_f32_e32 v3, v65, v45
	v_mul_f32_e32 v206, v68, v41
	v_fmac_f32_e32 v204, v67, v38
	v_add_f32_e32 v107, v107, v202
	v_fma_f32 v3, v64, v44, -v3
	v_mul_f32_e32 v207, v62, v43
	v_fmac_f32_e32 v206, v69, v40
	v_add_f32_e32 v107, v107, v204
	v_add_f32_e32 v2, v2, v3
	s_waitcnt vmcnt(6) lgkmcnt(2)
	v_mul_f32_e32 v3, v59, v47
	v_mul_f32_e32 v208, v64, v45
	v_fmac_f32_e32 v207, v63, v42
	v_add_f32_e32 v107, v107, v206
	v_fma_f32 v3, v58, v46, -v3
	v_mul_f32_e32 v209, v58, v47
	v_fmac_f32_e32 v208, v65, v44
	v_add_f32_e32 v107, v107, v207
	v_add_f32_e32 v2, v2, v3
	v_mul_f32_e32 v3, v61, v49
	v_mul_f32_e32 v210, v60, v49
	v_fmac_f32_e32 v209, v59, v46
	v_add_f32_e32 v107, v107, v208
	v_fma_f32 v3, v60, v48, -v3
	s_waitcnt vmcnt(5) lgkmcnt(1)
	v_mul_f32_e32 v203, v54, v51
	v_fmac_f32_e32 v210, v61, v48
	v_add_f32_e32 v107, v107, v209
	v_add_f32_e32 v206, v2, v3
	v_mul_f32_e32 v2, v55, v51
	s_waitcnt vmcnt(3) lgkmcnt(0)
	v_pk_mul_f32 v[16:17], v[108:109], v[186:187] op_sel:[1,1] op_sel_hi:[0,1]
	v_mul_f32_e32 v205, v56, v53
	v_fmac_f32_e32 v203, v55, v50
	v_add_f32_e32 v207, v107, v210
	v_fma_f32 v202, v54, v50, -v2
	v_mul_f32_e32 v2, v57, v53
	v_pk_fma_f32 v[18:19], v[108:109], v[186:187], v[16:17] neg_lo:[0,0,1] neg_hi:[0,0,1]
	v_pk_fma_f32 v[16:17], v[108:109], v[186:187], v[16:17] op_sel_hi:[1,0,1]
	v_fmac_f32_e32 v205, v57, v52
	v_fma_f32 v204, v56, v52, -v2
	ds_read_b128 v[2:5], v106 offset:528
	ds_read_b128 v[6:9], v106 offset:544
	;; [unrolled: 1-line block ×3, first 2 shown]
	v_pk_add_f32 v[14:15], v[206:207], v[202:203]
	v_mov_b32_e32 v16, v189
	v_pk_add_f32 v[14:15], v[14:15], v[204:205]
	v_mov_b32_e32 v19, v17
	v_pk_mul_f32 v[16:17], v[110:111], v[16:17] op_sel:[1,0] op_sel_hi:[0,0]
	v_pk_add_f32 v[14:15], v[14:15], v[18:19]
	v_pk_fma_f32 v[18:19], v[110:111], v[188:189], v[16:17] neg_lo:[0,0,1] neg_hi:[0,0,1]
	v_pk_fma_f32 v[16:17], v[110:111], v[188:189], v[16:17] op_sel_hi:[1,0,1]
	s_nop 0
	v_mov_b32_e32 v19, v17
	s_waitcnt vmcnt(2) lgkmcnt(2)
	v_pk_mul_f32 v[16:17], v[2:3], v[190:191] op_sel:[1,1] op_sel_hi:[0,1]
	v_pk_add_f32 v[14:15], v[14:15], v[18:19]
	v_pk_fma_f32 v[18:19], v[2:3], v[190:191], v[16:17] neg_lo:[0,0,1] neg_hi:[0,0,1]
	v_pk_fma_f32 v[2:3], v[2:3], v[190:191], v[16:17] op_sel_hi:[1,0,1]
	s_nop 0
	v_mov_b32_e32 v19, v3
	v_pk_add_f32 v[2:3], v[14:15], v[18:19]
	v_mov_b32_e32 v14, v193
	v_pk_mul_f32 v[14:15], v[4:5], v[14:15] op_sel:[1,0] op_sel_hi:[0,0]
	v_pk_fma_f32 v[16:17], v[4:5], v[192:193], v[14:15] neg_lo:[0,0,1] neg_hi:[0,0,1]
	v_pk_fma_f32 v[4:5], v[4:5], v[192:193], v[14:15] op_sel_hi:[1,0,1]
	s_nop 0
	v_mov_b32_e32 v17, v5
	s_waitcnt vmcnt(1) lgkmcnt(1)
	v_pk_mul_f32 v[4:5], v[6:7], v[194:195] op_sel:[1,1] op_sel_hi:[0,1]
	v_pk_fma_f32 v[14:15], v[6:7], v[194:195], v[4:5] neg_lo:[0,0,1] neg_hi:[0,0,1]
	v_pk_fma_f32 v[4:5], v[6:7], v[194:195], v[4:5] op_sel_hi:[1,0,1]
	v_pk_add_f32 v[2:3], v[2:3], v[16:17]
	v_mov_b32_e32 v4, v197
	v_mov_b32_e32 v15, v5
	v_pk_mul_f32 v[4:5], v[8:9], v[4:5] op_sel:[1,0] op_sel_hi:[0,0]
	v_pk_fma_f32 v[6:7], v[8:9], v[196:197], v[4:5] neg_lo:[0,0,1] neg_hi:[0,0,1]
	v_pk_fma_f32 v[4:5], v[8:9], v[196:197], v[4:5] op_sel_hi:[1,0,1]
	v_pk_add_f32 v[2:3], v[2:3], v[14:15]
	v_mov_b32_e32 v7, v5
	s_waitcnt vmcnt(0) lgkmcnt(0)
	v_pk_mul_f32 v[4:5], v[10:11], v[198:199] op_sel:[1,1] op_sel_hi:[0,1]
	v_pk_add_f32 v[2:3], v[2:3], v[6:7]
	v_pk_fma_f32 v[6:7], v[10:11], v[198:199], v[4:5] neg_lo:[0,0,1] neg_hi:[0,0,1]
	v_pk_fma_f32 v[4:5], v[10:11], v[198:199], v[4:5] op_sel_hi:[1,0,1]
	s_nop 0
	v_mov_b32_e32 v4, v201
	v_mov_b32_e32 v7, v5
	v_pk_mul_f32 v[4:5], v[12:13], v[4:5] op_sel:[1,0] op_sel_hi:[0,0]
	v_pk_add_f32 v[2:3], v[2:3], v[6:7]
	v_pk_fma_f32 v[6:7], v[12:13], v[200:201], v[4:5] neg_lo:[0,0,1] neg_hi:[0,0,1]
	v_pk_fma_f32 v[4:5], v[12:13], v[200:201], v[4:5] op_sel_hi:[1,0,1]
	s_nop 0
	v_mov_b32_e32 v7, v5
	v_pk_add_f32 v[2:3], v[2:3], v[6:7]
	s_nop 0
	v_pk_add_f32 v[2:3], v[112:113], v[2:3] neg_lo:[0,1] neg_hi:[0,1]
	scratch_store_dwordx2 off, v[2:3], off offset:8
	s_and_saveexec_b64 s[0:1], vcc
	s_cbranch_execz .LBB35_229
; %bb.228:
	scratch_load_dwordx2 v[2:3], off, off
	v_mov_b32_e32 v4, 0
	v_mov_b32_e32 v5, v4
	scratch_store_dwordx2 off, v[4:5], off
	s_waitcnt vmcnt(1)
	ds_write_b64 v1, v[2:3]
.LBB35_229:
	s_or_b64 exec, exec, s[0:1]
	s_waitcnt lgkmcnt(0)
	; wave barrier
	scratch_load_dwordx4 v[0:3], off, off offset:8
	scratch_load_dwordx4 v[4:7], off, off offset:24
	;; [unrolled: 1-line block ×13, first 2 shown]
	v_mov_b32_e32 v56, 0
	scratch_load_dwordx4 v[52:55], off, off offset:216
	scratch_load_dwordx2 v[198:199], off, off
	ds_read2_b64 v[58:61], v56 offset0:37 offset1:38
	ds_read2_b64 v[62:65], v56 offset0:39 offset1:40
	;; [unrolled: 1-line block ×14, first 2 shown]
	s_and_b64 vcc, exec, s[18:19]
	s_waitcnt vmcnt(14) lgkmcnt(13)
	v_mul_f32_e32 v57, v58, v1
	v_mul_f32_e32 v186, v60, v3
	v_fmac_f32_e32 v57, v59, v0
	s_waitcnt vmcnt(13) lgkmcnt(12)
	v_mul_f32_e32 v187, v62, v5
	v_fmac_f32_e32 v186, v61, v2
	v_add_f32_e32 v57, 0, v57
	v_mul_f32_e32 v188, v64, v7
	v_fmac_f32_e32 v187, v63, v4
	v_add_f32_e32 v57, v57, v186
	s_waitcnt vmcnt(12) lgkmcnt(11)
	v_mul_f32_e32 v189, v66, v9
	v_fmac_f32_e32 v188, v65, v6
	v_add_f32_e32 v57, v57, v187
	v_mul_f32_e32 v190, v68, v11
	v_fmac_f32_e32 v189, v67, v8
	v_add_f32_e32 v57, v57, v188
	;; [unrolled: 7-line block ×6, first 2 shown]
	s_waitcnt vmcnt(7) lgkmcnt(6)
	v_mul_f32_e32 v201, v86, v29
	v_fmac_f32_e32 v200, v85, v26
	v_add_f32_e32 v57, v57, v197
	scratch_load_dwordx4 v[186:189], off, off offset:232
	v_mul_f32_e32 v202, v88, v31
	v_fmac_f32_e32 v201, v87, v28
	v_add_f32_e32 v57, v57, v200
	s_waitcnt vmcnt(7) lgkmcnt(5)
	v_mul_f32_e32 v203, v90, v33
	v_fmac_f32_e32 v202, v89, v30
	v_add_f32_e32 v57, v57, v201
	v_mul_f32_e32 v204, v92, v35
	v_fmac_f32_e32 v203, v91, v32
	v_add_f32_e32 v57, v57, v202
	s_waitcnt vmcnt(6) lgkmcnt(4)
	v_mul_f32_e32 v205, v94, v37
	v_fmac_f32_e32 v204, v93, v34
	v_add_f32_e32 v57, v57, v203
	;; [unrolled: 7-line block ×3, first 2 shown]
	v_fmac_f32_e32 v207, v99, v40
	v_add_f32_e32 v57, v57, v206
	v_add_f32_e32 v57, v57, v207
	scratch_load_dwordx4 v[190:193], off, off offset:248
	scratch_load_dwordx4 v[194:197], off, off offset:264
	scratch_load_dwordx2 v[206:207], off, off offset:280
	v_mul_f32_e32 v1, v59, v1
	v_fma_f32 v0, v58, v0, -v1
	v_mul_f32_e32 v1, v61, v3
	v_add_f32_e32 v0, 0, v0
	v_fma_f32 v1, v60, v2, -v1
	v_add_f32_e32 v0, v0, v1
	v_mul_f32_e32 v1, v63, v5
	v_fma_f32 v1, v62, v4, -v1
	v_add_f32_e32 v0, v0, v1
	v_mul_f32_e32 v1, v65, v7
	;; [unrolled: 3-line block ×20, first 2 shown]
	v_fma_f32 v1, v100, v42, -v1
	v_add_f32_e32 v0, v0, v1
	s_waitcnt vmcnt(7) lgkmcnt(2)
	v_mul_f32_e32 v1, v103, v45
	v_fma_f32 v1, v102, v44, -v1
	v_add_f32_e32 v0, v0, v1
	v_mul_f32_e32 v1, v105, v47
	v_mul_f32_e32 v208, v100, v43
	v_fma_f32 v1, v104, v46, -v1
	v_mul_f32_e32 v209, v102, v45
	v_fmac_f32_e32 v208, v101, v42
	v_add_f32_e32 v0, v0, v1
	s_waitcnt vmcnt(6) lgkmcnt(1)
	v_mul_f32_e32 v1, v107, v49
	v_mul_f32_e32 v210, v104, v47
	v_fmac_f32_e32 v209, v103, v44
	v_add_f32_e32 v57, v57, v208
	v_fma_f32 v1, v106, v48, -v1
	v_mul_f32_e32 v211, v106, v49
	v_fmac_f32_e32 v210, v105, v46
	v_add_f32_e32 v57, v57, v209
	v_add_f32_e32 v200, v0, v1
	v_mul_f32_e32 v0, v109, v51
	v_fmac_f32_e32 v211, v107, v48
	v_add_f32_e32 v57, v57, v210
	v_mul_f32_e32 v203, v108, v51
	v_fma_f32 v202, v108, v50, -v0
	s_waitcnt vmcnt(5) lgkmcnt(0)
	v_mul_f32_e32 v0, v111, v53
	v_mov_b32_e32 v16, v55
	v_add_f32_e32 v201, v57, v211
	v_fmac_f32_e32 v203, v109, v50
	v_mul_f32_e32 v205, v110, v53
	v_fma_f32 v204, v110, v52, -v0
	ds_read2_b64 v[0:3], v56 offset0:65 offset1:66
	ds_read2_b64 v[4:7], v56 offset0:67 offset1:68
	;; [unrolled: 1-line block ×3, first 2 shown]
	ds_read_b64 v[12:13], v56 offset:568
	v_pk_mul_f32 v[16:17], v[112:113], v[16:17] op_sel:[1,0] op_sel_hi:[0,0]
	v_fmac_f32_e32 v205, v111, v52
	v_pk_add_f32 v[14:15], v[200:201], v[202:203]
	v_pk_fma_f32 v[18:19], v[112:113], v[54:55], v[16:17] neg_lo:[0,0,1] neg_hi:[0,0,1]
	v_pk_fma_f32 v[16:17], v[112:113], v[54:55], v[16:17] op_sel_hi:[1,0,1]
	v_pk_add_f32 v[14:15], v[14:15], v[204:205]
	v_mov_b32_e32 v19, v17
	s_waitcnt vmcnt(3) lgkmcnt(3)
	v_pk_mul_f32 v[16:17], v[0:1], v[186:187] op_sel:[1,1] op_sel_hi:[0,1]
	v_pk_add_f32 v[14:15], v[14:15], v[18:19]
	v_pk_fma_f32 v[18:19], v[0:1], v[186:187], v[16:17] neg_lo:[0,0,1] neg_hi:[0,0,1]
	v_pk_fma_f32 v[0:1], v[0:1], v[186:187], v[16:17] op_sel_hi:[1,0,1]
	s_nop 0
	v_mov_b32_e32 v19, v1
	v_pk_add_f32 v[0:1], v[14:15], v[18:19]
	v_mov_b32_e32 v14, v189
	v_pk_mul_f32 v[14:15], v[2:3], v[14:15] op_sel:[1,0] op_sel_hi:[0,0]
	v_pk_fma_f32 v[16:17], v[2:3], v[188:189], v[14:15] neg_lo:[0,0,1] neg_hi:[0,0,1]
	v_pk_fma_f32 v[2:3], v[2:3], v[188:189], v[14:15] op_sel_hi:[1,0,1]
	s_nop 0
	v_mov_b32_e32 v17, v3
	s_waitcnt vmcnt(2) lgkmcnt(2)
	v_pk_mul_f32 v[2:3], v[4:5], v[190:191] op_sel:[1,1] op_sel_hi:[0,1]
	v_pk_fma_f32 v[14:15], v[4:5], v[190:191], v[2:3] neg_lo:[0,0,1] neg_hi:[0,0,1]
	v_pk_fma_f32 v[2:3], v[4:5], v[190:191], v[2:3] op_sel_hi:[1,0,1]
	v_pk_add_f32 v[0:1], v[0:1], v[16:17]
	v_mov_b32_e32 v2, v193
	v_mov_b32_e32 v15, v3
	v_pk_mul_f32 v[2:3], v[6:7], v[2:3] op_sel:[1,0] op_sel_hi:[0,0]
	v_pk_fma_f32 v[4:5], v[6:7], v[192:193], v[2:3] neg_lo:[0,0,1] neg_hi:[0,0,1]
	v_pk_fma_f32 v[2:3], v[6:7], v[192:193], v[2:3] op_sel_hi:[1,0,1]
	v_pk_add_f32 v[0:1], v[0:1], v[14:15]
	v_mov_b32_e32 v5, v3
	s_waitcnt vmcnt(1) lgkmcnt(1)
	v_pk_mul_f32 v[2:3], v[8:9], v[194:195] op_sel:[1,1] op_sel_hi:[0,1]
	v_pk_add_f32 v[0:1], v[0:1], v[4:5]
	v_pk_fma_f32 v[4:5], v[8:9], v[194:195], v[2:3] neg_lo:[0,0,1] neg_hi:[0,0,1]
	v_pk_fma_f32 v[2:3], v[8:9], v[194:195], v[2:3] op_sel_hi:[1,0,1]
	s_nop 0
	v_mov_b32_e32 v2, v197
	v_mov_b32_e32 v5, v3
	v_pk_mul_f32 v[2:3], v[10:11], v[2:3] op_sel:[1,0] op_sel_hi:[0,0]
	v_pk_add_f32 v[0:1], v[0:1], v[4:5]
	v_pk_fma_f32 v[4:5], v[10:11], v[196:197], v[2:3] neg_lo:[0,0,1] neg_hi:[0,0,1]
	v_pk_fma_f32 v[2:3], v[10:11], v[196:197], v[2:3] op_sel_hi:[1,0,1]
	s_nop 0
	v_mov_b32_e32 v5, v3
	s_waitcnt vmcnt(0) lgkmcnt(0)
	v_pk_mul_f32 v[2:3], v[12:13], v[206:207] op_sel:[1,1] op_sel_hi:[0,1]
	v_pk_add_f32 v[0:1], v[0:1], v[4:5]
	v_pk_fma_f32 v[4:5], v[12:13], v[206:207], v[2:3] neg_lo:[0,0,1] neg_hi:[0,0,1]
	v_pk_fma_f32 v[2:3], v[12:13], v[206:207], v[2:3] op_sel_hi:[1,0,1]
	s_nop 0
	v_mov_b32_e32 v5, v3
	v_pk_add_f32 v[0:1], v[0:1], v[4:5]
	s_nop 0
	v_pk_add_f32 v[0:1], v[198:199], v[0:1] neg_lo:[0,1] neg_hi:[0,1]
	scratch_store_dwordx2 off, v[0:1], off
	s_cbranch_vccz .LBB35_300
; %bb.230:
	global_load_dword v0, v56, s[16:17] offset:136
	s_waitcnt vmcnt(0)
	v_readfirstlane_b32 s0, v0
	s_add_i32 s0, s0, -1
	s_cmp_lg_u32 s0, 34
	s_cbranch_scc0 .LBB35_232
; %bb.231:
	s_lshl_b32 s0, s0, 3
	s_nop 0
	scratch_load_dwordx2 v[0:1], off, s0
	scratch_load_dwordx2 v[2:3], off, off offset:272
	s_waitcnt vmcnt(1)
	scratch_store_dwordx2 off, v[0:1], off offset:272
	s_waitcnt vmcnt(1)
	scratch_store_dwordx2 off, v[2:3], s0
.LBB35_232:
	v_mov_b32_e32 v0, 0
	global_load_dword v1, v0, s[16:17] offset:132
	s_waitcnt vmcnt(0)
	v_readfirstlane_b32 s0, v1
	s_add_i32 s0, s0, -1
	s_cmp_eq_u32 s0, 33
	s_cbranch_scc1 .LBB35_234
; %bb.233:
	s_lshl_b32 s0, s0, 3
	s_nop 0
	scratch_load_dwordx2 v[2:3], off, s0
	scratch_load_dwordx2 v[4:5], off, off offset:264
	s_waitcnt vmcnt(1)
	scratch_store_dwordx2 off, v[2:3], off offset:264
	s_waitcnt vmcnt(1)
	scratch_store_dwordx2 off, v[4:5], s0
.LBB35_234:
	global_load_dword v0, v0, s[16:17] offset:128
	s_waitcnt vmcnt(0)
	v_readfirstlane_b32 s0, v0
	s_add_i32 s0, s0, -1
	s_cmp_eq_u32 s0, 32
	s_cbranch_scc1 .LBB35_236
; %bb.235:
	s_lshl_b32 s0, s0, 3
	s_nop 0
	scratch_load_dwordx2 v[0:1], off, s0
	scratch_load_dwordx2 v[2:3], off, off offset:256
	s_waitcnt vmcnt(1)
	scratch_store_dwordx2 off, v[0:1], off offset:256
	s_waitcnt vmcnt(1)
	scratch_store_dwordx2 off, v[2:3], s0
.LBB35_236:
	v_mov_b32_e32 v0, 0
	global_load_dword v1, v0, s[16:17] offset:124
	s_waitcnt vmcnt(0)
	v_readfirstlane_b32 s0, v1
	s_add_i32 s0, s0, -1
	s_cmp_eq_u32 s0, 31
	s_cbranch_scc1 .LBB35_238
; %bb.237:
	s_lshl_b32 s0, s0, 3
	s_nop 0
	scratch_load_dwordx2 v[2:3], off, s0
	scratch_load_dwordx2 v[4:5], off, off offset:248
	s_waitcnt vmcnt(1)
	scratch_store_dwordx2 off, v[2:3], off offset:248
	s_waitcnt vmcnt(1)
	scratch_store_dwordx2 off, v[4:5], s0
.LBB35_238:
	global_load_dword v0, v0, s[16:17] offset:120
	s_waitcnt vmcnt(0)
	v_readfirstlane_b32 s0, v0
	s_add_i32 s0, s0, -1
	s_cmp_eq_u32 s0, 30
	s_cbranch_scc1 .LBB35_240
; %bb.239:
	s_lshl_b32 s0, s0, 3
	s_nop 0
	scratch_load_dwordx2 v[0:1], off, s0
	scratch_load_dwordx2 v[2:3], off, off offset:240
	s_waitcnt vmcnt(1)
	scratch_store_dwordx2 off, v[0:1], off offset:240
	s_waitcnt vmcnt(1)
	scratch_store_dwordx2 off, v[2:3], s0
.LBB35_240:
	;; [unrolled: 33-line block ×16, first 2 shown]
	v_mov_b32_e32 v0, 0
	global_load_dword v1, v0, s[16:17] offset:4
	s_waitcnt vmcnt(0)
	v_readfirstlane_b32 s0, v1
	s_add_i32 s0, s0, -1
	s_cmp_eq_u32 s0, 1
	s_cbranch_scc1 .LBB35_298
; %bb.297:
	s_lshl_b32 s0, s0, 3
	s_nop 0
	scratch_load_dwordx2 v[2:3], off, s0
	scratch_load_dwordx2 v[4:5], off, off offset:8
	s_waitcnt vmcnt(1)
	scratch_store_dwordx2 off, v[2:3], off offset:8
	s_waitcnt vmcnt(1)
	scratch_store_dwordx2 off, v[4:5], s0
.LBB35_298:
	global_load_dword v2, v0, s[16:17]
	s_nop 0
	scratch_load_dwordx2 v[0:1], off, off
	s_waitcnt vmcnt(1)
	v_readfirstlane_b32 s0, v2
	s_add_i32 s0, s0, -1
	s_cmp_eq_u32 s0, 0
	s_cbranch_scc1 .LBB35_300
; %bb.299:
	s_lshl_b32 s0, s0, 3
	s_nop 0
	scratch_load_dwordx2 v[2:3], off, s0
	s_waitcnt vmcnt(0)
	scratch_store_dwordx2 off, v[2:3], off
	scratch_store_dwordx2 off, v[0:1], s0
	scratch_load_dwordx2 v[0:1], off, off
.LBB35_300:
	s_nop 0
	scratch_load_dwordx4 v[4:7], off, off offset:8
	scratch_load_dwordx4 v[8:11], off, off offset:24
	;; [unrolled: 1-line block ×17, first 2 shown]
	scratch_load_dwordx2 v[2:3], off, off offset:280
	s_waitcnt vmcnt(18)
	global_store_dwordx2 v[114:115], v[0:1], off
	s_waitcnt vmcnt(18)
	global_store_dwordx2 v[116:117], v[4:5], off
	global_store_dwordx2 v[118:119], v[6:7], off
	s_waitcnt vmcnt(19)
	global_store_dwordx2 v[120:121], v[8:9], off
	;; [unrolled: 3-line block ×18, first 2 shown]
	s_endpgm
	.section	.rodata,"a",@progbits
	.p2align	6, 0x0
	.amdhsa_kernel _ZN9rocsolver6v33100L18getri_kernel_smallILi36E19rocblas_complex_numIfEPS3_EEvT1_iilPiilS6_bb
		.amdhsa_group_segment_fixed_size 580
		.amdhsa_private_segment_fixed_size 304
		.amdhsa_kernarg_size 60
		.amdhsa_user_sgpr_count 2
		.amdhsa_user_sgpr_dispatch_ptr 0
		.amdhsa_user_sgpr_queue_ptr 0
		.amdhsa_user_sgpr_kernarg_segment_ptr 1
		.amdhsa_user_sgpr_dispatch_id 0
		.amdhsa_user_sgpr_kernarg_preload_length 0
		.amdhsa_user_sgpr_kernarg_preload_offset 0
		.amdhsa_user_sgpr_private_segment_size 0
		.amdhsa_uses_dynamic_stack 0
		.amdhsa_enable_private_segment 1
		.amdhsa_system_sgpr_workgroup_id_x 1
		.amdhsa_system_sgpr_workgroup_id_y 0
		.amdhsa_system_sgpr_workgroup_id_z 0
		.amdhsa_system_sgpr_workgroup_info 0
		.amdhsa_system_vgpr_workitem_id 0
		.amdhsa_next_free_vgpr 213
		.amdhsa_next_free_sgpr 20
		.amdhsa_accum_offset 216
		.amdhsa_reserve_vcc 1
		.amdhsa_float_round_mode_32 0
		.amdhsa_float_round_mode_16_64 0
		.amdhsa_float_denorm_mode_32 3
		.amdhsa_float_denorm_mode_16_64 3
		.amdhsa_dx10_clamp 1
		.amdhsa_ieee_mode 1
		.amdhsa_fp16_overflow 0
		.amdhsa_tg_split 0
		.amdhsa_exception_fp_ieee_invalid_op 0
		.amdhsa_exception_fp_denorm_src 0
		.amdhsa_exception_fp_ieee_div_zero 0
		.amdhsa_exception_fp_ieee_overflow 0
		.amdhsa_exception_fp_ieee_underflow 0
		.amdhsa_exception_fp_ieee_inexact 0
		.amdhsa_exception_int_div_zero 0
	.end_amdhsa_kernel
	.section	.text._ZN9rocsolver6v33100L18getri_kernel_smallILi36E19rocblas_complex_numIfEPS3_EEvT1_iilPiilS6_bb,"axG",@progbits,_ZN9rocsolver6v33100L18getri_kernel_smallILi36E19rocblas_complex_numIfEPS3_EEvT1_iilPiilS6_bb,comdat
.Lfunc_end35:
	.size	_ZN9rocsolver6v33100L18getri_kernel_smallILi36E19rocblas_complex_numIfEPS3_EEvT1_iilPiilS6_bb, .Lfunc_end35-_ZN9rocsolver6v33100L18getri_kernel_smallILi36E19rocblas_complex_numIfEPS3_EEvT1_iilPiilS6_bb
                                        ; -- End function
	.set _ZN9rocsolver6v33100L18getri_kernel_smallILi36E19rocblas_complex_numIfEPS3_EEvT1_iilPiilS6_bb.num_vgpr, 213
	.set _ZN9rocsolver6v33100L18getri_kernel_smallILi36E19rocblas_complex_numIfEPS3_EEvT1_iilPiilS6_bb.num_agpr, 0
	.set _ZN9rocsolver6v33100L18getri_kernel_smallILi36E19rocblas_complex_numIfEPS3_EEvT1_iilPiilS6_bb.numbered_sgpr, 20
	.set _ZN9rocsolver6v33100L18getri_kernel_smallILi36E19rocblas_complex_numIfEPS3_EEvT1_iilPiilS6_bb.num_named_barrier, 0
	.set _ZN9rocsolver6v33100L18getri_kernel_smallILi36E19rocblas_complex_numIfEPS3_EEvT1_iilPiilS6_bb.private_seg_size, 304
	.set _ZN9rocsolver6v33100L18getri_kernel_smallILi36E19rocblas_complex_numIfEPS3_EEvT1_iilPiilS6_bb.uses_vcc, 1
	.set _ZN9rocsolver6v33100L18getri_kernel_smallILi36E19rocblas_complex_numIfEPS3_EEvT1_iilPiilS6_bb.uses_flat_scratch, 0
	.set _ZN9rocsolver6v33100L18getri_kernel_smallILi36E19rocblas_complex_numIfEPS3_EEvT1_iilPiilS6_bb.has_dyn_sized_stack, 0
	.set _ZN9rocsolver6v33100L18getri_kernel_smallILi36E19rocblas_complex_numIfEPS3_EEvT1_iilPiilS6_bb.has_recursion, 0
	.set _ZN9rocsolver6v33100L18getri_kernel_smallILi36E19rocblas_complex_numIfEPS3_EEvT1_iilPiilS6_bb.has_indirect_call, 0
	.section	.AMDGPU.csdata,"",@progbits
; Kernel info:
; codeLenInByte = 42876
; TotalNumSgprs: 26
; NumVgprs: 213
; NumAgprs: 0
; TotalNumVgprs: 213
; ScratchSize: 304
; MemoryBound: 0
; FloatMode: 240
; IeeeMode: 1
; LDSByteSize: 580 bytes/workgroup (compile time only)
; SGPRBlocks: 3
; VGPRBlocks: 26
; NumSGPRsForWavesPerEU: 26
; NumVGPRsForWavesPerEU: 213
; AccumOffset: 216
; Occupancy: 2
; WaveLimiterHint : 1
; COMPUTE_PGM_RSRC2:SCRATCH_EN: 1
; COMPUTE_PGM_RSRC2:USER_SGPR: 2
; COMPUTE_PGM_RSRC2:TRAP_HANDLER: 0
; COMPUTE_PGM_RSRC2:TGID_X_EN: 1
; COMPUTE_PGM_RSRC2:TGID_Y_EN: 0
; COMPUTE_PGM_RSRC2:TGID_Z_EN: 0
; COMPUTE_PGM_RSRC2:TIDIG_COMP_CNT: 0
; COMPUTE_PGM_RSRC3_GFX90A:ACCUM_OFFSET: 53
; COMPUTE_PGM_RSRC3_GFX90A:TG_SPLIT: 0
	.section	.text._ZN9rocsolver6v33100L18getri_kernel_smallILi37E19rocblas_complex_numIfEPS3_EEvT1_iilPiilS6_bb,"axG",@progbits,_ZN9rocsolver6v33100L18getri_kernel_smallILi37E19rocblas_complex_numIfEPS3_EEvT1_iilPiilS6_bb,comdat
	.globl	_ZN9rocsolver6v33100L18getri_kernel_smallILi37E19rocblas_complex_numIfEPS3_EEvT1_iilPiilS6_bb ; -- Begin function _ZN9rocsolver6v33100L18getri_kernel_smallILi37E19rocblas_complex_numIfEPS3_EEvT1_iilPiilS6_bb
	.p2align	8
	.type	_ZN9rocsolver6v33100L18getri_kernel_smallILi37E19rocblas_complex_numIfEPS3_EEvT1_iilPiilS6_bb,@function
_ZN9rocsolver6v33100L18getri_kernel_smallILi37E19rocblas_complex_numIfEPS3_EEvT1_iilPiilS6_bb: ; @_ZN9rocsolver6v33100L18getri_kernel_smallILi37E19rocblas_complex_numIfEPS3_EEvT1_iilPiilS6_bb
; %bb.0:
	v_cmp_gt_u32_e32 vcc, 37, v0
	s_and_saveexec_b64 s[4:5], vcc
	s_cbranch_execz .LBB36_162
; %bb.1:
	s_load_dword s8, s[0:1], 0x38
	s_load_dwordx4 s[12:15], s[0:1], 0x10
	s_load_dwordx4 s[4:7], s[0:1], 0x28
                                        ; implicit-def: $sgpr16_sgpr17
	s_waitcnt lgkmcnt(0)
	s_bitcmp1_b32 s8, 8
	s_cselect_b64 s[18:19], -1, 0
	s_ashr_i32 s3, s2, 31
	s_bfe_u32 s8, s8, 0x10008
	s_cmp_eq_u32 s8, 0
	s_cbranch_scc1 .LBB36_3
; %bb.2:
	s_load_dword s8, s[0:1], 0x20
	s_mul_i32 s9, s4, s3
	s_mul_hi_u32 s10, s4, s2
	s_mul_i32 s5, s5, s2
	s_add_i32 s10, s10, s9
	s_add_i32 s5, s10, s5
	s_mul_i32 s4, s4, s2
	s_waitcnt lgkmcnt(0)
	s_ashr_i32 s9, s8, 31
	s_lshl_b64 s[4:5], s[4:5], 2
	s_add_u32 s10, s14, s4
	s_addc_u32 s11, s15, s5
	s_lshl_b64 s[4:5], s[8:9], 2
	s_add_u32 s16, s10, s4
	s_addc_u32 s17, s11, s5
.LBB36_3:
	s_load_dwordx4 s[8:11], s[0:1], 0x0
	s_load_dword s4, s[0:1], 0x38
	s_mul_i32 s5, s12, s3
	s_mul_hi_u32 s14, s12, s2
	s_add_i32 s5, s14, s5
	s_waitcnt lgkmcnt(0)
	s_ashr_i32 s1, s10, 31
	s_mov_b32 s0, s10
	s_mul_i32 s10, s13, s2
	s_add_i32 s13, s5, s10
	s_mul_i32 s12, s12, s2
	s_lshl_b64 s[12:13], s[12:13], 3
	s_add_u32 s5, s8, s12
	s_addc_u32 s8, s9, s13
	s_lshl_b64 s[0:1], s[0:1], 3
	s_add_u32 s0, s5, s0
	s_addc_u32 s1, s8, s1
	s_add_i32 s5, s11, s11
	v_add_u32_e32 v4, s5, v0
	v_ashrrev_i32_e32 v5, 31, v4
	v_lshl_add_u64 v[118:119], v[4:5], 3, s[0:1]
	v_add_u32_e32 v4, s11, v4
	v_ashrrev_i32_e32 v5, 31, v4
	v_lshl_add_u64 v[120:121], v[4:5], 3, s[0:1]
	;; [unrolled: 3-line block ×33, first 2 shown]
	v_add_u32_e32 v4, s11, v4
	v_lshlrev_b32_e32 v2, 3, v0
	v_mov_b32_e32 v3, 0
	v_ashrrev_i32_e32 v5, 31, v4
	v_lshl_add_u64 v[114:115], s[0:1], 0, v[2:3]
	s_ashr_i32 s9, s11, 31
	s_mov_b32 s8, s11
	v_lshl_add_u64 v[184:185], v[4:5], 3, s[0:1]
	v_add_u32_e32 v4, s11, v4
	v_lshl_add_u64 v[116:117], s[8:9], 3, v[114:115]
	v_ashrrev_i32_e32 v5, 31, v4
	global_load_dwordx2 v[6:7], v2, s[0:1]
	global_load_dwordx2 v[8:9], v[116:117], off
	global_load_dwordx2 v[10:11], v[118:119], off
	;; [unrolled: 1-line block ×32, first 2 shown]
	v_lshl_add_u64 v[186:187], v[4:5], 3, s[0:1]
	global_load_dwordx2 v[72:73], v[180:181], off
	global_load_dwordx2 v[74:75], v[182:183], off
	global_load_dwordx2 v[76:77], v[184:185], off
	global_load_dwordx2 v[4:5], v[186:187], off
	s_bitcmp0_b32 s4, 0
	s_mov_b64 s[4:5], -1
	s_waitcnt vmcnt(35)
	scratch_store_dwordx4 off, v[6:9], off
	s_waitcnt vmcnt(34)
	scratch_store_dwordx4 off, v[10:13], off offset:16
	s_waitcnt vmcnt(33)
	scratch_store_dwordx4 off, v[14:17], off offset:32
	s_waitcnt vmcnt(32)
	scratch_store_dwordx4 off, v[18:21], off offset:48
	s_waitcnt vmcnt(31)
	scratch_store_dwordx4 off, v[22:25], off offset:64
	s_waitcnt vmcnt(30)
	scratch_store_dwordx4 off, v[26:29], off offset:80
	s_waitcnt vmcnt(29)
	scratch_store_dwordx4 off, v[30:33], off offset:96
	s_waitcnt vmcnt(28)
	scratch_store_dwordx4 off, v[34:37], off offset:112
	s_waitcnt vmcnt(27)
	scratch_store_dwordx4 off, v[38:41], off offset:128
	s_waitcnt vmcnt(26)
	scratch_store_dwordx4 off, v[42:45], off offset:144
	s_waitcnt vmcnt(25)
	scratch_store_dwordx4 off, v[46:49], off offset:160
	s_waitcnt vmcnt(24)
	scratch_store_dwordx4 off, v[50:53], off offset:176
	s_waitcnt vmcnt(23)
	scratch_store_dwordx4 off, v[54:57], off offset:192
	s_waitcnt vmcnt(22)
	scratch_store_dwordx4 off, v[58:61], off offset:208
	s_waitcnt vmcnt(21)
	scratch_store_dwordx4 off, v[62:65], off offset:224
	s_waitcnt vmcnt(20)
	scratch_store_dwordx4 off, v[66:69], off offset:240
	s_waitcnt vmcnt(19)
	scratch_store_dwordx4 off, v[70:73], off offset:256
	s_waitcnt vmcnt(18)
	scratch_store_dwordx4 off, v[74:77], off offset:272
	s_waitcnt vmcnt(18)
	scratch_store_dwordx2 off, v[4:5], off offset:288
	s_cbranch_scc1 .LBB36_160
; %bb.4:
	v_cmp_eq_u32_e64 s[0:1], 0, v0
	s_and_saveexec_b64 s[4:5], s[0:1]
; %bb.5:
	v_mov_b32_e32 v1, 0
	ds_write_b32 v1, v1 offset:296
; %bb.6:
	s_or_b64 exec, exec, s[4:5]
	s_waitcnt lgkmcnt(0)
	; wave barrier
	scratch_load_dwordx2 v[4:5], v2, off
	s_waitcnt vmcnt(0)
	v_cmp_eq_f32_e32 vcc, 0, v4
	v_cmp_eq_f32_e64 s[4:5], 0, v5
	s_and_b64 s[4:5], vcc, s[4:5]
	s_and_saveexec_b64 s[8:9], s[4:5]
	s_cbranch_execz .LBB36_10
; %bb.7:
	v_mov_b32_e32 v1, 0
	ds_read_b32 v4, v1 offset:296
	v_add_u32_e32 v3, 1, v0
	s_waitcnt lgkmcnt(0)
	v_readfirstlane_b32 s4, v4
	s_cmp_eq_u32 s4, 0
	s_cselect_b64 s[10:11], -1, 0
	v_cmp_gt_i32_e32 vcc, s4, v3
	s_or_b64 s[10:11], s[10:11], vcc
	s_and_b64 exec, exec, s[10:11]
	s_cbranch_execz .LBB36_10
; %bb.8:
	s_mov_b64 s[10:11], 0
	v_mov_b32_e32 v4, s4
.LBB36_9:                               ; =>This Inner Loop Header: Depth=1
	ds_cmpst_rtn_b32 v4, v1, v4, v3 offset:296
	s_waitcnt lgkmcnt(0)
	v_cmp_ne_u32_e32 vcc, 0, v4
	v_cmp_le_i32_e64 s[4:5], v4, v3
	s_and_b64 s[4:5], vcc, s[4:5]
	s_and_b64 s[4:5], exec, s[4:5]
	s_or_b64 s[10:11], s[4:5], s[10:11]
	s_andn2_b64 exec, exec, s[10:11]
	s_cbranch_execnz .LBB36_9
.LBB36_10:
	s_or_b64 exec, exec, s[8:9]
	v_mov_b32_e32 v3, 0
	; wave barrier
	ds_read_b32 v1, v3 offset:296
	s_and_saveexec_b64 s[4:5], s[0:1]
	s_cbranch_execz .LBB36_12
; %bb.11:
	s_lshl_b64 s[8:9], s[2:3], 2
	s_add_u32 s8, s6, s8
	s_addc_u32 s9, s7, s9
	s_waitcnt lgkmcnt(0)
	global_store_dword v3, v1, s[8:9]
.LBB36_12:
	s_or_b64 exec, exec, s[4:5]
	s_waitcnt lgkmcnt(0)
	v_cmp_ne_u32_e32 vcc, 0, v1
	s_mov_b64 s[4:5], 0
	s_cbranch_vccnz .LBB36_160
; %bb.13:
	v_mov_b32_e32 v3, v2
	scratch_load_dwordx2 v[4:5], v3, off
                                        ; implicit-def: $vgpr7
                                        ; implicit-def: $vgpr8
	s_waitcnt vmcnt(0)
	v_cmp_ngt_f32_e64 s[4:5], |v4|, |v5|
	s_and_saveexec_b64 s[8:9], s[4:5]
	s_xor_b64 s[4:5], exec, s[8:9]
	s_cbranch_execz .LBB36_15
; %bb.14:
	v_div_scale_f32 v1, s[8:9], v5, v5, v4
	v_rcp_f32_e32 v6, v1
	v_div_scale_f32 v7, vcc, v4, v5, v4
	v_fma_f32 v8, -v1, v6, 1.0
	v_fmac_f32_e32 v6, v8, v6
	v_mul_f32_e32 v8, v7, v6
	v_fma_f32 v9, -v1, v8, v7
	v_fmac_f32_e32 v8, v9, v6
	v_fma_f32 v1, -v1, v8, v7
	v_div_fmas_f32 v1, v1, v6, v8
	v_div_fixup_f32 v1, v1, v5, v4
	v_fmac_f32_e32 v5, v4, v1
	v_div_scale_f32 v4, s[8:9], v5, v5, -1.0
	v_rcp_f32_e32 v6, v4
	s_nop 0
	v_fma_f32 v7, -v4, v6, 1.0
	v_fmac_f32_e32 v6, v7, v6
	v_div_scale_f32 v7, vcc, -1.0, v5, -1.0
	v_mul_f32_e32 v8, v7, v6
	v_fma_f32 v9, -v4, v8, v7
	v_fmac_f32_e32 v8, v9, v6
	v_fma_f32 v4, -v4, v8, v7
	v_div_fmas_f32 v4, v4, v6, v8
	v_div_fixup_f32 v7, v4, v5, -1.0
	v_mul_f32_e32 v8, v1, v7
	v_xor_b32_e32 v6, 0x80000000, v8
                                        ; implicit-def: $vgpr4_vgpr5
.LBB36_15:
	s_andn2_saveexec_b64 s[4:5], s[4:5]
	s_cbranch_execz .LBB36_17
; %bb.16:
	v_div_scale_f32 v1, s[8:9], v4, v4, v5
	v_rcp_f32_e32 v6, v1
	v_div_scale_f32 v7, vcc, v5, v4, v5
	v_fma_f32 v8, -v1, v6, 1.0
	v_fmac_f32_e32 v6, v8, v6
	v_mul_f32_e32 v8, v7, v6
	v_fma_f32 v9, -v1, v8, v7
	v_fmac_f32_e32 v8, v9, v6
	v_fma_f32 v1, -v1, v8, v7
	v_div_fmas_f32 v1, v1, v6, v8
	v_div_fixup_f32 v1, v1, v4, v5
	v_fmac_f32_e32 v4, v5, v1
	v_div_scale_f32 v5, s[8:9], v4, v4, 1.0
	v_rcp_f32_e32 v6, v5
	s_nop 0
	v_fma_f32 v7, -v5, v6, 1.0
	v_fmac_f32_e32 v6, v7, v6
	v_div_scale_f32 v7, vcc, 1.0, v4, 1.0
	v_mul_f32_e32 v8, v7, v6
	v_fma_f32 v9, -v5, v8, v7
	v_fmac_f32_e32 v8, v9, v6
	v_fma_f32 v5, -v5, v8, v7
	v_div_fmas_f32 v5, v5, v6, v8
	v_div_fixup_f32 v6, v5, v4, 1.0
	v_xor_b32_e32 v8, 0x80000000, v6
	v_mul_f32_e64 v7, v1, -v6
.LBB36_17:
	s_or_b64 exec, exec, s[4:5]
	scratch_store_dwordx2 v3, v[6:7], off
	scratch_load_dwordx2 v[4:5], off, off offset:8
	v_xor_b32_e32 v9, 0x80000000, v7
	v_add_u32_e32 v1, 0x130, v2
	s_waitcnt vmcnt(0)
	ds_write2_b64 v2, v[8:9], v[4:5] offset1:38
	s_waitcnt lgkmcnt(0)
	; wave barrier
	s_and_saveexec_b64 s[4:5], s[0:1]
	s_cbranch_execz .LBB36_19
; %bb.18:
	scratch_load_dwordx2 v[4:5], v3, off
	ds_read_b64 v[6:7], v1
	v_mov_b32_e32 v8, 0
	ds_read_b64 v[8:9], v8 offset:8
	s_waitcnt vmcnt(0) lgkmcnt(1)
	v_pk_mul_f32 v[10:11], v[6:7], v[4:5] op_sel:[1,1] op_sel_hi:[0,1]
	v_pk_fma_f32 v[12:13], v[6:7], v[4:5], v[10:11] neg_lo:[0,0,1] neg_hi:[0,0,1]
	v_pk_fma_f32 v[4:5], v[6:7], v[4:5], v[10:11] op_sel_hi:[1,0,1]
	s_nop 0
	v_mov_b32_e32 v13, v5
	v_pk_add_f32 v[4:5], v[12:13], 0 op_sel_hi:[1,0]
	s_waitcnt lgkmcnt(0)
	v_pk_mul_f32 v[6:7], v[4:5], v[8:9] op_sel:[1,1] op_sel_hi:[0,1]
	v_pk_fma_f32 v[10:11], v[4:5], v[8:9], v[6:7] neg_lo:[0,0,1] neg_hi:[0,0,1]
	v_pk_fma_f32 v[4:5], v[4:5], v[8:9], v[6:7] op_sel_hi:[1,0,1]
	s_nop 0
	v_mov_b32_e32 v11, v5
	scratch_store_dwordx2 off, v[10:11], off offset:8
.LBB36_19:
	s_or_b64 exec, exec, s[4:5]
	; wave barrier
	scratch_load_dwordx2 v[4:5], off, off offset:16
	v_cmp_gt_u32_e32 vcc, 2, v0
	s_waitcnt vmcnt(0)
	ds_write_b64 v1, v[4:5]
	s_waitcnt lgkmcnt(0)
	; wave barrier
	s_and_saveexec_b64 s[4:5], vcc
	s_cbranch_execz .LBB36_23
; %bb.20:
	scratch_load_dwordx2 v[4:5], v3, off
	ds_read_b64 v[6:7], v1
	s_waitcnt vmcnt(0) lgkmcnt(0)
	v_pk_mul_f32 v[8:9], v[6:7], v[4:5] op_sel:[1,1] op_sel_hi:[0,1]
	v_pk_fma_f32 v[10:11], v[6:7], v[4:5], v[8:9] neg_lo:[0,0,1] neg_hi:[0,0,1]
	v_pk_fma_f32 v[4:5], v[6:7], v[4:5], v[8:9] op_sel_hi:[1,0,1]
	s_nop 0
	v_mov_b32_e32 v11, v5
	v_pk_add_f32 v[4:5], v[10:11], 0 op_sel_hi:[1,0]
	s_and_saveexec_b64 s[8:9], s[0:1]
	s_cbranch_execz .LBB36_22
; %bb.21:
	scratch_load_dwordx2 v[6:7], off, off offset:8
	v_mov_b32_e32 v3, 0
	ds_read_b64 v[8:9], v3 offset:312
	s_waitcnt vmcnt(0) lgkmcnt(0)
	v_pk_mul_f32 v[10:11], v[8:9], v[6:7] op_sel:[1,1] op_sel_hi:[0,1]
	v_pk_fma_f32 v[12:13], v[8:9], v[6:7], v[10:11] neg_lo:[0,0,1] neg_hi:[0,0,1]
	v_pk_fma_f32 v[6:7], v[8:9], v[6:7], v[10:11] op_sel_hi:[1,0,1]
	s_nop 0
	v_mov_b32_e32 v13, v7
	v_pk_add_f32 v[4:5], v[4:5], v[12:13]
.LBB36_22:
	s_or_b64 exec, exec, s[8:9]
	v_mov_b32_e32 v3, 0
	ds_read_b64 v[6:7], v3 offset:16
	s_waitcnt lgkmcnt(0)
	v_pk_mul_f32 v[8:9], v[4:5], v[6:7] op_sel:[1,1] op_sel_hi:[0,1]
	v_pk_fma_f32 v[10:11], v[4:5], v[6:7], v[8:9] neg_lo:[0,0,1] neg_hi:[0,0,1]
	v_pk_fma_f32 v[4:5], v[4:5], v[6:7], v[8:9] op_sel_hi:[1,0,1]
	s_nop 0
	v_mov_b32_e32 v11, v5
	scratch_store_dwordx2 off, v[10:11], off offset:16
.LBB36_23:
	s_or_b64 exec, exec, s[4:5]
	; wave barrier
	scratch_load_dwordx2 v[4:5], off, off offset:24
	v_cmp_gt_u32_e32 vcc, 3, v0
	v_add_u32_e32 v6, -1, v0
	s_waitcnt vmcnt(0)
	ds_write_b64 v1, v[4:5]
	s_waitcnt lgkmcnt(0)
	; wave barrier
	s_and_saveexec_b64 s[0:1], vcc
	s_cbranch_execz .LBB36_27
; %bb.24:
	v_mov_b32_e32 v4, 0
	v_add_u32_e32 v3, -1, v0
	v_add_u32_e32 v7, 0x130, v2
	v_mov_b32_e32 v8, v2
	s_mov_b64 s[4:5], 0
	v_mov_b32_e32 v5, v4
.LBB36_25:                              ; =>This Inner Loop Header: Depth=1
	scratch_load_dwordx2 v[10:11], v8, off
	ds_read_b64 v[12:13], v7
	v_add_u32_e32 v3, 1, v3
	v_cmp_lt_u32_e32 vcc, 1, v3
	v_add_u32_e32 v7, 8, v7
	v_add_u32_e32 v8, 8, v8
	s_or_b64 s[4:5], vcc, s[4:5]
	s_waitcnt vmcnt(0) lgkmcnt(0)
	v_pk_mul_f32 v[14:15], v[12:13], v[10:11] op_sel:[1,1] op_sel_hi:[0,1]
	v_pk_fma_f32 v[16:17], v[12:13], v[10:11], v[14:15] neg_lo:[0,0,1] neg_hi:[0,0,1]
	v_pk_fma_f32 v[10:11], v[12:13], v[10:11], v[14:15] op_sel_hi:[1,0,1]
	s_nop 0
	v_mov_b32_e32 v17, v11
	v_pk_add_f32 v[4:5], v[4:5], v[16:17]
	s_andn2_b64 exec, exec, s[4:5]
	s_cbranch_execnz .LBB36_25
; %bb.26:
	s_or_b64 exec, exec, s[4:5]
	v_mov_b32_e32 v3, 0
	ds_read_b64 v[8:9], v3 offset:24
	s_waitcnt lgkmcnt(0)
	v_pk_mul_f32 v[10:11], v[4:5], v[8:9] op_sel:[1,1] op_sel_hi:[0,1]
	v_pk_fma_f32 v[12:13], v[4:5], v[8:9], v[10:11] neg_lo:[0,0,1] neg_hi:[0,0,1]
	v_pk_fma_f32 v[4:5], v[4:5], v[8:9], v[10:11] op_sel_hi:[1,0,1]
	s_nop 0
	v_mov_b32_e32 v13, v5
	scratch_store_dwordx2 off, v[12:13], off offset:24
.LBB36_27:
	s_or_b64 exec, exec, s[0:1]
	; wave barrier
	scratch_load_dwordx2 v[4:5], off, off offset:32
	v_cmp_gt_u32_e32 vcc, 4, v0
	s_waitcnt vmcnt(0)
	ds_write_b64 v1, v[4:5]
	s_waitcnt lgkmcnt(0)
	; wave barrier
	s_and_saveexec_b64 s[0:1], vcc
	s_cbranch_execz .LBB36_31
; %bb.28:
	v_mov_b32_e32 v4, 0
	v_add_u32_e32 v3, -1, v0
	v_add_u32_e32 v7, 0x130, v2
	v_mov_b32_e32 v8, v2
	s_mov_b64 s[4:5], 0
	v_mov_b32_e32 v5, v4
.LBB36_29:                              ; =>This Inner Loop Header: Depth=1
	scratch_load_dwordx2 v[10:11], v8, off
	ds_read_b64 v[12:13], v7
	v_add_u32_e32 v3, 1, v3
	v_cmp_lt_u32_e32 vcc, 2, v3
	v_add_u32_e32 v7, 8, v7
	v_add_u32_e32 v8, 8, v8
	s_or_b64 s[4:5], vcc, s[4:5]
	s_waitcnt vmcnt(0) lgkmcnt(0)
	v_pk_mul_f32 v[14:15], v[12:13], v[10:11] op_sel:[1,1] op_sel_hi:[0,1]
	v_pk_fma_f32 v[16:17], v[12:13], v[10:11], v[14:15] neg_lo:[0,0,1] neg_hi:[0,0,1]
	v_pk_fma_f32 v[10:11], v[12:13], v[10:11], v[14:15] op_sel_hi:[1,0,1]
	s_nop 0
	v_mov_b32_e32 v17, v11
	v_pk_add_f32 v[4:5], v[4:5], v[16:17]
	s_andn2_b64 exec, exec, s[4:5]
	s_cbranch_execnz .LBB36_29
; %bb.30:
	s_or_b64 exec, exec, s[4:5]
	v_mov_b32_e32 v3, 0
	ds_read_b64 v[8:9], v3 offset:32
	s_waitcnt lgkmcnt(0)
	v_pk_mul_f32 v[10:11], v[4:5], v[8:9] op_sel:[1,1] op_sel_hi:[0,1]
	v_pk_fma_f32 v[12:13], v[4:5], v[8:9], v[10:11] neg_lo:[0,0,1] neg_hi:[0,0,1]
	v_pk_fma_f32 v[4:5], v[4:5], v[8:9], v[10:11] op_sel_hi:[1,0,1]
	s_nop 0
	v_mov_b32_e32 v13, v5
	scratch_store_dwordx2 off, v[12:13], off offset:32
.LBB36_31:
	s_or_b64 exec, exec, s[0:1]
	; wave barrier
	scratch_load_dwordx2 v[4:5], off, off offset:40
	v_cmp_gt_u32_e32 vcc, 5, v0
	s_waitcnt vmcnt(0)
	ds_write_b64 v1, v[4:5]
	s_waitcnt lgkmcnt(0)
	; wave barrier
	s_and_saveexec_b64 s[0:1], vcc
	s_cbranch_execz .LBB36_35
; %bb.32:
	v_mov_b32_e32 v4, 0
	v_add_u32_e32 v3, -1, v0
	v_add_u32_e32 v7, 0x130, v2
	v_mov_b32_e32 v8, v2
	s_mov_b64 s[4:5], 0
	v_mov_b32_e32 v5, v4
.LBB36_33:                              ; =>This Inner Loop Header: Depth=1
	scratch_load_dwordx2 v[10:11], v8, off
	ds_read_b64 v[12:13], v7
	v_add_u32_e32 v3, 1, v3
	v_cmp_lt_u32_e32 vcc, 3, v3
	v_add_u32_e32 v7, 8, v7
	v_add_u32_e32 v8, 8, v8
	s_or_b64 s[4:5], vcc, s[4:5]
	s_waitcnt vmcnt(0) lgkmcnt(0)
	v_pk_mul_f32 v[14:15], v[12:13], v[10:11] op_sel:[1,1] op_sel_hi:[0,1]
	v_pk_fma_f32 v[16:17], v[12:13], v[10:11], v[14:15] neg_lo:[0,0,1] neg_hi:[0,0,1]
	v_pk_fma_f32 v[10:11], v[12:13], v[10:11], v[14:15] op_sel_hi:[1,0,1]
	s_nop 0
	v_mov_b32_e32 v17, v11
	v_pk_add_f32 v[4:5], v[4:5], v[16:17]
	s_andn2_b64 exec, exec, s[4:5]
	s_cbranch_execnz .LBB36_33
; %bb.34:
	s_or_b64 exec, exec, s[4:5]
	v_mov_b32_e32 v3, 0
	ds_read_b64 v[8:9], v3 offset:40
	s_waitcnt lgkmcnt(0)
	v_pk_mul_f32 v[10:11], v[4:5], v[8:9] op_sel:[1,1] op_sel_hi:[0,1]
	v_pk_fma_f32 v[12:13], v[4:5], v[8:9], v[10:11] neg_lo:[0,0,1] neg_hi:[0,0,1]
	v_pk_fma_f32 v[4:5], v[4:5], v[8:9], v[10:11] op_sel_hi:[1,0,1]
	s_nop 0
	v_mov_b32_e32 v13, v5
	scratch_store_dwordx2 off, v[12:13], off offset:40
.LBB36_35:
	s_or_b64 exec, exec, s[0:1]
	; wave barrier
	scratch_load_dwordx2 v[4:5], off, off offset:48
	v_cmp_gt_u32_e32 vcc, 6, v0
	s_waitcnt vmcnt(0)
	ds_write_b64 v1, v[4:5]
	s_waitcnt lgkmcnt(0)
	; wave barrier
	s_and_saveexec_b64 s[0:1], vcc
	s_cbranch_execz .LBB36_39
; %bb.36:
	v_mov_b32_e32 v4, 0
	v_add_u32_e32 v3, -1, v0
	v_add_u32_e32 v7, 0x130, v2
	v_mov_b32_e32 v8, v2
	s_mov_b64 s[4:5], 0
	v_mov_b32_e32 v5, v4
.LBB36_37:                              ; =>This Inner Loop Header: Depth=1
	scratch_load_dwordx2 v[10:11], v8, off
	ds_read_b64 v[12:13], v7
	v_add_u32_e32 v3, 1, v3
	v_cmp_lt_u32_e32 vcc, 4, v3
	v_add_u32_e32 v7, 8, v7
	v_add_u32_e32 v8, 8, v8
	s_or_b64 s[4:5], vcc, s[4:5]
	s_waitcnt vmcnt(0) lgkmcnt(0)
	v_pk_mul_f32 v[14:15], v[12:13], v[10:11] op_sel:[1,1] op_sel_hi:[0,1]
	v_pk_fma_f32 v[16:17], v[12:13], v[10:11], v[14:15] neg_lo:[0,0,1] neg_hi:[0,0,1]
	v_pk_fma_f32 v[10:11], v[12:13], v[10:11], v[14:15] op_sel_hi:[1,0,1]
	s_nop 0
	v_mov_b32_e32 v17, v11
	v_pk_add_f32 v[4:5], v[4:5], v[16:17]
	s_andn2_b64 exec, exec, s[4:5]
	s_cbranch_execnz .LBB36_37
; %bb.38:
	s_or_b64 exec, exec, s[4:5]
	v_mov_b32_e32 v3, 0
	ds_read_b64 v[8:9], v3 offset:48
	s_waitcnt lgkmcnt(0)
	v_pk_mul_f32 v[10:11], v[4:5], v[8:9] op_sel:[1,1] op_sel_hi:[0,1]
	v_pk_fma_f32 v[12:13], v[4:5], v[8:9], v[10:11] neg_lo:[0,0,1] neg_hi:[0,0,1]
	v_pk_fma_f32 v[4:5], v[4:5], v[8:9], v[10:11] op_sel_hi:[1,0,1]
	s_nop 0
	v_mov_b32_e32 v13, v5
	scratch_store_dwordx2 off, v[12:13], off offset:48
.LBB36_39:
	s_or_b64 exec, exec, s[0:1]
	; wave barrier
	scratch_load_dwordx2 v[4:5], off, off offset:56
	v_cmp_gt_u32_e32 vcc, 7, v0
	s_waitcnt vmcnt(0)
	ds_write_b64 v1, v[4:5]
	s_waitcnt lgkmcnt(0)
	; wave barrier
	s_and_saveexec_b64 s[0:1], vcc
	s_cbranch_execz .LBB36_43
; %bb.40:
	v_mov_b32_e32 v4, 0
	v_add_u32_e32 v3, -1, v0
	v_add_u32_e32 v7, 0x130, v2
	v_mov_b32_e32 v8, v2
	s_mov_b64 s[4:5], 0
	v_mov_b32_e32 v5, v4
.LBB36_41:                              ; =>This Inner Loop Header: Depth=1
	scratch_load_dwordx2 v[10:11], v8, off
	ds_read_b64 v[12:13], v7
	v_add_u32_e32 v3, 1, v3
	v_cmp_lt_u32_e32 vcc, 5, v3
	v_add_u32_e32 v7, 8, v7
	v_add_u32_e32 v8, 8, v8
	s_or_b64 s[4:5], vcc, s[4:5]
	s_waitcnt vmcnt(0) lgkmcnt(0)
	v_pk_mul_f32 v[14:15], v[12:13], v[10:11] op_sel:[1,1] op_sel_hi:[0,1]
	v_pk_fma_f32 v[16:17], v[12:13], v[10:11], v[14:15] neg_lo:[0,0,1] neg_hi:[0,0,1]
	v_pk_fma_f32 v[10:11], v[12:13], v[10:11], v[14:15] op_sel_hi:[1,0,1]
	s_nop 0
	v_mov_b32_e32 v17, v11
	v_pk_add_f32 v[4:5], v[4:5], v[16:17]
	s_andn2_b64 exec, exec, s[4:5]
	s_cbranch_execnz .LBB36_41
; %bb.42:
	s_or_b64 exec, exec, s[4:5]
	v_mov_b32_e32 v3, 0
	ds_read_b64 v[8:9], v3 offset:56
	s_waitcnt lgkmcnt(0)
	v_pk_mul_f32 v[10:11], v[4:5], v[8:9] op_sel:[1,1] op_sel_hi:[0,1]
	v_pk_fma_f32 v[12:13], v[4:5], v[8:9], v[10:11] neg_lo:[0,0,1] neg_hi:[0,0,1]
	v_pk_fma_f32 v[4:5], v[4:5], v[8:9], v[10:11] op_sel_hi:[1,0,1]
	s_nop 0
	v_mov_b32_e32 v13, v5
	scratch_store_dwordx2 off, v[12:13], off offset:56
.LBB36_43:
	s_or_b64 exec, exec, s[0:1]
	; wave barrier
	scratch_load_dwordx2 v[4:5], off, off offset:64
	v_cmp_gt_u32_e32 vcc, 8, v0
	s_waitcnt vmcnt(0)
	ds_write_b64 v1, v[4:5]
	s_waitcnt lgkmcnt(0)
	; wave barrier
	s_and_saveexec_b64 s[0:1], vcc
	s_cbranch_execz .LBB36_47
; %bb.44:
	v_mov_b32_e32 v4, 0
	v_add_u32_e32 v3, -1, v0
	v_add_u32_e32 v7, 0x130, v2
	v_mov_b32_e32 v8, v2
	s_mov_b64 s[4:5], 0
	v_mov_b32_e32 v5, v4
.LBB36_45:                              ; =>This Inner Loop Header: Depth=1
	scratch_load_dwordx2 v[10:11], v8, off
	ds_read_b64 v[12:13], v7
	v_add_u32_e32 v3, 1, v3
	v_cmp_lt_u32_e32 vcc, 6, v3
	v_add_u32_e32 v7, 8, v7
	v_add_u32_e32 v8, 8, v8
	s_or_b64 s[4:5], vcc, s[4:5]
	s_waitcnt vmcnt(0) lgkmcnt(0)
	v_pk_mul_f32 v[14:15], v[12:13], v[10:11] op_sel:[1,1] op_sel_hi:[0,1]
	v_pk_fma_f32 v[16:17], v[12:13], v[10:11], v[14:15] neg_lo:[0,0,1] neg_hi:[0,0,1]
	v_pk_fma_f32 v[10:11], v[12:13], v[10:11], v[14:15] op_sel_hi:[1,0,1]
	s_nop 0
	v_mov_b32_e32 v17, v11
	v_pk_add_f32 v[4:5], v[4:5], v[16:17]
	s_andn2_b64 exec, exec, s[4:5]
	s_cbranch_execnz .LBB36_45
; %bb.46:
	s_or_b64 exec, exec, s[4:5]
	v_mov_b32_e32 v3, 0
	ds_read_b64 v[8:9], v3 offset:64
	s_waitcnt lgkmcnt(0)
	v_pk_mul_f32 v[10:11], v[4:5], v[8:9] op_sel:[1,1] op_sel_hi:[0,1]
	v_pk_fma_f32 v[12:13], v[4:5], v[8:9], v[10:11] neg_lo:[0,0,1] neg_hi:[0,0,1]
	v_pk_fma_f32 v[4:5], v[4:5], v[8:9], v[10:11] op_sel_hi:[1,0,1]
	s_nop 0
	v_mov_b32_e32 v13, v5
	scratch_store_dwordx2 off, v[12:13], off offset:64
.LBB36_47:
	s_or_b64 exec, exec, s[0:1]
	; wave barrier
	scratch_load_dwordx2 v[4:5], off, off offset:72
	v_cmp_gt_u32_e32 vcc, 9, v0
	s_waitcnt vmcnt(0)
	ds_write_b64 v1, v[4:5]
	s_waitcnt lgkmcnt(0)
	; wave barrier
	s_and_saveexec_b64 s[0:1], vcc
	s_cbranch_execz .LBB36_51
; %bb.48:
	v_mov_b32_e32 v4, 0
	v_add_u32_e32 v3, -1, v0
	v_add_u32_e32 v7, 0x130, v2
	v_mov_b32_e32 v8, v2
	s_mov_b64 s[4:5], 0
	v_mov_b32_e32 v5, v4
.LBB36_49:                              ; =>This Inner Loop Header: Depth=1
	scratch_load_dwordx2 v[10:11], v8, off
	ds_read_b64 v[12:13], v7
	v_add_u32_e32 v3, 1, v3
	v_cmp_lt_u32_e32 vcc, 7, v3
	v_add_u32_e32 v7, 8, v7
	v_add_u32_e32 v8, 8, v8
	s_or_b64 s[4:5], vcc, s[4:5]
	s_waitcnt vmcnt(0) lgkmcnt(0)
	v_pk_mul_f32 v[14:15], v[12:13], v[10:11] op_sel:[1,1] op_sel_hi:[0,1]
	v_pk_fma_f32 v[16:17], v[12:13], v[10:11], v[14:15] neg_lo:[0,0,1] neg_hi:[0,0,1]
	v_pk_fma_f32 v[10:11], v[12:13], v[10:11], v[14:15] op_sel_hi:[1,0,1]
	s_nop 0
	v_mov_b32_e32 v17, v11
	v_pk_add_f32 v[4:5], v[4:5], v[16:17]
	s_andn2_b64 exec, exec, s[4:5]
	s_cbranch_execnz .LBB36_49
; %bb.50:
	s_or_b64 exec, exec, s[4:5]
	v_mov_b32_e32 v3, 0
	ds_read_b64 v[8:9], v3 offset:72
	s_waitcnt lgkmcnt(0)
	v_pk_mul_f32 v[10:11], v[4:5], v[8:9] op_sel:[1,1] op_sel_hi:[0,1]
	v_pk_fma_f32 v[12:13], v[4:5], v[8:9], v[10:11] neg_lo:[0,0,1] neg_hi:[0,0,1]
	v_pk_fma_f32 v[4:5], v[4:5], v[8:9], v[10:11] op_sel_hi:[1,0,1]
	s_nop 0
	v_mov_b32_e32 v13, v5
	scratch_store_dwordx2 off, v[12:13], off offset:72
.LBB36_51:
	s_or_b64 exec, exec, s[0:1]
	; wave barrier
	scratch_load_dwordx2 v[4:5], off, off offset:80
	v_cmp_gt_u32_e32 vcc, 10, v0
	s_waitcnt vmcnt(0)
	ds_write_b64 v1, v[4:5]
	s_waitcnt lgkmcnt(0)
	; wave barrier
	s_and_saveexec_b64 s[0:1], vcc
	s_cbranch_execz .LBB36_55
; %bb.52:
	v_mov_b32_e32 v4, 0
	v_add_u32_e32 v3, -1, v0
	v_add_u32_e32 v7, 0x130, v2
	v_mov_b32_e32 v8, v2
	s_mov_b64 s[4:5], 0
	v_mov_b32_e32 v5, v4
.LBB36_53:                              ; =>This Inner Loop Header: Depth=1
	scratch_load_dwordx2 v[10:11], v8, off
	ds_read_b64 v[12:13], v7
	v_add_u32_e32 v3, 1, v3
	v_cmp_lt_u32_e32 vcc, 8, v3
	v_add_u32_e32 v7, 8, v7
	v_add_u32_e32 v8, 8, v8
	s_or_b64 s[4:5], vcc, s[4:5]
	s_waitcnt vmcnt(0) lgkmcnt(0)
	v_pk_mul_f32 v[14:15], v[12:13], v[10:11] op_sel:[1,1] op_sel_hi:[0,1]
	v_pk_fma_f32 v[16:17], v[12:13], v[10:11], v[14:15] neg_lo:[0,0,1] neg_hi:[0,0,1]
	v_pk_fma_f32 v[10:11], v[12:13], v[10:11], v[14:15] op_sel_hi:[1,0,1]
	s_nop 0
	v_mov_b32_e32 v17, v11
	v_pk_add_f32 v[4:5], v[4:5], v[16:17]
	s_andn2_b64 exec, exec, s[4:5]
	s_cbranch_execnz .LBB36_53
; %bb.54:
	s_or_b64 exec, exec, s[4:5]
	v_mov_b32_e32 v3, 0
	ds_read_b64 v[8:9], v3 offset:80
	s_waitcnt lgkmcnt(0)
	v_pk_mul_f32 v[10:11], v[4:5], v[8:9] op_sel:[1,1] op_sel_hi:[0,1]
	v_pk_fma_f32 v[12:13], v[4:5], v[8:9], v[10:11] neg_lo:[0,0,1] neg_hi:[0,0,1]
	v_pk_fma_f32 v[4:5], v[4:5], v[8:9], v[10:11] op_sel_hi:[1,0,1]
	s_nop 0
	v_mov_b32_e32 v13, v5
	scratch_store_dwordx2 off, v[12:13], off offset:80
.LBB36_55:
	s_or_b64 exec, exec, s[0:1]
	; wave barrier
	scratch_load_dwordx2 v[4:5], off, off offset:88
	v_cmp_gt_u32_e32 vcc, 11, v0
	s_waitcnt vmcnt(0)
	ds_write_b64 v1, v[4:5]
	s_waitcnt lgkmcnt(0)
	; wave barrier
	s_and_saveexec_b64 s[0:1], vcc
	s_cbranch_execz .LBB36_59
; %bb.56:
	v_mov_b32_e32 v4, 0
	v_add_u32_e32 v3, -1, v0
	v_add_u32_e32 v7, 0x130, v2
	v_mov_b32_e32 v8, v2
	s_mov_b64 s[4:5], 0
	v_mov_b32_e32 v5, v4
.LBB36_57:                              ; =>This Inner Loop Header: Depth=1
	scratch_load_dwordx2 v[10:11], v8, off
	ds_read_b64 v[12:13], v7
	v_add_u32_e32 v3, 1, v3
	v_cmp_lt_u32_e32 vcc, 9, v3
	v_add_u32_e32 v7, 8, v7
	v_add_u32_e32 v8, 8, v8
	s_or_b64 s[4:5], vcc, s[4:5]
	s_waitcnt vmcnt(0) lgkmcnt(0)
	v_pk_mul_f32 v[14:15], v[12:13], v[10:11] op_sel:[1,1] op_sel_hi:[0,1]
	v_pk_fma_f32 v[16:17], v[12:13], v[10:11], v[14:15] neg_lo:[0,0,1] neg_hi:[0,0,1]
	v_pk_fma_f32 v[10:11], v[12:13], v[10:11], v[14:15] op_sel_hi:[1,0,1]
	s_nop 0
	v_mov_b32_e32 v17, v11
	v_pk_add_f32 v[4:5], v[4:5], v[16:17]
	s_andn2_b64 exec, exec, s[4:5]
	s_cbranch_execnz .LBB36_57
; %bb.58:
	s_or_b64 exec, exec, s[4:5]
	v_mov_b32_e32 v3, 0
	ds_read_b64 v[8:9], v3 offset:88
	s_waitcnt lgkmcnt(0)
	v_pk_mul_f32 v[10:11], v[4:5], v[8:9] op_sel:[1,1] op_sel_hi:[0,1]
	v_pk_fma_f32 v[12:13], v[4:5], v[8:9], v[10:11] neg_lo:[0,0,1] neg_hi:[0,0,1]
	v_pk_fma_f32 v[4:5], v[4:5], v[8:9], v[10:11] op_sel_hi:[1,0,1]
	s_nop 0
	v_mov_b32_e32 v13, v5
	scratch_store_dwordx2 off, v[12:13], off offset:88
.LBB36_59:
	s_or_b64 exec, exec, s[0:1]
	; wave barrier
	scratch_load_dwordx2 v[4:5], off, off offset:96
	v_cmp_gt_u32_e32 vcc, 12, v0
	s_waitcnt vmcnt(0)
	ds_write_b64 v1, v[4:5]
	s_waitcnt lgkmcnt(0)
	; wave barrier
	s_and_saveexec_b64 s[0:1], vcc
	s_cbranch_execz .LBB36_63
; %bb.60:
	v_mov_b32_e32 v4, 0
	v_add_u32_e32 v3, -1, v0
	v_add_u32_e32 v7, 0x130, v2
	v_mov_b32_e32 v8, v2
	s_mov_b64 s[4:5], 0
	v_mov_b32_e32 v5, v4
.LBB36_61:                              ; =>This Inner Loop Header: Depth=1
	scratch_load_dwordx2 v[10:11], v8, off
	ds_read_b64 v[12:13], v7
	v_add_u32_e32 v3, 1, v3
	v_cmp_lt_u32_e32 vcc, 10, v3
	v_add_u32_e32 v7, 8, v7
	v_add_u32_e32 v8, 8, v8
	s_or_b64 s[4:5], vcc, s[4:5]
	s_waitcnt vmcnt(0) lgkmcnt(0)
	v_pk_mul_f32 v[14:15], v[12:13], v[10:11] op_sel:[1,1] op_sel_hi:[0,1]
	v_pk_fma_f32 v[16:17], v[12:13], v[10:11], v[14:15] neg_lo:[0,0,1] neg_hi:[0,0,1]
	v_pk_fma_f32 v[10:11], v[12:13], v[10:11], v[14:15] op_sel_hi:[1,0,1]
	s_nop 0
	v_mov_b32_e32 v17, v11
	v_pk_add_f32 v[4:5], v[4:5], v[16:17]
	s_andn2_b64 exec, exec, s[4:5]
	s_cbranch_execnz .LBB36_61
; %bb.62:
	s_or_b64 exec, exec, s[4:5]
	v_mov_b32_e32 v3, 0
	ds_read_b64 v[8:9], v3 offset:96
	s_waitcnt lgkmcnt(0)
	v_pk_mul_f32 v[10:11], v[4:5], v[8:9] op_sel:[1,1] op_sel_hi:[0,1]
	v_pk_fma_f32 v[12:13], v[4:5], v[8:9], v[10:11] neg_lo:[0,0,1] neg_hi:[0,0,1]
	v_pk_fma_f32 v[4:5], v[4:5], v[8:9], v[10:11] op_sel_hi:[1,0,1]
	s_nop 0
	v_mov_b32_e32 v13, v5
	scratch_store_dwordx2 off, v[12:13], off offset:96
.LBB36_63:
	s_or_b64 exec, exec, s[0:1]
	; wave barrier
	scratch_load_dwordx2 v[4:5], off, off offset:104
	v_cmp_gt_u32_e32 vcc, 13, v0
	s_waitcnt vmcnt(0)
	ds_write_b64 v1, v[4:5]
	s_waitcnt lgkmcnt(0)
	; wave barrier
	s_and_saveexec_b64 s[0:1], vcc
	s_cbranch_execz .LBB36_67
; %bb.64:
	v_mov_b32_e32 v4, 0
	v_add_u32_e32 v3, -1, v0
	v_add_u32_e32 v7, 0x130, v2
	v_mov_b32_e32 v8, v2
	s_mov_b64 s[4:5], 0
	v_mov_b32_e32 v5, v4
.LBB36_65:                              ; =>This Inner Loop Header: Depth=1
	scratch_load_dwordx2 v[10:11], v8, off
	ds_read_b64 v[12:13], v7
	v_add_u32_e32 v3, 1, v3
	v_cmp_lt_u32_e32 vcc, 11, v3
	v_add_u32_e32 v7, 8, v7
	v_add_u32_e32 v8, 8, v8
	s_or_b64 s[4:5], vcc, s[4:5]
	s_waitcnt vmcnt(0) lgkmcnt(0)
	v_pk_mul_f32 v[14:15], v[12:13], v[10:11] op_sel:[1,1] op_sel_hi:[0,1]
	v_pk_fma_f32 v[16:17], v[12:13], v[10:11], v[14:15] neg_lo:[0,0,1] neg_hi:[0,0,1]
	v_pk_fma_f32 v[10:11], v[12:13], v[10:11], v[14:15] op_sel_hi:[1,0,1]
	s_nop 0
	v_mov_b32_e32 v17, v11
	v_pk_add_f32 v[4:5], v[4:5], v[16:17]
	s_andn2_b64 exec, exec, s[4:5]
	s_cbranch_execnz .LBB36_65
; %bb.66:
	s_or_b64 exec, exec, s[4:5]
	v_mov_b32_e32 v3, 0
	ds_read_b64 v[8:9], v3 offset:104
	s_waitcnt lgkmcnt(0)
	v_pk_mul_f32 v[10:11], v[4:5], v[8:9] op_sel:[1,1] op_sel_hi:[0,1]
	v_pk_fma_f32 v[12:13], v[4:5], v[8:9], v[10:11] neg_lo:[0,0,1] neg_hi:[0,0,1]
	v_pk_fma_f32 v[4:5], v[4:5], v[8:9], v[10:11] op_sel_hi:[1,0,1]
	s_nop 0
	v_mov_b32_e32 v13, v5
	scratch_store_dwordx2 off, v[12:13], off offset:104
.LBB36_67:
	s_or_b64 exec, exec, s[0:1]
	; wave barrier
	scratch_load_dwordx2 v[4:5], off, off offset:112
	v_cmp_gt_u32_e32 vcc, 14, v0
	s_waitcnt vmcnt(0)
	ds_write_b64 v1, v[4:5]
	s_waitcnt lgkmcnt(0)
	; wave barrier
	s_and_saveexec_b64 s[0:1], vcc
	s_cbranch_execz .LBB36_71
; %bb.68:
	v_mov_b32_e32 v4, 0
	v_add_u32_e32 v3, -1, v0
	v_add_u32_e32 v7, 0x130, v2
	v_mov_b32_e32 v8, v2
	s_mov_b64 s[4:5], 0
	v_mov_b32_e32 v5, v4
.LBB36_69:                              ; =>This Inner Loop Header: Depth=1
	scratch_load_dwordx2 v[10:11], v8, off
	ds_read_b64 v[12:13], v7
	v_add_u32_e32 v3, 1, v3
	v_cmp_lt_u32_e32 vcc, 12, v3
	v_add_u32_e32 v7, 8, v7
	v_add_u32_e32 v8, 8, v8
	s_or_b64 s[4:5], vcc, s[4:5]
	s_waitcnt vmcnt(0) lgkmcnt(0)
	v_pk_mul_f32 v[14:15], v[12:13], v[10:11] op_sel:[1,1] op_sel_hi:[0,1]
	v_pk_fma_f32 v[16:17], v[12:13], v[10:11], v[14:15] neg_lo:[0,0,1] neg_hi:[0,0,1]
	v_pk_fma_f32 v[10:11], v[12:13], v[10:11], v[14:15] op_sel_hi:[1,0,1]
	s_nop 0
	v_mov_b32_e32 v17, v11
	v_pk_add_f32 v[4:5], v[4:5], v[16:17]
	s_andn2_b64 exec, exec, s[4:5]
	s_cbranch_execnz .LBB36_69
; %bb.70:
	s_or_b64 exec, exec, s[4:5]
	v_mov_b32_e32 v3, 0
	ds_read_b64 v[8:9], v3 offset:112
	s_waitcnt lgkmcnt(0)
	v_pk_mul_f32 v[10:11], v[4:5], v[8:9] op_sel:[1,1] op_sel_hi:[0,1]
	v_pk_fma_f32 v[12:13], v[4:5], v[8:9], v[10:11] neg_lo:[0,0,1] neg_hi:[0,0,1]
	v_pk_fma_f32 v[4:5], v[4:5], v[8:9], v[10:11] op_sel_hi:[1,0,1]
	s_nop 0
	v_mov_b32_e32 v13, v5
	scratch_store_dwordx2 off, v[12:13], off offset:112
.LBB36_71:
	s_or_b64 exec, exec, s[0:1]
	; wave barrier
	scratch_load_dwordx2 v[4:5], off, off offset:120
	v_cmp_gt_u32_e32 vcc, 15, v0
	s_waitcnt vmcnt(0)
	ds_write_b64 v1, v[4:5]
	s_waitcnt lgkmcnt(0)
	; wave barrier
	s_and_saveexec_b64 s[0:1], vcc
	s_cbranch_execz .LBB36_75
; %bb.72:
	v_mov_b32_e32 v4, 0
	v_add_u32_e32 v3, -1, v0
	v_add_u32_e32 v7, 0x130, v2
	v_mov_b32_e32 v8, v2
	s_mov_b64 s[4:5], 0
	v_mov_b32_e32 v5, v4
.LBB36_73:                              ; =>This Inner Loop Header: Depth=1
	scratch_load_dwordx2 v[10:11], v8, off
	ds_read_b64 v[12:13], v7
	v_add_u32_e32 v3, 1, v3
	v_cmp_lt_u32_e32 vcc, 13, v3
	v_add_u32_e32 v7, 8, v7
	v_add_u32_e32 v8, 8, v8
	s_or_b64 s[4:5], vcc, s[4:5]
	s_waitcnt vmcnt(0) lgkmcnt(0)
	v_pk_mul_f32 v[14:15], v[12:13], v[10:11] op_sel:[1,1] op_sel_hi:[0,1]
	v_pk_fma_f32 v[16:17], v[12:13], v[10:11], v[14:15] neg_lo:[0,0,1] neg_hi:[0,0,1]
	v_pk_fma_f32 v[10:11], v[12:13], v[10:11], v[14:15] op_sel_hi:[1,0,1]
	s_nop 0
	v_mov_b32_e32 v17, v11
	v_pk_add_f32 v[4:5], v[4:5], v[16:17]
	s_andn2_b64 exec, exec, s[4:5]
	s_cbranch_execnz .LBB36_73
; %bb.74:
	s_or_b64 exec, exec, s[4:5]
	v_mov_b32_e32 v3, 0
	ds_read_b64 v[8:9], v3 offset:120
	s_waitcnt lgkmcnt(0)
	v_pk_mul_f32 v[10:11], v[4:5], v[8:9] op_sel:[1,1] op_sel_hi:[0,1]
	v_pk_fma_f32 v[12:13], v[4:5], v[8:9], v[10:11] neg_lo:[0,0,1] neg_hi:[0,0,1]
	v_pk_fma_f32 v[4:5], v[4:5], v[8:9], v[10:11] op_sel_hi:[1,0,1]
	s_nop 0
	v_mov_b32_e32 v13, v5
	scratch_store_dwordx2 off, v[12:13], off offset:120
.LBB36_75:
	s_or_b64 exec, exec, s[0:1]
	; wave barrier
	scratch_load_dwordx2 v[4:5], off, off offset:128
	v_cmp_gt_u32_e32 vcc, 16, v0
	s_waitcnt vmcnt(0)
	ds_write_b64 v1, v[4:5]
	s_waitcnt lgkmcnt(0)
	; wave barrier
	s_and_saveexec_b64 s[0:1], vcc
	s_cbranch_execz .LBB36_79
; %bb.76:
	v_mov_b32_e32 v4, 0
	v_add_u32_e32 v3, -1, v0
	v_add_u32_e32 v7, 0x130, v2
	v_mov_b32_e32 v8, v2
	s_mov_b64 s[4:5], 0
	v_mov_b32_e32 v5, v4
.LBB36_77:                              ; =>This Inner Loop Header: Depth=1
	scratch_load_dwordx2 v[10:11], v8, off
	ds_read_b64 v[12:13], v7
	v_add_u32_e32 v3, 1, v3
	v_cmp_lt_u32_e32 vcc, 14, v3
	v_add_u32_e32 v7, 8, v7
	v_add_u32_e32 v8, 8, v8
	s_or_b64 s[4:5], vcc, s[4:5]
	s_waitcnt vmcnt(0) lgkmcnt(0)
	v_pk_mul_f32 v[14:15], v[12:13], v[10:11] op_sel:[1,1] op_sel_hi:[0,1]
	v_pk_fma_f32 v[16:17], v[12:13], v[10:11], v[14:15] neg_lo:[0,0,1] neg_hi:[0,0,1]
	v_pk_fma_f32 v[10:11], v[12:13], v[10:11], v[14:15] op_sel_hi:[1,0,1]
	s_nop 0
	v_mov_b32_e32 v17, v11
	v_pk_add_f32 v[4:5], v[4:5], v[16:17]
	s_andn2_b64 exec, exec, s[4:5]
	s_cbranch_execnz .LBB36_77
; %bb.78:
	s_or_b64 exec, exec, s[4:5]
	v_mov_b32_e32 v3, 0
	ds_read_b64 v[8:9], v3 offset:128
	s_waitcnt lgkmcnt(0)
	v_pk_mul_f32 v[10:11], v[4:5], v[8:9] op_sel:[1,1] op_sel_hi:[0,1]
	v_pk_fma_f32 v[12:13], v[4:5], v[8:9], v[10:11] neg_lo:[0,0,1] neg_hi:[0,0,1]
	v_pk_fma_f32 v[4:5], v[4:5], v[8:9], v[10:11] op_sel_hi:[1,0,1]
	s_nop 0
	v_mov_b32_e32 v13, v5
	scratch_store_dwordx2 off, v[12:13], off offset:128
.LBB36_79:
	s_or_b64 exec, exec, s[0:1]
	; wave barrier
	scratch_load_dwordx2 v[4:5], off, off offset:136
	v_cmp_gt_u32_e32 vcc, 17, v0
	s_waitcnt vmcnt(0)
	ds_write_b64 v1, v[4:5]
	s_waitcnt lgkmcnt(0)
	; wave barrier
	s_and_saveexec_b64 s[0:1], vcc
	s_cbranch_execz .LBB36_83
; %bb.80:
	v_mov_b32_e32 v4, 0
	v_add_u32_e32 v3, -1, v0
	v_add_u32_e32 v7, 0x130, v2
	v_mov_b32_e32 v8, v2
	s_mov_b64 s[4:5], 0
	v_mov_b32_e32 v5, v4
.LBB36_81:                              ; =>This Inner Loop Header: Depth=1
	scratch_load_dwordx2 v[10:11], v8, off
	ds_read_b64 v[12:13], v7
	v_add_u32_e32 v3, 1, v3
	v_cmp_lt_u32_e32 vcc, 15, v3
	v_add_u32_e32 v7, 8, v7
	v_add_u32_e32 v8, 8, v8
	s_or_b64 s[4:5], vcc, s[4:5]
	s_waitcnt vmcnt(0) lgkmcnt(0)
	v_pk_mul_f32 v[14:15], v[12:13], v[10:11] op_sel:[1,1] op_sel_hi:[0,1]
	v_pk_fma_f32 v[16:17], v[12:13], v[10:11], v[14:15] neg_lo:[0,0,1] neg_hi:[0,0,1]
	v_pk_fma_f32 v[10:11], v[12:13], v[10:11], v[14:15] op_sel_hi:[1,0,1]
	s_nop 0
	v_mov_b32_e32 v17, v11
	v_pk_add_f32 v[4:5], v[4:5], v[16:17]
	s_andn2_b64 exec, exec, s[4:5]
	s_cbranch_execnz .LBB36_81
; %bb.82:
	s_or_b64 exec, exec, s[4:5]
	v_mov_b32_e32 v3, 0
	ds_read_b64 v[8:9], v3 offset:136
	s_waitcnt lgkmcnt(0)
	v_pk_mul_f32 v[10:11], v[4:5], v[8:9] op_sel:[1,1] op_sel_hi:[0,1]
	v_pk_fma_f32 v[12:13], v[4:5], v[8:9], v[10:11] neg_lo:[0,0,1] neg_hi:[0,0,1]
	v_pk_fma_f32 v[4:5], v[4:5], v[8:9], v[10:11] op_sel_hi:[1,0,1]
	s_nop 0
	v_mov_b32_e32 v13, v5
	scratch_store_dwordx2 off, v[12:13], off offset:136
.LBB36_83:
	s_or_b64 exec, exec, s[0:1]
	; wave barrier
	scratch_load_dwordx2 v[4:5], off, off offset:144
	v_cmp_gt_u32_e32 vcc, 18, v0
	s_waitcnt vmcnt(0)
	ds_write_b64 v1, v[4:5]
	s_waitcnt lgkmcnt(0)
	; wave barrier
	s_and_saveexec_b64 s[0:1], vcc
	s_cbranch_execz .LBB36_87
; %bb.84:
	v_mov_b32_e32 v4, 0
	v_add_u32_e32 v3, -1, v0
	v_add_u32_e32 v7, 0x130, v2
	v_mov_b32_e32 v8, v2
	s_mov_b64 s[4:5], 0
	v_mov_b32_e32 v5, v4
.LBB36_85:                              ; =>This Inner Loop Header: Depth=1
	scratch_load_dwordx2 v[10:11], v8, off
	ds_read_b64 v[12:13], v7
	v_add_u32_e32 v3, 1, v3
	v_cmp_lt_u32_e32 vcc, 16, v3
	v_add_u32_e32 v7, 8, v7
	v_add_u32_e32 v8, 8, v8
	s_or_b64 s[4:5], vcc, s[4:5]
	s_waitcnt vmcnt(0) lgkmcnt(0)
	v_pk_mul_f32 v[14:15], v[12:13], v[10:11] op_sel:[1,1] op_sel_hi:[0,1]
	v_pk_fma_f32 v[16:17], v[12:13], v[10:11], v[14:15] neg_lo:[0,0,1] neg_hi:[0,0,1]
	v_pk_fma_f32 v[10:11], v[12:13], v[10:11], v[14:15] op_sel_hi:[1,0,1]
	s_nop 0
	v_mov_b32_e32 v17, v11
	v_pk_add_f32 v[4:5], v[4:5], v[16:17]
	s_andn2_b64 exec, exec, s[4:5]
	s_cbranch_execnz .LBB36_85
; %bb.86:
	s_or_b64 exec, exec, s[4:5]
	v_mov_b32_e32 v3, 0
	ds_read_b64 v[8:9], v3 offset:144
	s_waitcnt lgkmcnt(0)
	v_pk_mul_f32 v[10:11], v[4:5], v[8:9] op_sel:[1,1] op_sel_hi:[0,1]
	v_pk_fma_f32 v[12:13], v[4:5], v[8:9], v[10:11] neg_lo:[0,0,1] neg_hi:[0,0,1]
	v_pk_fma_f32 v[4:5], v[4:5], v[8:9], v[10:11] op_sel_hi:[1,0,1]
	s_nop 0
	v_mov_b32_e32 v13, v5
	scratch_store_dwordx2 off, v[12:13], off offset:144
.LBB36_87:
	s_or_b64 exec, exec, s[0:1]
	; wave barrier
	scratch_load_dwordx2 v[4:5], off, off offset:152
	v_cmp_gt_u32_e32 vcc, 19, v0
	s_waitcnt vmcnt(0)
	ds_write_b64 v1, v[4:5]
	s_waitcnt lgkmcnt(0)
	; wave barrier
	s_and_saveexec_b64 s[0:1], vcc
	s_cbranch_execz .LBB36_91
; %bb.88:
	v_mov_b32_e32 v4, 0
	v_add_u32_e32 v3, -1, v0
	v_add_u32_e32 v7, 0x130, v2
	v_mov_b32_e32 v8, v2
	s_mov_b64 s[4:5], 0
	v_mov_b32_e32 v5, v4
.LBB36_89:                              ; =>This Inner Loop Header: Depth=1
	scratch_load_dwordx2 v[10:11], v8, off
	ds_read_b64 v[12:13], v7
	v_add_u32_e32 v3, 1, v3
	v_cmp_lt_u32_e32 vcc, 17, v3
	v_add_u32_e32 v7, 8, v7
	v_add_u32_e32 v8, 8, v8
	s_or_b64 s[4:5], vcc, s[4:5]
	s_waitcnt vmcnt(0) lgkmcnt(0)
	v_pk_mul_f32 v[14:15], v[12:13], v[10:11] op_sel:[1,1] op_sel_hi:[0,1]
	v_pk_fma_f32 v[16:17], v[12:13], v[10:11], v[14:15] neg_lo:[0,0,1] neg_hi:[0,0,1]
	v_pk_fma_f32 v[10:11], v[12:13], v[10:11], v[14:15] op_sel_hi:[1,0,1]
	s_nop 0
	v_mov_b32_e32 v17, v11
	v_pk_add_f32 v[4:5], v[4:5], v[16:17]
	s_andn2_b64 exec, exec, s[4:5]
	s_cbranch_execnz .LBB36_89
; %bb.90:
	s_or_b64 exec, exec, s[4:5]
	v_mov_b32_e32 v3, 0
	ds_read_b64 v[8:9], v3 offset:152
	s_waitcnt lgkmcnt(0)
	v_pk_mul_f32 v[10:11], v[4:5], v[8:9] op_sel:[1,1] op_sel_hi:[0,1]
	v_pk_fma_f32 v[12:13], v[4:5], v[8:9], v[10:11] neg_lo:[0,0,1] neg_hi:[0,0,1]
	v_pk_fma_f32 v[4:5], v[4:5], v[8:9], v[10:11] op_sel_hi:[1,0,1]
	s_nop 0
	v_mov_b32_e32 v13, v5
	scratch_store_dwordx2 off, v[12:13], off offset:152
.LBB36_91:
	s_or_b64 exec, exec, s[0:1]
	; wave barrier
	scratch_load_dwordx2 v[4:5], off, off offset:160
	v_cmp_gt_u32_e32 vcc, 20, v0
	s_waitcnt vmcnt(0)
	ds_write_b64 v1, v[4:5]
	s_waitcnt lgkmcnt(0)
	; wave barrier
	s_and_saveexec_b64 s[0:1], vcc
	s_cbranch_execz .LBB36_95
; %bb.92:
	v_mov_b32_e32 v4, 0
	v_add_u32_e32 v3, -1, v0
	v_add_u32_e32 v7, 0x130, v2
	v_mov_b32_e32 v8, v2
	s_mov_b64 s[4:5], 0
	v_mov_b32_e32 v5, v4
.LBB36_93:                              ; =>This Inner Loop Header: Depth=1
	scratch_load_dwordx2 v[10:11], v8, off
	ds_read_b64 v[12:13], v7
	v_add_u32_e32 v3, 1, v3
	v_cmp_lt_u32_e32 vcc, 18, v3
	v_add_u32_e32 v7, 8, v7
	v_add_u32_e32 v8, 8, v8
	s_or_b64 s[4:5], vcc, s[4:5]
	s_waitcnt vmcnt(0) lgkmcnt(0)
	v_pk_mul_f32 v[14:15], v[12:13], v[10:11] op_sel:[1,1] op_sel_hi:[0,1]
	v_pk_fma_f32 v[16:17], v[12:13], v[10:11], v[14:15] neg_lo:[0,0,1] neg_hi:[0,0,1]
	v_pk_fma_f32 v[10:11], v[12:13], v[10:11], v[14:15] op_sel_hi:[1,0,1]
	s_nop 0
	v_mov_b32_e32 v17, v11
	v_pk_add_f32 v[4:5], v[4:5], v[16:17]
	s_andn2_b64 exec, exec, s[4:5]
	s_cbranch_execnz .LBB36_93
; %bb.94:
	s_or_b64 exec, exec, s[4:5]
	v_mov_b32_e32 v3, 0
	ds_read_b64 v[8:9], v3 offset:160
	s_waitcnt lgkmcnt(0)
	v_pk_mul_f32 v[10:11], v[4:5], v[8:9] op_sel:[1,1] op_sel_hi:[0,1]
	v_pk_fma_f32 v[12:13], v[4:5], v[8:9], v[10:11] neg_lo:[0,0,1] neg_hi:[0,0,1]
	v_pk_fma_f32 v[4:5], v[4:5], v[8:9], v[10:11] op_sel_hi:[1,0,1]
	s_nop 0
	v_mov_b32_e32 v13, v5
	scratch_store_dwordx2 off, v[12:13], off offset:160
.LBB36_95:
	s_or_b64 exec, exec, s[0:1]
	; wave barrier
	scratch_load_dwordx2 v[4:5], off, off offset:168
	v_cmp_gt_u32_e32 vcc, 21, v0
	s_waitcnt vmcnt(0)
	ds_write_b64 v1, v[4:5]
	s_waitcnt lgkmcnt(0)
	; wave barrier
	s_and_saveexec_b64 s[0:1], vcc
	s_cbranch_execz .LBB36_99
; %bb.96:
	v_mov_b32_e32 v4, 0
	v_add_u32_e32 v3, -1, v0
	v_add_u32_e32 v7, 0x130, v2
	v_mov_b32_e32 v8, v2
	s_mov_b64 s[4:5], 0
	v_mov_b32_e32 v5, v4
.LBB36_97:                              ; =>This Inner Loop Header: Depth=1
	scratch_load_dwordx2 v[10:11], v8, off
	ds_read_b64 v[12:13], v7
	v_add_u32_e32 v3, 1, v3
	v_cmp_lt_u32_e32 vcc, 19, v3
	v_add_u32_e32 v7, 8, v7
	v_add_u32_e32 v8, 8, v8
	s_or_b64 s[4:5], vcc, s[4:5]
	s_waitcnt vmcnt(0) lgkmcnt(0)
	v_pk_mul_f32 v[14:15], v[12:13], v[10:11] op_sel:[1,1] op_sel_hi:[0,1]
	v_pk_fma_f32 v[16:17], v[12:13], v[10:11], v[14:15] neg_lo:[0,0,1] neg_hi:[0,0,1]
	v_pk_fma_f32 v[10:11], v[12:13], v[10:11], v[14:15] op_sel_hi:[1,0,1]
	s_nop 0
	v_mov_b32_e32 v17, v11
	v_pk_add_f32 v[4:5], v[4:5], v[16:17]
	s_andn2_b64 exec, exec, s[4:5]
	s_cbranch_execnz .LBB36_97
; %bb.98:
	s_or_b64 exec, exec, s[4:5]
	v_mov_b32_e32 v3, 0
	ds_read_b64 v[8:9], v3 offset:168
	s_waitcnt lgkmcnt(0)
	v_pk_mul_f32 v[10:11], v[4:5], v[8:9] op_sel:[1,1] op_sel_hi:[0,1]
	v_pk_fma_f32 v[12:13], v[4:5], v[8:9], v[10:11] neg_lo:[0,0,1] neg_hi:[0,0,1]
	v_pk_fma_f32 v[4:5], v[4:5], v[8:9], v[10:11] op_sel_hi:[1,0,1]
	s_nop 0
	v_mov_b32_e32 v13, v5
	scratch_store_dwordx2 off, v[12:13], off offset:168
.LBB36_99:
	s_or_b64 exec, exec, s[0:1]
	; wave barrier
	scratch_load_dwordx2 v[4:5], off, off offset:176
	v_cmp_gt_u32_e32 vcc, 22, v0
	s_waitcnt vmcnt(0)
	ds_write_b64 v1, v[4:5]
	s_waitcnt lgkmcnt(0)
	; wave barrier
	s_and_saveexec_b64 s[0:1], vcc
	s_cbranch_execz .LBB36_103
; %bb.100:
	v_mov_b32_e32 v4, 0
	v_add_u32_e32 v3, -1, v0
	v_add_u32_e32 v7, 0x130, v2
	v_mov_b32_e32 v8, v2
	s_mov_b64 s[4:5], 0
	v_mov_b32_e32 v5, v4
.LBB36_101:                             ; =>This Inner Loop Header: Depth=1
	scratch_load_dwordx2 v[10:11], v8, off
	ds_read_b64 v[12:13], v7
	v_add_u32_e32 v3, 1, v3
	v_cmp_lt_u32_e32 vcc, 20, v3
	v_add_u32_e32 v7, 8, v7
	v_add_u32_e32 v8, 8, v8
	s_or_b64 s[4:5], vcc, s[4:5]
	s_waitcnt vmcnt(0) lgkmcnt(0)
	v_pk_mul_f32 v[14:15], v[12:13], v[10:11] op_sel:[1,1] op_sel_hi:[0,1]
	v_pk_fma_f32 v[16:17], v[12:13], v[10:11], v[14:15] neg_lo:[0,0,1] neg_hi:[0,0,1]
	v_pk_fma_f32 v[10:11], v[12:13], v[10:11], v[14:15] op_sel_hi:[1,0,1]
	s_nop 0
	v_mov_b32_e32 v17, v11
	v_pk_add_f32 v[4:5], v[4:5], v[16:17]
	s_andn2_b64 exec, exec, s[4:5]
	s_cbranch_execnz .LBB36_101
; %bb.102:
	s_or_b64 exec, exec, s[4:5]
	v_mov_b32_e32 v3, 0
	ds_read_b64 v[8:9], v3 offset:176
	s_waitcnt lgkmcnt(0)
	v_pk_mul_f32 v[10:11], v[4:5], v[8:9] op_sel:[1,1] op_sel_hi:[0,1]
	v_pk_fma_f32 v[12:13], v[4:5], v[8:9], v[10:11] neg_lo:[0,0,1] neg_hi:[0,0,1]
	v_pk_fma_f32 v[4:5], v[4:5], v[8:9], v[10:11] op_sel_hi:[1,0,1]
	s_nop 0
	v_mov_b32_e32 v13, v5
	scratch_store_dwordx2 off, v[12:13], off offset:176
.LBB36_103:
	s_or_b64 exec, exec, s[0:1]
	; wave barrier
	scratch_load_dwordx2 v[4:5], off, off offset:184
	v_cmp_gt_u32_e32 vcc, 23, v0
	s_waitcnt vmcnt(0)
	ds_write_b64 v1, v[4:5]
	s_waitcnt lgkmcnt(0)
	; wave barrier
	s_and_saveexec_b64 s[0:1], vcc
	s_cbranch_execz .LBB36_107
; %bb.104:
	v_mov_b32_e32 v4, 0
	v_add_u32_e32 v3, -1, v0
	v_add_u32_e32 v7, 0x130, v2
	v_mov_b32_e32 v8, v2
	s_mov_b64 s[4:5], 0
	v_mov_b32_e32 v5, v4
.LBB36_105:                             ; =>This Inner Loop Header: Depth=1
	scratch_load_dwordx2 v[10:11], v8, off
	ds_read_b64 v[12:13], v7
	v_add_u32_e32 v3, 1, v3
	v_cmp_lt_u32_e32 vcc, 21, v3
	v_add_u32_e32 v7, 8, v7
	v_add_u32_e32 v8, 8, v8
	s_or_b64 s[4:5], vcc, s[4:5]
	s_waitcnt vmcnt(0) lgkmcnt(0)
	v_pk_mul_f32 v[14:15], v[12:13], v[10:11] op_sel:[1,1] op_sel_hi:[0,1]
	v_pk_fma_f32 v[16:17], v[12:13], v[10:11], v[14:15] neg_lo:[0,0,1] neg_hi:[0,0,1]
	v_pk_fma_f32 v[10:11], v[12:13], v[10:11], v[14:15] op_sel_hi:[1,0,1]
	s_nop 0
	v_mov_b32_e32 v17, v11
	v_pk_add_f32 v[4:5], v[4:5], v[16:17]
	s_andn2_b64 exec, exec, s[4:5]
	s_cbranch_execnz .LBB36_105
; %bb.106:
	s_or_b64 exec, exec, s[4:5]
	v_mov_b32_e32 v3, 0
	ds_read_b64 v[8:9], v3 offset:184
	s_waitcnt lgkmcnt(0)
	v_pk_mul_f32 v[10:11], v[4:5], v[8:9] op_sel:[1,1] op_sel_hi:[0,1]
	v_pk_fma_f32 v[12:13], v[4:5], v[8:9], v[10:11] neg_lo:[0,0,1] neg_hi:[0,0,1]
	v_pk_fma_f32 v[4:5], v[4:5], v[8:9], v[10:11] op_sel_hi:[1,0,1]
	s_nop 0
	v_mov_b32_e32 v13, v5
	scratch_store_dwordx2 off, v[12:13], off offset:184
.LBB36_107:
	s_or_b64 exec, exec, s[0:1]
	; wave barrier
	scratch_load_dwordx2 v[4:5], off, off offset:192
	v_cmp_gt_u32_e32 vcc, 24, v0
	;; [unrolled: 46-line block ×13, first 2 shown]
	s_waitcnt vmcnt(0)
	ds_write_b64 v1, v[4:5]
	s_waitcnt lgkmcnt(0)
	; wave barrier
	s_and_saveexec_b64 s[0:1], vcc
	s_cbranch_execz .LBB36_155
; %bb.152:
	v_mov_b32_e32 v4, 0
	v_add_u32_e32 v3, -1, v0
	v_add_u32_e32 v7, 0x130, v2
	v_mov_b32_e32 v8, v2
	s_mov_b64 s[4:5], 0
	v_mov_b32_e32 v5, v4
.LBB36_153:                             ; =>This Inner Loop Header: Depth=1
	scratch_load_dwordx2 v[10:11], v8, off
	ds_read_b64 v[12:13], v7
	v_add_u32_e32 v3, 1, v3
	v_cmp_lt_u32_e32 vcc, 33, v3
	v_add_u32_e32 v7, 8, v7
	v_add_u32_e32 v8, 8, v8
	s_or_b64 s[4:5], vcc, s[4:5]
	s_waitcnt vmcnt(0) lgkmcnt(0)
	v_pk_mul_f32 v[14:15], v[12:13], v[10:11] op_sel:[1,1] op_sel_hi:[0,1]
	v_pk_fma_f32 v[16:17], v[12:13], v[10:11], v[14:15] neg_lo:[0,0,1] neg_hi:[0,0,1]
	v_pk_fma_f32 v[10:11], v[12:13], v[10:11], v[14:15] op_sel_hi:[1,0,1]
	s_nop 0
	v_mov_b32_e32 v17, v11
	v_pk_add_f32 v[4:5], v[4:5], v[16:17]
	s_andn2_b64 exec, exec, s[4:5]
	s_cbranch_execnz .LBB36_153
; %bb.154:
	s_or_b64 exec, exec, s[4:5]
	v_mov_b32_e32 v3, 0
	ds_read_b64 v[8:9], v3 offset:280
	s_waitcnt lgkmcnt(0)
	v_pk_mul_f32 v[10:11], v[4:5], v[8:9] op_sel:[1,1] op_sel_hi:[0,1]
	v_pk_fma_f32 v[12:13], v[4:5], v[8:9], v[10:11] neg_lo:[0,0,1] neg_hi:[0,0,1]
	v_pk_fma_f32 v[4:5], v[4:5], v[8:9], v[10:11] op_sel_hi:[1,0,1]
	s_nop 0
	v_mov_b32_e32 v13, v5
	scratch_store_dwordx2 off, v[12:13], off offset:280
.LBB36_155:
	s_or_b64 exec, exec, s[0:1]
	; wave barrier
	scratch_load_dwordx2 v[4:5], off, off offset:288
	v_cmp_ne_u32_e32 vcc, 36, v0
	s_waitcnt vmcnt(0)
	ds_write_b64 v1, v[4:5]
	s_waitcnt lgkmcnt(0)
	; wave barrier
	s_and_saveexec_b64 s[0:1], vcc
	s_cbranch_execz .LBB36_159
; %bb.156:
	v_add_u32_e32 v1, 0x130, v2
	v_mov_b32_e32 v4, v2
	v_mov_b32_e32 v2, 0
	s_mov_b64 s[4:5], 0
	v_mov_b32_e32 v3, v2
.LBB36_157:                             ; =>This Inner Loop Header: Depth=1
	scratch_load_dwordx2 v[8:9], v4, off
	ds_read_b64 v[10:11], v1
	v_add_u32_e32 v6, 1, v6
	v_cmp_lt_u32_e32 vcc, 34, v6
	v_add_u32_e32 v1, 8, v1
	v_add_u32_e32 v4, 8, v4
	s_or_b64 s[4:5], vcc, s[4:5]
	s_waitcnt vmcnt(0) lgkmcnt(0)
	v_pk_mul_f32 v[12:13], v[10:11], v[8:9] op_sel:[1,1] op_sel_hi:[0,1]
	v_pk_fma_f32 v[14:15], v[10:11], v[8:9], v[12:13] neg_lo:[0,0,1] neg_hi:[0,0,1]
	v_pk_fma_f32 v[8:9], v[10:11], v[8:9], v[12:13] op_sel_hi:[1,0,1]
	s_nop 0
	v_mov_b32_e32 v15, v9
	v_pk_add_f32 v[2:3], v[2:3], v[14:15]
	s_andn2_b64 exec, exec, s[4:5]
	s_cbranch_execnz .LBB36_157
; %bb.158:
	s_or_b64 exec, exec, s[4:5]
	v_mov_b32_e32 v1, 0
	ds_read_b64 v[4:5], v1 offset:288
	s_waitcnt lgkmcnt(0)
	v_pk_mul_f32 v[6:7], v[2:3], v[4:5] op_sel:[1,1] op_sel_hi:[0,1]
	v_pk_fma_f32 v[8:9], v[2:3], v[4:5], v[6:7] neg_lo:[0,0,1] neg_hi:[0,0,1]
	v_pk_fma_f32 v[2:3], v[2:3], v[4:5], v[6:7] op_sel_hi:[1,0,1]
	s_nop 0
	v_mov_b32_e32 v9, v3
	scratch_store_dwordx2 off, v[8:9], off offset:288
.LBB36_159:
	s_or_b64 exec, exec, s[0:1]
	s_mov_b64 s[4:5], -1
	; wave barrier
.LBB36_160:
	s_and_b64 vcc, exec, s[4:5]
	s_cbranch_vccz .LBB36_162
; %bb.161:
	s_lshl_b64 s[0:1], s[2:3], 2
	s_add_u32 s0, s6, s0
	s_addc_u32 s1, s7, s1
	v_mov_b32_e32 v1, 0
	global_load_dword v1, v1, s[0:1]
	s_waitcnt vmcnt(0)
	v_cmp_ne_u32_e32 vcc, 0, v1
	s_cbranch_vccz .LBB36_163
.LBB36_162:
	s_endpgm
.LBB36_163:
	v_mov_b32_e32 v1, 0x130
	v_lshl_add_u32 v1, v0, 3, v1
	v_cmp_eq_u32_e32 vcc, 36, v0
	s_and_saveexec_b64 s[0:1], vcc
	s_cbranch_execz .LBB36_165
; %bb.164:
	scratch_load_dwordx2 v[2:3], off, off offset:280
	v_mov_b32_e32 v4, 0
	v_mov_b32_e32 v5, v4
	scratch_store_dwordx2 off, v[4:5], off offset:280
	s_waitcnt vmcnt(1)
	ds_write_b64 v1, v[2:3]
.LBB36_165:
	s_or_b64 exec, exec, s[0:1]
	s_waitcnt lgkmcnt(0)
	; wave barrier
	scratch_load_dwordx2 v[4:5], off, off offset:288
	scratch_load_dwordx2 v[6:7], off, off offset:280
	v_mov_b32_e32 v2, 0
	ds_read_b64 v[8:9], v2 offset:592
	v_cmp_lt_u32_e32 vcc, 34, v0
	s_waitcnt vmcnt(1) lgkmcnt(0)
	v_pk_mul_f32 v[10:11], v[8:9], v[4:5] op_sel:[1,1] op_sel_hi:[0,1]
	v_pk_fma_f32 v[12:13], v[8:9], v[4:5], v[10:11] neg_lo:[0,0,1] neg_hi:[0,0,1]
	v_pk_fma_f32 v[4:5], v[8:9], v[4:5], v[10:11] op_sel_hi:[1,0,1]
	s_nop 0
	v_mov_b32_e32 v13, v5
	v_pk_add_f32 v[4:5], v[12:13], 0 op_sel_hi:[1,0]
	s_waitcnt vmcnt(0)
	v_pk_add_f32 v[4:5], v[6:7], v[4:5] neg_lo:[0,1] neg_hi:[0,1]
	scratch_store_dwordx2 off, v[4:5], off offset:280
	s_and_saveexec_b64 s[0:1], vcc
	s_cbranch_execz .LBB36_167
; %bb.166:
	scratch_load_dwordx2 v[4:5], off, off offset:272
	v_mov_b32_e32 v3, v2
	scratch_store_dwordx2 off, v[2:3], off offset:272
	s_waitcnt vmcnt(1)
	ds_write_b64 v1, v[4:5]
.LBB36_167:
	s_or_b64 exec, exec, s[0:1]
	s_waitcnt lgkmcnt(0)
	; wave barrier
	scratch_load_dwordx4 v[4:7], off, off offset:280
	scratch_load_dwordx2 v[12:13], off, off offset:272
	ds_read2_b64 v[8:11], v2 offset0:73 offset1:74
	v_cmp_lt_u32_e32 vcc, 33, v0
	s_waitcnt vmcnt(1) lgkmcnt(0)
	v_pk_mul_f32 v[2:3], v[8:9], v[4:5] op_sel:[1,1] op_sel_hi:[0,1]
	v_mov_b32_e32 v14, v7
	v_pk_fma_f32 v[16:17], v[8:9], v[4:5], v[2:3] neg_lo:[0,0,1] neg_hi:[0,0,1]
	v_pk_fma_f32 v[2:3], v[8:9], v[4:5], v[2:3] op_sel_hi:[1,0,1]
	v_pk_mul_f32 v[4:5], v[10:11], v[14:15] op_sel:[1,0] op_sel_hi:[0,0]
	v_mov_b32_e32 v17, v3
	v_pk_fma_f32 v[2:3], v[10:11], v[6:7], v[4:5] neg_lo:[0,0,1] neg_hi:[0,0,1]
	v_pk_fma_f32 v[4:5], v[10:11], v[6:7], v[4:5] op_sel_hi:[1,0,1]
	v_pk_add_f32 v[6:7], v[16:17], 0 op_sel_hi:[1,0]
	v_mov_b32_e32 v3, v5
	v_pk_add_f32 v[2:3], v[6:7], v[2:3]
	s_waitcnt vmcnt(0)
	v_pk_add_f32 v[2:3], v[12:13], v[2:3] neg_lo:[0,1] neg_hi:[0,1]
	scratch_store_dwordx2 off, v[2:3], off offset:272
	s_and_saveexec_b64 s[0:1], vcc
	s_cbranch_execz .LBB36_169
; %bb.168:
	scratch_load_dwordx2 v[2:3], off, off offset:264
	v_mov_b32_e32 v4, 0
	v_mov_b32_e32 v5, v4
	scratch_store_dwordx2 off, v[4:5], off offset:264
	s_waitcnt vmcnt(1)
	ds_write_b64 v1, v[2:3]
.LBB36_169:
	s_or_b64 exec, exec, s[0:1]
	s_waitcnt lgkmcnt(0)
	; wave barrier
	scratch_load_dwordx4 v[4:7], off, off offset:272
	scratch_load_dwordx2 v[12:13], off, off offset:288
	scratch_load_dwordx2 v[14:15], off, off offset:264
	v_mov_b32_e32 v2, 0
	ds_read_b128 v[8:11], v2 offset:576
	ds_read_b64 v[16:17], v2 offset:592
	v_cmp_lt_u32_e32 vcc, 32, v0
	s_waitcnt vmcnt(2) lgkmcnt(1)
	v_pk_mul_f32 v[18:19], v[8:9], v[4:5] op_sel:[1,1] op_sel_hi:[0,1]
	v_mov_b32_e32 v20, v7
	v_pk_fma_f32 v[24:25], v[8:9], v[4:5], v[18:19] neg_lo:[0,0,1] neg_hi:[0,0,1]
	v_pk_fma_f32 v[4:5], v[8:9], v[4:5], v[18:19] op_sel_hi:[1,0,1]
	v_pk_mul_f32 v[8:9], v[10:11], v[20:21] op_sel:[1,0] op_sel_hi:[0,0]
	s_waitcnt vmcnt(1) lgkmcnt(0)
	v_pk_mul_f32 v[22:23], v[16:17], v[12:13] op_sel:[1,1] op_sel_hi:[0,1]
	v_mov_b32_e32 v25, v5
	v_pk_fma_f32 v[4:5], v[10:11], v[6:7], v[8:9] neg_lo:[0,0,1] neg_hi:[0,0,1]
	v_pk_fma_f32 v[6:7], v[10:11], v[6:7], v[8:9] op_sel_hi:[1,0,1]
	v_pk_fma_f32 v[18:19], v[16:17], v[12:13], v[22:23] neg_lo:[0,0,1] neg_hi:[0,0,1]
	v_pk_fma_f32 v[12:13], v[16:17], v[12:13], v[22:23] op_sel_hi:[1,0,1]
	v_pk_add_f32 v[8:9], v[24:25], 0 op_sel_hi:[1,0]
	v_mov_b32_e32 v5, v7
	v_mov_b32_e32 v19, v13
	v_pk_add_f32 v[4:5], v[8:9], v[4:5]
	s_nop 0
	v_pk_add_f32 v[4:5], v[4:5], v[18:19]
	s_waitcnt vmcnt(0)
	v_pk_add_f32 v[4:5], v[14:15], v[4:5] neg_lo:[0,1] neg_hi:[0,1]
	scratch_store_dwordx2 off, v[4:5], off offset:264
	s_and_saveexec_b64 s[0:1], vcc
	s_cbranch_execz .LBB36_171
; %bb.170:
	scratch_load_dwordx2 v[4:5], off, off offset:256
	v_mov_b32_e32 v3, v2
	scratch_store_dwordx2 off, v[2:3], off offset:256
	s_waitcnt vmcnt(1)
	ds_write_b64 v1, v[4:5]
.LBB36_171:
	s_or_b64 exec, exec, s[0:1]
	s_waitcnt lgkmcnt(0)
	; wave barrier
	scratch_load_dwordx4 v[4:7], off, off offset:264
	scratch_load_dwordx4 v[8:11], off, off offset:280
	scratch_load_dwordx2 v[20:21], off, off offset:256
	ds_read2_b64 v[12:15], v2 offset0:71 offset1:72
	ds_read2_b64 v[16:19], v2 offset0:73 offset1:74
	v_cmp_lt_u32_e32 vcc, 31, v0
	s_waitcnt vmcnt(2) lgkmcnt(1)
	v_pk_mul_f32 v[2:3], v[12:13], v[4:5] op_sel:[1,1] op_sel_hi:[0,1]
	v_mov_b32_e32 v22, v7
	s_waitcnt vmcnt(1) lgkmcnt(0)
	v_pk_mul_f32 v[24:25], v[16:17], v[8:9] op_sel:[1,1] op_sel_hi:[0,1]
	v_mov_b32_e32 v26, v11
	v_pk_fma_f32 v[28:29], v[12:13], v[4:5], v[2:3] neg_lo:[0,0,1] neg_hi:[0,0,1]
	v_pk_fma_f32 v[2:3], v[12:13], v[4:5], v[2:3] op_sel_hi:[1,0,1]
	v_pk_mul_f32 v[4:5], v[14:15], v[22:23] op_sel:[1,0] op_sel_hi:[0,0]
	v_pk_fma_f32 v[12:13], v[16:17], v[8:9], v[24:25] neg_lo:[0,0,1] neg_hi:[0,0,1]
	v_pk_fma_f32 v[8:9], v[16:17], v[8:9], v[24:25] op_sel_hi:[1,0,1]
	v_pk_mul_f32 v[16:17], v[18:19], v[26:27] op_sel:[1,0] op_sel_hi:[0,0]
	v_mov_b32_e32 v29, v3
	v_pk_fma_f32 v[2:3], v[14:15], v[6:7], v[4:5] neg_lo:[0,0,1] neg_hi:[0,0,1]
	v_pk_fma_f32 v[4:5], v[14:15], v[6:7], v[4:5] op_sel_hi:[1,0,1]
	v_mov_b32_e32 v13, v9
	v_pk_fma_f32 v[6:7], v[18:19], v[10:11], v[16:17] neg_lo:[0,0,1] neg_hi:[0,0,1]
	v_pk_fma_f32 v[8:9], v[18:19], v[10:11], v[16:17] op_sel_hi:[1,0,1]
	v_pk_add_f32 v[10:11], v[28:29], 0 op_sel_hi:[1,0]
	v_mov_b32_e32 v3, v5
	v_pk_add_f32 v[2:3], v[10:11], v[2:3]
	v_mov_b32_e32 v7, v9
	v_pk_add_f32 v[2:3], v[2:3], v[12:13]
	s_nop 0
	v_pk_add_f32 v[2:3], v[2:3], v[6:7]
	s_waitcnt vmcnt(0)
	v_pk_add_f32 v[2:3], v[20:21], v[2:3] neg_lo:[0,1] neg_hi:[0,1]
	scratch_store_dwordx2 off, v[2:3], off offset:256
	s_and_saveexec_b64 s[0:1], vcc
	s_cbranch_execz .LBB36_173
; %bb.172:
	scratch_load_dwordx2 v[2:3], off, off offset:248
	v_mov_b32_e32 v4, 0
	v_mov_b32_e32 v5, v4
	scratch_store_dwordx2 off, v[4:5], off offset:248
	s_waitcnt vmcnt(1)
	ds_write_b64 v1, v[2:3]
.LBB36_173:
	s_or_b64 exec, exec, s[0:1]
	s_waitcnt lgkmcnt(0)
	; wave barrier
	scratch_load_dwordx4 v[4:7], off, off offset:256
	scratch_load_dwordx4 v[8:11], off, off offset:272
	scratch_load_dwordx2 v[20:21], off, off offset:288
	scratch_load_dwordx2 v[22:23], off, off offset:248
	v_mov_b32_e32 v2, 0
	ds_read_b128 v[12:15], v2 offset:560
	ds_read_b128 v[16:19], v2 offset:576
	ds_read_b64 v[24:25], v2 offset:592
	v_cmp_lt_u32_e32 vcc, 30, v0
	s_waitcnt vmcnt(3) lgkmcnt(2)
	v_pk_mul_f32 v[26:27], v[12:13], v[4:5] op_sel:[1,1] op_sel_hi:[0,1]
	v_mov_b32_e32 v28, v7
	v_pk_fma_f32 v[36:37], v[12:13], v[4:5], v[26:27] neg_lo:[0,0,1] neg_hi:[0,0,1]
	v_pk_fma_f32 v[4:5], v[12:13], v[4:5], v[26:27] op_sel_hi:[1,0,1]
	v_pk_mul_f32 v[12:13], v[14:15], v[28:29] op_sel:[1,0] op_sel_hi:[0,0]
	s_waitcnt vmcnt(2) lgkmcnt(1)
	v_pk_mul_f32 v[30:31], v[16:17], v[8:9] op_sel:[1,1] op_sel_hi:[0,1]
	v_mov_b32_e32 v32, v11
	v_mov_b32_e32 v37, v5
	v_pk_fma_f32 v[4:5], v[14:15], v[6:7], v[12:13] neg_lo:[0,0,1] neg_hi:[0,0,1]
	v_pk_fma_f32 v[6:7], v[14:15], v[6:7], v[12:13] op_sel_hi:[1,0,1]
	v_pk_fma_f32 v[26:27], v[16:17], v[8:9], v[30:31] neg_lo:[0,0,1] neg_hi:[0,0,1]
	v_pk_fma_f32 v[8:9], v[16:17], v[8:9], v[30:31] op_sel_hi:[1,0,1]
	v_pk_mul_f32 v[16:17], v[18:19], v[32:33] op_sel:[1,0] op_sel_hi:[0,0]
	v_pk_add_f32 v[12:13], v[36:37], 0 op_sel_hi:[1,0]
	v_mov_b32_e32 v5, v7
	s_waitcnt vmcnt(1) lgkmcnt(0)
	v_pk_mul_f32 v[34:35], v[24:25], v[20:21] op_sel:[1,1] op_sel_hi:[0,1]
	v_mov_b32_e32 v27, v9
	v_pk_fma_f32 v[8:9], v[18:19], v[10:11], v[16:17] neg_lo:[0,0,1] neg_hi:[0,0,1]
	v_pk_fma_f32 v[10:11], v[18:19], v[10:11], v[16:17] op_sel_hi:[1,0,1]
	v_pk_add_f32 v[4:5], v[12:13], v[4:5]
	v_pk_fma_f32 v[28:29], v[24:25], v[20:21], v[34:35] neg_lo:[0,0,1] neg_hi:[0,0,1]
	v_pk_fma_f32 v[20:21], v[24:25], v[20:21], v[34:35] op_sel_hi:[1,0,1]
	v_mov_b32_e32 v9, v11
	v_pk_add_f32 v[4:5], v[4:5], v[26:27]
	v_mov_b32_e32 v29, v21
	v_pk_add_f32 v[4:5], v[4:5], v[8:9]
	s_nop 0
	v_pk_add_f32 v[4:5], v[4:5], v[28:29]
	s_waitcnt vmcnt(0)
	v_pk_add_f32 v[4:5], v[22:23], v[4:5] neg_lo:[0,1] neg_hi:[0,1]
	scratch_store_dwordx2 off, v[4:5], off offset:248
	s_and_saveexec_b64 s[0:1], vcc
	s_cbranch_execz .LBB36_175
; %bb.174:
	scratch_load_dwordx2 v[4:5], off, off offset:240
	v_mov_b32_e32 v3, v2
	scratch_store_dwordx2 off, v[2:3], off offset:240
	s_waitcnt vmcnt(1)
	ds_write_b64 v1, v[4:5]
.LBB36_175:
	s_or_b64 exec, exec, s[0:1]
	s_waitcnt lgkmcnt(0)
	; wave barrier
	scratch_load_dwordx4 v[4:7], off, off offset:248
	scratch_load_dwordx4 v[8:11], off, off offset:264
	scratch_load_dwordx4 v[12:15], off, off offset:280
	scratch_load_dwordx2 v[28:29], off, off offset:240
	ds_read2_b64 v[16:19], v2 offset0:69 offset1:70
	ds_read2_b64 v[20:23], v2 offset0:71 offset1:72
	;; [unrolled: 1-line block ×3, first 2 shown]
	v_cmp_lt_u32_e32 vcc, 29, v0
	s_waitcnt vmcnt(3) lgkmcnt(2)
	v_pk_mul_f32 v[2:3], v[16:17], v[4:5] op_sel:[1,1] op_sel_hi:[0,1]
	v_mov_b32_e32 v30, v7
	s_waitcnt vmcnt(2) lgkmcnt(1)
	v_pk_mul_f32 v[32:33], v[20:21], v[8:9] op_sel:[1,1] op_sel_hi:[0,1]
	v_mov_b32_e32 v34, v11
	s_waitcnt vmcnt(1) lgkmcnt(0)
	v_pk_mul_f32 v[36:37], v[24:25], v[12:13] op_sel:[1,1] op_sel_hi:[0,1]
	v_mov_b32_e32 v38, v15
	v_pk_fma_f32 v[40:41], v[16:17], v[4:5], v[2:3] neg_lo:[0,0,1] neg_hi:[0,0,1]
	v_pk_fma_f32 v[2:3], v[16:17], v[4:5], v[2:3] op_sel_hi:[1,0,1]
	v_pk_mul_f32 v[4:5], v[18:19], v[30:31] op_sel:[1,0] op_sel_hi:[0,0]
	v_pk_fma_f32 v[16:17], v[20:21], v[8:9], v[32:33] neg_lo:[0,0,1] neg_hi:[0,0,1]
	v_pk_fma_f32 v[8:9], v[20:21], v[8:9], v[32:33] op_sel_hi:[1,0,1]
	v_pk_mul_f32 v[20:21], v[22:23], v[34:35] op_sel:[1,0] op_sel_hi:[0,0]
	v_pk_fma_f32 v[30:31], v[24:25], v[12:13], v[36:37] neg_lo:[0,0,1] neg_hi:[0,0,1]
	v_pk_fma_f32 v[12:13], v[24:25], v[12:13], v[36:37] op_sel_hi:[1,0,1]
	v_pk_mul_f32 v[24:25], v[26:27], v[38:39] op_sel:[1,0] op_sel_hi:[0,0]
	v_mov_b32_e32 v41, v3
	v_pk_fma_f32 v[2:3], v[18:19], v[6:7], v[4:5] neg_lo:[0,0,1] neg_hi:[0,0,1]
	v_pk_fma_f32 v[4:5], v[18:19], v[6:7], v[4:5] op_sel_hi:[1,0,1]
	v_mov_b32_e32 v17, v9
	v_pk_fma_f32 v[6:7], v[22:23], v[10:11], v[20:21] neg_lo:[0,0,1] neg_hi:[0,0,1]
	v_pk_fma_f32 v[8:9], v[22:23], v[10:11], v[20:21] op_sel_hi:[1,0,1]
	;; [unrolled: 3-line block ×3, first 2 shown]
	v_pk_add_f32 v[14:15], v[40:41], 0 op_sel_hi:[1,0]
	v_mov_b32_e32 v3, v5
	v_pk_add_f32 v[2:3], v[14:15], v[2:3]
	v_mov_b32_e32 v7, v9
	v_pk_add_f32 v[2:3], v[2:3], v[16:17]
	;; [unrolled: 2-line block ×3, first 2 shown]
	s_nop 0
	v_pk_add_f32 v[2:3], v[2:3], v[30:31]
	s_nop 0
	v_pk_add_f32 v[2:3], v[2:3], v[10:11]
	s_waitcnt vmcnt(0)
	v_pk_add_f32 v[2:3], v[28:29], v[2:3] neg_lo:[0,1] neg_hi:[0,1]
	scratch_store_dwordx2 off, v[2:3], off offset:240
	s_and_saveexec_b64 s[0:1], vcc
	s_cbranch_execz .LBB36_177
; %bb.176:
	scratch_load_dwordx2 v[2:3], off, off offset:232
	v_mov_b32_e32 v4, 0
	v_mov_b32_e32 v5, v4
	scratch_store_dwordx2 off, v[4:5], off offset:232
	s_waitcnt vmcnt(1)
	ds_write_b64 v1, v[2:3]
.LBB36_177:
	s_or_b64 exec, exec, s[0:1]
	s_waitcnt lgkmcnt(0)
	; wave barrier
	scratch_load_dwordx4 v[4:7], off, off offset:240
	scratch_load_dwordx4 v[8:11], off, off offset:256
	;; [unrolled: 1-line block ×3, first 2 shown]
	scratch_load_dwordx2 v[28:29], off, off offset:288
	scratch_load_dwordx2 v[30:31], off, off offset:232
	v_mov_b32_e32 v2, 0
	ds_read_b128 v[16:19], v2 offset:544
	ds_read_b128 v[20:23], v2 offset:560
	;; [unrolled: 1-line block ×3, first 2 shown]
	ds_read_b64 v[32:33], v2 offset:592
	v_cmp_lt_u32_e32 vcc, 28, v0
	s_waitcnt vmcnt(4) lgkmcnt(3)
	v_pk_mul_f32 v[34:35], v[16:17], v[4:5] op_sel:[1,1] op_sel_hi:[0,1]
	v_mov_b32_e32 v36, v7
	v_pk_fma_f32 v[48:49], v[16:17], v[4:5], v[34:35] neg_lo:[0,0,1] neg_hi:[0,0,1]
	v_pk_fma_f32 v[4:5], v[16:17], v[4:5], v[34:35] op_sel_hi:[1,0,1]
	v_pk_mul_f32 v[16:17], v[18:19], v[36:37] op_sel:[1,0] op_sel_hi:[0,0]
	s_waitcnt vmcnt(3) lgkmcnt(2)
	v_pk_mul_f32 v[38:39], v[20:21], v[8:9] op_sel:[1,1] op_sel_hi:[0,1]
	v_mov_b32_e32 v40, v11
	v_mov_b32_e32 v49, v5
	v_pk_fma_f32 v[4:5], v[18:19], v[6:7], v[16:17] neg_lo:[0,0,1] neg_hi:[0,0,1]
	v_pk_fma_f32 v[6:7], v[18:19], v[6:7], v[16:17] op_sel_hi:[1,0,1]
	v_pk_fma_f32 v[34:35], v[20:21], v[8:9], v[38:39] neg_lo:[0,0,1] neg_hi:[0,0,1]
	v_pk_fma_f32 v[8:9], v[20:21], v[8:9], v[38:39] op_sel_hi:[1,0,1]
	v_pk_mul_f32 v[20:21], v[22:23], v[40:41] op_sel:[1,0] op_sel_hi:[0,0]
	v_pk_add_f32 v[16:17], v[48:49], 0 op_sel_hi:[1,0]
	v_mov_b32_e32 v5, v7
	s_waitcnt vmcnt(2) lgkmcnt(1)
	v_pk_mul_f32 v[42:43], v[24:25], v[12:13] op_sel:[1,1] op_sel_hi:[0,1]
	v_mov_b32_e32 v44, v15
	v_mov_b32_e32 v35, v9
	v_pk_fma_f32 v[8:9], v[22:23], v[10:11], v[20:21] neg_lo:[0,0,1] neg_hi:[0,0,1]
	v_pk_fma_f32 v[10:11], v[22:23], v[10:11], v[20:21] op_sel_hi:[1,0,1]
	v_pk_add_f32 v[4:5], v[16:17], v[4:5]
	v_pk_fma_f32 v[36:37], v[24:25], v[12:13], v[42:43] neg_lo:[0,0,1] neg_hi:[0,0,1]
	v_pk_fma_f32 v[12:13], v[24:25], v[12:13], v[42:43] op_sel_hi:[1,0,1]
	v_pk_mul_f32 v[24:25], v[26:27], v[44:45] op_sel:[1,0] op_sel_hi:[0,0]
	v_mov_b32_e32 v9, v11
	v_pk_add_f32 v[4:5], v[4:5], v[34:35]
	s_waitcnt vmcnt(1) lgkmcnt(0)
	v_pk_mul_f32 v[46:47], v[32:33], v[28:29] op_sel:[1,1] op_sel_hi:[0,1]
	v_mov_b32_e32 v37, v13
	v_pk_fma_f32 v[12:13], v[26:27], v[14:15], v[24:25] neg_lo:[0,0,1] neg_hi:[0,0,1]
	v_pk_fma_f32 v[14:15], v[26:27], v[14:15], v[24:25] op_sel_hi:[1,0,1]
	v_pk_add_f32 v[4:5], v[4:5], v[8:9]
	v_pk_fma_f32 v[38:39], v[32:33], v[28:29], v[46:47] neg_lo:[0,0,1] neg_hi:[0,0,1]
	v_pk_fma_f32 v[28:29], v[32:33], v[28:29], v[46:47] op_sel_hi:[1,0,1]
	v_mov_b32_e32 v13, v15
	v_pk_add_f32 v[4:5], v[4:5], v[36:37]
	v_mov_b32_e32 v39, v29
	v_pk_add_f32 v[4:5], v[4:5], v[12:13]
	s_nop 0
	v_pk_add_f32 v[4:5], v[4:5], v[38:39]
	s_waitcnt vmcnt(0)
	v_pk_add_f32 v[4:5], v[30:31], v[4:5] neg_lo:[0,1] neg_hi:[0,1]
	scratch_store_dwordx2 off, v[4:5], off offset:232
	s_and_saveexec_b64 s[0:1], vcc
	s_cbranch_execz .LBB36_179
; %bb.178:
	scratch_load_dwordx2 v[4:5], off, off offset:224
	v_mov_b32_e32 v3, v2
	scratch_store_dwordx2 off, v[2:3], off offset:224
	s_waitcnt vmcnt(1)
	ds_write_b64 v1, v[4:5]
.LBB36_179:
	s_or_b64 exec, exec, s[0:1]
	s_waitcnt lgkmcnt(0)
	; wave barrier
	scratch_load_dwordx4 v[4:7], off, off offset:232
	scratch_load_dwordx4 v[8:11], off, off offset:248
	;; [unrolled: 1-line block ×4, first 2 shown]
	scratch_load_dwordx2 v[36:37], off, off offset:224
	ds_read2_b64 v[20:23], v2 offset0:67 offset1:68
	ds_read2_b64 v[24:27], v2 offset0:69 offset1:70
	;; [unrolled: 1-line block ×4, first 2 shown]
	v_cmp_lt_u32_e32 vcc, 27, v0
	s_waitcnt vmcnt(4) lgkmcnt(3)
	v_pk_mul_f32 v[2:3], v[20:21], v[4:5] op_sel:[1,1] op_sel_hi:[0,1]
	v_mov_b32_e32 v38, v7
	s_waitcnt vmcnt(3) lgkmcnt(2)
	v_pk_mul_f32 v[40:41], v[24:25], v[8:9] op_sel:[1,1] op_sel_hi:[0,1]
	v_mov_b32_e32 v42, v11
	s_waitcnt vmcnt(2) lgkmcnt(1)
	v_pk_mul_f32 v[44:45], v[28:29], v[12:13] op_sel:[1,1] op_sel_hi:[0,1]
	v_mov_b32_e32 v46, v15
	s_waitcnt vmcnt(1) lgkmcnt(0)
	v_pk_mul_f32 v[48:49], v[32:33], v[16:17] op_sel:[1,1] op_sel_hi:[0,1]
	v_mov_b32_e32 v50, v19
	v_pk_fma_f32 v[52:53], v[20:21], v[4:5], v[2:3] neg_lo:[0,0,1] neg_hi:[0,0,1]
	v_pk_fma_f32 v[2:3], v[20:21], v[4:5], v[2:3] op_sel_hi:[1,0,1]
	v_pk_mul_f32 v[4:5], v[22:23], v[38:39] op_sel:[1,0] op_sel_hi:[0,0]
	v_pk_fma_f32 v[20:21], v[24:25], v[8:9], v[40:41] neg_lo:[0,0,1] neg_hi:[0,0,1]
	v_pk_fma_f32 v[8:9], v[24:25], v[8:9], v[40:41] op_sel_hi:[1,0,1]
	v_pk_mul_f32 v[24:25], v[26:27], v[42:43] op_sel:[1,0] op_sel_hi:[0,0]
	;; [unrolled: 3-line block ×4, first 2 shown]
	v_mov_b32_e32 v53, v3
	v_pk_fma_f32 v[2:3], v[22:23], v[6:7], v[4:5] neg_lo:[0,0,1] neg_hi:[0,0,1]
	v_pk_fma_f32 v[4:5], v[22:23], v[6:7], v[4:5] op_sel_hi:[1,0,1]
	v_mov_b32_e32 v21, v9
	v_pk_fma_f32 v[6:7], v[26:27], v[10:11], v[24:25] neg_lo:[0,0,1] neg_hi:[0,0,1]
	v_pk_fma_f32 v[8:9], v[26:27], v[10:11], v[24:25] op_sel_hi:[1,0,1]
	;; [unrolled: 3-line block ×4, first 2 shown]
	v_pk_add_f32 v[18:19], v[52:53], 0 op_sel_hi:[1,0]
	v_mov_b32_e32 v3, v5
	v_pk_add_f32 v[2:3], v[18:19], v[2:3]
	v_mov_b32_e32 v7, v9
	v_pk_add_f32 v[2:3], v[2:3], v[20:21]
	;; [unrolled: 2-line block ×4, first 2 shown]
	s_nop 0
	v_pk_add_f32 v[2:3], v[2:3], v[10:11]
	s_nop 0
	v_pk_add_f32 v[2:3], v[2:3], v[40:41]
	;; [unrolled: 2-line block ×3, first 2 shown]
	s_waitcnt vmcnt(0)
	v_pk_add_f32 v[2:3], v[36:37], v[2:3] neg_lo:[0,1] neg_hi:[0,1]
	scratch_store_dwordx2 off, v[2:3], off offset:224
	s_and_saveexec_b64 s[0:1], vcc
	s_cbranch_execz .LBB36_181
; %bb.180:
	scratch_load_dwordx2 v[2:3], off, off offset:216
	v_mov_b32_e32 v4, 0
	v_mov_b32_e32 v5, v4
	scratch_store_dwordx2 off, v[4:5], off offset:216
	s_waitcnt vmcnt(1)
	ds_write_b64 v1, v[2:3]
.LBB36_181:
	s_or_b64 exec, exec, s[0:1]
	v_mov_b32_e32 v2, 0
	s_waitcnt lgkmcnt(0)
	; wave barrier
	ds_read_b128 v[4:7], v2 offset:528
	ds_read_b128 v[8:11], v2 offset:544
	;; [unrolled: 1-line block ×4, first 2 shown]
	scratch_load_dwordx4 v[20:23], off, off offset:224
	scratch_load_dwordx4 v[24:27], off, off offset:240
	;; [unrolled: 1-line block ×4, first 2 shown]
	scratch_load_dwordx2 v[38:39], off, off offset:288
	v_cmp_lt_u32_e32 vcc, 26, v0
	s_waitcnt vmcnt(4) lgkmcnt(3)
	v_mul_f32_e32 v37, v4, v21
	v_mul_f32_e32 v3, v5, v21
	v_fmac_f32_e32 v37, v5, v20
	v_fma_f32 v36, v4, v20, -v3
	v_pk_add_f32 v[20:21], v[36:37], 0 op_sel_hi:[1,0]
	v_mov_b32_e32 v36, v23
	v_pk_mul_f32 v[36:37], v[6:7], v[36:37] op_sel:[1,0] op_sel_hi:[0,0]
	v_pk_fma_f32 v[40:41], v[6:7], v[22:23], v[36:37] neg_lo:[0,0,1] neg_hi:[0,0,1]
	v_pk_fma_f32 v[6:7], v[6:7], v[22:23], v[36:37] op_sel_hi:[1,0,1]
	ds_read_b64 v[4:5], v2 offset:592
	v_mov_b32_e32 v41, v7
	v_pk_add_f32 v[6:7], v[20:21], v[40:41]
	s_waitcnt vmcnt(3) lgkmcnt(3)
	v_pk_mul_f32 v[20:21], v[8:9], v[24:25] op_sel:[1,1] op_sel_hi:[0,1]
	v_pk_fma_f32 v[22:23], v[8:9], v[24:25], v[20:21] neg_lo:[0,0,1] neg_hi:[0,0,1]
	v_pk_fma_f32 v[8:9], v[8:9], v[24:25], v[20:21] op_sel_hi:[1,0,1]
	s_nop 0
	v_mov_b32_e32 v8, v27
	v_mov_b32_e32 v23, v9
	v_pk_mul_f32 v[8:9], v[10:11], v[8:9] op_sel:[1,0] op_sel_hi:[0,0]
	v_pk_fma_f32 v[20:21], v[10:11], v[26:27], v[8:9] neg_lo:[0,0,1] neg_hi:[0,0,1]
	v_pk_fma_f32 v[8:9], v[10:11], v[26:27], v[8:9] op_sel_hi:[1,0,1]
	v_pk_add_f32 v[6:7], v[6:7], v[22:23]
	v_mov_b32_e32 v21, v9
	s_waitcnt vmcnt(2) lgkmcnt(2)
	v_pk_mul_f32 v[8:9], v[12:13], v[28:29] op_sel:[1,1] op_sel_hi:[0,1]
	v_pk_fma_f32 v[10:11], v[12:13], v[28:29], v[8:9] neg_lo:[0,0,1] neg_hi:[0,0,1]
	v_pk_fma_f32 v[8:9], v[12:13], v[28:29], v[8:9] op_sel_hi:[1,0,1]
	v_pk_add_f32 v[6:7], v[6:7], v[20:21]
	v_mov_b32_e32 v8, v31
	v_mov_b32_e32 v11, v9
	v_pk_mul_f32 v[8:9], v[14:15], v[8:9] op_sel:[1,0] op_sel_hi:[0,0]
	v_pk_add_f32 v[6:7], v[6:7], v[10:11]
	v_pk_fma_f32 v[10:11], v[14:15], v[30:31], v[8:9] neg_lo:[0,0,1] neg_hi:[0,0,1]
	v_pk_fma_f32 v[8:9], v[14:15], v[30:31], v[8:9] op_sel_hi:[1,0,1]
	s_nop 0
	v_mov_b32_e32 v11, v9
	s_waitcnt vmcnt(1) lgkmcnt(1)
	v_pk_mul_f32 v[8:9], v[16:17], v[32:33] op_sel:[1,1] op_sel_hi:[0,1]
	v_pk_add_f32 v[6:7], v[6:7], v[10:11]
	v_pk_fma_f32 v[10:11], v[16:17], v[32:33], v[8:9] neg_lo:[0,0,1] neg_hi:[0,0,1]
	v_pk_fma_f32 v[8:9], v[16:17], v[32:33], v[8:9] op_sel_hi:[1,0,1]
	s_nop 0
	v_mov_b32_e32 v8, v35
	v_mov_b32_e32 v11, v9
	v_pk_mul_f32 v[8:9], v[18:19], v[8:9] op_sel:[1,0] op_sel_hi:[0,0]
	v_pk_add_f32 v[6:7], v[6:7], v[10:11]
	v_pk_fma_f32 v[10:11], v[18:19], v[34:35], v[8:9] neg_lo:[0,0,1] neg_hi:[0,0,1]
	v_pk_fma_f32 v[8:9], v[18:19], v[34:35], v[8:9] op_sel_hi:[1,0,1]
	s_nop 0
	v_mov_b32_e32 v11, v9
	s_waitcnt vmcnt(0) lgkmcnt(0)
	v_pk_mul_f32 v[8:9], v[4:5], v[38:39] op_sel:[1,1] op_sel_hi:[0,1]
	v_pk_add_f32 v[6:7], v[6:7], v[10:11]
	v_pk_fma_f32 v[10:11], v[4:5], v[38:39], v[8:9] neg_lo:[0,0,1] neg_hi:[0,0,1]
	v_pk_fma_f32 v[4:5], v[4:5], v[38:39], v[8:9] op_sel_hi:[1,0,1]
	s_nop 0
	v_mov_b32_e32 v11, v5
	v_pk_add_f32 v[4:5], v[6:7], v[10:11]
	scratch_load_dwordx2 v[6:7], off, off offset:216
	s_waitcnt vmcnt(0)
	v_pk_add_f32 v[4:5], v[6:7], v[4:5] neg_lo:[0,1] neg_hi:[0,1]
	scratch_store_dwordx2 off, v[4:5], off offset:216
	s_and_saveexec_b64 s[0:1], vcc
	s_cbranch_execz .LBB36_183
; %bb.182:
	scratch_load_dwordx2 v[4:5], off, off offset:208
	v_mov_b32_e32 v3, v2
	scratch_store_dwordx2 off, v[2:3], off offset:208
	s_waitcnt vmcnt(1)
	ds_write_b64 v1, v[4:5]
.LBB36_183:
	s_or_b64 exec, exec, s[0:1]
	s_waitcnt lgkmcnt(0)
	; wave barrier
	scratch_load_dwordx4 v[8:11], off, off offset:216
	ds_read2_b64 v[4:7], v2 offset0:65 offset1:66
	scratch_load_dwordx4 v[12:15], off, off offset:232
	scratch_load_dwordx4 v[16:19], off, off offset:248
	scratch_load_dwordx4 v[20:23], off, off offset:264
	scratch_load_dwordx4 v[24:27], off, off offset:280
	v_cmp_lt_u32_e32 vcc, 25, v0
	s_waitcnt vmcnt(4) lgkmcnt(0)
	v_mul_f32_e32 v3, v5, v9
	v_mul_f32_e32 v37, v4, v9
	;; [unrolled: 1-line block ×3, first 2 shown]
	v_fma_f32 v36, v4, v8, -v3
	v_mul_f32_e32 v3, v7, v11
	v_fmac_f32_e32 v37, v5, v8
	v_fmac_f32_e32 v39, v7, v10
	v_fma_f32 v38, v6, v10, -v3
	ds_read2_b64 v[4:7], v2 offset0:67 offset1:68
	ds_read2_b64 v[8:11], v2 offset0:69 offset1:70
	;; [unrolled: 1-line block ×4, first 2 shown]
	v_pk_add_f32 v[2:3], v[36:37], 0 op_sel_hi:[1,0]
	s_waitcnt vmcnt(3) lgkmcnt(3)
	v_pk_mul_f32 v[36:37], v[4:5], v[12:13] op_sel:[1,1] op_sel_hi:[0,1]
	v_pk_add_f32 v[2:3], v[2:3], v[38:39]
	v_pk_fma_f32 v[38:39], v[4:5], v[12:13], v[36:37] neg_lo:[0,0,1] neg_hi:[0,0,1]
	v_pk_fma_f32 v[4:5], v[4:5], v[12:13], v[36:37] op_sel_hi:[1,0,1]
	s_nop 0
	v_mov_b32_e32 v4, v15
	v_mov_b32_e32 v39, v5
	v_pk_mul_f32 v[4:5], v[6:7], v[4:5] op_sel:[1,0] op_sel_hi:[0,0]
	v_pk_fma_f32 v[12:13], v[6:7], v[14:15], v[4:5] neg_lo:[0,0,1] neg_hi:[0,0,1]
	v_pk_fma_f32 v[4:5], v[6:7], v[14:15], v[4:5] op_sel_hi:[1,0,1]
	v_pk_add_f32 v[2:3], v[2:3], v[38:39]
	v_mov_b32_e32 v13, v5
	s_waitcnt vmcnt(2) lgkmcnt(2)
	v_pk_mul_f32 v[4:5], v[8:9], v[16:17] op_sel:[1,1] op_sel_hi:[0,1]
	v_pk_fma_f32 v[6:7], v[8:9], v[16:17], v[4:5] neg_lo:[0,0,1] neg_hi:[0,0,1]
	v_pk_fma_f32 v[4:5], v[8:9], v[16:17], v[4:5] op_sel_hi:[1,0,1]
	v_pk_add_f32 v[2:3], v[2:3], v[12:13]
	v_mov_b32_e32 v4, v19
	v_mov_b32_e32 v7, v5
	v_pk_mul_f32 v[4:5], v[10:11], v[4:5] op_sel:[1,0] op_sel_hi:[0,0]
	v_pk_add_f32 v[2:3], v[2:3], v[6:7]
	v_pk_fma_f32 v[6:7], v[10:11], v[18:19], v[4:5] neg_lo:[0,0,1] neg_hi:[0,0,1]
	v_pk_fma_f32 v[4:5], v[10:11], v[18:19], v[4:5] op_sel_hi:[1,0,1]
	s_nop 0
	v_mov_b32_e32 v7, v5
	s_waitcnt vmcnt(1) lgkmcnt(1)
	v_pk_mul_f32 v[4:5], v[28:29], v[20:21] op_sel:[1,1] op_sel_hi:[0,1]
	v_pk_add_f32 v[2:3], v[2:3], v[6:7]
	v_pk_fma_f32 v[6:7], v[28:29], v[20:21], v[4:5] neg_lo:[0,0,1] neg_hi:[0,0,1]
	v_pk_fma_f32 v[4:5], v[28:29], v[20:21], v[4:5] op_sel_hi:[1,0,1]
	s_nop 0
	v_mov_b32_e32 v4, v23
	v_mov_b32_e32 v7, v5
	v_pk_mul_f32 v[4:5], v[30:31], v[4:5] op_sel:[1,0] op_sel_hi:[0,0]
	v_pk_add_f32 v[2:3], v[2:3], v[6:7]
	v_pk_fma_f32 v[6:7], v[30:31], v[22:23], v[4:5] neg_lo:[0,0,1] neg_hi:[0,0,1]
	v_pk_fma_f32 v[4:5], v[30:31], v[22:23], v[4:5] op_sel_hi:[1,0,1]
	s_nop 0
	v_mov_b32_e32 v7, v5
	s_waitcnt vmcnt(0) lgkmcnt(0)
	v_pk_mul_f32 v[4:5], v[32:33], v[24:25] op_sel:[1,1] op_sel_hi:[0,1]
	v_pk_add_f32 v[2:3], v[2:3], v[6:7]
	v_pk_fma_f32 v[6:7], v[32:33], v[24:25], v[4:5] neg_lo:[0,0,1] neg_hi:[0,0,1]
	v_pk_fma_f32 v[4:5], v[32:33], v[24:25], v[4:5] op_sel_hi:[1,0,1]
	s_nop 0
	v_mov_b32_e32 v4, v27
	v_mov_b32_e32 v7, v5
	v_pk_mul_f32 v[4:5], v[34:35], v[4:5] op_sel:[1,0] op_sel_hi:[0,0]
	v_pk_add_f32 v[2:3], v[2:3], v[6:7]
	v_pk_fma_f32 v[6:7], v[34:35], v[26:27], v[4:5] neg_lo:[0,0,1] neg_hi:[0,0,1]
	v_pk_fma_f32 v[4:5], v[34:35], v[26:27], v[4:5] op_sel_hi:[1,0,1]
	s_nop 0
	v_mov_b32_e32 v7, v5
	scratch_load_dwordx2 v[4:5], off, off offset:208
	v_pk_add_f32 v[2:3], v[2:3], v[6:7]
	s_waitcnt vmcnt(0)
	v_pk_add_f32 v[2:3], v[4:5], v[2:3] neg_lo:[0,1] neg_hi:[0,1]
	scratch_store_dwordx2 off, v[2:3], off offset:208
	s_and_saveexec_b64 s[0:1], vcc
	s_cbranch_execz .LBB36_185
; %bb.184:
	scratch_load_dwordx2 v[2:3], off, off offset:200
	v_mov_b32_e32 v4, 0
	v_mov_b32_e32 v5, v4
	scratch_store_dwordx2 off, v[4:5], off offset:200
	s_waitcnt vmcnt(1)
	ds_write_b64 v1, v[2:3]
.LBB36_185:
	s_or_b64 exec, exec, s[0:1]
	v_mov_b32_e32 v2, 0
	s_waitcnt lgkmcnt(0)
	; wave barrier
	ds_read_b128 v[4:7], v2 offset:512
	ds_read_b128 v[8:11], v2 offset:528
	;; [unrolled: 1-line block ×4, first 2 shown]
	scratch_load_dwordx4 v[20:23], off, off offset:208
	scratch_load_dwordx4 v[24:27], off, off offset:224
	;; [unrolled: 1-line block ×5, first 2 shown]
	scratch_load_dwordx2 v[46:47], off, off offset:288
	v_cmp_lt_u32_e32 vcc, 24, v0
	s_waitcnt vmcnt(5) lgkmcnt(3)
	v_mul_f32_e32 v3, v4, v21
	v_fmac_f32_e32 v3, v5, v20
	v_add_f32_e32 v41, 0, v3
	v_mul_f32_e32 v3, v5, v21
	v_fma_f32 v3, v4, v20, -v3
	v_mul_f32_e32 v43, v6, v23
	v_add_f32_e32 v40, 0, v3
	v_mul_f32_e32 v3, v7, v23
	v_fmac_f32_e32 v43, v7, v22
	v_fma_f32 v42, v6, v22, -v3
	s_waitcnt vmcnt(4)
	v_mov_b32_e32 v22, v27
	s_waitcnt lgkmcnt(2)
	v_mul_f32_e32 v45, v8, v25
	v_mul_f32_e32 v3, v9, v25
	v_pk_mul_f32 v[22:23], v[10:11], v[22:23] op_sel:[1,0] op_sel_hi:[0,0]
	v_fmac_f32_e32 v45, v9, v24
	v_fma_f32 v44, v8, v24, -v3
	v_pk_add_f32 v[20:21], v[40:41], v[42:43]
	v_pk_fma_f32 v[24:25], v[10:11], v[26:27], v[22:23] neg_lo:[0,0,1] neg_hi:[0,0,1]
	v_pk_fma_f32 v[10:11], v[10:11], v[26:27], v[22:23] op_sel_hi:[1,0,1]
	v_pk_add_f32 v[20:21], v[20:21], v[44:45]
	v_mov_b32_e32 v25, v11
	v_pk_add_f32 v[10:11], v[20:21], v[24:25]
	s_waitcnt vmcnt(3) lgkmcnt(1)
	v_pk_mul_f32 v[20:21], v[12:13], v[28:29] op_sel:[1,1] op_sel_hi:[0,1]
	v_pk_fma_f32 v[22:23], v[12:13], v[28:29], v[20:21] neg_lo:[0,0,1] neg_hi:[0,0,1]
	v_pk_fma_f32 v[12:13], v[12:13], v[28:29], v[20:21] op_sel_hi:[1,0,1]
	ds_read_b128 v[4:7], v2 offset:576
	ds_read_b64 v[8:9], v2 offset:592
	v_mov_b32_e32 v12, v31
	v_mov_b32_e32 v23, v13
	v_pk_mul_f32 v[12:13], v[14:15], v[12:13] op_sel:[1,0] op_sel_hi:[0,0]
	v_pk_fma_f32 v[20:21], v[14:15], v[30:31], v[12:13] neg_lo:[0,0,1] neg_hi:[0,0,1]
	v_pk_fma_f32 v[12:13], v[14:15], v[30:31], v[12:13] op_sel_hi:[1,0,1]
	v_pk_add_f32 v[10:11], v[10:11], v[22:23]
	v_mov_b32_e32 v21, v13
	s_waitcnt vmcnt(2) lgkmcnt(2)
	v_pk_mul_f32 v[12:13], v[16:17], v[32:33] op_sel:[1,1] op_sel_hi:[0,1]
	v_pk_fma_f32 v[14:15], v[16:17], v[32:33], v[12:13] neg_lo:[0,0,1] neg_hi:[0,0,1]
	v_pk_fma_f32 v[12:13], v[16:17], v[32:33], v[12:13] op_sel_hi:[1,0,1]
	v_pk_add_f32 v[10:11], v[10:11], v[20:21]
	v_mov_b32_e32 v12, v35
	v_mov_b32_e32 v15, v13
	v_pk_mul_f32 v[12:13], v[18:19], v[12:13] op_sel:[1,0] op_sel_hi:[0,0]
	v_pk_add_f32 v[10:11], v[10:11], v[14:15]
	v_pk_fma_f32 v[14:15], v[18:19], v[34:35], v[12:13] neg_lo:[0,0,1] neg_hi:[0,0,1]
	v_pk_fma_f32 v[12:13], v[18:19], v[34:35], v[12:13] op_sel_hi:[1,0,1]
	s_nop 0
	v_mov_b32_e32 v15, v13
	s_waitcnt vmcnt(1) lgkmcnt(1)
	v_pk_mul_f32 v[12:13], v[4:5], v[36:37] op_sel:[1,1] op_sel_hi:[0,1]
	v_pk_add_f32 v[10:11], v[10:11], v[14:15]
	v_pk_fma_f32 v[14:15], v[4:5], v[36:37], v[12:13] neg_lo:[0,0,1] neg_hi:[0,0,1]
	v_pk_fma_f32 v[4:5], v[4:5], v[36:37], v[12:13] op_sel_hi:[1,0,1]
	s_nop 0
	v_mov_b32_e32 v15, v5
	v_pk_add_f32 v[4:5], v[10:11], v[14:15]
	v_mov_b32_e32 v10, v39
	v_pk_mul_f32 v[10:11], v[6:7], v[10:11] op_sel:[1,0] op_sel_hi:[0,0]
	v_pk_fma_f32 v[12:13], v[6:7], v[38:39], v[10:11] neg_lo:[0,0,1] neg_hi:[0,0,1]
	v_pk_fma_f32 v[6:7], v[6:7], v[38:39], v[10:11] op_sel_hi:[1,0,1]
	s_nop 0
	v_mov_b32_e32 v13, v7
	s_waitcnt vmcnt(0) lgkmcnt(0)
	v_pk_mul_f32 v[6:7], v[8:9], v[46:47] op_sel:[1,1] op_sel_hi:[0,1]
	v_pk_fma_f32 v[10:11], v[8:9], v[46:47], v[6:7] neg_lo:[0,0,1] neg_hi:[0,0,1]
	v_pk_fma_f32 v[6:7], v[8:9], v[46:47], v[6:7] op_sel_hi:[1,0,1]
	v_pk_add_f32 v[4:5], v[4:5], v[12:13]
	v_mov_b32_e32 v11, v7
	scratch_load_dwordx2 v[6:7], off, off offset:200
	v_pk_add_f32 v[4:5], v[4:5], v[10:11]
	s_waitcnt vmcnt(0)
	v_pk_add_f32 v[4:5], v[6:7], v[4:5] neg_lo:[0,1] neg_hi:[0,1]
	scratch_store_dwordx2 off, v[4:5], off offset:200
	s_and_saveexec_b64 s[0:1], vcc
	s_cbranch_execz .LBB36_187
; %bb.186:
	scratch_load_dwordx2 v[4:5], off, off offset:192
	v_mov_b32_e32 v3, v2
	scratch_store_dwordx2 off, v[2:3], off offset:192
	s_waitcnt vmcnt(1)
	ds_write_b64 v1, v[4:5]
.LBB36_187:
	s_or_b64 exec, exec, s[0:1]
	s_waitcnt lgkmcnt(0)
	; wave barrier
	scratch_load_dwordx4 v[8:11], off, off offset:200
	scratch_load_dwordx4 v[16:19], off, off offset:216
	ds_read2_b64 v[4:7], v2 offset0:63 offset1:64
	v_cmp_lt_u32_e32 vcc, 23, v0
	s_waitcnt vmcnt(1) lgkmcnt(0)
	v_mul_f32_e32 v3, v4, v9
	v_fmac_f32_e32 v3, v5, v8
	v_mul_f32_e32 v12, v6, v11
	v_add_f32_e32 v3, 0, v3
	v_fmac_f32_e32 v12, v7, v10
	v_add_f32_e32 v37, v3, v12
	ds_read2_b64 v[12:15], v2 offset0:65 offset1:66
	scratch_load_dwordx4 v[20:23], off, off offset:232
	scratch_load_dwordx4 v[24:27], off, off offset:248
	;; [unrolled: 1-line block ×4, first 2 shown]
	v_mul_f32_e32 v3, v5, v9
	v_fma_f32 v3, v4, v8, -v3
	v_mul_f32_e32 v4, v7, v11
	v_add_f32_e32 v3, 0, v3
	v_fma_f32 v4, v6, v10, -v4
	v_add_f32_e32 v36, v3, v4
	s_waitcnt vmcnt(4) lgkmcnt(0)
	v_mul_f32_e32 v3, v13, v17
	v_mul_f32_e32 v39, v12, v17
	v_mul_f32_e32 v41, v14, v19
	v_fma_f32 v38, v12, v16, -v3
	v_mul_f32_e32 v3, v15, v19
	v_fmac_f32_e32 v39, v13, v16
	v_fmac_f32_e32 v41, v15, v18
	v_fma_f32 v40, v14, v18, -v3
	ds_read2_b64 v[4:7], v2 offset0:67 offset1:68
	ds_read2_b64 v[8:11], v2 offset0:69 offset1:70
	;; [unrolled: 1-line block ×4, first 2 shown]
	v_pk_add_f32 v[2:3], v[36:37], v[38:39]
	s_waitcnt vmcnt(3) lgkmcnt(3)
	v_pk_mul_f32 v[36:37], v[4:5], v[20:21] op_sel:[1,1] op_sel_hi:[0,1]
	v_pk_fma_f32 v[38:39], v[4:5], v[20:21], v[36:37] neg_lo:[0,0,1] neg_hi:[0,0,1]
	v_pk_fma_f32 v[4:5], v[4:5], v[20:21], v[36:37] op_sel_hi:[1,0,1]
	v_pk_add_f32 v[2:3], v[2:3], v[40:41]
	v_mov_b32_e32 v4, v23
	v_mov_b32_e32 v39, v5
	v_pk_mul_f32 v[4:5], v[6:7], v[4:5] op_sel:[1,0] op_sel_hi:[0,0]
	v_pk_fma_f32 v[20:21], v[6:7], v[22:23], v[4:5] neg_lo:[0,0,1] neg_hi:[0,0,1]
	v_pk_fma_f32 v[4:5], v[6:7], v[22:23], v[4:5] op_sel_hi:[1,0,1]
	v_pk_add_f32 v[2:3], v[2:3], v[38:39]
	v_mov_b32_e32 v21, v5
	s_waitcnt vmcnt(2) lgkmcnt(2)
	v_pk_mul_f32 v[4:5], v[8:9], v[24:25] op_sel:[1,1] op_sel_hi:[0,1]
	v_pk_fma_f32 v[6:7], v[8:9], v[24:25], v[4:5] neg_lo:[0,0,1] neg_hi:[0,0,1]
	v_pk_fma_f32 v[4:5], v[8:9], v[24:25], v[4:5] op_sel_hi:[1,0,1]
	v_pk_add_f32 v[2:3], v[2:3], v[20:21]
	v_mov_b32_e32 v4, v27
	v_mov_b32_e32 v7, v5
	v_pk_mul_f32 v[4:5], v[10:11], v[4:5] op_sel:[1,0] op_sel_hi:[0,0]
	v_pk_add_f32 v[2:3], v[2:3], v[6:7]
	v_pk_fma_f32 v[6:7], v[10:11], v[26:27], v[4:5] neg_lo:[0,0,1] neg_hi:[0,0,1]
	v_pk_fma_f32 v[4:5], v[10:11], v[26:27], v[4:5] op_sel_hi:[1,0,1]
	s_nop 0
	v_mov_b32_e32 v7, v5
	s_waitcnt vmcnt(1) lgkmcnt(1)
	v_pk_mul_f32 v[4:5], v[12:13], v[28:29] op_sel:[1,1] op_sel_hi:[0,1]
	v_pk_add_f32 v[2:3], v[2:3], v[6:7]
	v_pk_fma_f32 v[6:7], v[12:13], v[28:29], v[4:5] neg_lo:[0,0,1] neg_hi:[0,0,1]
	v_pk_fma_f32 v[4:5], v[12:13], v[28:29], v[4:5] op_sel_hi:[1,0,1]
	s_nop 0
	v_mov_b32_e32 v4, v31
	v_mov_b32_e32 v7, v5
	v_pk_mul_f32 v[4:5], v[14:15], v[4:5] op_sel:[1,0] op_sel_hi:[0,0]
	v_pk_add_f32 v[2:3], v[2:3], v[6:7]
	v_pk_fma_f32 v[6:7], v[14:15], v[30:31], v[4:5] neg_lo:[0,0,1] neg_hi:[0,0,1]
	v_pk_fma_f32 v[4:5], v[14:15], v[30:31], v[4:5] op_sel_hi:[1,0,1]
	s_nop 0
	v_mov_b32_e32 v7, v5
	s_waitcnt vmcnt(0) lgkmcnt(0)
	v_pk_mul_f32 v[4:5], v[16:17], v[32:33] op_sel:[1,1] op_sel_hi:[0,1]
	v_pk_add_f32 v[2:3], v[2:3], v[6:7]
	v_pk_fma_f32 v[6:7], v[16:17], v[32:33], v[4:5] neg_lo:[0,0,1] neg_hi:[0,0,1]
	v_pk_fma_f32 v[4:5], v[16:17], v[32:33], v[4:5] op_sel_hi:[1,0,1]
	s_nop 0
	v_mov_b32_e32 v4, v35
	v_mov_b32_e32 v7, v5
	v_pk_mul_f32 v[4:5], v[18:19], v[4:5] op_sel:[1,0] op_sel_hi:[0,0]
	v_pk_add_f32 v[2:3], v[2:3], v[6:7]
	v_pk_fma_f32 v[6:7], v[18:19], v[34:35], v[4:5] neg_lo:[0,0,1] neg_hi:[0,0,1]
	v_pk_fma_f32 v[4:5], v[18:19], v[34:35], v[4:5] op_sel_hi:[1,0,1]
	s_nop 0
	v_mov_b32_e32 v7, v5
	scratch_load_dwordx2 v[4:5], off, off offset:192
	v_pk_add_f32 v[2:3], v[2:3], v[6:7]
	s_waitcnt vmcnt(0)
	v_pk_add_f32 v[2:3], v[4:5], v[2:3] neg_lo:[0,1] neg_hi:[0,1]
	scratch_store_dwordx2 off, v[2:3], off offset:192
	s_and_saveexec_b64 s[0:1], vcc
	s_cbranch_execz .LBB36_189
; %bb.188:
	scratch_load_dwordx2 v[2:3], off, off offset:184
	v_mov_b32_e32 v4, 0
	v_mov_b32_e32 v5, v4
	scratch_store_dwordx2 off, v[4:5], off offset:184
	s_waitcnt vmcnt(1)
	ds_write_b64 v1, v[2:3]
.LBB36_189:
	s_or_b64 exec, exec, s[0:1]
	v_mov_b32_e32 v2, 0
	s_waitcnt lgkmcnt(0)
	; wave barrier
	ds_read_b128 v[4:7], v2 offset:496
	ds_read_b128 v[8:11], v2 offset:512
	;; [unrolled: 1-line block ×4, first 2 shown]
	scratch_load_dwordx4 v[20:23], off, off offset:192
	v_cmp_lt_u32_e32 vcc, 22, v0
	s_waitcnt vmcnt(0) lgkmcnt(3)
	v_mul_f32_e32 v3, v4, v21
	v_fmac_f32_e32 v3, v5, v20
	v_mul_f32_e32 v24, v6, v23
	v_add_f32_e32 v3, 0, v3
	v_fmac_f32_e32 v24, v7, v22
	v_add_f32_e32 v3, v3, v24
	scratch_load_dwordx4 v[24:27], off, off offset:208
	s_waitcnt vmcnt(0) lgkmcnt(2)
	v_mul_f32_e32 v28, v8, v25
	v_fmac_f32_e32 v28, v9, v24
	v_add_f32_e32 v45, v3, v28
	scratch_load_dwordx4 v[28:31], off, off offset:224
	scratch_load_dwordx4 v[32:35], off, off offset:240
	scratch_load_dwordx4 v[36:39], off, off offset:256
	scratch_load_dwordx4 v[40:43], off, off offset:272
	scratch_load_dwordx2 v[50:51], off, off offset:288
	v_mul_f32_e32 v3, v5, v21
	v_fma_f32 v3, v4, v20, -v3
	v_mul_f32_e32 v4, v7, v23
	v_add_f32_e32 v3, 0, v3
	v_fma_f32 v4, v6, v22, -v4
	v_add_f32_e32 v3, v3, v4
	v_mul_f32_e32 v4, v9, v25
	v_fma_f32 v4, v8, v24, -v4
	v_mul_f32_e32 v47, v10, v27
	v_add_f32_e32 v44, v3, v4
	v_mul_f32_e32 v3, v11, v27
	v_fmac_f32_e32 v47, v11, v26
	v_fma_f32 v46, v10, v26, -v3
	v_pk_add_f32 v[20:21], v[44:45], v[46:47]
	s_waitcnt vmcnt(4)
	v_mov_b32_e32 v22, v31
	s_waitcnt lgkmcnt(1)
	v_mul_f32_e32 v49, v12, v29
	v_mul_f32_e32 v3, v13, v29
	v_pk_mul_f32 v[22:23], v[14:15], v[22:23] op_sel:[1,0] op_sel_hi:[0,0]
	v_fmac_f32_e32 v49, v13, v28
	v_fma_f32 v48, v12, v28, -v3
	v_pk_fma_f32 v[24:25], v[14:15], v[30:31], v[22:23] neg_lo:[0,0,1] neg_hi:[0,0,1]
	v_pk_fma_f32 v[14:15], v[14:15], v[30:31], v[22:23] op_sel_hi:[1,0,1]
	v_pk_add_f32 v[20:21], v[20:21], v[48:49]
	v_mov_b32_e32 v25, v15
	v_pk_add_f32 v[14:15], v[20:21], v[24:25]
	s_waitcnt vmcnt(3) lgkmcnt(0)
	v_pk_mul_f32 v[20:21], v[16:17], v[32:33] op_sel:[1,1] op_sel_hi:[0,1]
	v_pk_fma_f32 v[22:23], v[16:17], v[32:33], v[20:21] neg_lo:[0,0,1] neg_hi:[0,0,1]
	v_pk_fma_f32 v[16:17], v[16:17], v[32:33], v[20:21] op_sel_hi:[1,0,1]
	ds_read_b128 v[4:7], v2 offset:560
	ds_read_b128 v[8:11], v2 offset:576
	ds_read_b64 v[12:13], v2 offset:592
	v_mov_b32_e32 v16, v35
	v_mov_b32_e32 v23, v17
	v_pk_mul_f32 v[16:17], v[18:19], v[16:17] op_sel:[1,0] op_sel_hi:[0,0]
	v_pk_fma_f32 v[20:21], v[18:19], v[34:35], v[16:17] neg_lo:[0,0,1] neg_hi:[0,0,1]
	v_pk_fma_f32 v[16:17], v[18:19], v[34:35], v[16:17] op_sel_hi:[1,0,1]
	v_pk_add_f32 v[14:15], v[14:15], v[22:23]
	v_mov_b32_e32 v21, v17
	s_waitcnt vmcnt(2) lgkmcnt(2)
	v_pk_mul_f32 v[16:17], v[4:5], v[36:37] op_sel:[1,1] op_sel_hi:[0,1]
	v_pk_fma_f32 v[18:19], v[4:5], v[36:37], v[16:17] neg_lo:[0,0,1] neg_hi:[0,0,1]
	v_pk_fma_f32 v[4:5], v[4:5], v[36:37], v[16:17] op_sel_hi:[1,0,1]
	v_pk_add_f32 v[14:15], v[14:15], v[20:21]
	v_mov_b32_e32 v19, v5
	v_pk_add_f32 v[4:5], v[14:15], v[18:19]
	v_mov_b32_e32 v14, v39
	v_pk_mul_f32 v[14:15], v[6:7], v[14:15] op_sel:[1,0] op_sel_hi:[0,0]
	v_pk_fma_f32 v[16:17], v[6:7], v[38:39], v[14:15] neg_lo:[0,0,1] neg_hi:[0,0,1]
	v_pk_fma_f32 v[6:7], v[6:7], v[38:39], v[14:15] op_sel_hi:[1,0,1]
	s_nop 0
	v_mov_b32_e32 v17, v7
	s_waitcnt vmcnt(1) lgkmcnt(1)
	v_pk_mul_f32 v[6:7], v[8:9], v[40:41] op_sel:[1,1] op_sel_hi:[0,1]
	v_pk_fma_f32 v[14:15], v[8:9], v[40:41], v[6:7] neg_lo:[0,0,1] neg_hi:[0,0,1]
	v_pk_fma_f32 v[6:7], v[8:9], v[40:41], v[6:7] op_sel_hi:[1,0,1]
	v_pk_add_f32 v[4:5], v[4:5], v[16:17]
	v_mov_b32_e32 v6, v43
	v_mov_b32_e32 v15, v7
	v_pk_mul_f32 v[6:7], v[10:11], v[6:7] op_sel:[1,0] op_sel_hi:[0,0]
	v_pk_fma_f32 v[8:9], v[10:11], v[42:43], v[6:7] neg_lo:[0,0,1] neg_hi:[0,0,1]
	v_pk_fma_f32 v[6:7], v[10:11], v[42:43], v[6:7] op_sel_hi:[1,0,1]
	v_pk_add_f32 v[4:5], v[4:5], v[14:15]
	v_mov_b32_e32 v9, v7
	s_waitcnt vmcnt(0) lgkmcnt(0)
	v_pk_mul_f32 v[6:7], v[12:13], v[50:51] op_sel:[1,1] op_sel_hi:[0,1]
	v_pk_add_f32 v[4:5], v[4:5], v[8:9]
	v_pk_fma_f32 v[8:9], v[12:13], v[50:51], v[6:7] neg_lo:[0,0,1] neg_hi:[0,0,1]
	v_pk_fma_f32 v[6:7], v[12:13], v[50:51], v[6:7] op_sel_hi:[1,0,1]
	s_nop 0
	v_mov_b32_e32 v9, v7
	scratch_load_dwordx2 v[6:7], off, off offset:184
	v_pk_add_f32 v[4:5], v[4:5], v[8:9]
	s_waitcnt vmcnt(0)
	v_pk_add_f32 v[4:5], v[6:7], v[4:5] neg_lo:[0,1] neg_hi:[0,1]
	scratch_store_dwordx2 off, v[4:5], off offset:184
	s_and_saveexec_b64 s[0:1], vcc
	s_cbranch_execz .LBB36_191
; %bb.190:
	scratch_load_dwordx2 v[4:5], off, off offset:176
	v_mov_b32_e32 v3, v2
	scratch_store_dwordx2 off, v[2:3], off offset:176
	s_waitcnt vmcnt(1)
	ds_write_b64 v1, v[4:5]
.LBB36_191:
	s_or_b64 exec, exec, s[0:1]
	s_waitcnt lgkmcnt(0)
	; wave barrier
	scratch_load_dwordx4 v[8:11], off, off offset:184
	scratch_load_dwordx4 v[16:19], off, off offset:200
	ds_read2_b64 v[4:7], v2 offset0:61 offset1:62
	scratch_load_dwordx4 v[24:27], off, off offset:216
	v_cmp_lt_u32_e32 vcc, 21, v0
	s_waitcnt vmcnt(2) lgkmcnt(0)
	v_mul_f32_e32 v3, v4, v9
	v_fmac_f32_e32 v3, v5, v8
	v_mul_f32_e32 v12, v6, v11
	v_add_f32_e32 v3, 0, v3
	v_fmac_f32_e32 v12, v7, v10
	v_add_f32_e32 v3, v3, v12
	ds_read2_b64 v[12:15], v2 offset0:63 offset1:64
	s_waitcnt vmcnt(1) lgkmcnt(0)
	v_mul_f32_e32 v20, v12, v17
	v_fmac_f32_e32 v20, v13, v16
	v_add_f32_e32 v3, v3, v20
	v_mul_f32_e32 v20, v14, v19
	v_fmac_f32_e32 v20, v15, v18
	v_add_f32_e32 v45, v3, v20
	ds_read2_b64 v[20:23], v2 offset0:65 offset1:66
	scratch_load_dwordx4 v[28:31], off, off offset:232
	scratch_load_dwordx4 v[32:35], off, off offset:248
	scratch_load_dwordx4 v[36:39], off, off offset:264
	scratch_load_dwordx4 v[40:43], off, off offset:280
	v_mul_f32_e32 v3, v5, v9
	v_fma_f32 v3, v4, v8, -v3
	v_mul_f32_e32 v4, v7, v11
	v_add_f32_e32 v3, 0, v3
	v_fma_f32 v4, v6, v10, -v4
	v_add_f32_e32 v3, v3, v4
	v_mul_f32_e32 v4, v13, v17
	v_fma_f32 v4, v12, v16, -v4
	v_add_f32_e32 v3, v3, v4
	v_mul_f32_e32 v4, v15, v19
	v_fma_f32 v4, v14, v18, -v4
	v_add_f32_e32 v44, v3, v4
	ds_read2_b64 v[4:7], v2 offset0:67 offset1:68
	ds_read2_b64 v[8:11], v2 offset0:69 offset1:70
	;; [unrolled: 1-line block ×4, first 2 shown]
	s_waitcnt vmcnt(4) lgkmcnt(4)
	v_mul_f32_e32 v47, v20, v25
	v_mul_f32_e32 v3, v21, v25
	v_fmac_f32_e32 v47, v21, v24
	v_mul_f32_e32 v49, v22, v27
	v_fma_f32 v46, v20, v24, -v3
	v_mul_f32_e32 v3, v23, v27
	v_fmac_f32_e32 v49, v23, v26
	v_fma_f32 v48, v22, v26, -v3
	v_pk_add_f32 v[2:3], v[44:45], v[46:47]
	s_waitcnt vmcnt(3) lgkmcnt(3)
	v_pk_mul_f32 v[20:21], v[4:5], v[28:29] op_sel:[1,1] op_sel_hi:[0,1]
	v_pk_fma_f32 v[22:23], v[4:5], v[28:29], v[20:21] neg_lo:[0,0,1] neg_hi:[0,0,1]
	v_pk_fma_f32 v[4:5], v[4:5], v[28:29], v[20:21] op_sel_hi:[1,0,1]
	v_pk_add_f32 v[2:3], v[2:3], v[48:49]
	v_mov_b32_e32 v4, v31
	v_mov_b32_e32 v23, v5
	v_pk_mul_f32 v[4:5], v[6:7], v[4:5] op_sel:[1,0] op_sel_hi:[0,0]
	v_pk_fma_f32 v[20:21], v[6:7], v[30:31], v[4:5] neg_lo:[0,0,1] neg_hi:[0,0,1]
	v_pk_fma_f32 v[4:5], v[6:7], v[30:31], v[4:5] op_sel_hi:[1,0,1]
	v_pk_add_f32 v[2:3], v[2:3], v[22:23]
	v_mov_b32_e32 v21, v5
	s_waitcnt vmcnt(2) lgkmcnt(2)
	v_pk_mul_f32 v[4:5], v[8:9], v[32:33] op_sel:[1,1] op_sel_hi:[0,1]
	v_pk_fma_f32 v[6:7], v[8:9], v[32:33], v[4:5] neg_lo:[0,0,1] neg_hi:[0,0,1]
	v_pk_fma_f32 v[4:5], v[8:9], v[32:33], v[4:5] op_sel_hi:[1,0,1]
	v_pk_add_f32 v[2:3], v[2:3], v[20:21]
	v_mov_b32_e32 v4, v35
	v_mov_b32_e32 v7, v5
	v_pk_mul_f32 v[4:5], v[10:11], v[4:5] op_sel:[1,0] op_sel_hi:[0,0]
	v_pk_add_f32 v[2:3], v[2:3], v[6:7]
	v_pk_fma_f32 v[6:7], v[10:11], v[34:35], v[4:5] neg_lo:[0,0,1] neg_hi:[0,0,1]
	v_pk_fma_f32 v[4:5], v[10:11], v[34:35], v[4:5] op_sel_hi:[1,0,1]
	s_nop 0
	v_mov_b32_e32 v7, v5
	s_waitcnt vmcnt(1) lgkmcnt(1)
	v_pk_mul_f32 v[4:5], v[12:13], v[36:37] op_sel:[1,1] op_sel_hi:[0,1]
	v_pk_add_f32 v[2:3], v[2:3], v[6:7]
	v_pk_fma_f32 v[6:7], v[12:13], v[36:37], v[4:5] neg_lo:[0,0,1] neg_hi:[0,0,1]
	v_pk_fma_f32 v[4:5], v[12:13], v[36:37], v[4:5] op_sel_hi:[1,0,1]
	s_nop 0
	v_mov_b32_e32 v4, v39
	v_mov_b32_e32 v7, v5
	v_pk_mul_f32 v[4:5], v[14:15], v[4:5] op_sel:[1,0] op_sel_hi:[0,0]
	v_pk_add_f32 v[2:3], v[2:3], v[6:7]
	v_pk_fma_f32 v[6:7], v[14:15], v[38:39], v[4:5] neg_lo:[0,0,1] neg_hi:[0,0,1]
	v_pk_fma_f32 v[4:5], v[14:15], v[38:39], v[4:5] op_sel_hi:[1,0,1]
	s_nop 0
	v_mov_b32_e32 v7, v5
	s_waitcnt vmcnt(0) lgkmcnt(0)
	v_pk_mul_f32 v[4:5], v[16:17], v[40:41] op_sel:[1,1] op_sel_hi:[0,1]
	v_pk_add_f32 v[2:3], v[2:3], v[6:7]
	v_pk_fma_f32 v[6:7], v[16:17], v[40:41], v[4:5] neg_lo:[0,0,1] neg_hi:[0,0,1]
	v_pk_fma_f32 v[4:5], v[16:17], v[40:41], v[4:5] op_sel_hi:[1,0,1]
	s_nop 0
	v_mov_b32_e32 v4, v43
	v_mov_b32_e32 v7, v5
	v_pk_mul_f32 v[4:5], v[18:19], v[4:5] op_sel:[1,0] op_sel_hi:[0,0]
	v_pk_add_f32 v[2:3], v[2:3], v[6:7]
	v_pk_fma_f32 v[6:7], v[18:19], v[42:43], v[4:5] neg_lo:[0,0,1] neg_hi:[0,0,1]
	v_pk_fma_f32 v[4:5], v[18:19], v[42:43], v[4:5] op_sel_hi:[1,0,1]
	s_nop 0
	v_mov_b32_e32 v7, v5
	scratch_load_dwordx2 v[4:5], off, off offset:176
	v_pk_add_f32 v[2:3], v[2:3], v[6:7]
	s_waitcnt vmcnt(0)
	v_pk_add_f32 v[2:3], v[4:5], v[2:3] neg_lo:[0,1] neg_hi:[0,1]
	scratch_store_dwordx2 off, v[2:3], off offset:176
	s_and_saveexec_b64 s[0:1], vcc
	s_cbranch_execz .LBB36_193
; %bb.192:
	scratch_load_dwordx2 v[2:3], off, off offset:168
	v_mov_b32_e32 v4, 0
	v_mov_b32_e32 v5, v4
	scratch_store_dwordx2 off, v[4:5], off offset:168
	s_waitcnt vmcnt(1)
	ds_write_b64 v1, v[2:3]
.LBB36_193:
	s_or_b64 exec, exec, s[0:1]
	v_mov_b32_e32 v2, 0
	s_waitcnt lgkmcnt(0)
	; wave barrier
	ds_read_b128 v[4:7], v2 offset:480
	ds_read_b128 v[8:11], v2 offset:496
	;; [unrolled: 1-line block ×4, first 2 shown]
	scratch_load_dwordx4 v[20:23], off, off offset:176
	v_cmp_lt_u32_e32 vcc, 20, v0
	s_waitcnt vmcnt(0) lgkmcnt(3)
	v_mul_f32_e32 v3, v4, v21
	v_fmac_f32_e32 v3, v5, v20
	v_mul_f32_e32 v24, v6, v23
	v_add_f32_e32 v3, 0, v3
	v_fmac_f32_e32 v24, v7, v22
	v_add_f32_e32 v3, v3, v24
	scratch_load_dwordx4 v[24:27], off, off offset:192
	s_waitcnt vmcnt(0) lgkmcnt(2)
	v_mul_f32_e32 v28, v8, v25
	v_fmac_f32_e32 v28, v9, v24
	v_add_f32_e32 v3, v3, v28
	v_mul_f32_e32 v28, v10, v27
	v_fmac_f32_e32 v28, v11, v26
	v_add_f32_e32 v3, v3, v28
	scratch_load_dwordx4 v[28:31], off, off offset:208
	s_waitcnt vmcnt(0) lgkmcnt(1)
	v_mul_f32_e32 v32, v12, v29
	v_fmac_f32_e32 v32, v13, v28
	v_add_f32_e32 v49, v3, v32
	scratch_load_dwordx4 v[32:35], off, off offset:224
	scratch_load_dwordx4 v[36:39], off, off offset:240
	;; [unrolled: 1-line block ×4, first 2 shown]
	scratch_load_dwordx2 v[54:55], off, off offset:288
	v_mul_f32_e32 v3, v5, v21
	v_fma_f32 v3, v4, v20, -v3
	v_mul_f32_e32 v4, v7, v23
	v_add_f32_e32 v3, 0, v3
	v_fma_f32 v4, v6, v22, -v4
	v_add_f32_e32 v3, v3, v4
	v_mul_f32_e32 v4, v9, v25
	v_fma_f32 v4, v8, v24, -v4
	v_add_f32_e32 v3, v3, v4
	v_mul_f32_e32 v4, v11, v27
	;; [unrolled: 3-line block ×3, first 2 shown]
	v_fma_f32 v4, v12, v28, -v4
	v_mul_f32_e32 v51, v14, v31
	v_add_f32_e32 v48, v3, v4
	v_mul_f32_e32 v3, v15, v31
	v_fmac_f32_e32 v51, v15, v30
	v_fma_f32 v50, v14, v30, -v3
	v_pk_add_f32 v[20:21], v[48:49], v[50:51]
	s_waitcnt vmcnt(4)
	v_mov_b32_e32 v22, v35
	s_waitcnt lgkmcnt(0)
	v_mul_f32_e32 v53, v16, v33
	v_mul_f32_e32 v3, v17, v33
	v_pk_mul_f32 v[22:23], v[18:19], v[22:23] op_sel:[1,0] op_sel_hi:[0,0]
	v_fmac_f32_e32 v53, v17, v32
	v_fma_f32 v52, v16, v32, -v3
	ds_read_b128 v[4:7], v2 offset:544
	ds_read_b128 v[8:11], v2 offset:560
	;; [unrolled: 1-line block ×3, first 2 shown]
	ds_read_b64 v[16:17], v2 offset:592
	v_pk_fma_f32 v[24:25], v[18:19], v[34:35], v[22:23] neg_lo:[0,0,1] neg_hi:[0,0,1]
	v_pk_fma_f32 v[18:19], v[18:19], v[34:35], v[22:23] op_sel_hi:[1,0,1]
	v_pk_add_f32 v[20:21], v[20:21], v[52:53]
	v_mov_b32_e32 v25, v19
	v_pk_add_f32 v[18:19], v[20:21], v[24:25]
	s_waitcnt vmcnt(3) lgkmcnt(3)
	v_pk_mul_f32 v[20:21], v[4:5], v[36:37] op_sel:[1,1] op_sel_hi:[0,1]
	v_pk_fma_f32 v[22:23], v[4:5], v[36:37], v[20:21] neg_lo:[0,0,1] neg_hi:[0,0,1]
	v_pk_fma_f32 v[4:5], v[4:5], v[36:37], v[20:21] op_sel_hi:[1,0,1]
	s_nop 0
	v_mov_b32_e32 v23, v5
	v_pk_add_f32 v[4:5], v[18:19], v[22:23]
	v_mov_b32_e32 v18, v39
	v_pk_mul_f32 v[18:19], v[6:7], v[18:19] op_sel:[1,0] op_sel_hi:[0,0]
	v_pk_fma_f32 v[20:21], v[6:7], v[38:39], v[18:19] neg_lo:[0,0,1] neg_hi:[0,0,1]
	v_pk_fma_f32 v[6:7], v[6:7], v[38:39], v[18:19] op_sel_hi:[1,0,1]
	s_nop 0
	v_mov_b32_e32 v21, v7
	s_waitcnt vmcnt(2) lgkmcnt(2)
	v_pk_mul_f32 v[6:7], v[8:9], v[40:41] op_sel:[1,1] op_sel_hi:[0,1]
	v_pk_fma_f32 v[18:19], v[8:9], v[40:41], v[6:7] neg_lo:[0,0,1] neg_hi:[0,0,1]
	v_pk_fma_f32 v[6:7], v[8:9], v[40:41], v[6:7] op_sel_hi:[1,0,1]
	v_pk_add_f32 v[4:5], v[4:5], v[20:21]
	v_mov_b32_e32 v6, v43
	v_mov_b32_e32 v19, v7
	v_pk_mul_f32 v[6:7], v[10:11], v[6:7] op_sel:[1,0] op_sel_hi:[0,0]
	v_pk_fma_f32 v[8:9], v[10:11], v[42:43], v[6:7] neg_lo:[0,0,1] neg_hi:[0,0,1]
	v_pk_fma_f32 v[6:7], v[10:11], v[42:43], v[6:7] op_sel_hi:[1,0,1]
	v_pk_add_f32 v[4:5], v[4:5], v[18:19]
	v_mov_b32_e32 v9, v7
	s_waitcnt vmcnt(1) lgkmcnt(1)
	v_pk_mul_f32 v[6:7], v[12:13], v[44:45] op_sel:[1,1] op_sel_hi:[0,1]
	v_pk_add_f32 v[4:5], v[4:5], v[8:9]
	v_pk_fma_f32 v[8:9], v[12:13], v[44:45], v[6:7] neg_lo:[0,0,1] neg_hi:[0,0,1]
	v_pk_fma_f32 v[6:7], v[12:13], v[44:45], v[6:7] op_sel_hi:[1,0,1]
	s_nop 0
	v_mov_b32_e32 v6, v47
	v_mov_b32_e32 v9, v7
	v_pk_mul_f32 v[6:7], v[14:15], v[6:7] op_sel:[1,0] op_sel_hi:[0,0]
	v_pk_add_f32 v[4:5], v[4:5], v[8:9]
	v_pk_fma_f32 v[8:9], v[14:15], v[46:47], v[6:7] neg_lo:[0,0,1] neg_hi:[0,0,1]
	v_pk_fma_f32 v[6:7], v[14:15], v[46:47], v[6:7] op_sel_hi:[1,0,1]
	s_nop 0
	v_mov_b32_e32 v9, v7
	s_waitcnt vmcnt(0) lgkmcnt(0)
	v_pk_mul_f32 v[6:7], v[16:17], v[54:55] op_sel:[1,1] op_sel_hi:[0,1]
	v_pk_add_f32 v[4:5], v[4:5], v[8:9]
	v_pk_fma_f32 v[8:9], v[16:17], v[54:55], v[6:7] neg_lo:[0,0,1] neg_hi:[0,0,1]
	v_pk_fma_f32 v[6:7], v[16:17], v[54:55], v[6:7] op_sel_hi:[1,0,1]
	s_nop 0
	v_mov_b32_e32 v9, v7
	scratch_load_dwordx2 v[6:7], off, off offset:168
	v_pk_add_f32 v[4:5], v[4:5], v[8:9]
	s_waitcnt vmcnt(0)
	v_pk_add_f32 v[4:5], v[6:7], v[4:5] neg_lo:[0,1] neg_hi:[0,1]
	scratch_store_dwordx2 off, v[4:5], off offset:168
	s_and_saveexec_b64 s[0:1], vcc
	s_cbranch_execz .LBB36_195
; %bb.194:
	scratch_load_dwordx2 v[4:5], off, off offset:160
	v_mov_b32_e32 v3, v2
	scratch_store_dwordx2 off, v[2:3], off offset:160
	s_waitcnt vmcnt(1)
	ds_write_b64 v1, v[4:5]
.LBB36_195:
	s_or_b64 exec, exec, s[0:1]
	s_waitcnt lgkmcnt(0)
	; wave barrier
	scratch_load_dwordx4 v[4:7], off, off offset:168
	scratch_load_dwordx4 v[8:11], off, off offset:184
	scratch_load_dwordx4 v[12:15], off, off offset:200
	scratch_load_dwordx4 v[16:19], off, off offset:216
	scratch_load_dwordx4 v[20:23], off, off offset:232
	scratch_load_dwordx4 v[24:27], off, off offset:248
	scratch_load_dwordx4 v[28:31], off, off offset:264
	ds_read2_b64 v[32:35], v2 offset0:59 offset1:60
	ds_read2_b64 v[36:39], v2 offset0:61 offset1:62
	;; [unrolled: 1-line block ×4, first 2 shown]
	scratch_load_dwordx4 v[48:51], off, off offset:280
	ds_read2_b64 v[52:55], v2 offset0:67 offset1:68
	ds_read2_b64 v[56:59], v2 offset0:69 offset1:70
	;; [unrolled: 1-line block ×4, first 2 shown]
	scratch_load_dwordx2 v[2:3], off, off offset:160
	v_cmp_lt_u32_e32 vcc, 19, v0
	s_waitcnt vmcnt(8) lgkmcnt(7)
	v_mul_f32_e32 v75, v32, v5
	v_mul_f32_e32 v79, v34, v7
	s_waitcnt vmcnt(7) lgkmcnt(6)
	v_mul_f32_e32 v83, v36, v9
	v_mul_f32_e32 v84, v38, v11
	;; [unrolled: 3-line block ×3, first 2 shown]
	v_mul_f32_e32 v5, v33, v5
	v_mul_f32_e32 v7, v35, v7
	;; [unrolled: 1-line block ×6, first 2 shown]
	s_waitcnt vmcnt(4) lgkmcnt(3)
	v_pk_mul_f32 v[72:73], v[52:53], v[20:21] op_sel:[1,1] op_sel_hi:[0,1]
	v_mov_b32_e32 v74, v23
	s_waitcnt vmcnt(3) lgkmcnt(2)
	v_pk_mul_f32 v[76:77], v[56:57], v[24:25] op_sel:[1,1] op_sel_hi:[0,1]
	v_mov_b32_e32 v78, v27
	v_fmac_f32_e32 v75, v33, v4
	v_fmac_f32_e32 v79, v35, v6
	;; [unrolled: 1-line block ×6, first 2 shown]
	v_fma_f32 v32, v32, v4, -v5
	v_fma_f32 v33, v34, v6, -v7
	;; [unrolled: 1-line block ×6, first 2 shown]
	v_pk_fma_f32 v[4:5], v[52:53], v[20:21], v[72:73] neg_lo:[0,0,1] neg_hi:[0,0,1]
	v_pk_fma_f32 v[6:7], v[52:53], v[20:21], v[72:73] op_sel_hi:[1,0,1]
	v_pk_mul_f32 v[8:9], v[54:55], v[74:75] op_sel:[1,0] op_sel_hi:[0,0]
	v_pk_fma_f32 v[10:11], v[56:57], v[24:25], v[76:77] neg_lo:[0,0,1] neg_hi:[0,0,1]
	v_pk_fma_f32 v[12:13], v[56:57], v[24:25], v[76:77] op_sel_hi:[1,0,1]
	v_pk_mul_f32 v[14:15], v[58:59], v[78:79] op_sel:[1,0] op_sel_hi:[0,0]
	v_add_f32_e32 v24, 0, v75
	v_add_f32_e32 v25, 0, v32
	v_mov_b32_e32 v5, v7
	v_pk_fma_f32 v[6:7], v[54:55], v[22:23], v[8:9] neg_lo:[0,0,1] neg_hi:[0,0,1]
	v_pk_fma_f32 v[8:9], v[54:55], v[22:23], v[8:9] op_sel_hi:[1,0,1]
	v_mov_b32_e32 v11, v13
	v_pk_fma_f32 v[12:13], v[58:59], v[26:27], v[14:15] neg_lo:[0,0,1] neg_hi:[0,0,1]
	v_pk_fma_f32 v[14:15], v[58:59], v[26:27], v[14:15] op_sel_hi:[1,0,1]
	v_add_f32_e32 v8, v24, v79
	v_add_f32_e32 v14, v25, v33
	v_mov_b32_e32 v7, v9
	v_add_f32_e32 v8, v8, v83
	v_add_f32_e32 v9, v14, v34
	;; [unrolled: 1-line block ×4, first 2 shown]
	v_mul_f32_e32 v69, v44, v17
	v_mul_f32_e32 v17, v45, v17
	v_add_f32_e32 v8, v8, v85
	v_add_f32_e32 v14, v9, v36
	v_mul_f32_e32 v71, v46, v19
	v_mul_f32_e32 v19, v47, v19
	v_fmac_f32_e32 v69, v45, v16
	v_fma_f32 v68, v44, v16, -v17
	v_add_f32_e32 v9, v8, v86
	v_add_f32_e32 v8, v14, v37
	v_fmac_f32_e32 v71, v47, v18
	v_fma_f32 v70, v46, v18, -v19
	v_pk_add_f32 v[8:9], v[8:9], v[68:69]
	s_waitcnt vmcnt(2) lgkmcnt(1)
	v_pk_mul_f32 v[80:81], v[60:61], v[28:29] op_sel:[1,1] op_sel_hi:[0,1]
	v_mov_b32_e32 v82, v31
	v_pk_add_f32 v[8:9], v[8:9], v[70:71]
	v_pk_fma_f32 v[16:17], v[60:61], v[28:29], v[80:81] neg_lo:[0,0,1] neg_hi:[0,0,1]
	v_pk_fma_f32 v[18:19], v[60:61], v[28:29], v[80:81] op_sel_hi:[1,0,1]
	v_pk_mul_f32 v[20:21], v[62:63], v[82:83] op_sel:[1,0] op_sel_hi:[0,0]
	v_pk_add_f32 v[4:5], v[8:9], v[4:5]
	v_mov_b32_e32 v17, v19
	v_pk_fma_f32 v[18:19], v[62:63], v[30:31], v[20:21] neg_lo:[0,0,1] neg_hi:[0,0,1]
	v_pk_add_f32 v[4:5], v[4:5], v[6:7]
	v_pk_fma_f32 v[6:7], v[62:63], v[30:31], v[20:21] op_sel_hi:[1,0,1]
	v_mov_b32_e32 v13, v15
	v_pk_add_f32 v[4:5], v[4:5], v[10:11]
	v_mov_b32_e32 v19, v7
	s_waitcnt vmcnt(1) lgkmcnt(0)
	v_pk_mul_f32 v[6:7], v[64:65], v[48:49] op_sel:[1,1] op_sel_hi:[0,1]
	v_pk_add_f32 v[4:5], v[4:5], v[12:13]
	v_pk_fma_f32 v[8:9], v[64:65], v[48:49], v[6:7] neg_lo:[0,0,1] neg_hi:[0,0,1]
	v_pk_fma_f32 v[6:7], v[64:65], v[48:49], v[6:7] op_sel_hi:[1,0,1]
	v_pk_add_f32 v[4:5], v[4:5], v[16:17]
	v_mov_b32_e32 v6, v51
	v_pk_add_f32 v[4:5], v[4:5], v[18:19]
	v_mov_b32_e32 v9, v7
	v_pk_mul_f32 v[6:7], v[66:67], v[6:7] op_sel:[1,0] op_sel_hi:[0,0]
	v_pk_add_f32 v[4:5], v[4:5], v[8:9]
	v_pk_fma_f32 v[8:9], v[66:67], v[50:51], v[6:7] neg_lo:[0,0,1] neg_hi:[0,0,1]
	v_pk_fma_f32 v[6:7], v[66:67], v[50:51], v[6:7] op_sel_hi:[1,0,1]
	s_nop 0
	v_mov_b32_e32 v9, v7
	v_pk_add_f32 v[4:5], v[4:5], v[8:9]
	s_waitcnt vmcnt(0)
	v_pk_add_f32 v[2:3], v[2:3], v[4:5] neg_lo:[0,1] neg_hi:[0,1]
	scratch_store_dwordx2 off, v[2:3], off offset:160
	s_and_saveexec_b64 s[0:1], vcc
	s_cbranch_execz .LBB36_197
; %bb.196:
	scratch_load_dwordx2 v[2:3], off, off offset:152
	v_mov_b32_e32 v4, 0
	v_mov_b32_e32 v5, v4
	scratch_store_dwordx2 off, v[4:5], off offset:152
	s_waitcnt vmcnt(1)
	ds_write_b64 v1, v[2:3]
.LBB36_197:
	s_or_b64 exec, exec, s[0:1]
	s_waitcnt lgkmcnt(0)
	; wave barrier
	scratch_load_dwordx4 v[4:7], off, off offset:160
	scratch_load_dwordx4 v[8:11], off, off offset:176
	;; [unrolled: 1-line block ×8, first 2 shown]
	scratch_load_dwordx2 v[68:69], off, off offset:288
	scratch_load_dwordx2 v[70:71], off, off offset:152
	v_mov_b32_e32 v2, 0
	ds_read_b128 v[36:39], v2 offset:464
	ds_read_b128 v[40:43], v2 offset:480
	;; [unrolled: 1-line block ×8, first 2 shown]
	ds_read_b64 v[72:73], v2 offset:592
	v_cmp_lt_u32_e32 vcc, 18, v0
	s_waitcnt vmcnt(9) lgkmcnt(8)
	v_mul_f32_e32 v79, v38, v7
	v_mul_f32_e32 v3, v36, v5
	s_waitcnt vmcnt(8) lgkmcnt(7)
	v_mul_f32_e32 v83, v40, v9
	s_waitcnt vmcnt(7) lgkmcnt(6)
	v_mul_f32_e32 v87, v44, v13
	v_mul_f32_e32 v5, v37, v5
	;; [unrolled: 1-line block ×5, first 2 shown]
	s_waitcnt vmcnt(5)
	v_mov_b32_e32 v78, v23
	s_waitcnt vmcnt(3) lgkmcnt(2)
	v_pk_mul_f32 v[84:85], v[60:61], v[28:29] op_sel:[1,1] op_sel_hi:[0,1]
	v_fmac_f32_e32 v79, v39, v6
	v_mul_f32_e32 v86, v42, v11
	v_mul_f32_e32 v89, v48, v17
	;; [unrolled: 1-line block ×4, first 2 shown]
	v_fmac_f32_e32 v3, v37, v4
	v_fmac_f32_e32 v87, v45, v12
	v_fma_f32 v36, v36, v4, -v5
	v_fma_f32 v37, v38, v6, -v7
	;; [unrolled: 1-line block ×4, first 2 shown]
	v_pk_mul_f32 v[4:5], v[54:55], v[78:79] op_sel:[1,0] op_sel_hi:[0,0]
	v_pk_fma_f32 v[12:13], v[60:61], v[28:29], v[84:85] neg_lo:[0,0,1] neg_hi:[0,0,1]
	v_fmac_f32_e32 v89, v49, v16
	v_fma_f32 v39, v42, v10, -v11
	v_fma_f32 v42, v48, v16, -v17
	v_add_f32_e32 v3, 0, v3
	v_add_f32_e32 v13, 0, v36
	v_pk_fma_f32 v[16:17], v[54:55], v[22:23], v[4:5] neg_lo:[0,0,1] neg_hi:[0,0,1]
	v_pk_fma_f32 v[4:5], v[54:55], v[22:23], v[4:5] op_sel_hi:[1,0,1]
	v_fmac_f32_e32 v83, v41, v8
	v_add_f32_e32 v3, v3, v79
	v_add_f32_e32 v4, v13, v37
	v_fmac_f32_e32 v86, v43, v10
	v_add_f32_e32 v3, v3, v83
	v_add_f32_e32 v4, v4, v38
	v_mul_f32_e32 v88, v46, v15
	v_mul_f32_e32 v15, v47, v15
	v_add_f32_e32 v3, v3, v86
	v_add_f32_e32 v4, v4, v39
	v_fmac_f32_e32 v88, v47, v14
	v_fma_f32 v41, v46, v14, -v15
	v_add_f32_e32 v3, v3, v87
	v_add_f32_e32 v4, v4, v40
	v_mul_f32_e32 v75, v50, v19
	v_mul_f32_e32 v19, v51, v19
	v_add_f32_e32 v3, v3, v88
	v_add_f32_e32 v4, v4, v41
	v_mul_f32_e32 v77, v52, v21
	v_mul_f32_e32 v21, v53, v21
	v_fmac_f32_e32 v75, v51, v18
	v_fma_f32 v74, v50, v18, -v19
	v_mov_b32_e32 v17, v5
	v_add_f32_e32 v5, v3, v89
	v_add_f32_e32 v4, v4, v42
	v_pk_mul_f32 v[80:81], v[56:57], v[24:25] op_sel:[1,1] op_sel_hi:[0,1]
	v_fmac_f32_e32 v77, v53, v20
	v_fma_f32 v76, v52, v20, -v21
	v_pk_add_f32 v[4:5], v[4:5], v[74:75]
	v_mov_b32_e32 v82, v27
	v_pk_fma_f32 v[6:7], v[56:57], v[24:25], v[80:81] neg_lo:[0,0,1] neg_hi:[0,0,1]
	v_pk_fma_f32 v[8:9], v[56:57], v[24:25], v[80:81] op_sel_hi:[1,0,1]
	v_pk_add_f32 v[4:5], v[4:5], v[76:77]
	v_pk_mul_f32 v[10:11], v[58:59], v[82:83] op_sel:[1,0] op_sel_hi:[0,0]
	v_mov_b32_e32 v7, v9
	v_pk_add_f32 v[4:5], v[4:5], v[16:17]
	v_pk_fma_f32 v[8:9], v[58:59], v[26:27], v[10:11] neg_lo:[0,0,1] neg_hi:[0,0,1]
	v_pk_fma_f32 v[10:11], v[58:59], v[26:27], v[10:11] op_sel_hi:[1,0,1]
	v_pk_add_f32 v[4:5], v[4:5], v[6:7]
	v_mov_b32_e32 v6, v31
	v_pk_fma_f32 v[14:15], v[60:61], v[28:29], v[84:85] op_sel_hi:[1,0,1]
	v_mov_b32_e32 v9, v11
	v_pk_mul_f32 v[6:7], v[62:63], v[6:7] op_sel:[1,0] op_sel_hi:[0,0]
	v_pk_add_f32 v[4:5], v[4:5], v[8:9]
	v_mov_b32_e32 v13, v15
	v_pk_fma_f32 v[8:9], v[62:63], v[30:31], v[6:7] neg_lo:[0,0,1] neg_hi:[0,0,1]
	v_pk_fma_f32 v[6:7], v[62:63], v[30:31], v[6:7] op_sel_hi:[1,0,1]
	v_pk_add_f32 v[4:5], v[4:5], v[12:13]
	v_mov_b32_e32 v9, v7
	s_waitcnt vmcnt(2) lgkmcnt(1)
	v_pk_mul_f32 v[6:7], v[64:65], v[32:33] op_sel:[1,1] op_sel_hi:[0,1]
	v_pk_add_f32 v[4:5], v[4:5], v[8:9]
	v_pk_fma_f32 v[8:9], v[64:65], v[32:33], v[6:7] neg_lo:[0,0,1] neg_hi:[0,0,1]
	v_pk_fma_f32 v[6:7], v[64:65], v[32:33], v[6:7] op_sel_hi:[1,0,1]
	s_nop 0
	v_mov_b32_e32 v6, v35
	v_mov_b32_e32 v9, v7
	v_pk_mul_f32 v[6:7], v[66:67], v[6:7] op_sel:[1,0] op_sel_hi:[0,0]
	v_pk_add_f32 v[4:5], v[4:5], v[8:9]
	v_pk_fma_f32 v[8:9], v[66:67], v[34:35], v[6:7] neg_lo:[0,0,1] neg_hi:[0,0,1]
	v_pk_fma_f32 v[6:7], v[66:67], v[34:35], v[6:7] op_sel_hi:[1,0,1]
	s_nop 0
	v_mov_b32_e32 v9, v7
	s_waitcnt vmcnt(1) lgkmcnt(0)
	v_pk_mul_f32 v[6:7], v[72:73], v[68:69] op_sel:[1,1] op_sel_hi:[0,1]
	v_pk_add_f32 v[4:5], v[4:5], v[8:9]
	v_pk_fma_f32 v[8:9], v[72:73], v[68:69], v[6:7] neg_lo:[0,0,1] neg_hi:[0,0,1]
	v_pk_fma_f32 v[6:7], v[72:73], v[68:69], v[6:7] op_sel_hi:[1,0,1]
	s_nop 0
	v_mov_b32_e32 v9, v7
	v_pk_add_f32 v[4:5], v[4:5], v[8:9]
	s_waitcnt vmcnt(0)
	v_pk_add_f32 v[4:5], v[70:71], v[4:5] neg_lo:[0,1] neg_hi:[0,1]
	scratch_store_dwordx2 off, v[4:5], off offset:152
	s_and_saveexec_b64 s[0:1], vcc
	s_cbranch_execz .LBB36_199
; %bb.198:
	scratch_load_dwordx2 v[4:5], off, off offset:144
	v_mov_b32_e32 v3, v2
	scratch_store_dwordx2 off, v[2:3], off offset:144
	s_waitcnt vmcnt(1)
	ds_write_b64 v1, v[4:5]
.LBB36_199:
	s_or_b64 exec, exec, s[0:1]
	s_waitcnt lgkmcnt(0)
	; wave barrier
	scratch_load_dwordx4 v[4:7], off, off offset:152
	scratch_load_dwordx4 v[8:11], off, off offset:168
	;; [unrolled: 1-line block ×7, first 2 shown]
	ds_read2_b64 v[32:35], v2 offset0:57 offset1:58
	ds_read2_b64 v[36:39], v2 offset0:59 offset1:60
	;; [unrolled: 1-line block ×4, first 2 shown]
	scratch_load_dwordx4 v[48:51], off, off offset:264
	scratch_load_dwordx4 v[52:55], off, off offset:280
	ds_read2_b64 v[56:59], v2 offset0:65 offset1:66
	ds_read2_b64 v[60:63], v2 offset0:67 offset1:68
	;; [unrolled: 1-line block ×5, first 2 shown]
	scratch_load_dwordx2 v[2:3], off, off offset:144
	v_cmp_lt_u32_e32 vcc, 17, v0
	s_waitcnt vmcnt(9) lgkmcnt(8)
	v_mul_f32_e32 v83, v32, v5
	v_mul_f32_e32 v86, v34, v7
	s_waitcnt vmcnt(8) lgkmcnt(7)
	v_mul_f32_e32 v87, v36, v9
	s_waitcnt vmcnt(7) lgkmcnt(6)
	v_mul_f32_e32 v89, v40, v13
	v_mul_f32_e32 v5, v33, v5
	;; [unrolled: 1-line block ×5, first 2 shown]
	s_waitcnt vmcnt(4) lgkmcnt(3)
	v_pk_mul_f32 v[80:81], v[60:61], v[24:25] op_sel:[1,1] op_sel_hi:[0,1]
	v_mov_b32_e32 v82, v27
	s_waitcnt vmcnt(3) lgkmcnt(2)
	v_pk_mul_f32 v[84:85], v[64:65], v[28:29] op_sel:[1,1] op_sel_hi:[0,1]
	v_fmac_f32_e32 v83, v33, v4
	v_mul_f32_e32 v90, v42, v15
	v_mul_f32_e32 v91, v44, v17
	;; [unrolled: 1-line block ×4, first 2 shown]
	v_fmac_f32_e32 v86, v35, v6
	v_fmac_f32_e32 v87, v37, v8
	;; [unrolled: 1-line block ×3, first 2 shown]
	v_fma_f32 v32, v32, v4, -v5
	v_fma_f32 v33, v34, v6, -v7
	;; [unrolled: 1-line block ×4, first 2 shown]
	v_pk_fma_f32 v[4:5], v[60:61], v[24:25], v[80:81] neg_lo:[0,0,1] neg_hi:[0,0,1]
	v_pk_fma_f32 v[6:7], v[60:61], v[24:25], v[80:81] op_sel_hi:[1,0,1]
	v_pk_mul_f32 v[8:9], v[62:63], v[82:83] op_sel:[1,0] op_sel_hi:[0,0]
	v_pk_fma_f32 v[12:13], v[64:65], v[28:29], v[84:85] op_sel_hi:[1,0,1]
	v_fmac_f32_e32 v90, v43, v14
	v_fma_f32 v14, v42, v14, -v15
	v_fma_f32 v15, v44, v16, -v17
	v_add_f32_e32 v12, 0, v83
	v_add_f32_e32 v17, 0, v32
	v_mov_b32_e32 v5, v7
	v_pk_fma_f32 v[6:7], v[62:63], v[26:27], v[8:9] neg_lo:[0,0,1] neg_hi:[0,0,1]
	v_pk_fma_f32 v[8:9], v[62:63], v[26:27], v[8:9] op_sel_hi:[1,0,1]
	v_mul_f32_e32 v88, v38, v11
	v_mul_f32_e32 v11, v39, v11
	v_add_f32_e32 v8, v12, v86
	v_add_f32_e32 v12, v17, v33
	v_fmac_f32_e32 v88, v39, v10
	v_fma_f32 v35, v38, v10, -v11
	v_mov_b32_e32 v7, v9
	v_add_f32_e32 v8, v8, v87
	v_add_f32_e32 v9, v12, v34
	;; [unrolled: 1-line block ×6, first 2 shown]
	v_mul_f32_e32 v92, v46, v19
	v_mul_f32_e32 v19, v47, v19
	v_fmac_f32_e32 v91, v45, v16
	v_add_f32_e32 v8, v8, v90
	v_add_f32_e32 v9, v9, v14
	v_mul_f32_e32 v77, v56, v21
	v_mul_f32_e32 v21, v57, v21
	v_fmac_f32_e32 v92, v47, v18
	v_fma_f32 v16, v46, v18, -v19
	v_add_f32_e32 v8, v8, v91
	v_add_f32_e32 v12, v9, v15
	v_mul_f32_e32 v79, v58, v23
	v_mul_f32_e32 v23, v59, v23
	v_fmac_f32_e32 v77, v57, v20
	v_fma_f32 v76, v56, v20, -v21
	v_add_f32_e32 v9, v8, v92
	v_add_f32_e32 v8, v12, v16
	v_fmac_f32_e32 v79, v59, v22
	v_fma_f32 v78, v58, v22, -v23
	v_pk_add_f32 v[8:9], v[8:9], v[76:77]
	v_pk_fma_f32 v[10:11], v[64:65], v[28:29], v[84:85] neg_lo:[0,0,1] neg_hi:[0,0,1]
	v_pk_add_f32 v[8:9], v[8:9], v[78:79]
	v_mov_b32_e32 v11, v13
	v_pk_add_f32 v[4:5], v[8:9], v[4:5]
	s_nop 0
	v_pk_add_f32 v[4:5], v[4:5], v[6:7]
	v_mov_b32_e32 v6, v31
	v_pk_mul_f32 v[6:7], v[66:67], v[6:7] op_sel:[1,0] op_sel_hi:[0,0]
	v_pk_fma_f32 v[8:9], v[66:67], v[30:31], v[6:7] neg_lo:[0,0,1] neg_hi:[0,0,1]
	v_pk_fma_f32 v[6:7], v[66:67], v[30:31], v[6:7] op_sel_hi:[1,0,1]
	v_pk_add_f32 v[4:5], v[4:5], v[10:11]
	v_mov_b32_e32 v9, v7
	s_waitcnt vmcnt(2) lgkmcnt(1)
	v_pk_mul_f32 v[6:7], v[68:69], v[48:49] op_sel:[1,1] op_sel_hi:[0,1]
	v_pk_add_f32 v[4:5], v[4:5], v[8:9]
	v_pk_fma_f32 v[8:9], v[68:69], v[48:49], v[6:7] neg_lo:[0,0,1] neg_hi:[0,0,1]
	v_pk_fma_f32 v[6:7], v[68:69], v[48:49], v[6:7] op_sel_hi:[1,0,1]
	s_nop 0
	v_mov_b32_e32 v6, v51
	v_mov_b32_e32 v9, v7
	v_pk_mul_f32 v[6:7], v[70:71], v[6:7] op_sel:[1,0] op_sel_hi:[0,0]
	v_pk_add_f32 v[4:5], v[4:5], v[8:9]
	v_pk_fma_f32 v[8:9], v[70:71], v[50:51], v[6:7] neg_lo:[0,0,1] neg_hi:[0,0,1]
	v_pk_fma_f32 v[6:7], v[70:71], v[50:51], v[6:7] op_sel_hi:[1,0,1]
	s_nop 0
	v_mov_b32_e32 v9, v7
	s_waitcnt vmcnt(1) lgkmcnt(0)
	v_pk_mul_f32 v[6:7], v[72:73], v[52:53] op_sel:[1,1] op_sel_hi:[0,1]
	v_pk_add_f32 v[4:5], v[4:5], v[8:9]
	v_pk_fma_f32 v[8:9], v[72:73], v[52:53], v[6:7] neg_lo:[0,0,1] neg_hi:[0,0,1]
	v_pk_fma_f32 v[6:7], v[72:73], v[52:53], v[6:7] op_sel_hi:[1,0,1]
	s_nop 0
	v_mov_b32_e32 v6, v55
	v_mov_b32_e32 v9, v7
	v_pk_mul_f32 v[6:7], v[74:75], v[6:7] op_sel:[1,0] op_sel_hi:[0,0]
	v_pk_add_f32 v[4:5], v[4:5], v[8:9]
	v_pk_fma_f32 v[8:9], v[74:75], v[54:55], v[6:7] neg_lo:[0,0,1] neg_hi:[0,0,1]
	v_pk_fma_f32 v[6:7], v[74:75], v[54:55], v[6:7] op_sel_hi:[1,0,1]
	s_nop 0
	v_mov_b32_e32 v9, v7
	v_pk_add_f32 v[4:5], v[4:5], v[8:9]
	s_waitcnt vmcnt(0)
	v_pk_add_f32 v[2:3], v[2:3], v[4:5] neg_lo:[0,1] neg_hi:[0,1]
	scratch_store_dwordx2 off, v[2:3], off offset:144
	s_and_saveexec_b64 s[0:1], vcc
	s_cbranch_execz .LBB36_201
; %bb.200:
	scratch_load_dwordx2 v[2:3], off, off offset:136
	v_mov_b32_e32 v4, 0
	v_mov_b32_e32 v5, v4
	scratch_store_dwordx2 off, v[4:5], off offset:136
	s_waitcnt vmcnt(1)
	ds_write_b64 v1, v[2:3]
.LBB36_201:
	s_or_b64 exec, exec, s[0:1]
	s_waitcnt lgkmcnt(0)
	; wave barrier
	scratch_load_dwordx4 v[4:7], off, off offset:144
	scratch_load_dwordx4 v[8:11], off, off offset:160
	;; [unrolled: 1-line block ×9, first 2 shown]
	scratch_load_dwordx2 v[76:77], off, off offset:288
	scratch_load_dwordx2 v[78:79], off, off offset:136
	v_mov_b32_e32 v2, 0
	ds_read_b128 v[40:43], v2 offset:448
	ds_read_b128 v[44:47], v2 offset:464
	;; [unrolled: 1-line block ×9, first 2 shown]
	ds_read_b64 v[80:81], v2 offset:592
	v_cmp_lt_u32_e32 vcc, 16, v0
	s_waitcnt vmcnt(10) lgkmcnt(9)
	v_mul_f32_e32 v87, v42, v7
	v_mul_f32_e32 v3, v40, v5
	;; [unrolled: 1-line block ×3, first 2 shown]
	v_fmac_f32_e32 v87, v43, v6
	s_waitcnt vmcnt(9) lgkmcnt(8)
	v_mul_f32_e32 v88, v44, v9
	s_waitcnt vmcnt(5)
	v_mov_b32_e32 v86, v27
	v_mul_f32_e32 v89, v46, v11
	s_waitcnt lgkmcnt(7)
	v_mul_f32_e32 v91, v50, v15
	v_mul_f32_e32 v7, v43, v7
	v_mul_f32_e32 v9, v45, v9
	v_mul_f32_e32 v11, v47, v11
	v_mul_f32_e32 v15, v51, v15
	v_fmac_f32_e32 v3, v41, v4
	v_fma_f32 v40, v40, v4, -v5
	s_waitcnt lgkmcnt(4)
	v_pk_mul_f32 v[4:5], v[62:63], v[86:87] op_sel:[1,0] op_sel_hi:[0,0]
	v_fmac_f32_e32 v88, v45, v8
	v_fma_f32 v41, v42, v6, -v7
	v_fma_f32 v8, v44, v8, -v9
	;; [unrolled: 1-line block ×4, first 2 shown]
	v_add_f32_e32 v3, 0, v3
	v_add_f32_e32 v15, 0, v40
	v_pk_fma_f32 v[6:7], v[62:63], v[26:27], v[4:5] neg_lo:[0,0,1] neg_hi:[0,0,1]
	v_pk_fma_f32 v[4:5], v[62:63], v[26:27], v[4:5] op_sel_hi:[1,0,1]
	v_add_f32_e32 v3, v3, v87
	v_add_f32_e32 v4, v15, v41
	v_mul_f32_e32 v90, v48, v13
	v_mul_f32_e32 v13, v49, v13
	v_fmac_f32_e32 v89, v47, v10
	v_add_f32_e32 v3, v3, v88
	v_add_f32_e32 v4, v4, v8
	v_fmac_f32_e32 v90, v49, v12
	v_fma_f32 v10, v48, v12, -v13
	v_add_f32_e32 v3, v3, v89
	v_add_f32_e32 v4, v4, v9
	v_mul_f32_e32 v92, v52, v17
	v_mul_f32_e32 v17, v53, v17
	v_fmac_f32_e32 v91, v51, v14
	v_add_f32_e32 v3, v3, v90
	v_add_f32_e32 v4, v4, v10
	v_mul_f32_e32 v93, v54, v19
	v_mul_f32_e32 v19, v55, v19
	v_fmac_f32_e32 v92, v53, v16
	v_fma_f32 v12, v52, v16, -v17
	v_add_f32_e32 v3, v3, v91
	v_add_f32_e32 v4, v4, v11
	v_mul_f32_e32 v94, v56, v21
	v_mul_f32_e32 v21, v57, v21
	v_fmac_f32_e32 v93, v55, v18
	v_fma_f32 v13, v54, v18, -v19
	;; [unrolled: 6-line block ×4, first 2 shown]
	v_mov_b32_e32 v7, v5
	v_add_f32_e32 v5, v3, v94
	v_add_f32_e32 v4, v4, v14
	v_fmac_f32_e32 v85, v61, v24
	v_fma_f32 v84, v60, v24, -v25
	v_pk_add_f32 v[4:5], v[4:5], v[82:83]
	s_nop 0
	v_pk_add_f32 v[4:5], v[4:5], v[84:85]
	s_nop 0
	v_pk_add_f32 v[4:5], v[4:5], v[6:7]
	s_waitcnt vmcnt(4) lgkmcnt(3)
	v_pk_mul_f32 v[6:7], v[64:65], v[28:29] op_sel:[1,1] op_sel_hi:[0,1]
	v_pk_fma_f32 v[8:9], v[64:65], v[28:29], v[6:7] neg_lo:[0,0,1] neg_hi:[0,0,1]
	v_pk_fma_f32 v[6:7], v[64:65], v[28:29], v[6:7] op_sel_hi:[1,0,1]
	s_nop 0
	v_mov_b32_e32 v6, v31
	v_mov_b32_e32 v9, v7
	v_pk_mul_f32 v[6:7], v[66:67], v[6:7] op_sel:[1,0] op_sel_hi:[0,0]
	v_pk_add_f32 v[4:5], v[4:5], v[8:9]
	v_pk_fma_f32 v[8:9], v[66:67], v[30:31], v[6:7] neg_lo:[0,0,1] neg_hi:[0,0,1]
	v_pk_fma_f32 v[6:7], v[66:67], v[30:31], v[6:7] op_sel_hi:[1,0,1]
	s_nop 0
	v_mov_b32_e32 v9, v7
	s_waitcnt vmcnt(3) lgkmcnt(2)
	v_pk_mul_f32 v[6:7], v[68:69], v[32:33] op_sel:[1,1] op_sel_hi:[0,1]
	v_pk_add_f32 v[4:5], v[4:5], v[8:9]
	v_pk_fma_f32 v[8:9], v[68:69], v[32:33], v[6:7] neg_lo:[0,0,1] neg_hi:[0,0,1]
	v_pk_fma_f32 v[6:7], v[68:69], v[32:33], v[6:7] op_sel_hi:[1,0,1]
	s_nop 0
	v_mov_b32_e32 v6, v35
	v_mov_b32_e32 v9, v7
	v_pk_mul_f32 v[6:7], v[70:71], v[6:7] op_sel:[1,0] op_sel_hi:[0,0]
	v_pk_add_f32 v[4:5], v[4:5], v[8:9]
	v_pk_fma_f32 v[8:9], v[70:71], v[34:35], v[6:7] neg_lo:[0,0,1] neg_hi:[0,0,1]
	v_pk_fma_f32 v[6:7], v[70:71], v[34:35], v[6:7] op_sel_hi:[1,0,1]
	s_nop 0
	v_mov_b32_e32 v9, v7
	s_waitcnt vmcnt(2) lgkmcnt(1)
	v_pk_mul_f32 v[6:7], v[72:73], v[36:37] op_sel:[1,1] op_sel_hi:[0,1]
	v_pk_add_f32 v[4:5], v[4:5], v[8:9]
	;; [unrolled: 14-line block ×3, first 2 shown]
	v_pk_fma_f32 v[8:9], v[80:81], v[76:77], v[6:7] neg_lo:[0,0,1] neg_hi:[0,0,1]
	v_pk_fma_f32 v[6:7], v[80:81], v[76:77], v[6:7] op_sel_hi:[1,0,1]
	s_nop 0
	v_mov_b32_e32 v9, v7
	v_pk_add_f32 v[4:5], v[4:5], v[8:9]
	s_waitcnt vmcnt(0)
	v_pk_add_f32 v[4:5], v[78:79], v[4:5] neg_lo:[0,1] neg_hi:[0,1]
	scratch_store_dwordx2 off, v[4:5], off offset:136
	s_and_saveexec_b64 s[0:1], vcc
	s_cbranch_execz .LBB36_203
; %bb.202:
	scratch_load_dwordx2 v[4:5], off, off offset:128
	v_mov_b32_e32 v3, v2
	scratch_store_dwordx2 off, v[2:3], off offset:128
	s_waitcnt vmcnt(1)
	ds_write_b64 v1, v[4:5]
.LBB36_203:
	s_or_b64 exec, exec, s[0:1]
	s_waitcnt lgkmcnt(0)
	; wave barrier
	scratch_load_dwordx4 v[8:11], off, off offset:136
	scratch_load_dwordx4 v[16:19], off, off offset:152
	;; [unrolled: 1-line block ×6, first 2 shown]
	ds_read2_b64 v[4:7], v2 offset0:55 offset1:56
	v_cmp_lt_u32_e32 vcc, 15, v0
	s_waitcnt vmcnt(5) lgkmcnt(0)
	v_mul_f32_e32 v3, v4, v9
	v_fmac_f32_e32 v3, v5, v8
	v_mul_f32_e32 v12, v6, v11
	v_add_f32_e32 v3, 0, v3
	v_fmac_f32_e32 v12, v7, v10
	v_add_f32_e32 v3, v3, v12
	ds_read2_b64 v[12:15], v2 offset0:57 offset1:58
	s_waitcnt vmcnt(4) lgkmcnt(0)
	v_mul_f32_e32 v20, v12, v17
	v_fmac_f32_e32 v20, v13, v16
	v_add_f32_e32 v3, v3, v20
	v_mul_f32_e32 v20, v14, v19
	v_fmac_f32_e32 v20, v15, v18
	v_add_f32_e32 v3, v3, v20
	ds_read2_b64 v[20:23], v2 offset0:59 offset1:60
	s_waitcnt vmcnt(3) lgkmcnt(0)
	v_mul_f32_e32 v28, v20, v25
	v_fmac_f32_e32 v28, v21, v24
	v_add_f32_e32 v3, v3, v28
	v_mul_f32_e32 v28, v22, v27
	;; [unrolled: 8-line block ×4, first 2 shown]
	v_fmac_f32_e32 v44, v39, v42
	v_add_f32_e32 v69, v3, v44
	ds_read2_b64 v[44:47], v2 offset0:65 offset1:66
	scratch_load_dwordx4 v[52:55], off, off offset:232
	scratch_load_dwordx4 v[56:59], off, off offset:248
	;; [unrolled: 1-line block ×4, first 2 shown]
	v_mul_f32_e32 v3, v5, v9
	v_fma_f32 v3, v4, v8, -v3
	v_mul_f32_e32 v4, v7, v11
	v_add_f32_e32 v3, 0, v3
	v_fma_f32 v4, v6, v10, -v4
	v_add_f32_e32 v3, v3, v4
	v_mul_f32_e32 v4, v13, v17
	v_fma_f32 v4, v12, v16, -v4
	v_add_f32_e32 v3, v3, v4
	v_mul_f32_e32 v4, v15, v19
	;; [unrolled: 3-line block ×8, first 2 shown]
	v_fma_f32 v4, v38, v42, -v4
	v_add_f32_e32 v68, v3, v4
	ds_read2_b64 v[4:7], v2 offset0:67 offset1:68
	ds_read2_b64 v[8:11], v2 offset0:69 offset1:70
	;; [unrolled: 1-line block ×4, first 2 shown]
	s_waitcnt vmcnt(4) lgkmcnt(4)
	v_mul_f32_e32 v71, v44, v49
	v_mul_f32_e32 v3, v45, v49
	v_fmac_f32_e32 v71, v45, v48
	v_mul_f32_e32 v73, v46, v51
	v_fma_f32 v70, v44, v48, -v3
	v_mul_f32_e32 v3, v47, v51
	v_fmac_f32_e32 v73, v47, v50
	v_fma_f32 v72, v46, v50, -v3
	v_pk_add_f32 v[2:3], v[68:69], v[70:71]
	s_waitcnt vmcnt(3) lgkmcnt(3)
	v_pk_mul_f32 v[20:21], v[4:5], v[52:53] op_sel:[1,1] op_sel_hi:[0,1]
	v_pk_fma_f32 v[22:23], v[4:5], v[52:53], v[20:21] neg_lo:[0,0,1] neg_hi:[0,0,1]
	v_pk_fma_f32 v[4:5], v[4:5], v[52:53], v[20:21] op_sel_hi:[1,0,1]
	v_pk_add_f32 v[2:3], v[2:3], v[72:73]
	v_mov_b32_e32 v4, v55
	v_mov_b32_e32 v23, v5
	v_pk_mul_f32 v[4:5], v[6:7], v[4:5] op_sel:[1,0] op_sel_hi:[0,0]
	v_pk_fma_f32 v[20:21], v[6:7], v[54:55], v[4:5] neg_lo:[0,0,1] neg_hi:[0,0,1]
	v_pk_fma_f32 v[4:5], v[6:7], v[54:55], v[4:5] op_sel_hi:[1,0,1]
	v_pk_add_f32 v[2:3], v[2:3], v[22:23]
	v_mov_b32_e32 v21, v5
	s_waitcnt vmcnt(2) lgkmcnt(2)
	v_pk_mul_f32 v[4:5], v[8:9], v[56:57] op_sel:[1,1] op_sel_hi:[0,1]
	v_pk_fma_f32 v[6:7], v[8:9], v[56:57], v[4:5] neg_lo:[0,0,1] neg_hi:[0,0,1]
	v_pk_fma_f32 v[4:5], v[8:9], v[56:57], v[4:5] op_sel_hi:[1,0,1]
	v_pk_add_f32 v[2:3], v[2:3], v[20:21]
	v_mov_b32_e32 v4, v59
	v_mov_b32_e32 v7, v5
	v_pk_mul_f32 v[4:5], v[10:11], v[4:5] op_sel:[1,0] op_sel_hi:[0,0]
	v_pk_add_f32 v[2:3], v[2:3], v[6:7]
	v_pk_fma_f32 v[6:7], v[10:11], v[58:59], v[4:5] neg_lo:[0,0,1] neg_hi:[0,0,1]
	v_pk_fma_f32 v[4:5], v[10:11], v[58:59], v[4:5] op_sel_hi:[1,0,1]
	s_nop 0
	v_mov_b32_e32 v7, v5
	s_waitcnt vmcnt(1) lgkmcnt(1)
	v_pk_mul_f32 v[4:5], v[12:13], v[60:61] op_sel:[1,1] op_sel_hi:[0,1]
	v_pk_add_f32 v[2:3], v[2:3], v[6:7]
	v_pk_fma_f32 v[6:7], v[12:13], v[60:61], v[4:5] neg_lo:[0,0,1] neg_hi:[0,0,1]
	v_pk_fma_f32 v[4:5], v[12:13], v[60:61], v[4:5] op_sel_hi:[1,0,1]
	s_nop 0
	v_mov_b32_e32 v4, v63
	v_mov_b32_e32 v7, v5
	v_pk_mul_f32 v[4:5], v[14:15], v[4:5] op_sel:[1,0] op_sel_hi:[0,0]
	v_pk_add_f32 v[2:3], v[2:3], v[6:7]
	v_pk_fma_f32 v[6:7], v[14:15], v[62:63], v[4:5] neg_lo:[0,0,1] neg_hi:[0,0,1]
	v_pk_fma_f32 v[4:5], v[14:15], v[62:63], v[4:5] op_sel_hi:[1,0,1]
	s_nop 0
	v_mov_b32_e32 v7, v5
	s_waitcnt vmcnt(0) lgkmcnt(0)
	v_pk_mul_f32 v[4:5], v[16:17], v[64:65] op_sel:[1,1] op_sel_hi:[0,1]
	v_pk_add_f32 v[2:3], v[2:3], v[6:7]
	v_pk_fma_f32 v[6:7], v[16:17], v[64:65], v[4:5] neg_lo:[0,0,1] neg_hi:[0,0,1]
	v_pk_fma_f32 v[4:5], v[16:17], v[64:65], v[4:5] op_sel_hi:[1,0,1]
	s_nop 0
	v_mov_b32_e32 v4, v67
	v_mov_b32_e32 v7, v5
	v_pk_mul_f32 v[4:5], v[18:19], v[4:5] op_sel:[1,0] op_sel_hi:[0,0]
	v_pk_add_f32 v[2:3], v[2:3], v[6:7]
	v_pk_fma_f32 v[6:7], v[18:19], v[66:67], v[4:5] neg_lo:[0,0,1] neg_hi:[0,0,1]
	v_pk_fma_f32 v[4:5], v[18:19], v[66:67], v[4:5] op_sel_hi:[1,0,1]
	s_nop 0
	v_mov_b32_e32 v7, v5
	scratch_load_dwordx2 v[4:5], off, off offset:128
	v_pk_add_f32 v[2:3], v[2:3], v[6:7]
	s_waitcnt vmcnt(0)
	v_pk_add_f32 v[2:3], v[4:5], v[2:3] neg_lo:[0,1] neg_hi:[0,1]
	scratch_store_dwordx2 off, v[2:3], off offset:128
	s_and_saveexec_b64 s[0:1], vcc
	s_cbranch_execz .LBB36_205
; %bb.204:
	scratch_load_dwordx2 v[2:3], off, off offset:120
	v_mov_b32_e32 v4, 0
	v_mov_b32_e32 v5, v4
	scratch_store_dwordx2 off, v[4:5], off offset:120
	s_waitcnt vmcnt(1)
	ds_write_b64 v1, v[2:3]
.LBB36_205:
	s_or_b64 exec, exec, s[0:1]
	s_waitcnt lgkmcnt(0)
	; wave barrier
	scratch_load_dwordx4 v[4:7], off, off offset:128
	scratch_load_dwordx4 v[8:11], off, off offset:144
	;; [unrolled: 1-line block ×10, first 2 shown]
	scratch_load_dwordx2 v[76:77], off, off offset:288
	scratch_load_dwordx2 v[78:79], off, off offset:120
	v_mov_b32_e32 v2, 0
	ds_read_b128 v[44:47], v2 offset:432
	ds_read_b128 v[48:51], v2 offset:448
	;; [unrolled: 1-line block ×8, first 2 shown]
	v_cmp_lt_u32_e32 vcc, 14, v0
	s_waitcnt vmcnt(11) lgkmcnt(7)
	v_mul_f32_e32 v3, v44, v5
	v_mul_f32_e32 v80, v46, v7
	;; [unrolled: 1-line block ×3, first 2 shown]
	v_fmac_f32_e32 v3, v45, v4
	s_waitcnt vmcnt(10) lgkmcnt(6)
	v_mul_f32_e32 v82, v48, v9
	v_mul_f32_e32 v7, v47, v7
	v_fmac_f32_e32 v80, v47, v6
	v_fma_f32 v4, v44, v4, -v5
	v_add_f32_e32 v3, 0, v3
	v_mul_f32_e32 v84, v50, v11
	v_mul_f32_e32 v9, v49, v9
	v_fmac_f32_e32 v82, v49, v8
	v_fma_f32 v5, v46, v6, -v7
	v_add_f32_e32 v4, 0, v4
	v_add_f32_e32 v3, v3, v80
	s_waitcnt vmcnt(9) lgkmcnt(5)
	v_mul_f32_e32 v85, v52, v13
	v_mul_f32_e32 v11, v51, v11
	v_fmac_f32_e32 v84, v51, v10
	v_fma_f32 v6, v48, v8, -v9
	v_add_f32_e32 v4, v4, v5
	v_add_f32_e32 v3, v3, v82
	v_mul_f32_e32 v86, v54, v15
	v_mul_f32_e32 v13, v53, v13
	v_fmac_f32_e32 v85, v53, v12
	v_fma_f32 v7, v50, v10, -v11
	v_add_f32_e32 v4, v4, v6
	v_add_f32_e32 v3, v3, v84
	s_waitcnt vmcnt(8) lgkmcnt(4)
	v_mul_f32_e32 v87, v56, v17
	v_mul_f32_e32 v15, v55, v15
	v_fmac_f32_e32 v86, v55, v14
	v_fma_f32 v8, v52, v12, -v13
	v_add_f32_e32 v4, v4, v7
	;; [unrolled: 13-line block ×4, first 2 shown]
	v_add_f32_e32 v3, v3, v89
	v_mul_f32_e32 v25, v65, v25
	v_fmac_f32_e32 v91, v65, v24
	v_fma_f32 v13, v62, v22, -v23
	v_add_f32_e32 v4, v4, v12
	v_add_f32_e32 v3, v3, v90
	v_mul_f32_e32 v81, v66, v27
	v_fma_f32 v14, v64, v24, -v25
	v_add_f32_e32 v4, v4, v13
	v_add_f32_e32 v13, v3, v91
	v_mul_f32_e32 v3, v67, v27
	s_waitcnt vmcnt(5)
	v_mov_b32_e32 v16, v31
	s_waitcnt lgkmcnt(1)
	v_mul_f32_e32 v83, v68, v29
	v_fmac_f32_e32 v81, v67, v26
	v_add_f32_e32 v12, v4, v14
	v_fma_f32 v80, v66, v26, -v3
	v_mul_f32_e32 v3, v69, v29
	v_pk_mul_f32 v[16:17], v[70:71], v[16:17] op_sel:[1,0] op_sel_hi:[0,0]
	v_fmac_f32_e32 v83, v69, v28
	v_fma_f32 v82, v68, v28, -v3
	v_pk_add_f32 v[12:13], v[12:13], v[80:81]
	v_pk_fma_f32 v[18:19], v[70:71], v[30:31], v[16:17] neg_lo:[0,0,1] neg_hi:[0,0,1]
	v_pk_fma_f32 v[16:17], v[70:71], v[30:31], v[16:17] op_sel_hi:[1,0,1]
	v_pk_add_f32 v[12:13], v[12:13], v[82:83]
	v_mov_b32_e32 v19, v17
	s_waitcnt vmcnt(4) lgkmcnt(0)
	v_pk_mul_f32 v[16:17], v[72:73], v[32:33] op_sel:[1,1] op_sel_hi:[0,1]
	v_pk_add_f32 v[12:13], v[12:13], v[18:19]
	v_pk_fma_f32 v[18:19], v[72:73], v[32:33], v[16:17] neg_lo:[0,0,1] neg_hi:[0,0,1]
	v_pk_fma_f32 v[16:17], v[72:73], v[32:33], v[16:17] op_sel_hi:[1,0,1]
	ds_read_b128 v[4:7], v2 offset:560
	ds_read_b128 v[8:11], v2 offset:576
	ds_read_b64 v[14:15], v2 offset:592
	v_mov_b32_e32 v16, v35
	v_mov_b32_e32 v19, v17
	v_pk_mul_f32 v[16:17], v[74:75], v[16:17] op_sel:[1,0] op_sel_hi:[0,0]
	v_pk_add_f32 v[12:13], v[12:13], v[18:19]
	v_pk_fma_f32 v[18:19], v[74:75], v[34:35], v[16:17] neg_lo:[0,0,1] neg_hi:[0,0,1]
	v_pk_fma_f32 v[16:17], v[74:75], v[34:35], v[16:17] op_sel_hi:[1,0,1]
	s_nop 0
	v_mov_b32_e32 v19, v17
	s_waitcnt vmcnt(3) lgkmcnt(2)
	v_pk_mul_f32 v[16:17], v[4:5], v[36:37] op_sel:[1,1] op_sel_hi:[0,1]
	v_pk_add_f32 v[12:13], v[12:13], v[18:19]
	v_pk_fma_f32 v[18:19], v[4:5], v[36:37], v[16:17] neg_lo:[0,0,1] neg_hi:[0,0,1]
	v_pk_fma_f32 v[4:5], v[4:5], v[36:37], v[16:17] op_sel_hi:[1,0,1]
	s_nop 0
	v_mov_b32_e32 v19, v5
	v_pk_add_f32 v[4:5], v[12:13], v[18:19]
	v_mov_b32_e32 v12, v39
	v_pk_mul_f32 v[12:13], v[6:7], v[12:13] op_sel:[1,0] op_sel_hi:[0,0]
	v_pk_fma_f32 v[16:17], v[6:7], v[38:39], v[12:13] neg_lo:[0,0,1] neg_hi:[0,0,1]
	v_pk_fma_f32 v[6:7], v[6:7], v[38:39], v[12:13] op_sel_hi:[1,0,1]
	s_nop 0
	v_mov_b32_e32 v17, v7
	s_waitcnt vmcnt(2) lgkmcnt(1)
	v_pk_mul_f32 v[6:7], v[8:9], v[40:41] op_sel:[1,1] op_sel_hi:[0,1]
	v_pk_fma_f32 v[12:13], v[8:9], v[40:41], v[6:7] neg_lo:[0,0,1] neg_hi:[0,0,1]
	v_pk_fma_f32 v[6:7], v[8:9], v[40:41], v[6:7] op_sel_hi:[1,0,1]
	v_pk_add_f32 v[4:5], v[4:5], v[16:17]
	v_mov_b32_e32 v6, v43
	v_mov_b32_e32 v13, v7
	v_pk_mul_f32 v[6:7], v[10:11], v[6:7] op_sel:[1,0] op_sel_hi:[0,0]
	v_pk_fma_f32 v[8:9], v[10:11], v[42:43], v[6:7] neg_lo:[0,0,1] neg_hi:[0,0,1]
	v_pk_fma_f32 v[6:7], v[10:11], v[42:43], v[6:7] op_sel_hi:[1,0,1]
	v_pk_add_f32 v[4:5], v[4:5], v[12:13]
	v_mov_b32_e32 v9, v7
	s_waitcnt vmcnt(1) lgkmcnt(0)
	v_pk_mul_f32 v[6:7], v[14:15], v[76:77] op_sel:[1,1] op_sel_hi:[0,1]
	v_pk_add_f32 v[4:5], v[4:5], v[8:9]
	v_pk_fma_f32 v[8:9], v[14:15], v[76:77], v[6:7] neg_lo:[0,0,1] neg_hi:[0,0,1]
	v_pk_fma_f32 v[6:7], v[14:15], v[76:77], v[6:7] op_sel_hi:[1,0,1]
	s_nop 0
	v_mov_b32_e32 v9, v7
	v_pk_add_f32 v[4:5], v[4:5], v[8:9]
	s_waitcnt vmcnt(0)
	v_pk_add_f32 v[4:5], v[78:79], v[4:5] neg_lo:[0,1] neg_hi:[0,1]
	scratch_store_dwordx2 off, v[4:5], off offset:120
	s_and_saveexec_b64 s[0:1], vcc
	s_cbranch_execz .LBB36_207
; %bb.206:
	scratch_load_dwordx2 v[4:5], off, off offset:112
	v_mov_b32_e32 v3, v2
	scratch_store_dwordx2 off, v[2:3], off offset:112
	s_waitcnt vmcnt(1)
	ds_write_b64 v1, v[4:5]
.LBB36_207:
	s_or_b64 exec, exec, s[0:1]
	s_waitcnt lgkmcnt(0)
	; wave barrier
	scratch_load_dwordx4 v[8:11], off, off offset:120
	scratch_load_dwordx4 v[16:19], off, off offset:136
	;; [unrolled: 1-line block ×6, first 2 shown]
	ds_read2_b64 v[4:7], v2 offset0:53 offset1:54
	scratch_load_dwordx4 v[56:59], off, off offset:216
	v_cmp_lt_u32_e32 vcc, 13, v0
	s_waitcnt vmcnt(6) lgkmcnt(0)
	v_mul_f32_e32 v3, v4, v9
	v_fmac_f32_e32 v3, v5, v8
	v_mul_f32_e32 v12, v6, v11
	v_add_f32_e32 v3, 0, v3
	v_fmac_f32_e32 v12, v7, v10
	v_add_f32_e32 v3, v3, v12
	ds_read2_b64 v[12:15], v2 offset0:55 offset1:56
	s_waitcnt vmcnt(5) lgkmcnt(0)
	v_mul_f32_e32 v20, v12, v17
	v_fmac_f32_e32 v20, v13, v16
	v_add_f32_e32 v3, v3, v20
	v_mul_f32_e32 v20, v14, v19
	v_fmac_f32_e32 v20, v15, v18
	v_add_f32_e32 v3, v3, v20
	ds_read2_b64 v[20:23], v2 offset0:57 offset1:58
	s_waitcnt vmcnt(4) lgkmcnt(0)
	v_mul_f32_e32 v28, v20, v25
	v_fmac_f32_e32 v28, v21, v24
	v_add_f32_e32 v3, v3, v28
	v_mul_f32_e32 v28, v22, v27
	;; [unrolled: 8-line block ×5, first 2 shown]
	v_fmac_f32_e32 v52, v47, v50
	v_add_f32_e32 v77, v3, v52
	ds_read2_b64 v[52:55], v2 offset0:65 offset1:66
	scratch_load_dwordx4 v[60:63], off, off offset:232
	scratch_load_dwordx4 v[64:67], off, off offset:248
	;; [unrolled: 1-line block ×4, first 2 shown]
	v_mul_f32_e32 v3, v5, v9
	v_fma_f32 v3, v4, v8, -v3
	v_mul_f32_e32 v4, v7, v11
	v_add_f32_e32 v3, 0, v3
	v_fma_f32 v4, v6, v10, -v4
	v_add_f32_e32 v3, v3, v4
	v_mul_f32_e32 v4, v13, v17
	v_fma_f32 v4, v12, v16, -v4
	v_add_f32_e32 v3, v3, v4
	v_mul_f32_e32 v4, v15, v19
	;; [unrolled: 3-line block ×10, first 2 shown]
	v_fma_f32 v4, v46, v50, -v4
	v_add_f32_e32 v76, v3, v4
	ds_read2_b64 v[4:7], v2 offset0:67 offset1:68
	ds_read2_b64 v[8:11], v2 offset0:69 offset1:70
	;; [unrolled: 1-line block ×4, first 2 shown]
	s_waitcnt vmcnt(4) lgkmcnt(4)
	v_mul_f32_e32 v79, v52, v57
	v_mul_f32_e32 v3, v53, v57
	v_fmac_f32_e32 v79, v53, v56
	v_mul_f32_e32 v81, v54, v59
	v_fma_f32 v78, v52, v56, -v3
	v_mul_f32_e32 v3, v55, v59
	v_fmac_f32_e32 v81, v55, v58
	v_fma_f32 v80, v54, v58, -v3
	v_pk_add_f32 v[2:3], v[76:77], v[78:79]
	s_waitcnt vmcnt(3) lgkmcnt(3)
	v_pk_mul_f32 v[20:21], v[4:5], v[60:61] op_sel:[1,1] op_sel_hi:[0,1]
	v_pk_fma_f32 v[22:23], v[4:5], v[60:61], v[20:21] neg_lo:[0,0,1] neg_hi:[0,0,1]
	v_pk_fma_f32 v[4:5], v[4:5], v[60:61], v[20:21] op_sel_hi:[1,0,1]
	v_pk_add_f32 v[2:3], v[2:3], v[80:81]
	v_mov_b32_e32 v4, v63
	v_mov_b32_e32 v23, v5
	v_pk_mul_f32 v[4:5], v[6:7], v[4:5] op_sel:[1,0] op_sel_hi:[0,0]
	v_pk_fma_f32 v[20:21], v[6:7], v[62:63], v[4:5] neg_lo:[0,0,1] neg_hi:[0,0,1]
	v_pk_fma_f32 v[4:5], v[6:7], v[62:63], v[4:5] op_sel_hi:[1,0,1]
	v_pk_add_f32 v[2:3], v[2:3], v[22:23]
	v_mov_b32_e32 v21, v5
	s_waitcnt vmcnt(2) lgkmcnt(2)
	v_pk_mul_f32 v[4:5], v[8:9], v[64:65] op_sel:[1,1] op_sel_hi:[0,1]
	v_pk_fma_f32 v[6:7], v[8:9], v[64:65], v[4:5] neg_lo:[0,0,1] neg_hi:[0,0,1]
	v_pk_fma_f32 v[4:5], v[8:9], v[64:65], v[4:5] op_sel_hi:[1,0,1]
	v_pk_add_f32 v[2:3], v[2:3], v[20:21]
	v_mov_b32_e32 v4, v67
	v_mov_b32_e32 v7, v5
	v_pk_mul_f32 v[4:5], v[10:11], v[4:5] op_sel:[1,0] op_sel_hi:[0,0]
	v_pk_add_f32 v[2:3], v[2:3], v[6:7]
	v_pk_fma_f32 v[6:7], v[10:11], v[66:67], v[4:5] neg_lo:[0,0,1] neg_hi:[0,0,1]
	v_pk_fma_f32 v[4:5], v[10:11], v[66:67], v[4:5] op_sel_hi:[1,0,1]
	s_nop 0
	v_mov_b32_e32 v7, v5
	s_waitcnt vmcnt(1) lgkmcnt(1)
	v_pk_mul_f32 v[4:5], v[12:13], v[68:69] op_sel:[1,1] op_sel_hi:[0,1]
	v_pk_add_f32 v[2:3], v[2:3], v[6:7]
	v_pk_fma_f32 v[6:7], v[12:13], v[68:69], v[4:5] neg_lo:[0,0,1] neg_hi:[0,0,1]
	v_pk_fma_f32 v[4:5], v[12:13], v[68:69], v[4:5] op_sel_hi:[1,0,1]
	s_nop 0
	v_mov_b32_e32 v4, v71
	v_mov_b32_e32 v7, v5
	v_pk_mul_f32 v[4:5], v[14:15], v[4:5] op_sel:[1,0] op_sel_hi:[0,0]
	v_pk_add_f32 v[2:3], v[2:3], v[6:7]
	v_pk_fma_f32 v[6:7], v[14:15], v[70:71], v[4:5] neg_lo:[0,0,1] neg_hi:[0,0,1]
	v_pk_fma_f32 v[4:5], v[14:15], v[70:71], v[4:5] op_sel_hi:[1,0,1]
	s_nop 0
	v_mov_b32_e32 v7, v5
	s_waitcnt vmcnt(0) lgkmcnt(0)
	v_pk_mul_f32 v[4:5], v[16:17], v[72:73] op_sel:[1,1] op_sel_hi:[0,1]
	v_pk_add_f32 v[2:3], v[2:3], v[6:7]
	v_pk_fma_f32 v[6:7], v[16:17], v[72:73], v[4:5] neg_lo:[0,0,1] neg_hi:[0,0,1]
	v_pk_fma_f32 v[4:5], v[16:17], v[72:73], v[4:5] op_sel_hi:[1,0,1]
	s_nop 0
	v_mov_b32_e32 v4, v75
	v_mov_b32_e32 v7, v5
	v_pk_mul_f32 v[4:5], v[18:19], v[4:5] op_sel:[1,0] op_sel_hi:[0,0]
	v_pk_add_f32 v[2:3], v[2:3], v[6:7]
	v_pk_fma_f32 v[6:7], v[18:19], v[74:75], v[4:5] neg_lo:[0,0,1] neg_hi:[0,0,1]
	v_pk_fma_f32 v[4:5], v[18:19], v[74:75], v[4:5] op_sel_hi:[1,0,1]
	s_nop 0
	v_mov_b32_e32 v7, v5
	scratch_load_dwordx2 v[4:5], off, off offset:112
	v_pk_add_f32 v[2:3], v[2:3], v[6:7]
	s_waitcnt vmcnt(0)
	v_pk_add_f32 v[2:3], v[4:5], v[2:3] neg_lo:[0,1] neg_hi:[0,1]
	scratch_store_dwordx2 off, v[2:3], off offset:112
	s_and_saveexec_b64 s[0:1], vcc
	s_cbranch_execz .LBB36_209
; %bb.208:
	scratch_load_dwordx2 v[2:3], off, off offset:104
	v_mov_b32_e32 v4, 0
	v_mov_b32_e32 v5, v4
	scratch_store_dwordx2 off, v[4:5], off offset:104
	s_waitcnt vmcnt(1)
	ds_write_b64 v1, v[2:3]
.LBB36_209:
	s_or_b64 exec, exec, s[0:1]
	v_mov_b32_e32 v2, 0
	s_waitcnt lgkmcnt(0)
	; wave barrier
	ds_read_b128 v[4:7], v2 offset:416
	ds_read_b128 v[8:11], v2 offset:432
	;; [unrolled: 1-line block ×4, first 2 shown]
	scratch_load_dwordx4 v[20:23], off, off offset:112
	scratch_load_dwordx4 v[40:43], off, off offset:176
	v_cmp_lt_u32_e32 vcc, 12, v0
	scratch_load_dwordx4 v[48:51], off, off offset:192
	scratch_load_dwordx4 v[56:59], off, off offset:208
	;; [unrolled: 1-line block ×3, first 2 shown]
	s_waitcnt vmcnt(4) lgkmcnt(3)
	v_mul_f32_e32 v3, v4, v21
	v_fmac_f32_e32 v3, v5, v20
	v_mul_f32_e32 v24, v6, v23
	v_add_f32_e32 v3, 0, v3
	v_fmac_f32_e32 v24, v7, v22
	v_add_f32_e32 v3, v3, v24
	scratch_load_dwordx4 v[24:27], off, off offset:128
	s_waitcnt vmcnt(0) lgkmcnt(2)
	v_mul_f32_e32 v28, v8, v25
	v_fmac_f32_e32 v28, v9, v24
	v_add_f32_e32 v3, v3, v28
	v_mul_f32_e32 v28, v10, v27
	v_fmac_f32_e32 v28, v11, v26
	v_add_f32_e32 v3, v3, v28
	scratch_load_dwordx4 v[28:31], off, off offset:144
	s_waitcnt vmcnt(0) lgkmcnt(1)
	v_mul_f32_e32 v32, v12, v29
	v_fmac_f32_e32 v32, v13, v28
	v_add_f32_e32 v3, v3, v32
	v_mul_f32_e32 v32, v14, v31
	;; [unrolled: 8-line block ×3, first 2 shown]
	v_fmac_f32_e32 v36, v19, v34
	v_add_f32_e32 v3, v3, v36
	ds_read_b128 v[36:39], v2 offset:480
	s_waitcnt lgkmcnt(0)
	v_mul_f32_e32 v44, v36, v41
	v_fmac_f32_e32 v44, v37, v40
	v_add_f32_e32 v3, v3, v44
	v_mul_f32_e32 v44, v38, v43
	v_fmac_f32_e32 v44, v39, v42
	v_add_f32_e32 v3, v3, v44
	ds_read_b128 v[44:47], v2 offset:496
	s_waitcnt lgkmcnt(0)
	v_mul_f32_e32 v52, v44, v49
	v_fmac_f32_e32 v52, v45, v48
	v_add_f32_e32 v3, v3, v52
	v_mul_f32_e32 v52, v46, v51
	v_fmac_f32_e32 v52, v47, v50
	v_add_f32_e32 v3, v3, v52
	ds_read_b128 v[52:55], v2 offset:512
	s_waitcnt lgkmcnt(0)
	v_mul_f32_e32 v60, v52, v57
	v_fmac_f32_e32 v60, v53, v56
	v_add_f32_e32 v81, v3, v60
	ds_read_b128 v[60:63], v2 offset:528
	scratch_load_dwordx4 v[68:71], off, off offset:240
	scratch_load_dwordx4 v[72:75], off, off offset:256
	;; [unrolled: 1-line block ×3, first 2 shown]
	scratch_load_dwordx2 v[86:87], off, off offset:288
	v_mul_f32_e32 v3, v5, v21
	v_fma_f32 v3, v4, v20, -v3
	v_mul_f32_e32 v4, v7, v23
	v_add_f32_e32 v3, 0, v3
	v_fma_f32 v4, v6, v22, -v4
	v_add_f32_e32 v3, v3, v4
	v_mul_f32_e32 v4, v9, v25
	v_fma_f32 v4, v8, v24, -v4
	v_add_f32_e32 v3, v3, v4
	v_mul_f32_e32 v4, v11, v27
	;; [unrolled: 3-line block ×11, first 2 shown]
	v_fma_f32 v4, v52, v56, -v4
	v_mul_f32_e32 v83, v54, v59
	v_add_f32_e32 v80, v3, v4
	v_mul_f32_e32 v3, v55, v59
	v_mov_b32_e32 v20, v67
	v_fmac_f32_e32 v83, v55, v58
	s_waitcnt lgkmcnt(0)
	v_mul_f32_e32 v85, v60, v65
	v_fma_f32 v82, v54, v58, -v3
	v_mul_f32_e32 v3, v61, v65
	ds_read_b128 v[4:7], v2 offset:544
	ds_read_b128 v[8:11], v2 offset:560
	;; [unrolled: 1-line block ×3, first 2 shown]
	ds_read_b64 v[16:17], v2 offset:592
	v_pk_mul_f32 v[20:21], v[62:63], v[20:21] op_sel:[1,0] op_sel_hi:[0,0]
	v_fmac_f32_e32 v85, v61, v64
	v_fma_f32 v84, v60, v64, -v3
	v_pk_add_f32 v[18:19], v[80:81], v[82:83]
	v_pk_fma_f32 v[22:23], v[62:63], v[66:67], v[20:21] neg_lo:[0,0,1] neg_hi:[0,0,1]
	v_pk_fma_f32 v[20:21], v[62:63], v[66:67], v[20:21] op_sel_hi:[1,0,1]
	v_pk_add_f32 v[18:19], v[18:19], v[84:85]
	v_mov_b32_e32 v23, v21
	v_pk_add_f32 v[18:19], v[18:19], v[22:23]
	s_waitcnt vmcnt(3) lgkmcnt(3)
	v_pk_mul_f32 v[20:21], v[4:5], v[68:69] op_sel:[1,1] op_sel_hi:[0,1]
	v_pk_fma_f32 v[22:23], v[4:5], v[68:69], v[20:21] neg_lo:[0,0,1] neg_hi:[0,0,1]
	v_pk_fma_f32 v[4:5], v[4:5], v[68:69], v[20:21] op_sel_hi:[1,0,1]
	s_nop 0
	v_mov_b32_e32 v23, v5
	v_pk_add_f32 v[4:5], v[18:19], v[22:23]
	v_mov_b32_e32 v18, v71
	v_pk_mul_f32 v[18:19], v[6:7], v[18:19] op_sel:[1,0] op_sel_hi:[0,0]
	v_pk_fma_f32 v[20:21], v[6:7], v[70:71], v[18:19] neg_lo:[0,0,1] neg_hi:[0,0,1]
	v_pk_fma_f32 v[6:7], v[6:7], v[70:71], v[18:19] op_sel_hi:[1,0,1]
	s_nop 0
	v_mov_b32_e32 v21, v7
	s_waitcnt vmcnt(2) lgkmcnt(2)
	v_pk_mul_f32 v[6:7], v[8:9], v[72:73] op_sel:[1,1] op_sel_hi:[0,1]
	v_pk_fma_f32 v[18:19], v[8:9], v[72:73], v[6:7] neg_lo:[0,0,1] neg_hi:[0,0,1]
	v_pk_fma_f32 v[6:7], v[8:9], v[72:73], v[6:7] op_sel_hi:[1,0,1]
	v_pk_add_f32 v[4:5], v[4:5], v[20:21]
	v_mov_b32_e32 v6, v75
	v_mov_b32_e32 v19, v7
	v_pk_mul_f32 v[6:7], v[10:11], v[6:7] op_sel:[1,0] op_sel_hi:[0,0]
	v_pk_fma_f32 v[8:9], v[10:11], v[74:75], v[6:7] neg_lo:[0,0,1] neg_hi:[0,0,1]
	v_pk_fma_f32 v[6:7], v[10:11], v[74:75], v[6:7] op_sel_hi:[1,0,1]
	v_pk_add_f32 v[4:5], v[4:5], v[18:19]
	v_mov_b32_e32 v9, v7
	s_waitcnt vmcnt(1) lgkmcnt(1)
	v_pk_mul_f32 v[6:7], v[12:13], v[76:77] op_sel:[1,1] op_sel_hi:[0,1]
	v_pk_add_f32 v[4:5], v[4:5], v[8:9]
	v_pk_fma_f32 v[8:9], v[12:13], v[76:77], v[6:7] neg_lo:[0,0,1] neg_hi:[0,0,1]
	v_pk_fma_f32 v[6:7], v[12:13], v[76:77], v[6:7] op_sel_hi:[1,0,1]
	s_nop 0
	v_mov_b32_e32 v6, v79
	v_mov_b32_e32 v9, v7
	v_pk_mul_f32 v[6:7], v[14:15], v[6:7] op_sel:[1,0] op_sel_hi:[0,0]
	v_pk_add_f32 v[4:5], v[4:5], v[8:9]
	v_pk_fma_f32 v[8:9], v[14:15], v[78:79], v[6:7] neg_lo:[0,0,1] neg_hi:[0,0,1]
	v_pk_fma_f32 v[6:7], v[14:15], v[78:79], v[6:7] op_sel_hi:[1,0,1]
	s_nop 0
	v_mov_b32_e32 v9, v7
	s_waitcnt vmcnt(0) lgkmcnt(0)
	v_pk_mul_f32 v[6:7], v[16:17], v[86:87] op_sel:[1,1] op_sel_hi:[0,1]
	v_pk_add_f32 v[4:5], v[4:5], v[8:9]
	v_pk_fma_f32 v[8:9], v[16:17], v[86:87], v[6:7] neg_lo:[0,0,1] neg_hi:[0,0,1]
	v_pk_fma_f32 v[6:7], v[16:17], v[86:87], v[6:7] op_sel_hi:[1,0,1]
	s_nop 0
	v_mov_b32_e32 v9, v7
	scratch_load_dwordx2 v[6:7], off, off offset:104
	v_pk_add_f32 v[4:5], v[4:5], v[8:9]
	s_waitcnt vmcnt(0)
	v_pk_add_f32 v[4:5], v[6:7], v[4:5] neg_lo:[0,1] neg_hi:[0,1]
	scratch_store_dwordx2 off, v[4:5], off offset:104
	s_and_saveexec_b64 s[0:1], vcc
	s_cbranch_execz .LBB36_211
; %bb.210:
	scratch_load_dwordx2 v[4:5], off, off offset:96
	v_mov_b32_e32 v3, v2
	scratch_store_dwordx2 off, v[2:3], off offset:96
	s_waitcnt vmcnt(1)
	ds_write_b64 v1, v[4:5]
.LBB36_211:
	s_or_b64 exec, exec, s[0:1]
	s_waitcnt lgkmcnt(0)
	; wave barrier
	scratch_load_dwordx4 v[8:11], off, off offset:104
	scratch_load_dwordx4 v[16:19], off, off offset:120
	;; [unrolled: 1-line block ×8, first 2 shown]
	ds_read2_b64 v[4:7], v2 offset0:51 offset1:52
	v_cmp_lt_u32_e32 vcc, 11, v0
	s_waitcnt vmcnt(7) lgkmcnt(0)
	v_mul_f32_e32 v3, v4, v9
	v_fmac_f32_e32 v3, v5, v8
	v_mul_f32_e32 v12, v6, v11
	v_add_f32_e32 v3, 0, v3
	v_fmac_f32_e32 v12, v7, v10
	v_add_f32_e32 v3, v3, v12
	ds_read2_b64 v[12:15], v2 offset0:53 offset1:54
	s_waitcnt vmcnt(6) lgkmcnt(0)
	v_mul_f32_e32 v20, v12, v17
	v_fmac_f32_e32 v20, v13, v16
	v_add_f32_e32 v3, v3, v20
	v_mul_f32_e32 v20, v14, v19
	v_fmac_f32_e32 v20, v15, v18
	v_add_f32_e32 v3, v3, v20
	ds_read2_b64 v[20:23], v2 offset0:55 offset1:56
	s_waitcnt vmcnt(5) lgkmcnt(0)
	v_mul_f32_e32 v28, v20, v25
	v_fmac_f32_e32 v28, v21, v24
	v_add_f32_e32 v3, v3, v28
	v_mul_f32_e32 v28, v22, v27
	v_fmac_f32_e32 v28, v23, v26
	v_add_f32_e32 v3, v3, v28
	ds_read2_b64 v[28:31], v2 offset0:57 offset1:58
	s_waitcnt vmcnt(4) lgkmcnt(0)
	v_mul_f32_e32 v36, v28, v33
	v_fmac_f32_e32 v36, v29, v32
	v_add_f32_e32 v3, v3, v36
	v_mul_f32_e32 v36, v30, v35
	v_fmac_f32_e32 v36, v31, v34
	v_add_f32_e32 v3, v3, v36
	ds_read2_b64 v[36:39], v2 offset0:59 offset1:60
	s_waitcnt vmcnt(3) lgkmcnt(0)
	v_mul_f32_e32 v44, v36, v41
	v_fmac_f32_e32 v44, v37, v40
	v_add_f32_e32 v3, v3, v44
	v_mul_f32_e32 v44, v38, v43
	v_fmac_f32_e32 v44, v39, v42
	v_add_f32_e32 v3, v3, v44
	ds_read2_b64 v[44:47], v2 offset0:61 offset1:62
	s_waitcnt vmcnt(2) lgkmcnt(0)
	v_mul_f32_e32 v52, v44, v49
	v_fmac_f32_e32 v52, v45, v48
	v_add_f32_e32 v3, v3, v52
	v_mul_f32_e32 v52, v46, v51
	v_fmac_f32_e32 v52, v47, v50
	v_add_f32_e32 v3, v3, v52
	ds_read2_b64 v[52:55], v2 offset0:63 offset1:64
	s_waitcnt vmcnt(1) lgkmcnt(0)
	v_mul_f32_e32 v60, v52, v57
	v_fmac_f32_e32 v60, v53, v56
	v_add_f32_e32 v3, v3, v60
	v_mul_f32_e32 v60, v54, v59
	v_fmac_f32_e32 v60, v55, v58
	v_add_f32_e32 v85, v3, v60
	ds_read2_b64 v[60:63], v2 offset0:65 offset1:66
	scratch_load_dwordx4 v[68:71], off, off offset:232
	scratch_load_dwordx4 v[72:75], off, off offset:248
	;; [unrolled: 1-line block ×4, first 2 shown]
	v_mul_f32_e32 v3, v5, v9
	v_fma_f32 v3, v4, v8, -v3
	v_mul_f32_e32 v4, v7, v11
	v_add_f32_e32 v3, 0, v3
	v_fma_f32 v4, v6, v10, -v4
	v_add_f32_e32 v3, v3, v4
	v_mul_f32_e32 v4, v13, v17
	v_fma_f32 v4, v12, v16, -v4
	v_add_f32_e32 v3, v3, v4
	v_mul_f32_e32 v4, v15, v19
	;; [unrolled: 3-line block ×12, first 2 shown]
	v_fma_f32 v4, v54, v58, -v4
	v_add_f32_e32 v84, v3, v4
	ds_read2_b64 v[4:7], v2 offset0:67 offset1:68
	ds_read2_b64 v[8:11], v2 offset0:69 offset1:70
	ds_read2_b64 v[12:15], v2 offset0:71 offset1:72
	ds_read2_b64 v[16:19], v2 offset0:73 offset1:74
	s_waitcnt vmcnt(4) lgkmcnt(4)
	v_mul_f32_e32 v87, v60, v65
	v_mul_f32_e32 v3, v61, v65
	v_fmac_f32_e32 v87, v61, v64
	v_mul_f32_e32 v89, v62, v67
	v_fma_f32 v86, v60, v64, -v3
	v_mul_f32_e32 v3, v63, v67
	v_fmac_f32_e32 v89, v63, v66
	v_fma_f32 v88, v62, v66, -v3
	v_pk_add_f32 v[2:3], v[84:85], v[86:87]
	s_waitcnt vmcnt(3) lgkmcnt(3)
	v_pk_mul_f32 v[20:21], v[4:5], v[68:69] op_sel:[1,1] op_sel_hi:[0,1]
	v_pk_fma_f32 v[22:23], v[4:5], v[68:69], v[20:21] neg_lo:[0,0,1] neg_hi:[0,0,1]
	v_pk_fma_f32 v[4:5], v[4:5], v[68:69], v[20:21] op_sel_hi:[1,0,1]
	v_pk_add_f32 v[2:3], v[2:3], v[88:89]
	v_mov_b32_e32 v4, v71
	v_mov_b32_e32 v23, v5
	v_pk_mul_f32 v[4:5], v[6:7], v[4:5] op_sel:[1,0] op_sel_hi:[0,0]
	v_pk_fma_f32 v[20:21], v[6:7], v[70:71], v[4:5] neg_lo:[0,0,1] neg_hi:[0,0,1]
	v_pk_fma_f32 v[4:5], v[6:7], v[70:71], v[4:5] op_sel_hi:[1,0,1]
	v_pk_add_f32 v[2:3], v[2:3], v[22:23]
	v_mov_b32_e32 v21, v5
	s_waitcnt vmcnt(2) lgkmcnt(2)
	v_pk_mul_f32 v[4:5], v[8:9], v[72:73] op_sel:[1,1] op_sel_hi:[0,1]
	v_pk_fma_f32 v[6:7], v[8:9], v[72:73], v[4:5] neg_lo:[0,0,1] neg_hi:[0,0,1]
	v_pk_fma_f32 v[4:5], v[8:9], v[72:73], v[4:5] op_sel_hi:[1,0,1]
	v_pk_add_f32 v[2:3], v[2:3], v[20:21]
	v_mov_b32_e32 v4, v75
	v_mov_b32_e32 v7, v5
	v_pk_mul_f32 v[4:5], v[10:11], v[4:5] op_sel:[1,0] op_sel_hi:[0,0]
	v_pk_add_f32 v[2:3], v[2:3], v[6:7]
	v_pk_fma_f32 v[6:7], v[10:11], v[74:75], v[4:5] neg_lo:[0,0,1] neg_hi:[0,0,1]
	v_pk_fma_f32 v[4:5], v[10:11], v[74:75], v[4:5] op_sel_hi:[1,0,1]
	s_nop 0
	v_mov_b32_e32 v7, v5
	s_waitcnt vmcnt(1) lgkmcnt(1)
	v_pk_mul_f32 v[4:5], v[12:13], v[76:77] op_sel:[1,1] op_sel_hi:[0,1]
	v_pk_add_f32 v[2:3], v[2:3], v[6:7]
	v_pk_fma_f32 v[6:7], v[12:13], v[76:77], v[4:5] neg_lo:[0,0,1] neg_hi:[0,0,1]
	v_pk_fma_f32 v[4:5], v[12:13], v[76:77], v[4:5] op_sel_hi:[1,0,1]
	s_nop 0
	v_mov_b32_e32 v4, v79
	v_mov_b32_e32 v7, v5
	v_pk_mul_f32 v[4:5], v[14:15], v[4:5] op_sel:[1,0] op_sel_hi:[0,0]
	v_pk_add_f32 v[2:3], v[2:3], v[6:7]
	v_pk_fma_f32 v[6:7], v[14:15], v[78:79], v[4:5] neg_lo:[0,0,1] neg_hi:[0,0,1]
	v_pk_fma_f32 v[4:5], v[14:15], v[78:79], v[4:5] op_sel_hi:[1,0,1]
	s_nop 0
	v_mov_b32_e32 v7, v5
	s_waitcnt vmcnt(0) lgkmcnt(0)
	v_pk_mul_f32 v[4:5], v[16:17], v[80:81] op_sel:[1,1] op_sel_hi:[0,1]
	v_pk_add_f32 v[2:3], v[2:3], v[6:7]
	v_pk_fma_f32 v[6:7], v[16:17], v[80:81], v[4:5] neg_lo:[0,0,1] neg_hi:[0,0,1]
	v_pk_fma_f32 v[4:5], v[16:17], v[80:81], v[4:5] op_sel_hi:[1,0,1]
	s_nop 0
	v_mov_b32_e32 v4, v83
	v_mov_b32_e32 v7, v5
	v_pk_mul_f32 v[4:5], v[18:19], v[4:5] op_sel:[1,0] op_sel_hi:[0,0]
	v_pk_add_f32 v[2:3], v[2:3], v[6:7]
	v_pk_fma_f32 v[6:7], v[18:19], v[82:83], v[4:5] neg_lo:[0,0,1] neg_hi:[0,0,1]
	v_pk_fma_f32 v[4:5], v[18:19], v[82:83], v[4:5] op_sel_hi:[1,0,1]
	s_nop 0
	v_mov_b32_e32 v7, v5
	scratch_load_dwordx2 v[4:5], off, off offset:96
	v_pk_add_f32 v[2:3], v[2:3], v[6:7]
	s_waitcnt vmcnt(0)
	v_pk_add_f32 v[2:3], v[4:5], v[2:3] neg_lo:[0,1] neg_hi:[0,1]
	scratch_store_dwordx2 off, v[2:3], off offset:96
	s_and_saveexec_b64 s[0:1], vcc
	s_cbranch_execz .LBB36_213
; %bb.212:
	scratch_load_dwordx2 v[2:3], off, off offset:88
	v_mov_b32_e32 v4, 0
	v_mov_b32_e32 v5, v4
	scratch_store_dwordx2 off, v[4:5], off offset:88
	s_waitcnt vmcnt(1)
	ds_write_b64 v1, v[2:3]
.LBB36_213:
	s_or_b64 exec, exec, s[0:1]
	v_mov_b32_e32 v58, 0
	s_waitcnt lgkmcnt(0)
	; wave barrier
	ds_read_b128 v[2:5], v58 offset:400
	ds_read_b128 v[6:9], v58 offset:416
	;; [unrolled: 1-line block ×4, first 2 shown]
	scratch_load_dwordx4 v[18:21], off, off offset:96
	scratch_load_dwordx4 v[38:41], off, off offset:160
	;; [unrolled: 1-line block ×3, first 2 shown]
	v_cmp_lt_u32_e32 vcc, 10, v0
	scratch_load_dwordx4 v[46:49], off, off offset:176
	scratch_load_dwordx4 v[54:57], off, off offset:192
	;; [unrolled: 1-line block ×3, first 2 shown]
	s_waitcnt vmcnt(5) lgkmcnt(3)
	v_mul_f32_e32 v22, v2, v19
	v_fmac_f32_e32 v22, v3, v18
	v_mul_f32_e32 v23, v4, v21
	v_add_f32_e32 v22, 0, v22
	v_fmac_f32_e32 v23, v5, v20
	v_add_f32_e32 v26, v22, v23
	scratch_load_dwordx4 v[22:25], off, off offset:112
	v_mul_f32_e32 v3, v3, v19
	v_fma_f32 v2, v2, v18, -v3
	v_mul_f32_e32 v3, v5, v21
	v_add_f32_e32 v2, 0, v2
	v_fma_f32 v3, v4, v20, -v3
	v_add_f32_e32 v2, v2, v3
	s_waitcnt vmcnt(4)
	v_mov_b32_e32 v18, v75
	s_waitcnt vmcnt(0) lgkmcnt(2)
	v_mul_f32_e32 v27, v6, v23
	v_fmac_f32_e32 v27, v7, v22
	v_add_f32_e32 v26, v26, v27
	v_mul_f32_e32 v27, v8, v25
	v_fmac_f32_e32 v27, v9, v24
	v_add_f32_e32 v30, v26, v27
	scratch_load_dwordx4 v[26:29], off, off offset:128
	v_mul_f32_e32 v3, v7, v23
	v_fma_f32 v3, v6, v22, -v3
	v_add_f32_e32 v2, v2, v3
	v_mul_f32_e32 v3, v9, v25
	v_fma_f32 v3, v8, v24, -v3
	v_add_f32_e32 v2, v2, v3
	s_waitcnt vmcnt(0) lgkmcnt(1)
	v_mul_f32_e32 v31, v10, v27
	v_fmac_f32_e32 v31, v11, v26
	v_add_f32_e32 v30, v30, v31
	v_mul_f32_e32 v31, v12, v29
	v_fmac_f32_e32 v31, v13, v28
	v_add_f32_e32 v34, v30, v31
	scratch_load_dwordx4 v[30:33], off, off offset:144
	v_mul_f32_e32 v3, v11, v27
	v_fma_f32 v3, v10, v26, -v3
	v_add_f32_e32 v2, v2, v3
	v_mul_f32_e32 v3, v13, v29
	v_fma_f32 v3, v12, v28, -v3
	v_add_f32_e32 v2, v2, v3
	s_waitcnt vmcnt(0) lgkmcnt(0)
	v_mul_f32_e32 v35, v14, v31
	v_fmac_f32_e32 v35, v15, v30
	v_add_f32_e32 v34, v34, v35
	v_mul_f32_e32 v35, v16, v33
	v_fmac_f32_e32 v35, v17, v32
	v_add_f32_e32 v42, v34, v35
	ds_read_b128 v[34:37], v58 offset:464
	v_mul_f32_e32 v3, v15, v31
	v_fma_f32 v3, v14, v30, -v3
	v_add_f32_e32 v2, v2, v3
	v_mul_f32_e32 v3, v17, v33
	s_waitcnt lgkmcnt(0)
	v_mul_f32_e32 v43, v34, v39
	v_fmac_f32_e32 v43, v35, v38
	v_add_f32_e32 v42, v42, v43
	v_mul_f32_e32 v43, v36, v41
	v_fmac_f32_e32 v43, v37, v40
	v_add_f32_e32 v50, v42, v43
	ds_read_b128 v[42:45], v58 offset:480
	v_fma_f32 v3, v16, v32, -v3
	v_add_f32_e32 v2, v2, v3
	v_mul_f32_e32 v3, v35, v39
	v_fma_f32 v3, v34, v38, -v3
	s_waitcnt lgkmcnt(0)
	v_mul_f32_e32 v51, v42, v47
	v_fmac_f32_e32 v51, v43, v46
	v_add_f32_e32 v50, v50, v51
	v_mul_f32_e32 v51, v44, v49
	v_fmac_f32_e32 v51, v45, v48
	v_add_f32_e32 v59, v50, v51
	ds_read_b128 v[50:53], v58 offset:496
	v_add_f32_e32 v2, v2, v3
	v_mul_f32_e32 v3, v37, v41
	v_fma_f32 v3, v36, v40, -v3
	v_add_f32_e32 v2, v2, v3
	s_waitcnt lgkmcnt(0)
	v_mul_f32_e32 v60, v50, v55
	v_fmac_f32_e32 v60, v51, v54
	v_add_f32_e32 v59, v59, v60
	v_mul_f32_e32 v60, v52, v57
	v_fmac_f32_e32 v60, v53, v56
	v_add_f32_e32 v59, v59, v60
	ds_read_b128 v[60:63], v58 offset:512
	v_mul_f32_e32 v3, v43, v47
	v_fma_f32 v3, v42, v46, -v3
	v_add_f32_e32 v2, v2, v3
	v_mul_f32_e32 v3, v45, v49
	s_waitcnt lgkmcnt(0)
	v_mul_f32_e32 v68, v60, v65
	v_fmac_f32_e32 v68, v61, v64
	v_add_f32_e32 v89, v59, v68
	ds_read_b128 v[68:71], v58 offset:528
	scratch_load_dwordx4 v[76:79], off, off offset:240
	scratch_load_dwordx4 v[80:83], off, off offset:256
	;; [unrolled: 1-line block ×3, first 2 shown]
	scratch_load_dwordx2 v[94:95], off, off offset:288
	v_fma_f32 v3, v44, v48, -v3
	v_add_f32_e32 v2, v2, v3
	v_mul_f32_e32 v3, v51, v55
	v_fma_f32 v3, v50, v54, -v3
	v_add_f32_e32 v2, v2, v3
	v_mul_f32_e32 v3, v53, v57
	;; [unrolled: 3-line block ×4, first 2 shown]
	v_mul_f32_e32 v91, v62, v67
	v_fma_f32 v90, v62, v66, -v2
	s_waitcnt lgkmcnt(0)
	v_mul_f32_e32 v2, v69, v73
	v_fmac_f32_e32 v91, v63, v66
	v_mul_f32_e32 v93, v68, v73
	v_fma_f32 v92, v68, v72, -v2
	ds_read_b128 v[2:5], v58 offset:544
	ds_read_b128 v[6:9], v58 offset:560
	;; [unrolled: 1-line block ×3, first 2 shown]
	ds_read_b64 v[14:15], v58 offset:592
	v_pk_mul_f32 v[18:19], v[70:71], v[18:19] op_sel:[1,0] op_sel_hi:[0,0]
	v_fmac_f32_e32 v93, v69, v72
	v_pk_add_f32 v[16:17], v[88:89], v[90:91]
	v_pk_fma_f32 v[20:21], v[70:71], v[74:75], v[18:19] neg_lo:[0,0,1] neg_hi:[0,0,1]
	v_pk_fma_f32 v[18:19], v[70:71], v[74:75], v[18:19] op_sel_hi:[1,0,1]
	v_pk_add_f32 v[16:17], v[16:17], v[92:93]
	v_mov_b32_e32 v21, v19
	v_pk_add_f32 v[16:17], v[16:17], v[20:21]
	s_waitcnt vmcnt(3) lgkmcnt(3)
	v_pk_mul_f32 v[18:19], v[2:3], v[76:77] op_sel:[1,1] op_sel_hi:[0,1]
	v_pk_fma_f32 v[20:21], v[2:3], v[76:77], v[18:19] neg_lo:[0,0,1] neg_hi:[0,0,1]
	v_pk_fma_f32 v[2:3], v[2:3], v[76:77], v[18:19] op_sel_hi:[1,0,1]
	s_nop 0
	v_mov_b32_e32 v21, v3
	v_pk_add_f32 v[2:3], v[16:17], v[20:21]
	v_mov_b32_e32 v16, v79
	v_pk_mul_f32 v[16:17], v[4:5], v[16:17] op_sel:[1,0] op_sel_hi:[0,0]
	v_pk_fma_f32 v[18:19], v[4:5], v[78:79], v[16:17] neg_lo:[0,0,1] neg_hi:[0,0,1]
	v_pk_fma_f32 v[4:5], v[4:5], v[78:79], v[16:17] op_sel_hi:[1,0,1]
	s_nop 0
	v_mov_b32_e32 v19, v5
	s_waitcnt vmcnt(2) lgkmcnt(2)
	v_pk_mul_f32 v[4:5], v[6:7], v[80:81] op_sel:[1,1] op_sel_hi:[0,1]
	v_pk_fma_f32 v[16:17], v[6:7], v[80:81], v[4:5] neg_lo:[0,0,1] neg_hi:[0,0,1]
	v_pk_fma_f32 v[4:5], v[6:7], v[80:81], v[4:5] op_sel_hi:[1,0,1]
	v_pk_add_f32 v[2:3], v[2:3], v[18:19]
	v_mov_b32_e32 v4, v83
	v_mov_b32_e32 v17, v5
	v_pk_mul_f32 v[4:5], v[8:9], v[4:5] op_sel:[1,0] op_sel_hi:[0,0]
	v_pk_fma_f32 v[6:7], v[8:9], v[82:83], v[4:5] neg_lo:[0,0,1] neg_hi:[0,0,1]
	v_pk_fma_f32 v[4:5], v[8:9], v[82:83], v[4:5] op_sel_hi:[1,0,1]
	v_pk_add_f32 v[2:3], v[2:3], v[16:17]
	v_mov_b32_e32 v7, v5
	s_waitcnt vmcnt(1) lgkmcnt(1)
	v_pk_mul_f32 v[4:5], v[10:11], v[84:85] op_sel:[1,1] op_sel_hi:[0,1]
	v_pk_add_f32 v[2:3], v[2:3], v[6:7]
	v_pk_fma_f32 v[6:7], v[10:11], v[84:85], v[4:5] neg_lo:[0,0,1] neg_hi:[0,0,1]
	v_pk_fma_f32 v[4:5], v[10:11], v[84:85], v[4:5] op_sel_hi:[1,0,1]
	s_nop 0
	v_mov_b32_e32 v4, v87
	v_mov_b32_e32 v7, v5
	v_pk_mul_f32 v[4:5], v[12:13], v[4:5] op_sel:[1,0] op_sel_hi:[0,0]
	v_pk_add_f32 v[2:3], v[2:3], v[6:7]
	v_pk_fma_f32 v[6:7], v[12:13], v[86:87], v[4:5] neg_lo:[0,0,1] neg_hi:[0,0,1]
	v_pk_fma_f32 v[4:5], v[12:13], v[86:87], v[4:5] op_sel_hi:[1,0,1]
	s_nop 0
	v_mov_b32_e32 v7, v5
	s_waitcnt vmcnt(0) lgkmcnt(0)
	v_pk_mul_f32 v[4:5], v[14:15], v[94:95] op_sel:[1,1] op_sel_hi:[0,1]
	v_pk_add_f32 v[2:3], v[2:3], v[6:7]
	v_pk_fma_f32 v[6:7], v[14:15], v[94:95], v[4:5] neg_lo:[0,0,1] neg_hi:[0,0,1]
	v_pk_fma_f32 v[4:5], v[14:15], v[94:95], v[4:5] op_sel_hi:[1,0,1]
	s_nop 0
	v_mov_b32_e32 v7, v5
	scratch_load_dwordx2 v[4:5], off, off offset:88
	v_pk_add_f32 v[2:3], v[2:3], v[6:7]
	s_waitcnt vmcnt(0)
	v_pk_add_f32 v[2:3], v[4:5], v[2:3] neg_lo:[0,1] neg_hi:[0,1]
	scratch_store_dwordx2 off, v[2:3], off offset:88
	s_and_saveexec_b64 s[0:1], vcc
	s_cbranch_execz .LBB36_215
; %bb.214:
	scratch_load_dwordx2 v[2:3], off, off offset:80
	v_mov_b32_e32 v59, v58
	scratch_store_dwordx2 off, v[58:59], off offset:80
	s_waitcnt vmcnt(1)
	ds_write_b64 v1, v[2:3]
.LBB36_215:
	s_or_b64 exec, exec, s[0:1]
	s_waitcnt lgkmcnt(0)
	; wave barrier
	scratch_load_dwordx4 v[2:5], off, off offset:88
	scratch_load_dwordx4 v[18:21], off, off offset:104
	;; [unrolled: 1-line block ×9, first 2 shown]
	ds_read2_b64 v[60:63], v58 offset0:49 offset1:50
	ds_read2_b64 v[64:67], v58 offset0:51 offset1:52
	;; [unrolled: 1-line block ×8, first 2 shown]
	scratch_load_dwordx4 v[50:53], off, off offset:232
	scratch_load_dwordx4 v[34:37], off, off offset:248
	;; [unrolled: 1-line block ×4, first 2 shown]
	ds_read2_b64 v[88:91], v58 offset0:65 offset1:66
	ds_read2_b64 v[92:95], v58 offset0:67 offset1:68
	scratch_load_dwordx2 v[96:97], off, off offset:80
	v_cmp_lt_u32_e32 vcc, 9, v0
	s_waitcnt vmcnt(13) lgkmcnt(9)
	v_mul_f32_e32 v59, v60, v3
	v_mul_f32_e32 v98, v62, v5
	;; [unrolled: 1-line block ×3, first 2 shown]
	s_waitcnt vmcnt(10) lgkmcnt(6)
	v_mul_f32_e32 v105, v72, v7
	v_mul_f32_e32 v7, v73, v7
	v_fmac_f32_e32 v59, v61, v2
	v_mul_f32_e32 v100, v64, v19
	v_mul_f32_e32 v5, v63, v5
	v_fmac_f32_e32 v98, v63, v4
	v_fmac_f32_e32 v105, v73, v6
	v_fma_f32 v2, v60, v2, -v3
	v_fma_f32 v6, v72, v6, -v7
	v_add_f32_e32 v7, 0, v59
	v_mul_f32_e32 v102, v66, v21
	v_fmac_f32_e32 v100, v65, v18
	v_fma_f32 v3, v62, v4, -v5
	v_add_f32_e32 v2, 0, v2
	v_add_f32_e32 v7, v7, v98
	v_mul_f32_e32 v103, v68, v39
	v_fmac_f32_e32 v102, v67, v20
	v_add_f32_e32 v2, v2, v3
	v_add_f32_e32 v3, v7, v100
	v_mul_f32_e32 v104, v70, v41
	v_fmac_f32_e32 v103, v69, v38
	v_add_f32_e32 v3, v3, v102
	v_fmac_f32_e32 v104, v71, v40
	v_add_f32_e32 v3, v3, v103
	v_mul_f32_e32 v106, v74, v9
	v_add_f32_e32 v3, v3, v104
	s_waitcnt vmcnt(9) lgkmcnt(5)
	v_mul_f32_e32 v107, v76, v15
	v_fmac_f32_e32 v106, v75, v8
	v_add_f32_e32 v3, v3, v105
	v_mul_f32_e32 v108, v78, v17
	v_fmac_f32_e32 v107, v77, v14
	v_add_f32_e32 v3, v3, v106
	s_waitcnt vmcnt(8) lgkmcnt(4)
	v_mul_f32_e32 v109, v80, v23
	v_fmac_f32_e32 v108, v79, v16
	v_add_f32_e32 v3, v3, v107
	v_mul_f32_e32 v110, v82, v25
	v_fmac_f32_e32 v109, v81, v22
	v_add_f32_e32 v3, v3, v108
	s_waitcnt vmcnt(7) lgkmcnt(3)
	v_mul_f32_e32 v111, v84, v31
	v_mul_f32_e32 v19, v65, v19
	v_fmac_f32_e32 v110, v83, v24
	v_add_f32_e32 v3, v3, v109
	v_mul_f32_e32 v112, v86, v33
	v_mul_f32_e32 v21, v67, v21
	v_fmac_f32_e32 v111, v85, v30
	v_fma_f32 v4, v64, v18, -v19
	v_add_f32_e32 v3, v3, v110
	s_waitcnt vmcnt(6) lgkmcnt(2)
	v_mul_f32_e32 v113, v54, v43
	v_mul_f32_e32 v39, v69, v39
	v_fmac_f32_e32 v112, v87, v32
	v_fma_f32 v5, v66, v20, -v21
	v_add_f32_e32 v2, v2, v4
	v_add_f32_e32 v3, v3, v111
	v_mul_f32_e32 v188, v56, v45
	v_mul_f32_e32 v41, v71, v41
	v_fmac_f32_e32 v113, v55, v42
	v_fma_f32 v18, v68, v38, -v39
	v_add_f32_e32 v2, v2, v5
	v_add_f32_e32 v3, v3, v112
	v_fmac_f32_e32 v188, v57, v44
	v_fma_f32 v19, v70, v40, -v41
	v_add_f32_e32 v2, v2, v18
	v_add_f32_e32 v3, v3, v113
	v_add_f32_e32 v2, v2, v19
	v_add_f32_e32 v19, v3, v188
	v_mul_f32_e32 v3, v75, v9
	v_add_f32_e32 v2, v2, v6
	v_fma_f32 v3, v74, v8, -v3
	v_add_f32_e32 v2, v2, v3
	v_mul_f32_e32 v3, v77, v15
	v_fma_f32 v3, v76, v14, -v3
	v_add_f32_e32 v2, v2, v3
	v_mul_f32_e32 v3, v79, v17
	;; [unrolled: 3-line block ×8, first 2 shown]
	v_fma_f32 v3, v56, v44, -v3
	s_waitcnt vmcnt(5) lgkmcnt(1)
	v_mul_f32_e32 v99, v88, v47
	v_add_f32_e32 v18, v2, v3
	v_mul_f32_e32 v2, v89, v47
	s_waitcnt vmcnt(4) lgkmcnt(0)
	v_pk_mul_f32 v[20:21], v[92:93], v[50:51] op_sel:[1,1] op_sel_hi:[0,1]
	v_mul_f32_e32 v101, v90, v49
	v_fmac_f32_e32 v99, v89, v46
	v_fma_f32 v98, v88, v46, -v2
	v_mul_f32_e32 v2, v91, v49
	v_pk_fma_f32 v[22:23], v[92:93], v[50:51], v[20:21] neg_lo:[0,0,1] neg_hi:[0,0,1]
	v_pk_fma_f32 v[20:21], v[92:93], v[50:51], v[20:21] op_sel_hi:[1,0,1]
	v_fmac_f32_e32 v101, v91, v48
	v_fma_f32 v100, v90, v48, -v2
	ds_read2_b64 v[2:5], v58 offset0:69 offset1:70
	ds_read2_b64 v[6:9], v58 offset0:71 offset1:72
	;; [unrolled: 1-line block ×3, first 2 shown]
	v_pk_add_f32 v[18:19], v[18:19], v[98:99]
	v_mov_b32_e32 v20, v53
	v_pk_add_f32 v[18:19], v[18:19], v[100:101]
	v_mov_b32_e32 v23, v21
	v_pk_mul_f32 v[20:21], v[94:95], v[20:21] op_sel:[1,0] op_sel_hi:[0,0]
	v_pk_add_f32 v[18:19], v[18:19], v[22:23]
	v_pk_fma_f32 v[22:23], v[94:95], v[52:53], v[20:21] neg_lo:[0,0,1] neg_hi:[0,0,1]
	v_pk_fma_f32 v[20:21], v[94:95], v[52:53], v[20:21] op_sel_hi:[1,0,1]
	s_nop 0
	v_mov_b32_e32 v23, v21
	s_waitcnt vmcnt(3) lgkmcnt(2)
	v_pk_mul_f32 v[20:21], v[2:3], v[34:35] op_sel:[1,1] op_sel_hi:[0,1]
	v_pk_add_f32 v[18:19], v[18:19], v[22:23]
	v_pk_fma_f32 v[22:23], v[2:3], v[34:35], v[20:21] neg_lo:[0,0,1] neg_hi:[0,0,1]
	v_pk_fma_f32 v[2:3], v[2:3], v[34:35], v[20:21] op_sel_hi:[1,0,1]
	s_nop 0
	v_mov_b32_e32 v23, v3
	v_pk_add_f32 v[2:3], v[18:19], v[22:23]
	v_mov_b32_e32 v18, v37
	v_pk_mul_f32 v[18:19], v[4:5], v[18:19] op_sel:[1,0] op_sel_hi:[0,0]
	v_pk_fma_f32 v[20:21], v[4:5], v[36:37], v[18:19] neg_lo:[0,0,1] neg_hi:[0,0,1]
	v_pk_fma_f32 v[4:5], v[4:5], v[36:37], v[18:19] op_sel_hi:[1,0,1]
	s_nop 0
	v_mov_b32_e32 v21, v5
	s_waitcnt vmcnt(2) lgkmcnt(1)
	v_pk_mul_f32 v[4:5], v[6:7], v[26:27] op_sel:[1,1] op_sel_hi:[0,1]
	v_pk_fma_f32 v[18:19], v[6:7], v[26:27], v[4:5] neg_lo:[0,0,1] neg_hi:[0,0,1]
	v_pk_fma_f32 v[4:5], v[6:7], v[26:27], v[4:5] op_sel_hi:[1,0,1]
	v_pk_add_f32 v[2:3], v[2:3], v[20:21]
	v_mov_b32_e32 v4, v29
	v_mov_b32_e32 v19, v5
	v_pk_mul_f32 v[4:5], v[8:9], v[4:5] op_sel:[1,0] op_sel_hi:[0,0]
	v_pk_fma_f32 v[6:7], v[8:9], v[28:29], v[4:5] neg_lo:[0,0,1] neg_hi:[0,0,1]
	v_pk_fma_f32 v[4:5], v[8:9], v[28:29], v[4:5] op_sel_hi:[1,0,1]
	v_pk_add_f32 v[2:3], v[2:3], v[18:19]
	v_mov_b32_e32 v7, v5
	s_waitcnt vmcnt(1) lgkmcnt(0)
	v_pk_mul_f32 v[4:5], v[14:15], v[10:11] op_sel:[1,1] op_sel_hi:[0,1]
	v_pk_add_f32 v[2:3], v[2:3], v[6:7]
	v_pk_fma_f32 v[6:7], v[14:15], v[10:11], v[4:5] neg_lo:[0,0,1] neg_hi:[0,0,1]
	v_pk_fma_f32 v[4:5], v[14:15], v[10:11], v[4:5] op_sel_hi:[1,0,1]
	s_nop 0
	v_mov_b32_e32 v4, v13
	v_mov_b32_e32 v7, v5
	v_pk_mul_f32 v[4:5], v[16:17], v[4:5] op_sel:[1,0] op_sel_hi:[0,0]
	v_pk_add_f32 v[2:3], v[2:3], v[6:7]
	v_pk_fma_f32 v[6:7], v[16:17], v[12:13], v[4:5] neg_lo:[0,0,1] neg_hi:[0,0,1]
	v_pk_fma_f32 v[4:5], v[16:17], v[12:13], v[4:5] op_sel_hi:[1,0,1]
	s_nop 0
	v_mov_b32_e32 v7, v5
	v_pk_add_f32 v[2:3], v[2:3], v[6:7]
	s_waitcnt vmcnt(0)
	v_pk_add_f32 v[2:3], v[96:97], v[2:3] neg_lo:[0,1] neg_hi:[0,1]
	scratch_store_dwordx2 off, v[2:3], off offset:80
	s_and_saveexec_b64 s[0:1], vcc
	s_cbranch_execz .LBB36_217
; %bb.216:
	scratch_load_dwordx2 v[2:3], off, off offset:72
	v_mov_b32_e32 v4, 0
	v_mov_b32_e32 v5, v4
	scratch_store_dwordx2 off, v[4:5], off offset:72
	s_waitcnt vmcnt(1)
	ds_write_b64 v1, v[2:3]
.LBB36_217:
	s_or_b64 exec, exec, s[0:1]
	s_waitcnt lgkmcnt(0)
	; wave barrier
	scratch_load_dwordx4 v[18:21], off, off offset:80
	scratch_load_dwordx4 v[30:33], off, off offset:96
	;; [unrolled: 1-line block ×13, first 2 shown]
	scratch_load_dwordx2 v[54:55], off, off offset:288
	scratch_load_dwordx2 v[80:81], off, off offset:72
	v_mov_b32_e32 v82, 0
	ds_read_b128 v[56:59], v82 offset:384
	ds_read_b128 v[60:63], v82 offset:400
	ds_read_b128 v[64:67], v82 offset:416
	ds_read_b128 v[68:71], v82 offset:432
	ds_read_b128 v[72:75], v82 offset:448
	ds_read_b128 v[76:79], v82 offset:464
	ds_read_b128 v[84:87], v82 offset:480
	ds_read_b128 v[88:91], v82 offset:496
	ds_read_b128 v[92:95], v82 offset:512
	ds_read_b128 v[96:99], v82 offset:528
	v_cmp_lt_u32_e32 vcc, 8, v0
	s_waitcnt vmcnt(14) lgkmcnt(9)
	v_mul_f32_e32 v83, v56, v19
	v_mul_f32_e32 v100, v58, v21
	s_waitcnt vmcnt(12) lgkmcnt(7)
	v_mul_f32_e32 v105, v64, v3
	v_mul_f32_e32 v3, v65, v3
	v_fmac_f32_e32 v83, v57, v18
	v_mul_f32_e32 v102, v60, v31
	v_fmac_f32_e32 v100, v59, v20
	v_fmac_f32_e32 v105, v65, v2
	v_fma_f32 v2, v64, v2, -v3
	v_add_f32_e32 v3, 0, v83
	v_mul_f32_e32 v104, v62, v33
	v_fmac_f32_e32 v102, v61, v30
	v_add_f32_e32 v3, v3, v100
	v_fmac_f32_e32 v104, v63, v32
	v_add_f32_e32 v3, v3, v102
	v_mul_f32_e32 v106, v66, v5
	v_add_f32_e32 v3, v3, v104
	s_waitcnt vmcnt(11) lgkmcnt(6)
	v_mul_f32_e32 v107, v68, v7
	v_fmac_f32_e32 v106, v67, v4
	v_add_f32_e32 v3, v3, v105
	v_mul_f32_e32 v108, v70, v9
	v_fmac_f32_e32 v107, v69, v6
	v_add_f32_e32 v3, v3, v106
	s_waitcnt vmcnt(10) lgkmcnt(5)
	v_mul_f32_e32 v109, v72, v15
	v_fmac_f32_e32 v108, v71, v8
	v_add_f32_e32 v3, v3, v107
	v_mul_f32_e32 v110, v74, v17
	v_fmac_f32_e32 v109, v73, v14
	;; [unrolled: 7-line block ×3, first 2 shown]
	v_add_f32_e32 v3, v3, v110
	s_waitcnt vmcnt(8) lgkmcnt(3)
	v_mul_f32_e32 v113, v84, v35
	v_mul_f32_e32 v19, v57, v19
	v_fmac_f32_e32 v112, v79, v24
	v_add_f32_e32 v3, v3, v111
	v_mul_f32_e32 v188, v86, v37
	v_mul_f32_e32 v21, v59, v21
	v_fmac_f32_e32 v113, v85, v34
	v_fma_f32 v18, v56, v18, -v19
	v_add_f32_e32 v3, v3, v112
	s_waitcnt vmcnt(7) lgkmcnt(2)
	v_mul_f32_e32 v189, v88, v39
	v_mul_f32_e32 v31, v61, v31
	v_fmac_f32_e32 v188, v87, v36
	v_fma_f32 v19, v58, v20, -v21
	v_add_f32_e32 v18, 0, v18
	v_add_f32_e32 v3, v3, v113
	v_mul_f32_e32 v190, v90, v41
	v_mul_f32_e32 v33, v63, v33
	v_fmac_f32_e32 v189, v89, v38
	v_fma_f32 v20, v60, v30, -v31
	v_add_f32_e32 v18, v18, v19
	v_add_f32_e32 v3, v3, v188
	s_waitcnt vmcnt(6) lgkmcnt(1)
	v_mul_f32_e32 v191, v92, v51
	v_fmac_f32_e32 v190, v91, v40
	v_fma_f32 v21, v62, v32, -v33
	v_add_f32_e32 v18, v18, v20
	v_add_f32_e32 v3, v3, v189
	v_mul_f32_e32 v5, v67, v5
	v_fmac_f32_e32 v191, v93, v50
	v_add_f32_e32 v18, v18, v21
	v_add_f32_e32 v3, v3, v190
	;; [unrolled: 1-line block ×4, first 2 shown]
	v_fma_f32 v3, v66, v4, -v5
	v_add_f32_e32 v2, v2, v3
	v_mul_f32_e32 v3, v69, v7
	v_fma_f32 v3, v68, v6, -v3
	v_add_f32_e32 v2, v2, v3
	v_mul_f32_e32 v3, v71, v9
	;; [unrolled: 3-line block ×12, first 2 shown]
	v_mul_f32_e32 v101, v94, v53
	v_fma_f32 v100, v94, v52, -v2
	s_waitcnt vmcnt(5) lgkmcnt(0)
	v_mul_f32_e32 v2, v97, v47
	v_mov_b32_e32 v22, v49
	v_mul_f32_e32 v103, v96, v47
	v_fmac_f32_e32 v101, v95, v52
	v_fma_f32 v102, v96, v46, -v2
	ds_read_b128 v[2:5], v82 offset:544
	ds_read_b128 v[6:9], v82 offset:560
	;; [unrolled: 1-line block ×3, first 2 shown]
	ds_read_b64 v[20:21], v82 offset:592
	v_pk_mul_f32 v[22:23], v[98:99], v[22:23] op_sel:[1,0] op_sel_hi:[0,0]
	v_fmac_f32_e32 v103, v97, v46
	v_pk_add_f32 v[18:19], v[18:19], v[100:101]
	v_pk_fma_f32 v[24:25], v[98:99], v[48:49], v[22:23] neg_lo:[0,0,1] neg_hi:[0,0,1]
	v_pk_fma_f32 v[22:23], v[98:99], v[48:49], v[22:23] op_sel_hi:[1,0,1]
	v_pk_add_f32 v[18:19], v[18:19], v[102:103]
	v_mov_b32_e32 v25, v23
	s_waitcnt vmcnt(4) lgkmcnt(3)
	v_pk_mul_f32 v[22:23], v[2:3], v[42:43] op_sel:[1,1] op_sel_hi:[0,1]
	v_pk_add_f32 v[18:19], v[18:19], v[24:25]
	v_pk_fma_f32 v[24:25], v[2:3], v[42:43], v[22:23] neg_lo:[0,0,1] neg_hi:[0,0,1]
	v_pk_fma_f32 v[2:3], v[2:3], v[42:43], v[22:23] op_sel_hi:[1,0,1]
	s_nop 0
	v_mov_b32_e32 v25, v3
	v_pk_add_f32 v[2:3], v[18:19], v[24:25]
	v_mov_b32_e32 v18, v45
	v_pk_mul_f32 v[18:19], v[4:5], v[18:19] op_sel:[1,0] op_sel_hi:[0,0]
	v_pk_fma_f32 v[22:23], v[4:5], v[44:45], v[18:19] neg_lo:[0,0,1] neg_hi:[0,0,1]
	v_pk_fma_f32 v[4:5], v[4:5], v[44:45], v[18:19] op_sel_hi:[1,0,1]
	s_nop 0
	v_mov_b32_e32 v23, v5
	s_waitcnt vmcnt(3) lgkmcnt(2)
	v_pk_mul_f32 v[4:5], v[6:7], v[26:27] op_sel:[1,1] op_sel_hi:[0,1]
	v_pk_fma_f32 v[18:19], v[6:7], v[26:27], v[4:5] neg_lo:[0,0,1] neg_hi:[0,0,1]
	v_pk_fma_f32 v[4:5], v[6:7], v[26:27], v[4:5] op_sel_hi:[1,0,1]
	v_pk_add_f32 v[2:3], v[2:3], v[22:23]
	v_mov_b32_e32 v4, v29
	v_mov_b32_e32 v19, v5
	v_pk_mul_f32 v[4:5], v[8:9], v[4:5] op_sel:[1,0] op_sel_hi:[0,0]
	v_pk_fma_f32 v[6:7], v[8:9], v[28:29], v[4:5] neg_lo:[0,0,1] neg_hi:[0,0,1]
	v_pk_fma_f32 v[4:5], v[8:9], v[28:29], v[4:5] op_sel_hi:[1,0,1]
	v_pk_add_f32 v[2:3], v[2:3], v[18:19]
	v_mov_b32_e32 v7, v5
	s_waitcnt vmcnt(2) lgkmcnt(1)
	v_pk_mul_f32 v[4:5], v[14:15], v[10:11] op_sel:[1,1] op_sel_hi:[0,1]
	v_pk_add_f32 v[2:3], v[2:3], v[6:7]
	v_pk_fma_f32 v[6:7], v[14:15], v[10:11], v[4:5] neg_lo:[0,0,1] neg_hi:[0,0,1]
	v_pk_fma_f32 v[4:5], v[14:15], v[10:11], v[4:5] op_sel_hi:[1,0,1]
	s_nop 0
	v_mov_b32_e32 v4, v13
	v_mov_b32_e32 v7, v5
	v_pk_mul_f32 v[4:5], v[16:17], v[4:5] op_sel:[1,0] op_sel_hi:[0,0]
	v_pk_add_f32 v[2:3], v[2:3], v[6:7]
	v_pk_fma_f32 v[6:7], v[16:17], v[12:13], v[4:5] neg_lo:[0,0,1] neg_hi:[0,0,1]
	v_pk_fma_f32 v[4:5], v[16:17], v[12:13], v[4:5] op_sel_hi:[1,0,1]
	s_nop 0
	v_mov_b32_e32 v7, v5
	s_waitcnt vmcnt(1) lgkmcnt(0)
	v_pk_mul_f32 v[4:5], v[20:21], v[54:55] op_sel:[1,1] op_sel_hi:[0,1]
	v_pk_add_f32 v[2:3], v[2:3], v[6:7]
	v_pk_fma_f32 v[6:7], v[20:21], v[54:55], v[4:5] neg_lo:[0,0,1] neg_hi:[0,0,1]
	v_pk_fma_f32 v[4:5], v[20:21], v[54:55], v[4:5] op_sel_hi:[1,0,1]
	s_nop 0
	v_mov_b32_e32 v7, v5
	v_pk_add_f32 v[2:3], v[2:3], v[6:7]
	s_waitcnt vmcnt(0)
	v_pk_add_f32 v[2:3], v[80:81], v[2:3] neg_lo:[0,1] neg_hi:[0,1]
	scratch_store_dwordx2 off, v[2:3], off offset:72
	s_and_saveexec_b64 s[0:1], vcc
	s_cbranch_execz .LBB36_219
; %bb.218:
	scratch_load_dwordx2 v[2:3], off, off offset:64
	v_mov_b32_e32 v83, v82
	scratch_store_dwordx2 off, v[82:83], off offset:64
	s_waitcnt vmcnt(1)
	ds_write_b64 v1, v[2:3]
.LBB36_219:
	s_or_b64 exec, exec, s[0:1]
	s_waitcnt lgkmcnt(0)
	; wave barrier
	scratch_load_dwordx4 v[10:13], off, off offset:72
	scratch_load_dwordx4 v[26:29], off, off offset:88
	;; [unrolled: 1-line block ×10, first 2 shown]
	ds_read2_b64 v[84:87], v82 offset0:47 offset1:48
	ds_read2_b64 v[88:91], v82 offset0:49 offset1:50
	;; [unrolled: 1-line block ×10, first 2 shown]
	scratch_load_dwordx4 v[54:57], off, off offset:232
	scratch_load_dwordx4 v[46:49], off, off offset:248
	;; [unrolled: 1-line block ×4, first 2 shown]
	scratch_load_dwordx2 v[100:101], off, off offset:64
	v_cmp_lt_u32_e32 vcc, 7, v0
	s_waitcnt vmcnt(14) lgkmcnt(9)
	v_mul_f32_e32 v83, v84, v11
	v_mul_f32_e32 v102, v86, v13
	s_waitcnt vmcnt(12) lgkmcnt(7)
	v_mul_f32_e32 v107, v92, v3
	v_mul_f32_e32 v3, v93, v3
	v_fmac_f32_e32 v83, v85, v10
	v_mul_f32_e32 v104, v88, v27
	v_fmac_f32_e32 v102, v87, v12
	v_fmac_f32_e32 v107, v93, v2
	v_fma_f32 v2, v92, v2, -v3
	v_add_f32_e32 v3, 0, v83
	v_mul_f32_e32 v106, v90, v29
	v_fmac_f32_e32 v104, v89, v26
	v_add_f32_e32 v3, v3, v102
	v_fmac_f32_e32 v106, v91, v28
	v_add_f32_e32 v3, v3, v104
	v_mul_f32_e32 v108, v94, v5
	v_add_f32_e32 v3, v3, v106
	s_waitcnt vmcnt(11) lgkmcnt(6)
	v_mul_f32_e32 v109, v96, v7
	v_fmac_f32_e32 v108, v95, v4
	v_add_f32_e32 v3, v3, v107
	v_mul_f32_e32 v110, v98, v9
	v_fmac_f32_e32 v109, v97, v6
	v_add_f32_e32 v3, v3, v108
	s_waitcnt vmcnt(10) lgkmcnt(5)
	v_mul_f32_e32 v111, v78, v15
	v_fmac_f32_e32 v110, v99, v8
	v_add_f32_e32 v3, v3, v109
	v_mul_f32_e32 v112, v80, v17
	v_fmac_f32_e32 v111, v79, v14
	;; [unrolled: 7-line block ×4, first 2 shown]
	v_add_f32_e32 v3, v3, v188
	s_waitcnt vmcnt(7) lgkmcnt(2)
	v_mul_f32_e32 v191, v66, v39
	v_mul_f32_e32 v11, v85, v11
	v_fmac_f32_e32 v190, v73, v32
	v_add_f32_e32 v3, v3, v189
	v_mul_f32_e32 v192, v68, v41
	v_mul_f32_e32 v13, v87, v13
	v_fmac_f32_e32 v191, v67, v38
	v_fma_f32 v10, v84, v10, -v11
	v_add_f32_e32 v3, v3, v190
	s_waitcnt vmcnt(6) lgkmcnt(1)
	v_mul_f32_e32 v193, v62, v43
	v_mul_f32_e32 v27, v89, v27
	v_fmac_f32_e32 v192, v69, v40
	v_fma_f32 v11, v86, v12, -v13
	v_add_f32_e32 v10, 0, v10
	v_add_f32_e32 v3, v3, v191
	v_mul_f32_e32 v194, v64, v45
	v_mul_f32_e32 v29, v91, v29
	v_fmac_f32_e32 v193, v63, v42
	v_fma_f32 v12, v88, v26, -v27
	v_add_f32_e32 v10, v10, v11
	v_add_f32_e32 v3, v3, v192
	v_fmac_f32_e32 v194, v65, v44
	v_fma_f32 v13, v90, v28, -v29
	v_add_f32_e32 v10, v10, v12
	v_add_f32_e32 v3, v3, v193
	;; [unrolled: 1-line block ×4, first 2 shown]
	v_mul_f32_e32 v3, v95, v5
	v_add_f32_e32 v2, v10, v2
	v_fma_f32 v3, v94, v4, -v3
	v_add_f32_e32 v2, v2, v3
	v_mul_f32_e32 v3, v97, v7
	v_fma_f32 v3, v96, v6, -v3
	v_add_f32_e32 v2, v2, v3
	v_mul_f32_e32 v3, v99, v9
	v_fma_f32 v3, v98, v8, -v3
	v_add_f32_e32 v2, v2, v3
	v_mul_f32_e32 v3, v79, v15
	v_fma_f32 v3, v78, v14, -v3
	v_add_f32_e32 v2, v2, v3
	v_mul_f32_e32 v3, v81, v17
	v_fma_f32 v3, v80, v16, -v3
	v_add_f32_e32 v2, v2, v3
	v_mul_f32_e32 v3, v75, v23
	v_fma_f32 v3, v74, v22, -v3
	v_add_f32_e32 v2, v2, v3
	v_mul_f32_e32 v3, v77, v25
	v_fma_f32 v3, v76, v24, -v3
	v_add_f32_e32 v2, v2, v3
	v_mul_f32_e32 v3, v71, v31
	v_fma_f32 v3, v70, v30, -v3
	v_add_f32_e32 v2, v2, v3
	v_mul_f32_e32 v3, v73, v33
	v_fma_f32 v3, v72, v32, -v3
	v_add_f32_e32 v2, v2, v3
	v_mul_f32_e32 v3, v67, v39
	v_fma_f32 v3, v66, v38, -v3
	v_add_f32_e32 v2, v2, v3
	v_mul_f32_e32 v3, v69, v41
	v_fma_f32 v3, v68, v40, -v3
	v_add_f32_e32 v2, v2, v3
	v_mul_f32_e32 v3, v63, v43
	v_fma_f32 v3, v62, v42, -v3
	v_add_f32_e32 v2, v2, v3
	v_mul_f32_e32 v3, v65, v45
	v_fma_f32 v3, v64, v44, -v3
	v_add_f32_e32 v26, v2, v3
	s_waitcnt vmcnt(5) lgkmcnt(0)
	v_mul_f32_e32 v2, v59, v51
	v_fma_f32 v102, v58, v50, -v2
	v_mul_f32_e32 v2, v61, v53
	v_fma_f32 v104, v60, v52, -v2
	ds_read2_b64 v[2:5], v82 offset0:67 offset1:68
	ds_read2_b64 v[6:9], v82 offset0:69 offset1:70
	;; [unrolled: 1-line block ×4, first 2 shown]
	v_mul_f32_e32 v103, v58, v51
	v_mul_f32_e32 v105, v60, v53
	v_fmac_f32_e32 v103, v59, v50
	s_waitcnt vmcnt(4) lgkmcnt(3)
	v_pk_mul_f32 v[24:25], v[2:3], v[54:55] op_sel:[1,1] op_sel_hi:[0,1]
	v_fmac_f32_e32 v105, v61, v52
	v_pk_add_f32 v[22:23], v[26:27], v[102:103]
	v_pk_fma_f32 v[26:27], v[2:3], v[54:55], v[24:25] neg_lo:[0,0,1] neg_hi:[0,0,1]
	v_pk_fma_f32 v[2:3], v[2:3], v[54:55], v[24:25] op_sel_hi:[1,0,1]
	v_pk_add_f32 v[22:23], v[22:23], v[104:105]
	v_mov_b32_e32 v27, v3
	v_pk_add_f32 v[2:3], v[22:23], v[26:27]
	v_mov_b32_e32 v22, v57
	v_pk_mul_f32 v[22:23], v[4:5], v[22:23] op_sel:[1,0] op_sel_hi:[0,0]
	v_pk_fma_f32 v[24:25], v[4:5], v[56:57], v[22:23] neg_lo:[0,0,1] neg_hi:[0,0,1]
	v_pk_fma_f32 v[4:5], v[4:5], v[56:57], v[22:23] op_sel_hi:[1,0,1]
	s_nop 0
	v_mov_b32_e32 v25, v5
	s_waitcnt vmcnt(3) lgkmcnt(2)
	v_pk_mul_f32 v[4:5], v[6:7], v[46:47] op_sel:[1,1] op_sel_hi:[0,1]
	v_pk_fma_f32 v[22:23], v[6:7], v[46:47], v[4:5] neg_lo:[0,0,1] neg_hi:[0,0,1]
	v_pk_fma_f32 v[4:5], v[6:7], v[46:47], v[4:5] op_sel_hi:[1,0,1]
	v_pk_add_f32 v[2:3], v[2:3], v[24:25]
	v_mov_b32_e32 v4, v49
	v_mov_b32_e32 v23, v5
	v_pk_mul_f32 v[4:5], v[8:9], v[4:5] op_sel:[1,0] op_sel_hi:[0,0]
	v_pk_fma_f32 v[6:7], v[8:9], v[48:49], v[4:5] neg_lo:[0,0,1] neg_hi:[0,0,1]
	v_pk_fma_f32 v[4:5], v[8:9], v[48:49], v[4:5] op_sel_hi:[1,0,1]
	v_pk_add_f32 v[2:3], v[2:3], v[22:23]
	v_mov_b32_e32 v7, v5
	s_waitcnt vmcnt(2) lgkmcnt(1)
	v_pk_mul_f32 v[4:5], v[10:11], v[34:35] op_sel:[1,1] op_sel_hi:[0,1]
	v_pk_add_f32 v[2:3], v[2:3], v[6:7]
	v_pk_fma_f32 v[6:7], v[10:11], v[34:35], v[4:5] neg_lo:[0,0,1] neg_hi:[0,0,1]
	v_pk_fma_f32 v[4:5], v[10:11], v[34:35], v[4:5] op_sel_hi:[1,0,1]
	s_nop 0
	v_mov_b32_e32 v4, v37
	v_mov_b32_e32 v7, v5
	v_pk_mul_f32 v[4:5], v[12:13], v[4:5] op_sel:[1,0] op_sel_hi:[0,0]
	v_pk_add_f32 v[2:3], v[2:3], v[6:7]
	v_pk_fma_f32 v[6:7], v[12:13], v[36:37], v[4:5] neg_lo:[0,0,1] neg_hi:[0,0,1]
	v_pk_fma_f32 v[4:5], v[12:13], v[36:37], v[4:5] op_sel_hi:[1,0,1]
	s_nop 0
	v_mov_b32_e32 v7, v5
	s_waitcnt vmcnt(1) lgkmcnt(0)
	v_pk_mul_f32 v[4:5], v[14:15], v[18:19] op_sel:[1,1] op_sel_hi:[0,1]
	v_pk_add_f32 v[2:3], v[2:3], v[6:7]
	v_pk_fma_f32 v[6:7], v[14:15], v[18:19], v[4:5] neg_lo:[0,0,1] neg_hi:[0,0,1]
	v_pk_fma_f32 v[4:5], v[14:15], v[18:19], v[4:5] op_sel_hi:[1,0,1]
	s_nop 0
	v_mov_b32_e32 v4, v21
	v_mov_b32_e32 v7, v5
	v_pk_mul_f32 v[4:5], v[16:17], v[4:5] op_sel:[1,0] op_sel_hi:[0,0]
	v_pk_add_f32 v[2:3], v[2:3], v[6:7]
	v_pk_fma_f32 v[6:7], v[16:17], v[20:21], v[4:5] neg_lo:[0,0,1] neg_hi:[0,0,1]
	v_pk_fma_f32 v[4:5], v[16:17], v[20:21], v[4:5] op_sel_hi:[1,0,1]
	s_nop 0
	v_mov_b32_e32 v7, v5
	v_pk_add_f32 v[2:3], v[2:3], v[6:7]
	s_waitcnt vmcnt(0)
	v_pk_add_f32 v[2:3], v[100:101], v[2:3] neg_lo:[0,1] neg_hi:[0,1]
	scratch_store_dwordx2 off, v[2:3], off offset:64
	s_and_saveexec_b64 s[0:1], vcc
	s_cbranch_execz .LBB36_221
; %bb.220:
	scratch_load_dwordx2 v[2:3], off, off offset:56
	v_mov_b32_e32 v4, 0
	v_mov_b32_e32 v5, v4
	scratch_store_dwordx2 off, v[4:5], off offset:56
	s_waitcnt vmcnt(1)
	ds_write_b64 v1, v[2:3]
.LBB36_221:
	s_or_b64 exec, exec, s[0:1]
	s_waitcnt lgkmcnt(0)
	; wave barrier
	scratch_load_dwordx4 v[26:29], off, off offset:64
	scratch_load_dwordx4 v[2:5], off, off offset:80
	;; [unrolled: 1-line block ×14, first 2 shown]
	scratch_load_dwordx2 v[58:59], off, off offset:288
	scratch_load_dwordx2 v[100:101], off, off offset:56
	v_mov_b32_e32 v102, 0
	ds_read_b128 v[60:63], v102 offset:368
	ds_read_b128 v[64:67], v102 offset:384
	;; [unrolled: 1-line block ×12, first 2 shown]
	v_cmp_lt_u32_e32 vcc, 6, v0
	s_waitcnt vmcnt(15) lgkmcnt(11)
	v_mul_f32_e32 v103, v60, v27
	v_mul_f32_e32 v112, v62, v29
	s_waitcnt vmcnt(14) lgkmcnt(10)
	v_mul_f32_e32 v188, v64, v3
	v_mul_f32_e32 v3, v65, v3
	v_fmac_f32_e32 v103, v61, v26
	v_fmac_f32_e32 v112, v63, v28
	;; [unrolled: 1-line block ×3, first 2 shown]
	v_fma_f32 v2, v64, v2, -v3
	v_add_f32_e32 v3, 0, v103
	v_mul_f32_e32 v190, v66, v5
	v_add_f32_e32 v3, v3, v112
	s_waitcnt vmcnt(13) lgkmcnt(9)
	v_mul_f32_e32 v191, v68, v7
	v_fmac_f32_e32 v190, v67, v4
	v_add_f32_e32 v3, v3, v188
	v_mul_f32_e32 v192, v70, v9
	v_fmac_f32_e32 v191, v69, v6
	v_add_f32_e32 v3, v3, v190
	s_waitcnt vmcnt(12) lgkmcnt(8)
	v_mul_f32_e32 v193, v72, v11
	v_fmac_f32_e32 v192, v71, v8
	v_add_f32_e32 v3, v3, v191
	v_mul_f32_e32 v194, v74, v13
	v_fmac_f32_e32 v193, v73, v10
	;; [unrolled: 7-line block ×6, first 2 shown]
	v_add_f32_e32 v3, v3, v200
	s_waitcnt vmcnt(7) lgkmcnt(3)
	v_mul_f32_e32 v203, v92, v43
	v_fmac_f32_e32 v202, v91, v40
	v_add_f32_e32 v3, v3, v201
	v_mul_f32_e32 v204, v94, v45
	v_mul_f32_e32 v27, v61, v27
	v_fmac_f32_e32 v203, v93, v42
	v_add_f32_e32 v3, v3, v202
	s_waitcnt vmcnt(6) lgkmcnt(2)
	v_mul_f32_e32 v205, v96, v51
	v_mul_f32_e32 v29, v63, v29
	v_fmac_f32_e32 v204, v95, v44
	v_fma_f32 v26, v60, v26, -v27
	v_add_f32_e32 v3, v3, v203
	v_fmac_f32_e32 v205, v97, v50
	v_fma_f32 v27, v62, v28, -v29
	v_add_f32_e32 v26, 0, v26
	v_add_f32_e32 v3, v3, v204
	;; [unrolled: 1-line block ×4, first 2 shown]
	v_mul_f32_e32 v3, v67, v5
	v_add_f32_e32 v2, v26, v2
	v_fma_f32 v3, v66, v4, -v3
	v_add_f32_e32 v2, v2, v3
	v_mul_f32_e32 v3, v69, v7
	v_fma_f32 v3, v68, v6, -v3
	v_add_f32_e32 v2, v2, v3
	v_mul_f32_e32 v3, v71, v9
	;; [unrolled: 3-line block ×15, first 2 shown]
	v_fma_f32 v3, v96, v50, -v3
	v_mul_f32_e32 v113, v98, v53
	v_add_f32_e32 v26, v2, v3
	v_mul_f32_e32 v2, v99, v53
	s_waitcnt vmcnt(5)
	v_mov_b32_e32 v14, v57
	s_waitcnt lgkmcnt(1)
	v_mul_f32_e32 v189, v104, v55
	v_fmac_f32_e32 v113, v99, v52
	v_fma_f32 v112, v98, v52, -v2
	v_mul_f32_e32 v2, v105, v55
	v_pk_mul_f32 v[14:15], v[106:107], v[14:15] op_sel:[1,0] op_sel_hi:[0,0]
	v_fmac_f32_e32 v189, v105, v54
	v_fma_f32 v188, v104, v54, -v2
	v_pk_add_f32 v[12:13], v[26:27], v[112:113]
	v_pk_fma_f32 v[16:17], v[106:107], v[56:57], v[14:15] neg_lo:[0,0,1] neg_hi:[0,0,1]
	v_pk_fma_f32 v[14:15], v[106:107], v[56:57], v[14:15] op_sel_hi:[1,0,1]
	v_pk_add_f32 v[12:13], v[12:13], v[188:189]
	v_mov_b32_e32 v17, v15
	s_waitcnt vmcnt(4) lgkmcnt(0)
	v_pk_mul_f32 v[14:15], v[108:109], v[46:47] op_sel:[1,1] op_sel_hi:[0,1]
	v_pk_add_f32 v[12:13], v[12:13], v[16:17]
	v_pk_fma_f32 v[16:17], v[108:109], v[46:47], v[14:15] neg_lo:[0,0,1] neg_hi:[0,0,1]
	v_pk_fma_f32 v[14:15], v[108:109], v[46:47], v[14:15] op_sel_hi:[1,0,1]
	ds_read_b128 v[2:5], v102 offset:560
	ds_read_b128 v[6:9], v102 offset:576
	ds_read_b64 v[10:11], v102 offset:592
	v_mov_b32_e32 v14, v49
	v_mov_b32_e32 v17, v15
	v_pk_mul_f32 v[14:15], v[110:111], v[14:15] op_sel:[1,0] op_sel_hi:[0,0]
	v_pk_add_f32 v[12:13], v[12:13], v[16:17]
	v_pk_fma_f32 v[16:17], v[110:111], v[48:49], v[14:15] neg_lo:[0,0,1] neg_hi:[0,0,1]
	v_pk_fma_f32 v[14:15], v[110:111], v[48:49], v[14:15] op_sel_hi:[1,0,1]
	s_nop 0
	v_mov_b32_e32 v17, v15
	s_waitcnt vmcnt(3) lgkmcnt(2)
	v_pk_mul_f32 v[14:15], v[2:3], v[34:35] op_sel:[1,1] op_sel_hi:[0,1]
	v_pk_add_f32 v[12:13], v[12:13], v[16:17]
	v_pk_fma_f32 v[16:17], v[2:3], v[34:35], v[14:15] neg_lo:[0,0,1] neg_hi:[0,0,1]
	v_pk_fma_f32 v[2:3], v[2:3], v[34:35], v[14:15] op_sel_hi:[1,0,1]
	s_nop 0
	v_mov_b32_e32 v17, v3
	v_pk_add_f32 v[2:3], v[12:13], v[16:17]
	v_mov_b32_e32 v12, v37
	v_pk_mul_f32 v[12:13], v[4:5], v[12:13] op_sel:[1,0] op_sel_hi:[0,0]
	v_pk_fma_f32 v[14:15], v[4:5], v[36:37], v[12:13] neg_lo:[0,0,1] neg_hi:[0,0,1]
	v_pk_fma_f32 v[4:5], v[4:5], v[36:37], v[12:13] op_sel_hi:[1,0,1]
	s_nop 0
	v_mov_b32_e32 v15, v5
	s_waitcnt vmcnt(2) lgkmcnt(1)
	v_pk_mul_f32 v[4:5], v[6:7], v[18:19] op_sel:[1,1] op_sel_hi:[0,1]
	v_pk_fma_f32 v[12:13], v[6:7], v[18:19], v[4:5] neg_lo:[0,0,1] neg_hi:[0,0,1]
	v_pk_fma_f32 v[4:5], v[6:7], v[18:19], v[4:5] op_sel_hi:[1,0,1]
	v_pk_add_f32 v[2:3], v[2:3], v[14:15]
	v_mov_b32_e32 v4, v21
	v_mov_b32_e32 v13, v5
	v_pk_mul_f32 v[4:5], v[8:9], v[4:5] op_sel:[1,0] op_sel_hi:[0,0]
	v_pk_fma_f32 v[6:7], v[8:9], v[20:21], v[4:5] neg_lo:[0,0,1] neg_hi:[0,0,1]
	v_pk_fma_f32 v[4:5], v[8:9], v[20:21], v[4:5] op_sel_hi:[1,0,1]
	v_pk_add_f32 v[2:3], v[2:3], v[12:13]
	v_mov_b32_e32 v7, v5
	s_waitcnt vmcnt(1) lgkmcnt(0)
	v_pk_mul_f32 v[4:5], v[10:11], v[58:59] op_sel:[1,1] op_sel_hi:[0,1]
	v_pk_add_f32 v[2:3], v[2:3], v[6:7]
	v_pk_fma_f32 v[6:7], v[10:11], v[58:59], v[4:5] neg_lo:[0,0,1] neg_hi:[0,0,1]
	v_pk_fma_f32 v[4:5], v[10:11], v[58:59], v[4:5] op_sel_hi:[1,0,1]
	s_nop 0
	v_mov_b32_e32 v7, v5
	v_pk_add_f32 v[2:3], v[2:3], v[6:7]
	s_waitcnt vmcnt(0)
	v_pk_add_f32 v[2:3], v[100:101], v[2:3] neg_lo:[0,1] neg_hi:[0,1]
	scratch_store_dwordx2 off, v[2:3], off offset:56
	s_and_saveexec_b64 s[0:1], vcc
	s_cbranch_execz .LBB36_223
; %bb.222:
	scratch_load_dwordx2 v[2:3], off, off offset:48
	v_mov_b32_e32 v103, v102
	scratch_store_dwordx2 off, v[102:103], off offset:48
	s_waitcnt vmcnt(1)
	ds_write_b64 v1, v[2:3]
.LBB36_223:
	s_or_b64 exec, exec, s[0:1]
	s_waitcnt lgkmcnt(0)
	; wave barrier
	scratch_load_dwordx4 v[18:21], off, off offset:56
	scratch_load_dwordx4 v[2:5], off, off offset:72
	;; [unrolled: 1-line block ×11, first 2 shown]
	ds_read2_b64 v[104:107], v102 offset0:45 offset1:46
	ds_read2_b64 v[98:101], v102 offset0:47 offset1:48
	ds_read2_b64 v[94:97], v102 offset0:49 offset1:50
	ds_read2_b64 v[90:93], v102 offset0:51 offset1:52
	ds_read2_b64 v[86:89], v102 offset0:53 offset1:54
	ds_read2_b64 v[82:85], v102 offset0:55 offset1:56
	ds_read2_b64 v[74:77], v102 offset0:57 offset1:58
	ds_read2_b64 v[70:73], v102 offset0:59 offset1:60
	ds_read2_b64 v[66:69], v102 offset0:61 offset1:62
	ds_read2_b64 v[62:65], v102 offset0:63 offset1:64
	scratch_load_dwordx4 v[58:61], off, off offset:232
	scratch_load_dwordx4 v[50:53], off, off offset:248
	;; [unrolled: 1-line block ×4, first 2 shown]
	ds_read2_b64 v[78:81], v102 offset0:65 offset1:66
	ds_read2_b64 v[108:111], v102 offset0:67 offset1:68
	scratch_load_dwordx2 v[112:113], off, off offset:48
	v_cmp_lt_u32_e32 vcc, 5, v0
	s_waitcnt vmcnt(15) lgkmcnt(11)
	v_mul_f32_e32 v103, v104, v19
	v_mul_f32_e32 v188, v106, v21
	s_waitcnt vmcnt(14) lgkmcnt(10)
	v_mul_f32_e32 v190, v98, v3
	v_mul_f32_e32 v3, v99, v3
	v_fmac_f32_e32 v103, v105, v18
	v_fmac_f32_e32 v188, v107, v20
	;; [unrolled: 1-line block ×3, first 2 shown]
	v_fma_f32 v2, v98, v2, -v3
	v_add_f32_e32 v3, 0, v103
	v_mul_f32_e32 v192, v100, v5
	v_add_f32_e32 v3, v3, v188
	s_waitcnt vmcnt(13) lgkmcnt(9)
	v_mul_f32_e32 v193, v94, v7
	v_fmac_f32_e32 v192, v101, v4
	v_add_f32_e32 v3, v3, v190
	v_mul_f32_e32 v194, v96, v9
	v_fmac_f32_e32 v193, v95, v6
	v_add_f32_e32 v3, v3, v192
	s_waitcnt vmcnt(12) lgkmcnt(8)
	v_mul_f32_e32 v195, v90, v11
	v_fmac_f32_e32 v194, v97, v8
	v_add_f32_e32 v3, v3, v193
	v_mul_f32_e32 v196, v92, v13
	v_fmac_f32_e32 v195, v91, v10
	;; [unrolled: 7-line block ×7, first 2 shown]
	v_add_f32_e32 v3, v3, v204
	s_waitcnt vmcnt(6) lgkmcnt(2)
	v_mul_f32_e32 v207, v62, v47
	v_mul_f32_e32 v19, v105, v19
	v_fmac_f32_e32 v206, v69, v44
	v_add_f32_e32 v3, v3, v205
	v_mul_f32_e32 v208, v64, v49
	v_mul_f32_e32 v21, v107, v21
	v_fmac_f32_e32 v207, v63, v46
	v_fma_f32 v18, v104, v18, -v19
	v_add_f32_e32 v3, v3, v206
	v_fmac_f32_e32 v208, v65, v48
	v_fma_f32 v19, v106, v20, -v21
	v_add_f32_e32 v18, 0, v18
	v_add_f32_e32 v3, v3, v207
	;; [unrolled: 1-line block ×4, first 2 shown]
	v_mul_f32_e32 v3, v101, v5
	v_add_f32_e32 v2, v18, v2
	v_fma_f32 v3, v100, v4, -v3
	v_add_f32_e32 v2, v2, v3
	v_mul_f32_e32 v3, v95, v7
	v_fma_f32 v3, v94, v6, -v3
	v_add_f32_e32 v2, v2, v3
	v_mul_f32_e32 v3, v97, v9
	;; [unrolled: 3-line block ×16, first 2 shown]
	v_fma_f32 v3, v64, v48, -v3
	s_waitcnt vmcnt(5) lgkmcnt(1)
	v_mul_f32_e32 v189, v78, v55
	v_add_f32_e32 v18, v2, v3
	v_mul_f32_e32 v2, v79, v55
	v_fmac_f32_e32 v189, v79, v54
	v_fma_f32 v188, v78, v54, -v2
	s_waitcnt vmcnt(4) lgkmcnt(0)
	v_pk_mul_f32 v[16:17], v[108:109], v[58:59] op_sel:[1,1] op_sel_hi:[0,1]
	v_mul_f32_e32 v191, v80, v57
	v_mul_f32_e32 v2, v81, v57
	v_pk_add_f32 v[14:15], v[18:19], v[188:189]
	v_pk_fma_f32 v[18:19], v[108:109], v[58:59], v[16:17] neg_lo:[0,0,1] neg_hi:[0,0,1]
	v_pk_fma_f32 v[16:17], v[108:109], v[58:59], v[16:17] op_sel_hi:[1,0,1]
	v_fmac_f32_e32 v191, v81, v56
	v_fma_f32 v190, v80, v56, -v2
	ds_read2_b64 v[2:5], v102 offset0:69 offset1:70
	ds_read2_b64 v[6:9], v102 offset0:71 offset1:72
	;; [unrolled: 1-line block ×3, first 2 shown]
	v_mov_b32_e32 v16, v61
	v_pk_add_f32 v[14:15], v[14:15], v[190:191]
	v_mov_b32_e32 v19, v17
	v_pk_mul_f32 v[16:17], v[110:111], v[16:17] op_sel:[1,0] op_sel_hi:[0,0]
	v_pk_add_f32 v[14:15], v[14:15], v[18:19]
	v_pk_fma_f32 v[18:19], v[110:111], v[60:61], v[16:17] neg_lo:[0,0,1] neg_hi:[0,0,1]
	v_pk_fma_f32 v[16:17], v[110:111], v[60:61], v[16:17] op_sel_hi:[1,0,1]
	s_nop 0
	v_mov_b32_e32 v19, v17
	s_waitcnt vmcnt(3) lgkmcnt(2)
	v_pk_mul_f32 v[16:17], v[2:3], v[50:51] op_sel:[1,1] op_sel_hi:[0,1]
	v_pk_add_f32 v[14:15], v[14:15], v[18:19]
	v_pk_fma_f32 v[18:19], v[2:3], v[50:51], v[16:17] neg_lo:[0,0,1] neg_hi:[0,0,1]
	v_pk_fma_f32 v[2:3], v[2:3], v[50:51], v[16:17] op_sel_hi:[1,0,1]
	s_nop 0
	v_mov_b32_e32 v19, v3
	v_pk_add_f32 v[2:3], v[14:15], v[18:19]
	v_mov_b32_e32 v14, v53
	v_pk_mul_f32 v[14:15], v[4:5], v[14:15] op_sel:[1,0] op_sel_hi:[0,0]
	v_pk_fma_f32 v[16:17], v[4:5], v[52:53], v[14:15] neg_lo:[0,0,1] neg_hi:[0,0,1]
	v_pk_fma_f32 v[4:5], v[4:5], v[52:53], v[14:15] op_sel_hi:[1,0,1]
	s_nop 0
	v_mov_b32_e32 v17, v5
	s_waitcnt vmcnt(2) lgkmcnt(1)
	v_pk_mul_f32 v[4:5], v[6:7], v[38:39] op_sel:[1,1] op_sel_hi:[0,1]
	v_pk_fma_f32 v[14:15], v[6:7], v[38:39], v[4:5] neg_lo:[0,0,1] neg_hi:[0,0,1]
	v_pk_fma_f32 v[4:5], v[6:7], v[38:39], v[4:5] op_sel_hi:[1,0,1]
	v_pk_add_f32 v[2:3], v[2:3], v[16:17]
	v_mov_b32_e32 v4, v41
	v_mov_b32_e32 v15, v5
	v_pk_mul_f32 v[4:5], v[8:9], v[4:5] op_sel:[1,0] op_sel_hi:[0,0]
	v_pk_fma_f32 v[6:7], v[8:9], v[40:41], v[4:5] neg_lo:[0,0,1] neg_hi:[0,0,1]
	v_pk_fma_f32 v[4:5], v[8:9], v[40:41], v[4:5] op_sel_hi:[1,0,1]
	v_pk_add_f32 v[2:3], v[2:3], v[14:15]
	v_mov_b32_e32 v7, v5
	s_waitcnt vmcnt(1) lgkmcnt(0)
	v_pk_mul_f32 v[4:5], v[10:11], v[26:27] op_sel:[1,1] op_sel_hi:[0,1]
	v_pk_add_f32 v[2:3], v[2:3], v[6:7]
	v_pk_fma_f32 v[6:7], v[10:11], v[26:27], v[4:5] neg_lo:[0,0,1] neg_hi:[0,0,1]
	v_pk_fma_f32 v[4:5], v[10:11], v[26:27], v[4:5] op_sel_hi:[1,0,1]
	s_nop 0
	v_mov_b32_e32 v4, v29
	v_mov_b32_e32 v7, v5
	v_pk_mul_f32 v[4:5], v[12:13], v[4:5] op_sel:[1,0] op_sel_hi:[0,0]
	v_pk_add_f32 v[2:3], v[2:3], v[6:7]
	v_pk_fma_f32 v[6:7], v[12:13], v[28:29], v[4:5] neg_lo:[0,0,1] neg_hi:[0,0,1]
	v_pk_fma_f32 v[4:5], v[12:13], v[28:29], v[4:5] op_sel_hi:[1,0,1]
	s_nop 0
	v_mov_b32_e32 v7, v5
	v_pk_add_f32 v[2:3], v[2:3], v[6:7]
	s_waitcnt vmcnt(0)
	v_pk_add_f32 v[2:3], v[112:113], v[2:3] neg_lo:[0,1] neg_hi:[0,1]
	scratch_store_dwordx2 off, v[2:3], off offset:48
	s_and_saveexec_b64 s[0:1], vcc
	s_cbranch_execz .LBB36_225
; %bb.224:
	scratch_load_dwordx2 v[2:3], off, off offset:40
	v_mov_b32_e32 v4, 0
	v_mov_b32_e32 v5, v4
	scratch_store_dwordx2 off, v[4:5], off offset:40
	s_waitcnt vmcnt(1)
	ds_write_b64 v1, v[2:3]
.LBB36_225:
	s_or_b64 exec, exec, s[0:1]
	s_waitcnt lgkmcnt(0)
	; wave barrier
	scratch_load_dwordx4 v[2:5], off, off offset:48
	scratch_load_dwordx4 v[6:9], off, off offset:64
	;; [unrolled: 1-line block ×15, first 2 shown]
	scratch_load_dwordx2 v[62:63], off, off offset:288
	scratch_load_dwordx2 v[112:113], off, off offset:40
	v_mov_b32_e32 v188, 0
	ds_read_b128 v[64:67], v188 offset:352
	ds_read_b128 v[68:71], v188 offset:368
	;; [unrolled: 1-line block ×12, first 2 shown]
	v_cmp_lt_u32_e32 vcc, 4, v0
	s_waitcnt vmcnt(16) lgkmcnt(11)
	v_mul_f32_e32 v189, v64, v3
	v_mul_f32_e32 v190, v66, v5
	;; [unrolled: 1-line block ×3, first 2 shown]
	v_fmac_f32_e32 v189, v65, v2
	s_waitcnt vmcnt(15) lgkmcnt(10)
	v_mul_f32_e32 v192, v68, v7
	v_fmac_f32_e32 v190, v67, v4
	v_fma_f32 v2, v64, v2, -v3
	v_add_f32_e32 v3, 0, v189
	v_mul_f32_e32 v194, v70, v9
	v_fmac_f32_e32 v192, v69, v6
	v_add_f32_e32 v3, v3, v190
	s_waitcnt vmcnt(14) lgkmcnt(9)
	v_mul_f32_e32 v195, v72, v11
	v_fmac_f32_e32 v194, v71, v8
	v_add_f32_e32 v3, v3, v192
	v_mul_f32_e32 v196, v74, v13
	v_fmac_f32_e32 v195, v73, v10
	v_add_f32_e32 v3, v3, v194
	s_waitcnt vmcnt(13) lgkmcnt(8)
	v_mul_f32_e32 v197, v76, v15
	v_fmac_f32_e32 v196, v75, v12
	;; [unrolled: 7-line block ×9, first 2 shown]
	v_add_f32_e32 v3, v3, v209
	v_mul_f32_e32 v5, v67, v5
	v_fmac_f32_e32 v211, v105, v58
	v_add_f32_e32 v3, v3, v210
	v_add_f32_e32 v2, 0, v2
	v_add_f32_e32 v65, v3, v211
	v_fma_f32 v3, v66, v4, -v5
	v_add_f32_e32 v2, v2, v3
	v_mul_f32_e32 v3, v69, v7
	v_fma_f32 v3, v68, v6, -v3
	v_add_f32_e32 v2, v2, v3
	v_mul_f32_e32 v3, v71, v9
	;; [unrolled: 3-line block ×20, first 2 shown]
	v_mul_f32_e32 v191, v106, v61
	v_fma_f32 v190, v106, v60, -v2
	s_waitcnt vmcnt(5) lgkmcnt(0)
	v_mul_f32_e32 v2, v109, v55
	v_mov_b32_e32 v18, v57
	v_mul_f32_e32 v193, v108, v55
	v_fmac_f32_e32 v191, v107, v60
	v_fma_f32 v192, v108, v54, -v2
	ds_read_b128 v[2:5], v188 offset:544
	ds_read_b128 v[6:9], v188 offset:560
	;; [unrolled: 1-line block ×3, first 2 shown]
	ds_read_b64 v[14:15], v188 offset:592
	v_pk_mul_f32 v[18:19], v[110:111], v[18:19] op_sel:[1,0] op_sel_hi:[0,0]
	v_fmac_f32_e32 v193, v109, v54
	v_pk_add_f32 v[16:17], v[64:65], v[190:191]
	v_pk_fma_f32 v[20:21], v[110:111], v[56:57], v[18:19] neg_lo:[0,0,1] neg_hi:[0,0,1]
	v_pk_fma_f32 v[18:19], v[110:111], v[56:57], v[18:19] op_sel_hi:[1,0,1]
	v_pk_add_f32 v[16:17], v[16:17], v[192:193]
	v_mov_b32_e32 v21, v19
	s_waitcnt vmcnt(4) lgkmcnt(3)
	v_pk_mul_f32 v[18:19], v[2:3], v[50:51] op_sel:[1,1] op_sel_hi:[0,1]
	v_pk_add_f32 v[16:17], v[16:17], v[20:21]
	v_pk_fma_f32 v[20:21], v[2:3], v[50:51], v[18:19] neg_lo:[0,0,1] neg_hi:[0,0,1]
	v_pk_fma_f32 v[2:3], v[2:3], v[50:51], v[18:19] op_sel_hi:[1,0,1]
	s_nop 0
	v_mov_b32_e32 v21, v3
	v_pk_add_f32 v[2:3], v[16:17], v[20:21]
	v_mov_b32_e32 v16, v53
	v_pk_mul_f32 v[16:17], v[4:5], v[16:17] op_sel:[1,0] op_sel_hi:[0,0]
	v_pk_fma_f32 v[18:19], v[4:5], v[52:53], v[16:17] neg_lo:[0,0,1] neg_hi:[0,0,1]
	v_pk_fma_f32 v[4:5], v[4:5], v[52:53], v[16:17] op_sel_hi:[1,0,1]
	s_nop 0
	v_mov_b32_e32 v19, v5
	s_waitcnt vmcnt(3) lgkmcnt(2)
	v_pk_mul_f32 v[4:5], v[6:7], v[38:39] op_sel:[1,1] op_sel_hi:[0,1]
	v_pk_fma_f32 v[16:17], v[6:7], v[38:39], v[4:5] neg_lo:[0,0,1] neg_hi:[0,0,1]
	v_pk_fma_f32 v[4:5], v[6:7], v[38:39], v[4:5] op_sel_hi:[1,0,1]
	v_pk_add_f32 v[2:3], v[2:3], v[18:19]
	v_mov_b32_e32 v4, v41
	v_mov_b32_e32 v17, v5
	v_pk_mul_f32 v[4:5], v[8:9], v[4:5] op_sel:[1,0] op_sel_hi:[0,0]
	v_pk_fma_f32 v[6:7], v[8:9], v[40:41], v[4:5] neg_lo:[0,0,1] neg_hi:[0,0,1]
	v_pk_fma_f32 v[4:5], v[8:9], v[40:41], v[4:5] op_sel_hi:[1,0,1]
	v_pk_add_f32 v[2:3], v[2:3], v[16:17]
	v_mov_b32_e32 v7, v5
	s_waitcnt vmcnt(2) lgkmcnt(1)
	v_pk_mul_f32 v[4:5], v[10:11], v[26:27] op_sel:[1,1] op_sel_hi:[0,1]
	v_pk_add_f32 v[2:3], v[2:3], v[6:7]
	v_pk_fma_f32 v[6:7], v[10:11], v[26:27], v[4:5] neg_lo:[0,0,1] neg_hi:[0,0,1]
	v_pk_fma_f32 v[4:5], v[10:11], v[26:27], v[4:5] op_sel_hi:[1,0,1]
	s_nop 0
	v_mov_b32_e32 v4, v29
	v_mov_b32_e32 v7, v5
	v_pk_mul_f32 v[4:5], v[12:13], v[4:5] op_sel:[1,0] op_sel_hi:[0,0]
	v_pk_add_f32 v[2:3], v[2:3], v[6:7]
	v_pk_fma_f32 v[6:7], v[12:13], v[28:29], v[4:5] neg_lo:[0,0,1] neg_hi:[0,0,1]
	v_pk_fma_f32 v[4:5], v[12:13], v[28:29], v[4:5] op_sel_hi:[1,0,1]
	s_nop 0
	v_mov_b32_e32 v7, v5
	s_waitcnt vmcnt(1) lgkmcnt(0)
	v_pk_mul_f32 v[4:5], v[14:15], v[62:63] op_sel:[1,1] op_sel_hi:[0,1]
	v_pk_add_f32 v[2:3], v[2:3], v[6:7]
	v_pk_fma_f32 v[6:7], v[14:15], v[62:63], v[4:5] neg_lo:[0,0,1] neg_hi:[0,0,1]
	v_pk_fma_f32 v[4:5], v[14:15], v[62:63], v[4:5] op_sel_hi:[1,0,1]
	s_nop 0
	v_mov_b32_e32 v7, v5
	v_pk_add_f32 v[2:3], v[2:3], v[6:7]
	s_waitcnt vmcnt(0)
	v_pk_add_f32 v[2:3], v[112:113], v[2:3] neg_lo:[0,1] neg_hi:[0,1]
	scratch_store_dwordx2 off, v[2:3], off offset:40
	s_and_saveexec_b64 s[0:1], vcc
	s_cbranch_execz .LBB36_227
; %bb.226:
	scratch_load_dwordx2 v[2:3], off, off offset:32
	v_mov_b32_e32 v189, v188
	scratch_store_dwordx2 off, v[188:189], off offset:32
	s_waitcnt vmcnt(1)
	ds_write_b64 v1, v[2:3]
.LBB36_227:
	s_or_b64 exec, exec, s[0:1]
	s_waitcnt lgkmcnt(0)
	; wave barrier
	scratch_load_dwordx4 v[2:5], off, off offset:40
	scratch_load_dwordx4 v[6:9], off, off offset:56
	;; [unrolled: 1-line block ×12, first 2 shown]
	ds_read2_b64 v[110:113], v188 offset0:43 offset1:44
	ds_read2_b64 v[106:109], v188 offset0:45 offset1:46
	;; [unrolled: 1-line block ×12, first 2 shown]
	scratch_load_dwordx4 v[62:65], off, off offset:232
	scratch_load_dwordx4 v[54:57], off, off offset:248
	;; [unrolled: 1-line block ×4, first 2 shown]
	scratch_load_dwordx2 v[190:191], off, off offset:32
	v_cmp_lt_u32_e32 vcc, 3, v0
	s_waitcnt vmcnt(16) lgkmcnt(11)
	v_mul_f32_e32 v189, v110, v3
	v_mul_f32_e32 v192, v112, v5
	v_mul_f32_e32 v3, v111, v3
	v_fmac_f32_e32 v189, v111, v2
	s_waitcnt vmcnt(15) lgkmcnt(10)
	v_mul_f32_e32 v194, v106, v7
	v_fmac_f32_e32 v192, v113, v4
	v_fma_f32 v2, v110, v2, -v3
	v_add_f32_e32 v3, 0, v189
	v_mul_f32_e32 v196, v108, v9
	v_fmac_f32_e32 v194, v107, v6
	v_add_f32_e32 v3, v3, v192
	s_waitcnt vmcnt(14) lgkmcnt(9)
	v_mul_f32_e32 v197, v102, v11
	v_fmac_f32_e32 v196, v109, v8
	v_add_f32_e32 v3, v3, v194
	v_mul_f32_e32 v198, v104, v13
	v_fmac_f32_e32 v197, v103, v10
	v_add_f32_e32 v3, v3, v196
	s_waitcnt vmcnt(13) lgkmcnt(8)
	v_mul_f32_e32 v199, v98, v15
	v_fmac_f32_e32 v198, v105, v12
	;; [unrolled: 7-line block ×9, first 2 shown]
	v_add_f32_e32 v3, v3, v211
	v_mul_f32_e32 v214, v72, v53
	v_fmac_f32_e32 v213, v71, v50
	v_add_f32_e32 v3, v3, v212
	v_fmac_f32_e32 v214, v73, v52
	v_add_f32_e32 v3, v3, v213
	v_add_f32_e32 v111, v3, v214
	v_mul_f32_e32 v3, v113, v5
	v_add_f32_e32 v2, 0, v2
	v_fma_f32 v3, v112, v4, -v3
	v_add_f32_e32 v2, v2, v3
	v_mul_f32_e32 v3, v107, v7
	v_fma_f32 v3, v106, v6, -v3
	v_add_f32_e32 v2, v2, v3
	v_mul_f32_e32 v3, v109, v9
	;; [unrolled: 3-line block ×20, first 2 shown]
	v_fma_f32 v3, v72, v52, -v3
	v_add_f32_e32 v110, v2, v3
	s_waitcnt vmcnt(5) lgkmcnt(0)
	v_mul_f32_e32 v2, v67, v59
	v_fma_f32 v192, v66, v58, -v2
	v_mul_f32_e32 v2, v69, v61
	v_fma_f32 v194, v68, v60, -v2
	ds_read2_b64 v[2:5], v188 offset0:67 offset1:68
	ds_read2_b64 v[6:9], v188 offset0:69 offset1:70
	;; [unrolled: 1-line block ×4, first 2 shown]
	v_mul_f32_e32 v193, v66, v59
	v_mul_f32_e32 v195, v68, v61
	v_fmac_f32_e32 v193, v67, v58
	s_waitcnt vmcnt(4) lgkmcnt(3)
	v_pk_mul_f32 v[20:21], v[2:3], v[62:63] op_sel:[1,1] op_sel_hi:[0,1]
	v_fmac_f32_e32 v195, v69, v60
	v_pk_add_f32 v[18:19], v[110:111], v[192:193]
	v_pk_fma_f32 v[22:23], v[2:3], v[62:63], v[20:21] neg_lo:[0,0,1] neg_hi:[0,0,1]
	v_pk_fma_f32 v[2:3], v[2:3], v[62:63], v[20:21] op_sel_hi:[1,0,1]
	v_pk_add_f32 v[18:19], v[18:19], v[194:195]
	v_mov_b32_e32 v23, v3
	v_pk_add_f32 v[2:3], v[18:19], v[22:23]
	v_mov_b32_e32 v18, v65
	v_pk_mul_f32 v[18:19], v[4:5], v[18:19] op_sel:[1,0] op_sel_hi:[0,0]
	v_pk_fma_f32 v[20:21], v[4:5], v[64:65], v[18:19] neg_lo:[0,0,1] neg_hi:[0,0,1]
	v_pk_fma_f32 v[4:5], v[4:5], v[64:65], v[18:19] op_sel_hi:[1,0,1]
	s_nop 0
	v_mov_b32_e32 v21, v5
	s_waitcnt vmcnt(3) lgkmcnt(2)
	v_pk_mul_f32 v[4:5], v[6:7], v[54:55] op_sel:[1,1] op_sel_hi:[0,1]
	v_pk_fma_f32 v[18:19], v[6:7], v[54:55], v[4:5] neg_lo:[0,0,1] neg_hi:[0,0,1]
	v_pk_fma_f32 v[4:5], v[6:7], v[54:55], v[4:5] op_sel_hi:[1,0,1]
	v_pk_add_f32 v[2:3], v[2:3], v[20:21]
	v_mov_b32_e32 v4, v57
	v_mov_b32_e32 v19, v5
	v_pk_mul_f32 v[4:5], v[8:9], v[4:5] op_sel:[1,0] op_sel_hi:[0,0]
	v_pk_fma_f32 v[6:7], v[8:9], v[56:57], v[4:5] neg_lo:[0,0,1] neg_hi:[0,0,1]
	v_pk_fma_f32 v[4:5], v[8:9], v[56:57], v[4:5] op_sel_hi:[1,0,1]
	v_pk_add_f32 v[2:3], v[2:3], v[18:19]
	v_mov_b32_e32 v7, v5
	s_waitcnt vmcnt(2) lgkmcnt(1)
	v_pk_mul_f32 v[4:5], v[10:11], v[42:43] op_sel:[1,1] op_sel_hi:[0,1]
	v_pk_add_f32 v[2:3], v[2:3], v[6:7]
	v_pk_fma_f32 v[6:7], v[10:11], v[42:43], v[4:5] neg_lo:[0,0,1] neg_hi:[0,0,1]
	v_pk_fma_f32 v[4:5], v[10:11], v[42:43], v[4:5] op_sel_hi:[1,0,1]
	s_nop 0
	v_mov_b32_e32 v4, v45
	v_mov_b32_e32 v7, v5
	v_pk_mul_f32 v[4:5], v[12:13], v[4:5] op_sel:[1,0] op_sel_hi:[0,0]
	v_pk_add_f32 v[2:3], v[2:3], v[6:7]
	v_pk_fma_f32 v[6:7], v[12:13], v[44:45], v[4:5] neg_lo:[0,0,1] neg_hi:[0,0,1]
	v_pk_fma_f32 v[4:5], v[12:13], v[44:45], v[4:5] op_sel_hi:[1,0,1]
	s_nop 0
	v_mov_b32_e32 v7, v5
	s_waitcnt vmcnt(1) lgkmcnt(0)
	v_pk_mul_f32 v[4:5], v[14:15], v[34:35] op_sel:[1,1] op_sel_hi:[0,1]
	v_pk_add_f32 v[2:3], v[2:3], v[6:7]
	v_pk_fma_f32 v[6:7], v[14:15], v[34:35], v[4:5] neg_lo:[0,0,1] neg_hi:[0,0,1]
	v_pk_fma_f32 v[4:5], v[14:15], v[34:35], v[4:5] op_sel_hi:[1,0,1]
	s_nop 0
	v_mov_b32_e32 v4, v37
	v_mov_b32_e32 v7, v5
	v_pk_mul_f32 v[4:5], v[16:17], v[4:5] op_sel:[1,0] op_sel_hi:[0,0]
	v_pk_add_f32 v[2:3], v[2:3], v[6:7]
	v_pk_fma_f32 v[6:7], v[16:17], v[36:37], v[4:5] neg_lo:[0,0,1] neg_hi:[0,0,1]
	v_pk_fma_f32 v[4:5], v[16:17], v[36:37], v[4:5] op_sel_hi:[1,0,1]
	s_nop 0
	v_mov_b32_e32 v7, v5
	v_pk_add_f32 v[2:3], v[2:3], v[6:7]
	s_waitcnt vmcnt(0)
	v_pk_add_f32 v[2:3], v[190:191], v[2:3] neg_lo:[0,1] neg_hi:[0,1]
	scratch_store_dwordx2 off, v[2:3], off offset:32
	s_and_saveexec_b64 s[0:1], vcc
	s_cbranch_execz .LBB36_229
; %bb.228:
	scratch_load_dwordx2 v[2:3], off, off offset:24
	v_mov_b32_e32 v4, 0
	v_mov_b32_e32 v5, v4
	scratch_store_dwordx2 off, v[4:5], off offset:24
	s_waitcnt vmcnt(1)
	ds_write_b64 v1, v[2:3]
.LBB36_229:
	s_or_b64 exec, exec, s[0:1]
	s_waitcnt lgkmcnt(0)
	; wave barrier
	scratch_load_dwordx4 v[2:5], off, off offset:32
	scratch_load_dwordx4 v[6:9], off, off offset:48
	scratch_load_dwordx4 v[10:13], off, off offset:64
	scratch_load_dwordx4 v[14:17], off, off offset:80
	scratch_load_dwordx4 v[18:21], off, off offset:96
	scratch_load_dwordx4 v[22:25], off, off offset:112
	scratch_load_dwordx4 v[26:29], off, off offset:128
	scratch_load_dwordx4 v[30:33], off, off offset:144
	scratch_load_dwordx4 v[34:37], off, off offset:160
	scratch_load_dwordx4 v[38:41], off, off offset:176
	scratch_load_dwordx4 v[42:45], off, off offset:192
	scratch_load_dwordx4 v[46:49], off, off offset:208
	scratch_load_dwordx4 v[50:53], off, off offset:224
	v_mov_b32_e32 v106, 0
	scratch_load_dwordx2 v[112:113], off, off offset:24
	ds_read_b128 v[54:57], v106 offset:336
	ds_read_b128 v[58:61], v106 offset:352
	;; [unrolled: 1-line block ×14, first 2 shown]
	v_cmp_lt_u32_e32 vcc, 2, v0
	s_waitcnt vmcnt(13) lgkmcnt(13)
	v_mul_f32_e32 v107, v54, v3
	v_mul_f32_e32 v188, v56, v5
	v_fmac_f32_e32 v107, v55, v2
	s_waitcnt vmcnt(12) lgkmcnt(12)
	v_mul_f32_e32 v189, v58, v7
	v_fmac_f32_e32 v188, v57, v4
	v_add_f32_e32 v107, 0, v107
	v_mul_f32_e32 v190, v60, v9
	v_fmac_f32_e32 v189, v59, v6
	v_add_f32_e32 v107, v107, v188
	s_waitcnt vmcnt(11) lgkmcnt(11)
	v_mul_f32_e32 v191, v62, v11
	v_fmac_f32_e32 v190, v61, v8
	v_add_f32_e32 v107, v107, v189
	v_mul_f32_e32 v192, v64, v13
	v_fmac_f32_e32 v191, v63, v10
	v_add_f32_e32 v107, v107, v190
	;; [unrolled: 7-line block ×8, first 2 shown]
	s_waitcnt vmcnt(4) lgkmcnt(4)
	v_mul_f32_e32 v207, v90, v39
	v_fmac_f32_e32 v206, v89, v36
	v_add_f32_e32 v107, v107, v205
	v_fmac_f32_e32 v207, v91, v38
	v_add_f32_e32 v107, v107, v206
	v_add_f32_e32 v107, v107, v207
	scratch_load_dwordx4 v[188:191], off, off offset:240
	scratch_load_dwordx4 v[192:195], off, off offset:256
	;; [unrolled: 1-line block ×3, first 2 shown]
	scratch_load_dwordx2 v[206:207], off, off offset:288
	v_mul_f32_e32 v3, v55, v3
	v_fma_f32 v2, v54, v2, -v3
	v_mul_f32_e32 v3, v57, v5
	v_add_f32_e32 v2, 0, v2
	v_fma_f32 v3, v56, v4, -v3
	v_add_f32_e32 v2, v2, v3
	v_mul_f32_e32 v3, v59, v7
	v_fma_f32 v3, v58, v6, -v3
	v_add_f32_e32 v2, v2, v3
	v_mul_f32_e32 v3, v61, v9
	;; [unrolled: 3-line block ×18, first 2 shown]
	v_fma_f32 v3, v92, v40, -v3
	v_add_f32_e32 v2, v2, v3
	s_waitcnt vmcnt(7) lgkmcnt(3)
	v_mul_f32_e32 v3, v95, v43
	v_fma_f32 v3, v94, v42, -v3
	v_mul_f32_e32 v208, v92, v41
	v_add_f32_e32 v2, v2, v3
	v_mul_f32_e32 v3, v97, v45
	v_mul_f32_e32 v209, v94, v43
	v_fmac_f32_e32 v208, v93, v40
	v_fma_f32 v3, v96, v44, -v3
	v_mul_f32_e32 v210, v96, v45
	v_fmac_f32_e32 v209, v95, v42
	v_add_f32_e32 v107, v107, v208
	v_add_f32_e32 v2, v2, v3
	s_waitcnt vmcnt(6) lgkmcnt(2)
	v_mul_f32_e32 v3, v99, v47
	v_mul_f32_e32 v211, v98, v47
	v_fmac_f32_e32 v210, v97, v44
	v_add_f32_e32 v107, v107, v209
	v_fma_f32 v3, v98, v46, -v3
	v_mul_f32_e32 v201, v100, v49
	v_fmac_f32_e32 v211, v99, v46
	v_add_f32_e32 v107, v107, v210
	v_add_f32_e32 v204, v2, v3
	v_mul_f32_e32 v2, v101, v49
	s_waitcnt vmcnt(5)
	v_mov_b32_e32 v14, v53
	s_waitcnt lgkmcnt(1)
	v_mul_f32_e32 v203, v102, v51
	v_fmac_f32_e32 v201, v101, v48
	v_add_f32_e32 v205, v107, v211
	v_fma_f32 v200, v100, v48, -v2
	v_mul_f32_e32 v2, v103, v51
	v_pk_mul_f32 v[14:15], v[104:105], v[14:15] op_sel:[1,0] op_sel_hi:[0,0]
	v_fmac_f32_e32 v203, v103, v50
	v_fma_f32 v202, v102, v50, -v2
	v_pk_add_f32 v[12:13], v[204:205], v[200:201]
	v_pk_fma_f32 v[16:17], v[104:105], v[52:53], v[14:15] neg_lo:[0,0,1] neg_hi:[0,0,1]
	v_pk_fma_f32 v[14:15], v[104:105], v[52:53], v[14:15] op_sel_hi:[1,0,1]
	v_pk_add_f32 v[12:13], v[12:13], v[202:203]
	v_mov_b32_e32 v17, v15
	s_waitcnt vmcnt(3) lgkmcnt(0)
	v_pk_mul_f32 v[14:15], v[108:109], v[188:189] op_sel:[1,1] op_sel_hi:[0,1]
	v_pk_add_f32 v[12:13], v[12:13], v[16:17]
	v_pk_fma_f32 v[16:17], v[108:109], v[188:189], v[14:15] neg_lo:[0,0,1] neg_hi:[0,0,1]
	v_pk_fma_f32 v[14:15], v[108:109], v[188:189], v[14:15] op_sel_hi:[1,0,1]
	ds_read_b128 v[2:5], v106 offset:560
	ds_read_b128 v[6:9], v106 offset:576
	ds_read_b64 v[10:11], v106 offset:592
	v_mov_b32_e32 v14, v191
	v_mov_b32_e32 v17, v15
	v_pk_mul_f32 v[14:15], v[110:111], v[14:15] op_sel:[1,0] op_sel_hi:[0,0]
	v_pk_add_f32 v[12:13], v[12:13], v[16:17]
	v_pk_fma_f32 v[16:17], v[110:111], v[190:191], v[14:15] neg_lo:[0,0,1] neg_hi:[0,0,1]
	v_pk_fma_f32 v[14:15], v[110:111], v[190:191], v[14:15] op_sel_hi:[1,0,1]
	s_nop 0
	v_mov_b32_e32 v17, v15
	s_waitcnt vmcnt(2) lgkmcnt(2)
	v_pk_mul_f32 v[14:15], v[2:3], v[192:193] op_sel:[1,1] op_sel_hi:[0,1]
	v_pk_add_f32 v[12:13], v[12:13], v[16:17]
	v_pk_fma_f32 v[16:17], v[2:3], v[192:193], v[14:15] neg_lo:[0,0,1] neg_hi:[0,0,1]
	v_pk_fma_f32 v[2:3], v[2:3], v[192:193], v[14:15] op_sel_hi:[1,0,1]
	s_nop 0
	v_mov_b32_e32 v17, v3
	v_pk_add_f32 v[2:3], v[12:13], v[16:17]
	v_mov_b32_e32 v12, v195
	v_pk_mul_f32 v[12:13], v[4:5], v[12:13] op_sel:[1,0] op_sel_hi:[0,0]
	v_pk_fma_f32 v[14:15], v[4:5], v[194:195], v[12:13] neg_lo:[0,0,1] neg_hi:[0,0,1]
	v_pk_fma_f32 v[4:5], v[4:5], v[194:195], v[12:13] op_sel_hi:[1,0,1]
	s_nop 0
	v_mov_b32_e32 v15, v5
	s_waitcnt vmcnt(1) lgkmcnt(1)
	v_pk_mul_f32 v[4:5], v[6:7], v[196:197] op_sel:[1,1] op_sel_hi:[0,1]
	v_pk_fma_f32 v[12:13], v[6:7], v[196:197], v[4:5] neg_lo:[0,0,1] neg_hi:[0,0,1]
	v_pk_fma_f32 v[4:5], v[6:7], v[196:197], v[4:5] op_sel_hi:[1,0,1]
	v_pk_add_f32 v[2:3], v[2:3], v[14:15]
	v_mov_b32_e32 v4, v199
	v_mov_b32_e32 v13, v5
	v_pk_mul_f32 v[4:5], v[8:9], v[4:5] op_sel:[1,0] op_sel_hi:[0,0]
	v_pk_fma_f32 v[6:7], v[8:9], v[198:199], v[4:5] neg_lo:[0,0,1] neg_hi:[0,0,1]
	v_pk_fma_f32 v[4:5], v[8:9], v[198:199], v[4:5] op_sel_hi:[1,0,1]
	v_pk_add_f32 v[2:3], v[2:3], v[12:13]
	v_mov_b32_e32 v7, v5
	s_waitcnt vmcnt(0) lgkmcnt(0)
	v_pk_mul_f32 v[4:5], v[10:11], v[206:207] op_sel:[1,1] op_sel_hi:[0,1]
	v_pk_add_f32 v[2:3], v[2:3], v[6:7]
	v_pk_fma_f32 v[6:7], v[10:11], v[206:207], v[4:5] neg_lo:[0,0,1] neg_hi:[0,0,1]
	v_pk_fma_f32 v[4:5], v[10:11], v[206:207], v[4:5] op_sel_hi:[1,0,1]
	s_nop 0
	v_mov_b32_e32 v7, v5
	v_pk_add_f32 v[2:3], v[2:3], v[6:7]
	s_nop 0
	v_pk_add_f32 v[2:3], v[112:113], v[2:3] neg_lo:[0,1] neg_hi:[0,1]
	scratch_store_dwordx2 off, v[2:3], off offset:24
	s_and_saveexec_b64 s[0:1], vcc
	s_cbranch_execz .LBB36_231
; %bb.230:
	scratch_load_dwordx2 v[2:3], off, off offset:16
	v_mov_b32_e32 v107, v106
	scratch_store_dwordx2 off, v[106:107], off offset:16
	s_waitcnt vmcnt(1)
	ds_write_b64 v1, v[2:3]
.LBB36_231:
	s_or_b64 exec, exec, s[0:1]
	s_waitcnt lgkmcnt(0)
	; wave barrier
	scratch_load_dwordx4 v[2:5], off, off offset:24
	scratch_load_dwordx4 v[6:9], off, off offset:40
	;; [unrolled: 1-line block ×13, first 2 shown]
	ds_read2_b64 v[102:105], v106 offset0:41 offset1:42
	ds_read2_b64 v[98:101], v106 offset0:43 offset1:44
	;; [unrolled: 1-line block ×14, first 2 shown]
	scratch_load_dwordx2 v[112:113], off, off offset:16
	v_cmp_lt_u32_e32 vcc, 1, v0
	s_waitcnt vmcnt(13) lgkmcnt(13)
	v_mul_f32_e32 v107, v102, v3
	v_mul_f32_e32 v188, v104, v5
	v_fmac_f32_e32 v107, v103, v2
	s_waitcnt vmcnt(12) lgkmcnt(12)
	v_mul_f32_e32 v189, v98, v7
	v_fmac_f32_e32 v188, v105, v4
	v_add_f32_e32 v107, 0, v107
	v_mul_f32_e32 v190, v100, v9
	v_fmac_f32_e32 v189, v99, v6
	v_add_f32_e32 v107, v107, v188
	s_waitcnt vmcnt(11) lgkmcnt(11)
	v_mul_f32_e32 v191, v94, v11
	v_fmac_f32_e32 v190, v101, v8
	v_add_f32_e32 v107, v107, v189
	v_mul_f32_e32 v192, v96, v13
	v_fmac_f32_e32 v191, v95, v10
	v_add_f32_e32 v107, v107, v190
	;; [unrolled: 7-line block ×7, first 2 shown]
	s_waitcnt vmcnt(5) lgkmcnt(5)
	v_mul_f32_e32 v203, v70, v35
	v_fmac_f32_e32 v202, v77, v32
	v_add_f32_e32 v107, v107, v201
	v_fmac_f32_e32 v203, v71, v34
	v_add_f32_e32 v107, v107, v202
	v_add_f32_e32 v107, v107, v203
	scratch_load_dwordx4 v[188:191], off, off offset:232
	scratch_load_dwordx4 v[192:195], off, off offset:248
	;; [unrolled: 1-line block ×4, first 2 shown]
	v_mul_f32_e32 v3, v103, v3
	v_fma_f32 v2, v102, v2, -v3
	v_mul_f32_e32 v3, v105, v5
	v_add_f32_e32 v2, 0, v2
	v_fma_f32 v3, v104, v4, -v3
	v_add_f32_e32 v2, v2, v3
	v_mul_f32_e32 v3, v99, v7
	v_fma_f32 v3, v98, v6, -v3
	v_add_f32_e32 v2, v2, v3
	v_mul_f32_e32 v3, v101, v9
	;; [unrolled: 3-line block ×16, first 2 shown]
	v_fma_f32 v3, v72, v36, -v3
	v_add_f32_e32 v2, v2, v3
	s_waitcnt vmcnt(8) lgkmcnt(4)
	v_mul_f32_e32 v3, v67, v39
	v_fma_f32 v3, v66, v38, -v3
	v_add_f32_e32 v2, v2, v3
	v_mul_f32_e32 v3, v69, v41
	v_fma_f32 v3, v68, v40, -v3
	v_add_f32_e32 v2, v2, v3
	s_waitcnt vmcnt(7) lgkmcnt(3)
	v_mul_f32_e32 v3, v63, v43
	v_mul_f32_e32 v204, v72, v37
	v_fma_f32 v3, v62, v42, -v3
	v_mul_f32_e32 v206, v66, v39
	v_fmac_f32_e32 v204, v73, v36
	v_add_f32_e32 v2, v2, v3
	v_mul_f32_e32 v3, v65, v45
	v_mul_f32_e32 v208, v68, v41
	v_fmac_f32_e32 v206, v67, v38
	v_add_f32_e32 v107, v107, v204
	v_fma_f32 v3, v64, v44, -v3
	v_mul_f32_e32 v209, v62, v43
	v_fmac_f32_e32 v208, v69, v40
	v_add_f32_e32 v107, v107, v206
	v_add_f32_e32 v2, v2, v3
	s_waitcnt vmcnt(6) lgkmcnt(2)
	v_mul_f32_e32 v3, v59, v47
	v_mul_f32_e32 v210, v64, v45
	v_fmac_f32_e32 v209, v63, v42
	v_add_f32_e32 v107, v107, v208
	v_fma_f32 v3, v58, v46, -v3
	v_mul_f32_e32 v211, v58, v47
	v_fmac_f32_e32 v210, v65, v44
	v_add_f32_e32 v107, v107, v209
	v_add_f32_e32 v2, v2, v3
	v_mul_f32_e32 v3, v61, v49
	v_mul_f32_e32 v212, v60, v49
	v_fmac_f32_e32 v211, v59, v46
	v_add_f32_e32 v107, v107, v210
	v_fma_f32 v3, v60, v48, -v3
	s_waitcnt vmcnt(5) lgkmcnt(1)
	v_mul_f32_e32 v205, v54, v51
	v_fmac_f32_e32 v212, v61, v48
	v_add_f32_e32 v107, v107, v211
	v_add_f32_e32 v208, v2, v3
	v_mul_f32_e32 v2, v55, v51
	s_waitcnt vmcnt(3) lgkmcnt(0)
	v_pk_mul_f32 v[16:17], v[108:109], v[188:189] op_sel:[1,1] op_sel_hi:[0,1]
	v_mul_f32_e32 v207, v56, v53
	v_fmac_f32_e32 v205, v55, v50
	v_add_f32_e32 v209, v107, v212
	v_fma_f32 v204, v54, v50, -v2
	v_mul_f32_e32 v2, v57, v53
	v_pk_fma_f32 v[18:19], v[108:109], v[188:189], v[16:17] neg_lo:[0,0,1] neg_hi:[0,0,1]
	v_pk_fma_f32 v[16:17], v[108:109], v[188:189], v[16:17] op_sel_hi:[1,0,1]
	v_fmac_f32_e32 v207, v57, v52
	v_fma_f32 v206, v56, v52, -v2
	ds_read2_b64 v[2:5], v106 offset0:69 offset1:70
	ds_read2_b64 v[6:9], v106 offset0:71 offset1:72
	;; [unrolled: 1-line block ×3, first 2 shown]
	v_pk_add_f32 v[14:15], v[208:209], v[204:205]
	v_mov_b32_e32 v16, v191
	v_pk_add_f32 v[14:15], v[14:15], v[206:207]
	v_mov_b32_e32 v19, v17
	v_pk_mul_f32 v[16:17], v[110:111], v[16:17] op_sel:[1,0] op_sel_hi:[0,0]
	v_pk_add_f32 v[14:15], v[14:15], v[18:19]
	v_pk_fma_f32 v[18:19], v[110:111], v[190:191], v[16:17] neg_lo:[0,0,1] neg_hi:[0,0,1]
	v_pk_fma_f32 v[16:17], v[110:111], v[190:191], v[16:17] op_sel_hi:[1,0,1]
	s_nop 0
	v_mov_b32_e32 v19, v17
	s_waitcnt vmcnt(2) lgkmcnt(2)
	v_pk_mul_f32 v[16:17], v[2:3], v[192:193] op_sel:[1,1] op_sel_hi:[0,1]
	v_pk_add_f32 v[14:15], v[14:15], v[18:19]
	v_pk_fma_f32 v[18:19], v[2:3], v[192:193], v[16:17] neg_lo:[0,0,1] neg_hi:[0,0,1]
	v_pk_fma_f32 v[2:3], v[2:3], v[192:193], v[16:17] op_sel_hi:[1,0,1]
	s_nop 0
	v_mov_b32_e32 v19, v3
	v_pk_add_f32 v[2:3], v[14:15], v[18:19]
	v_mov_b32_e32 v14, v195
	v_pk_mul_f32 v[14:15], v[4:5], v[14:15] op_sel:[1,0] op_sel_hi:[0,0]
	v_pk_fma_f32 v[16:17], v[4:5], v[194:195], v[14:15] neg_lo:[0,0,1] neg_hi:[0,0,1]
	v_pk_fma_f32 v[4:5], v[4:5], v[194:195], v[14:15] op_sel_hi:[1,0,1]
	s_nop 0
	v_mov_b32_e32 v17, v5
	s_waitcnt vmcnt(1) lgkmcnt(1)
	v_pk_mul_f32 v[4:5], v[6:7], v[196:197] op_sel:[1,1] op_sel_hi:[0,1]
	v_pk_fma_f32 v[14:15], v[6:7], v[196:197], v[4:5] neg_lo:[0,0,1] neg_hi:[0,0,1]
	v_pk_fma_f32 v[4:5], v[6:7], v[196:197], v[4:5] op_sel_hi:[1,0,1]
	v_pk_add_f32 v[2:3], v[2:3], v[16:17]
	v_mov_b32_e32 v4, v199
	v_mov_b32_e32 v15, v5
	v_pk_mul_f32 v[4:5], v[8:9], v[4:5] op_sel:[1,0] op_sel_hi:[0,0]
	v_pk_fma_f32 v[6:7], v[8:9], v[198:199], v[4:5] neg_lo:[0,0,1] neg_hi:[0,0,1]
	v_pk_fma_f32 v[4:5], v[8:9], v[198:199], v[4:5] op_sel_hi:[1,0,1]
	v_pk_add_f32 v[2:3], v[2:3], v[14:15]
	v_mov_b32_e32 v7, v5
	s_waitcnt vmcnt(0) lgkmcnt(0)
	v_pk_mul_f32 v[4:5], v[10:11], v[200:201] op_sel:[1,1] op_sel_hi:[0,1]
	v_pk_add_f32 v[2:3], v[2:3], v[6:7]
	v_pk_fma_f32 v[6:7], v[10:11], v[200:201], v[4:5] neg_lo:[0,0,1] neg_hi:[0,0,1]
	v_pk_fma_f32 v[4:5], v[10:11], v[200:201], v[4:5] op_sel_hi:[1,0,1]
	s_nop 0
	v_mov_b32_e32 v4, v203
	v_mov_b32_e32 v7, v5
	v_pk_mul_f32 v[4:5], v[12:13], v[4:5] op_sel:[1,0] op_sel_hi:[0,0]
	v_pk_add_f32 v[2:3], v[2:3], v[6:7]
	v_pk_fma_f32 v[6:7], v[12:13], v[202:203], v[4:5] neg_lo:[0,0,1] neg_hi:[0,0,1]
	v_pk_fma_f32 v[4:5], v[12:13], v[202:203], v[4:5] op_sel_hi:[1,0,1]
	s_nop 0
	v_mov_b32_e32 v7, v5
	v_pk_add_f32 v[2:3], v[2:3], v[6:7]
	s_nop 0
	v_pk_add_f32 v[2:3], v[112:113], v[2:3] neg_lo:[0,1] neg_hi:[0,1]
	scratch_store_dwordx2 off, v[2:3], off offset:16
	s_and_saveexec_b64 s[0:1], vcc
	s_cbranch_execz .LBB36_233
; %bb.232:
	scratch_load_dwordx2 v[2:3], off, off offset:8
	v_mov_b32_e32 v4, 0
	v_mov_b32_e32 v5, v4
	scratch_store_dwordx2 off, v[4:5], off offset:8
	s_waitcnt vmcnt(1)
	ds_write_b64 v1, v[2:3]
.LBB36_233:
	s_or_b64 exec, exec, s[0:1]
	s_waitcnt lgkmcnt(0)
	; wave barrier
	scratch_load_dwordx4 v[2:5], off, off offset:16
	scratch_load_dwordx4 v[6:9], off, off offset:32
	;; [unrolled: 1-line block ×13, first 2 shown]
	v_mov_b32_e32 v112, 0
	scratch_load_dwordx4 v[54:57], off, off offset:224
	scratch_load_dwordx2 v[110:111], off, off offset:8
	ds_read_b128 v[58:61], v112 offset:320
	ds_read_b128 v[62:65], v112 offset:336
	;; [unrolled: 1-line block ×14, first 2 shown]
	v_cmp_ne_u32_e32 vcc, 0, v0
	s_waitcnt vmcnt(14) lgkmcnt(13)
	v_mul_f32_e32 v113, v58, v3
	v_mul_f32_e32 v192, v60, v5
	v_fmac_f32_e32 v113, v59, v2
	s_waitcnt vmcnt(13) lgkmcnt(12)
	v_mul_f32_e32 v193, v62, v7
	v_fmac_f32_e32 v192, v61, v4
	v_add_f32_e32 v113, 0, v113
	v_mul_f32_e32 v194, v64, v9
	v_fmac_f32_e32 v193, v63, v6
	v_add_f32_e32 v113, v113, v192
	s_waitcnt vmcnt(12) lgkmcnt(11)
	v_mul_f32_e32 v195, v66, v11
	v_fmac_f32_e32 v194, v65, v8
	v_add_f32_e32 v113, v113, v193
	v_mul_f32_e32 v196, v68, v13
	v_fmac_f32_e32 v195, v67, v10
	v_add_f32_e32 v113, v113, v194
	;; [unrolled: 7-line block ×6, first 2 shown]
	s_waitcnt vmcnt(7) lgkmcnt(6)
	v_mul_f32_e32 v205, v86, v31
	v_fmac_f32_e32 v204, v85, v28
	v_add_f32_e32 v113, v113, v203
	scratch_load_dwordx4 v[192:195], off, off offset:240
	v_mul_f32_e32 v206, v88, v33
	v_fmac_f32_e32 v205, v87, v30
	v_add_f32_e32 v113, v113, v204
	s_waitcnt vmcnt(7) lgkmcnt(5)
	v_mul_f32_e32 v207, v90, v35
	v_fmac_f32_e32 v206, v89, v32
	v_add_f32_e32 v113, v113, v205
	v_mul_f32_e32 v208, v92, v37
	v_fmac_f32_e32 v207, v91, v34
	v_add_f32_e32 v113, v113, v206
	s_waitcnt vmcnt(6) lgkmcnt(4)
	v_mul_f32_e32 v209, v94, v39
	v_fmac_f32_e32 v208, v93, v36
	v_add_f32_e32 v113, v113, v207
	;; [unrolled: 7-line block ×3, first 2 shown]
	v_fmac_f32_e32 v211, v99, v42
	v_add_f32_e32 v113, v113, v210
	v_add_f32_e32 v113, v113, v211
	scratch_load_dwordx4 v[196:199], off, off offset:256
	scratch_load_dwordx4 v[200:203], off, off offset:272
	scratch_load_dwordx2 v[210:211], off, off offset:288
	v_mul_f32_e32 v3, v59, v3
	v_fma_f32 v2, v58, v2, -v3
	v_mul_f32_e32 v3, v61, v5
	v_add_f32_e32 v2, 0, v2
	v_fma_f32 v3, v60, v4, -v3
	v_add_f32_e32 v2, v2, v3
	v_mul_f32_e32 v3, v63, v7
	v_fma_f32 v3, v62, v6, -v3
	v_add_f32_e32 v2, v2, v3
	v_mul_f32_e32 v3, v65, v9
	;; [unrolled: 3-line block ×20, first 2 shown]
	v_fma_f32 v3, v100, v44, -v3
	v_add_f32_e32 v2, v2, v3
	s_waitcnt vmcnt(7) lgkmcnt(2)
	v_mul_f32_e32 v3, v103, v47
	v_fma_f32 v3, v102, v46, -v3
	v_add_f32_e32 v2, v2, v3
	v_mul_f32_e32 v3, v105, v49
	v_mul_f32_e32 v212, v100, v45
	v_fma_f32 v3, v104, v48, -v3
	v_mul_f32_e32 v213, v102, v47
	v_fmac_f32_e32 v212, v101, v44
	v_add_f32_e32 v2, v2, v3
	s_waitcnt vmcnt(6) lgkmcnt(1)
	v_mul_f32_e32 v3, v107, v51
	v_mul_f32_e32 v214, v104, v49
	v_fmac_f32_e32 v213, v103, v46
	v_add_f32_e32 v113, v113, v212
	v_fma_f32 v3, v106, v50, -v3
	v_mul_f32_e32 v215, v106, v51
	v_fmac_f32_e32 v214, v105, v48
	v_add_f32_e32 v113, v113, v213
	v_add_f32_e32 v204, v2, v3
	v_mul_f32_e32 v2, v109, v53
	v_fmac_f32_e32 v215, v107, v50
	v_add_f32_e32 v113, v113, v214
	v_mul_f32_e32 v207, v108, v53
	v_fma_f32 v206, v108, v52, -v2
	s_waitcnt vmcnt(5) lgkmcnt(0)
	v_mul_f32_e32 v2, v189, v55
	v_mov_b32_e32 v18, v57
	v_add_f32_e32 v205, v113, v215
	v_fmac_f32_e32 v207, v109, v52
	v_mul_f32_e32 v209, v188, v55
	v_fma_f32 v208, v188, v54, -v2
	ds_read_b128 v[2:5], v112 offset:544
	ds_read_b128 v[6:9], v112 offset:560
	ds_read_b128 v[10:13], v112 offset:576
	ds_read_b64 v[14:15], v112 offset:592
	v_pk_mul_f32 v[18:19], v[190:191], v[18:19] op_sel:[1,0] op_sel_hi:[0,0]
	v_fmac_f32_e32 v209, v189, v54
	v_pk_add_f32 v[16:17], v[204:205], v[206:207]
	v_pk_fma_f32 v[20:21], v[190:191], v[56:57], v[18:19] neg_lo:[0,0,1] neg_hi:[0,0,1]
	v_pk_fma_f32 v[18:19], v[190:191], v[56:57], v[18:19] op_sel_hi:[1,0,1]
	v_pk_add_f32 v[16:17], v[16:17], v[208:209]
	v_mov_b32_e32 v21, v19
	s_waitcnt vmcnt(3) lgkmcnt(3)
	v_pk_mul_f32 v[18:19], v[2:3], v[192:193] op_sel:[1,1] op_sel_hi:[0,1]
	v_pk_add_f32 v[16:17], v[16:17], v[20:21]
	v_pk_fma_f32 v[20:21], v[2:3], v[192:193], v[18:19] neg_lo:[0,0,1] neg_hi:[0,0,1]
	v_pk_fma_f32 v[2:3], v[2:3], v[192:193], v[18:19] op_sel_hi:[1,0,1]
	s_nop 0
	v_mov_b32_e32 v21, v3
	v_pk_add_f32 v[2:3], v[16:17], v[20:21]
	v_mov_b32_e32 v16, v195
	v_pk_mul_f32 v[16:17], v[4:5], v[16:17] op_sel:[1,0] op_sel_hi:[0,0]
	v_pk_fma_f32 v[18:19], v[4:5], v[194:195], v[16:17] neg_lo:[0,0,1] neg_hi:[0,0,1]
	v_pk_fma_f32 v[4:5], v[4:5], v[194:195], v[16:17] op_sel_hi:[1,0,1]
	s_nop 0
	v_mov_b32_e32 v19, v5
	s_waitcnt vmcnt(2) lgkmcnt(2)
	v_pk_mul_f32 v[4:5], v[6:7], v[196:197] op_sel:[1,1] op_sel_hi:[0,1]
	v_pk_fma_f32 v[16:17], v[6:7], v[196:197], v[4:5] neg_lo:[0,0,1] neg_hi:[0,0,1]
	v_pk_fma_f32 v[4:5], v[6:7], v[196:197], v[4:5] op_sel_hi:[1,0,1]
	v_pk_add_f32 v[2:3], v[2:3], v[18:19]
	v_mov_b32_e32 v4, v199
	v_mov_b32_e32 v17, v5
	v_pk_mul_f32 v[4:5], v[8:9], v[4:5] op_sel:[1,0] op_sel_hi:[0,0]
	v_pk_fma_f32 v[6:7], v[8:9], v[198:199], v[4:5] neg_lo:[0,0,1] neg_hi:[0,0,1]
	v_pk_fma_f32 v[4:5], v[8:9], v[198:199], v[4:5] op_sel_hi:[1,0,1]
	v_pk_add_f32 v[2:3], v[2:3], v[16:17]
	v_mov_b32_e32 v7, v5
	s_waitcnt vmcnt(1) lgkmcnt(1)
	v_pk_mul_f32 v[4:5], v[10:11], v[200:201] op_sel:[1,1] op_sel_hi:[0,1]
	v_pk_add_f32 v[2:3], v[2:3], v[6:7]
	v_pk_fma_f32 v[6:7], v[10:11], v[200:201], v[4:5] neg_lo:[0,0,1] neg_hi:[0,0,1]
	v_pk_fma_f32 v[4:5], v[10:11], v[200:201], v[4:5] op_sel_hi:[1,0,1]
	s_nop 0
	v_mov_b32_e32 v4, v203
	v_mov_b32_e32 v7, v5
	v_pk_mul_f32 v[4:5], v[12:13], v[4:5] op_sel:[1,0] op_sel_hi:[0,0]
	v_pk_add_f32 v[2:3], v[2:3], v[6:7]
	v_pk_fma_f32 v[6:7], v[12:13], v[202:203], v[4:5] neg_lo:[0,0,1] neg_hi:[0,0,1]
	v_pk_fma_f32 v[4:5], v[12:13], v[202:203], v[4:5] op_sel_hi:[1,0,1]
	s_nop 0
	v_mov_b32_e32 v7, v5
	s_waitcnt vmcnt(0) lgkmcnt(0)
	v_pk_mul_f32 v[4:5], v[14:15], v[210:211] op_sel:[1,1] op_sel_hi:[0,1]
	v_pk_add_f32 v[2:3], v[2:3], v[6:7]
	v_pk_fma_f32 v[6:7], v[14:15], v[210:211], v[4:5] neg_lo:[0,0,1] neg_hi:[0,0,1]
	v_pk_fma_f32 v[4:5], v[14:15], v[210:211], v[4:5] op_sel_hi:[1,0,1]
	s_nop 0
	v_mov_b32_e32 v7, v5
	v_pk_add_f32 v[2:3], v[2:3], v[6:7]
	s_nop 0
	v_pk_add_f32 v[2:3], v[110:111], v[2:3] neg_lo:[0,1] neg_hi:[0,1]
	scratch_store_dwordx2 off, v[2:3], off offset:8
	s_and_saveexec_b64 s[0:1], vcc
	s_cbranch_execz .LBB36_235
; %bb.234:
	scratch_load_dwordx2 v[2:3], off, off
	v_mov_b32_e32 v113, v112
	scratch_store_dwordx2 off, v[112:113], off
	s_waitcnt vmcnt(1)
	ds_write_b64 v1, v[2:3]
.LBB36_235:
	s_or_b64 exec, exec, s[0:1]
	s_waitcnt lgkmcnt(0)
	; wave barrier
	scratch_load_dwordx4 v[0:3], off, off offset:8
	scratch_load_dwordx4 v[4:7], off, off offset:24
	;; [unrolled: 1-line block ×13, first 2 shown]
	ds_read2_b64 v[108:111], v112 offset0:39 offset1:40
	ds_read2_b64 v[104:107], v112 offset0:41 offset1:42
	;; [unrolled: 1-line block ×14, first 2 shown]
	scratch_load_dwordx4 v[64:67], off, off offset:216
	scratch_load_dwordx2 v[204:205], off, off
	s_and_b64 vcc, exec, s[18:19]
	s_waitcnt vmcnt(14) lgkmcnt(13)
	v_mul_f32_e32 v113, v108, v1
	v_mul_f32_e32 v188, v110, v3
	v_fmac_f32_e32 v113, v109, v0
	s_waitcnt vmcnt(13) lgkmcnt(12)
	v_mul_f32_e32 v189, v104, v5
	v_fmac_f32_e32 v188, v111, v2
	v_add_f32_e32 v113, 0, v113
	v_mul_f32_e32 v190, v106, v7
	v_fmac_f32_e32 v189, v105, v4
	v_add_f32_e32 v113, v113, v188
	s_waitcnt vmcnt(12) lgkmcnt(11)
	v_mul_f32_e32 v191, v100, v9
	v_fmac_f32_e32 v190, v107, v6
	v_add_f32_e32 v113, v113, v189
	v_mul_f32_e32 v192, v102, v11
	v_fmac_f32_e32 v191, v101, v8
	v_add_f32_e32 v113, v113, v190
	;; [unrolled: 7-line block ×4, first 2 shown]
	s_waitcnt vmcnt(9) lgkmcnt(8)
	v_mul_f32_e32 v197, v88, v21
	v_fmac_f32_e32 v196, v95, v18
	v_add_f32_e32 v113, v113, v195
	scratch_load_dwordx4 v[188:191], off, off offset:232
	v_mul_f32_e32 v198, v90, v23
	v_fmac_f32_e32 v197, v89, v20
	v_add_f32_e32 v113, v113, v196
	s_waitcnt vmcnt(9) lgkmcnt(7)
	v_mul_f32_e32 v199, v84, v25
	v_fmac_f32_e32 v198, v91, v22
	v_add_f32_e32 v113, v113, v197
	v_mul_f32_e32 v200, v86, v27
	v_fmac_f32_e32 v199, v85, v24
	v_add_f32_e32 v113, v113, v198
	s_waitcnt vmcnt(8) lgkmcnt(6)
	v_mul_f32_e32 v201, v80, v29
	v_fmac_f32_e32 v200, v87, v26
	v_add_f32_e32 v113, v113, v199
	;; [unrolled: 7-line block ×3, first 2 shown]
	v_fmac_f32_e32 v203, v77, v32
	v_add_f32_e32 v113, v113, v202
	v_add_f32_e32 v113, v113, v203
	scratch_load_dwordx4 v[192:195], off, off offset:248
	scratch_load_dwordx4 v[196:199], off, off offset:264
	;; [unrolled: 1-line block ×3, first 2 shown]
	v_mul_f32_e32 v1, v109, v1
	v_fma_f32 v0, v108, v0, -v1
	v_mul_f32_e32 v1, v111, v3
	v_add_f32_e32 v0, 0, v0
	v_fma_f32 v1, v110, v2, -v1
	v_add_f32_e32 v0, v0, v1
	v_mul_f32_e32 v1, v105, v5
	v_fma_f32 v1, v104, v4, -v1
	v_add_f32_e32 v0, v0, v1
	v_mul_f32_e32 v1, v107, v7
	;; [unrolled: 3-line block ×16, first 2 shown]
	v_fma_f32 v1, v78, v34, -v1
	v_add_f32_e32 v0, v0, v1
	s_waitcnt vmcnt(9) lgkmcnt(4)
	v_mul_f32_e32 v1, v73, v37
	v_fma_f32 v1, v72, v36, -v1
	v_add_f32_e32 v0, v0, v1
	v_mul_f32_e32 v1, v75, v39
	v_fma_f32 v1, v74, v38, -v1
	v_add_f32_e32 v0, v0, v1
	s_waitcnt vmcnt(8) lgkmcnt(3)
	v_mul_f32_e32 v1, v69, v41
	v_fma_f32 v1, v68, v40, -v1
	v_add_f32_e32 v0, v0, v1
	v_mul_f32_e32 v1, v71, v43
	v_fma_f32 v1, v70, v42, -v1
	v_add_f32_e32 v0, v0, v1
	s_waitcnt vmcnt(7) lgkmcnt(2)
	v_mul_f32_e32 v1, v61, v45
	v_fma_f32 v1, v60, v44, -v1
	v_mul_f32_e32 v206, v78, v35
	v_add_f32_e32 v0, v0, v1
	v_mul_f32_e32 v1, v63, v47
	v_mul_f32_e32 v207, v72, v37
	v_fmac_f32_e32 v206, v79, v34
	v_fma_f32 v1, v62, v46, -v1
	v_mul_f32_e32 v208, v74, v39
	v_fmac_f32_e32 v207, v73, v36
	v_add_f32_e32 v113, v113, v206
	v_add_f32_e32 v0, v0, v1
	s_waitcnt vmcnt(6) lgkmcnt(1)
	v_mul_f32_e32 v1, v53, v49
	v_mul_f32_e32 v209, v68, v41
	v_fmac_f32_e32 v208, v75, v38
	v_add_f32_e32 v113, v113, v207
	v_fma_f32 v1, v52, v48, -v1
	v_mul_f32_e32 v210, v70, v43
	v_fmac_f32_e32 v209, v69, v40
	v_add_f32_e32 v113, v113, v208
	v_add_f32_e32 v0, v0, v1
	v_mul_f32_e32 v1, v55, v51
	v_mul_f32_e32 v211, v60, v45
	v_fmac_f32_e32 v210, v71, v42
	v_add_f32_e32 v113, v113, v209
	v_fma_f32 v1, v54, v50, -v1
	v_mul_f32_e32 v212, v62, v47
	v_fmac_f32_e32 v211, v61, v44
	v_add_f32_e32 v113, v113, v210
	v_add_f32_e32 v206, v0, v1
	s_waitcnt vmcnt(5) lgkmcnt(0)
	v_mul_f32_e32 v0, v57, v65
	v_mul_f32_e32 v213, v52, v49
	v_fmac_f32_e32 v212, v63, v46
	v_add_f32_e32 v113, v113, v211
	v_fma_f32 v208, v56, v64, -v0
	v_mul_f32_e32 v0, v59, v67
	v_mul_f32_e32 v214, v54, v51
	v_fmac_f32_e32 v213, v53, v48
	v_add_f32_e32 v113, v113, v212
	v_fma_f32 v210, v58, v66, -v0
	ds_read2_b64 v[0:3], v112 offset0:67 offset1:68
	ds_read2_b64 v[4:7], v112 offset0:69 offset1:70
	;; [unrolled: 1-line block ×4, first 2 shown]
	v_add_f32_e32 v113, v113, v213
	v_fmac_f32_e32 v214, v55, v50
	v_mul_f32_e32 v209, v56, v65
	v_add_f32_e32 v207, v113, v214
	v_fmac_f32_e32 v209, v57, v64
	v_mul_f32_e32 v211, v58, v67
	s_waitcnt vmcnt(3) lgkmcnt(3)
	v_pk_mul_f32 v[18:19], v[0:1], v[188:189] op_sel:[1,1] op_sel_hi:[0,1]
	v_fmac_f32_e32 v211, v59, v66
	v_pk_add_f32 v[16:17], v[206:207], v[208:209]
	v_pk_fma_f32 v[20:21], v[0:1], v[188:189], v[18:19] neg_lo:[0,0,1] neg_hi:[0,0,1]
	v_pk_fma_f32 v[0:1], v[0:1], v[188:189], v[18:19] op_sel_hi:[1,0,1]
	v_pk_add_f32 v[16:17], v[16:17], v[210:211]
	v_mov_b32_e32 v21, v1
	v_pk_add_f32 v[0:1], v[16:17], v[20:21]
	v_mov_b32_e32 v16, v191
	v_pk_mul_f32 v[16:17], v[2:3], v[16:17] op_sel:[1,0] op_sel_hi:[0,0]
	v_pk_fma_f32 v[18:19], v[2:3], v[190:191], v[16:17] neg_lo:[0,0,1] neg_hi:[0,0,1]
	v_pk_fma_f32 v[2:3], v[2:3], v[190:191], v[16:17] op_sel_hi:[1,0,1]
	s_nop 0
	v_mov_b32_e32 v19, v3
	s_waitcnt vmcnt(2) lgkmcnt(2)
	v_pk_mul_f32 v[2:3], v[4:5], v[192:193] op_sel:[1,1] op_sel_hi:[0,1]
	v_pk_fma_f32 v[16:17], v[4:5], v[192:193], v[2:3] neg_lo:[0,0,1] neg_hi:[0,0,1]
	v_pk_fma_f32 v[2:3], v[4:5], v[192:193], v[2:3] op_sel_hi:[1,0,1]
	v_pk_add_f32 v[0:1], v[0:1], v[18:19]
	v_mov_b32_e32 v2, v195
	v_mov_b32_e32 v17, v3
	v_pk_mul_f32 v[2:3], v[6:7], v[2:3] op_sel:[1,0] op_sel_hi:[0,0]
	v_pk_fma_f32 v[4:5], v[6:7], v[194:195], v[2:3] neg_lo:[0,0,1] neg_hi:[0,0,1]
	v_pk_fma_f32 v[2:3], v[6:7], v[194:195], v[2:3] op_sel_hi:[1,0,1]
	v_pk_add_f32 v[0:1], v[0:1], v[16:17]
	v_mov_b32_e32 v5, v3
	s_waitcnt vmcnt(1) lgkmcnt(1)
	v_pk_mul_f32 v[2:3], v[8:9], v[196:197] op_sel:[1,1] op_sel_hi:[0,1]
	v_pk_add_f32 v[0:1], v[0:1], v[4:5]
	v_pk_fma_f32 v[4:5], v[8:9], v[196:197], v[2:3] neg_lo:[0,0,1] neg_hi:[0,0,1]
	v_pk_fma_f32 v[2:3], v[8:9], v[196:197], v[2:3] op_sel_hi:[1,0,1]
	s_nop 0
	v_mov_b32_e32 v2, v199
	v_mov_b32_e32 v5, v3
	v_pk_mul_f32 v[2:3], v[10:11], v[2:3] op_sel:[1,0] op_sel_hi:[0,0]
	v_pk_add_f32 v[0:1], v[0:1], v[4:5]
	v_pk_fma_f32 v[4:5], v[10:11], v[198:199], v[2:3] neg_lo:[0,0,1] neg_hi:[0,0,1]
	v_pk_fma_f32 v[2:3], v[10:11], v[198:199], v[2:3] op_sel_hi:[1,0,1]
	s_nop 0
	v_mov_b32_e32 v5, v3
	s_waitcnt vmcnt(0) lgkmcnt(0)
	v_pk_mul_f32 v[2:3], v[12:13], v[200:201] op_sel:[1,1] op_sel_hi:[0,1]
	v_pk_add_f32 v[0:1], v[0:1], v[4:5]
	v_pk_fma_f32 v[4:5], v[12:13], v[200:201], v[2:3] neg_lo:[0,0,1] neg_hi:[0,0,1]
	v_pk_fma_f32 v[2:3], v[12:13], v[200:201], v[2:3] op_sel_hi:[1,0,1]
	s_nop 0
	v_mov_b32_e32 v2, v203
	v_mov_b32_e32 v5, v3
	v_pk_mul_f32 v[2:3], v[14:15], v[2:3] op_sel:[1,0] op_sel_hi:[0,0]
	v_pk_add_f32 v[0:1], v[0:1], v[4:5]
	v_pk_fma_f32 v[4:5], v[14:15], v[202:203], v[2:3] neg_lo:[0,0,1] neg_hi:[0,0,1]
	v_pk_fma_f32 v[2:3], v[14:15], v[202:203], v[2:3] op_sel_hi:[1,0,1]
	s_nop 0
	v_mov_b32_e32 v5, v3
	v_pk_add_f32 v[0:1], v[0:1], v[4:5]
	s_nop 0
	v_pk_add_f32 v[0:1], v[204:205], v[0:1] neg_lo:[0,1] neg_hi:[0,1]
	scratch_store_dwordx2 off, v[0:1], off
	s_cbranch_vccz .LBB36_308
; %bb.236:
	v_mov_b32_e32 v0, 0
	global_load_dword v1, v0, s[16:17] offset:140
	s_waitcnt vmcnt(0)
	v_readfirstlane_b32 s0, v1
	s_add_i32 s0, s0, -1
	s_cmp_lg_u32 s0, 35
	s_cbranch_scc0 .LBB36_238
; %bb.237:
	s_lshl_b32 s0, s0, 3
	s_nop 0
	scratch_load_dwordx2 v[2:3], off, s0
	scratch_load_dwordx2 v[4:5], off, off offset:280
	s_waitcnt vmcnt(1)
	scratch_store_dwordx2 off, v[2:3], off offset:280
	s_waitcnt vmcnt(1)
	scratch_store_dwordx2 off, v[4:5], s0
.LBB36_238:
	global_load_dword v0, v0, s[16:17] offset:136
	s_waitcnt vmcnt(0)
	v_readfirstlane_b32 s0, v0
	s_add_i32 s0, s0, -1
	s_cmp_eq_u32 s0, 34
	s_cbranch_scc1 .LBB36_240
; %bb.239:
	s_lshl_b32 s0, s0, 3
	s_nop 0
	scratch_load_dwordx2 v[0:1], off, s0
	scratch_load_dwordx2 v[2:3], off, off offset:272
	s_waitcnt vmcnt(1)
	scratch_store_dwordx2 off, v[0:1], off offset:272
	s_waitcnt vmcnt(1)
	scratch_store_dwordx2 off, v[2:3], s0
.LBB36_240:
	v_mov_b32_e32 v0, 0
	global_load_dword v1, v0, s[16:17] offset:132
	s_waitcnt vmcnt(0)
	v_readfirstlane_b32 s0, v1
	s_add_i32 s0, s0, -1
	s_cmp_eq_u32 s0, 33
	s_cbranch_scc1 .LBB36_242
; %bb.241:
	s_lshl_b32 s0, s0, 3
	s_nop 0
	scratch_load_dwordx2 v[2:3], off, s0
	scratch_load_dwordx2 v[4:5], off, off offset:264
	s_waitcnt vmcnt(1)
	scratch_store_dwordx2 off, v[2:3], off offset:264
	s_waitcnt vmcnt(1)
	scratch_store_dwordx2 off, v[4:5], s0
.LBB36_242:
	global_load_dword v0, v0, s[16:17] offset:128
	s_waitcnt vmcnt(0)
	v_readfirstlane_b32 s0, v0
	s_add_i32 s0, s0, -1
	s_cmp_eq_u32 s0, 32
	s_cbranch_scc1 .LBB36_244
; %bb.243:
	s_lshl_b32 s0, s0, 3
	s_nop 0
	scratch_load_dwordx2 v[0:1], off, s0
	scratch_load_dwordx2 v[2:3], off, off offset:256
	s_waitcnt vmcnt(1)
	scratch_store_dwordx2 off, v[0:1], off offset:256
	s_waitcnt vmcnt(1)
	scratch_store_dwordx2 off, v[2:3], s0
.LBB36_244:
	v_mov_b32_e32 v0, 0
	global_load_dword v1, v0, s[16:17] offset:124
	s_waitcnt vmcnt(0)
	v_readfirstlane_b32 s0, v1
	s_add_i32 s0, s0, -1
	s_cmp_eq_u32 s0, 31
	s_cbranch_scc1 .LBB36_246
; %bb.245:
	s_lshl_b32 s0, s0, 3
	s_nop 0
	scratch_load_dwordx2 v[2:3], off, s0
	scratch_load_dwordx2 v[4:5], off, off offset:248
	s_waitcnt vmcnt(1)
	scratch_store_dwordx2 off, v[2:3], off offset:248
	s_waitcnt vmcnt(1)
	scratch_store_dwordx2 off, v[4:5], s0
.LBB36_246:
	;; [unrolled: 33-line block ×17, first 2 shown]
	global_load_dword v2, v0, s[16:17]
	s_nop 0
	scratch_load_dwordx2 v[0:1], off, off
	s_waitcnt vmcnt(1)
	v_readfirstlane_b32 s0, v2
	s_add_i32 s0, s0, -1
	s_cmp_eq_u32 s0, 0
	s_cbranch_scc1 .LBB36_308
; %bb.307:
	s_lshl_b32 s0, s0, 3
	s_nop 0
	scratch_load_dwordx2 v[2:3], off, s0
	s_waitcnt vmcnt(0)
	scratch_store_dwordx2 off, v[2:3], off
	scratch_store_dwordx2 off, v[0:1], s0
	scratch_load_dwordx2 v[0:1], off, off
.LBB36_308:
	s_nop 0
	scratch_load_dwordx4 v[2:5], off, off offset:8
	scratch_load_dwordx4 v[6:9], off, off offset:24
	;; [unrolled: 1-line block ×18, first 2 shown]
	s_waitcnt vmcnt(18)
	global_store_dwordx2 v[114:115], v[0:1], off
	s_waitcnt vmcnt(18)
	global_store_dwordx2 v[116:117], v[2:3], off
	global_store_dwordx2 v[118:119], v[4:5], off
	s_waitcnt vmcnt(19)
	global_store_dwordx2 v[120:121], v[6:7], off
	;; [unrolled: 3-line block ×18, first 2 shown]
	global_store_dwordx2 v[186:187], v[72:73], off
	s_endpgm
	.section	.rodata,"a",@progbits
	.p2align	6, 0x0
	.amdhsa_kernel _ZN9rocsolver6v33100L18getri_kernel_smallILi37E19rocblas_complex_numIfEPS3_EEvT1_iilPiilS6_bb
		.amdhsa_group_segment_fixed_size 600
		.amdhsa_private_segment_fixed_size 304
		.amdhsa_kernarg_size 60
		.amdhsa_user_sgpr_count 2
		.amdhsa_user_sgpr_dispatch_ptr 0
		.amdhsa_user_sgpr_queue_ptr 0
		.amdhsa_user_sgpr_kernarg_segment_ptr 1
		.amdhsa_user_sgpr_dispatch_id 0
		.amdhsa_user_sgpr_kernarg_preload_length 0
		.amdhsa_user_sgpr_kernarg_preload_offset 0
		.amdhsa_user_sgpr_private_segment_size 0
		.amdhsa_uses_dynamic_stack 0
		.amdhsa_enable_private_segment 1
		.amdhsa_system_sgpr_workgroup_id_x 1
		.amdhsa_system_sgpr_workgroup_id_y 0
		.amdhsa_system_sgpr_workgroup_id_z 0
		.amdhsa_system_sgpr_workgroup_info 0
		.amdhsa_system_vgpr_workitem_id 0
		.amdhsa_next_free_vgpr 216
		.amdhsa_next_free_sgpr 20
		.amdhsa_accum_offset 216
		.amdhsa_reserve_vcc 1
		.amdhsa_float_round_mode_32 0
		.amdhsa_float_round_mode_16_64 0
		.amdhsa_float_denorm_mode_32 3
		.amdhsa_float_denorm_mode_16_64 3
		.amdhsa_dx10_clamp 1
		.amdhsa_ieee_mode 1
		.amdhsa_fp16_overflow 0
		.amdhsa_tg_split 0
		.amdhsa_exception_fp_ieee_invalid_op 0
		.amdhsa_exception_fp_denorm_src 0
		.amdhsa_exception_fp_ieee_div_zero 0
		.amdhsa_exception_fp_ieee_overflow 0
		.amdhsa_exception_fp_ieee_underflow 0
		.amdhsa_exception_fp_ieee_inexact 0
		.amdhsa_exception_int_div_zero 0
	.end_amdhsa_kernel
	.section	.text._ZN9rocsolver6v33100L18getri_kernel_smallILi37E19rocblas_complex_numIfEPS3_EEvT1_iilPiilS6_bb,"axG",@progbits,_ZN9rocsolver6v33100L18getri_kernel_smallILi37E19rocblas_complex_numIfEPS3_EEvT1_iilPiilS6_bb,comdat
.Lfunc_end36:
	.size	_ZN9rocsolver6v33100L18getri_kernel_smallILi37E19rocblas_complex_numIfEPS3_EEvT1_iilPiilS6_bb, .Lfunc_end36-_ZN9rocsolver6v33100L18getri_kernel_smallILi37E19rocblas_complex_numIfEPS3_EEvT1_iilPiilS6_bb
                                        ; -- End function
	.set _ZN9rocsolver6v33100L18getri_kernel_smallILi37E19rocblas_complex_numIfEPS3_EEvT1_iilPiilS6_bb.num_vgpr, 216
	.set _ZN9rocsolver6v33100L18getri_kernel_smallILi37E19rocblas_complex_numIfEPS3_EEvT1_iilPiilS6_bb.num_agpr, 0
	.set _ZN9rocsolver6v33100L18getri_kernel_smallILi37E19rocblas_complex_numIfEPS3_EEvT1_iilPiilS6_bb.numbered_sgpr, 20
	.set _ZN9rocsolver6v33100L18getri_kernel_smallILi37E19rocblas_complex_numIfEPS3_EEvT1_iilPiilS6_bb.num_named_barrier, 0
	.set _ZN9rocsolver6v33100L18getri_kernel_smallILi37E19rocblas_complex_numIfEPS3_EEvT1_iilPiilS6_bb.private_seg_size, 304
	.set _ZN9rocsolver6v33100L18getri_kernel_smallILi37E19rocblas_complex_numIfEPS3_EEvT1_iilPiilS6_bb.uses_vcc, 1
	.set _ZN9rocsolver6v33100L18getri_kernel_smallILi37E19rocblas_complex_numIfEPS3_EEvT1_iilPiilS6_bb.uses_flat_scratch, 0
	.set _ZN9rocsolver6v33100L18getri_kernel_smallILi37E19rocblas_complex_numIfEPS3_EEvT1_iilPiilS6_bb.has_dyn_sized_stack, 0
	.set _ZN9rocsolver6v33100L18getri_kernel_smallILi37E19rocblas_complex_numIfEPS3_EEvT1_iilPiilS6_bb.has_recursion, 0
	.set _ZN9rocsolver6v33100L18getri_kernel_smallILi37E19rocblas_complex_numIfEPS3_EEvT1_iilPiilS6_bb.has_indirect_call, 0
	.section	.AMDGPU.csdata,"",@progbits
; Kernel info:
; codeLenInByte = 44780
; TotalNumSgprs: 26
; NumVgprs: 216
; NumAgprs: 0
; TotalNumVgprs: 216
; ScratchSize: 304
; MemoryBound: 0
; FloatMode: 240
; IeeeMode: 1
; LDSByteSize: 600 bytes/workgroup (compile time only)
; SGPRBlocks: 3
; VGPRBlocks: 26
; NumSGPRsForWavesPerEU: 26
; NumVGPRsForWavesPerEU: 216
; AccumOffset: 216
; Occupancy: 2
; WaveLimiterHint : 1
; COMPUTE_PGM_RSRC2:SCRATCH_EN: 1
; COMPUTE_PGM_RSRC2:USER_SGPR: 2
; COMPUTE_PGM_RSRC2:TRAP_HANDLER: 0
; COMPUTE_PGM_RSRC2:TGID_X_EN: 1
; COMPUTE_PGM_RSRC2:TGID_Y_EN: 0
; COMPUTE_PGM_RSRC2:TGID_Z_EN: 0
; COMPUTE_PGM_RSRC2:TIDIG_COMP_CNT: 0
; COMPUTE_PGM_RSRC3_GFX90A:ACCUM_OFFSET: 53
; COMPUTE_PGM_RSRC3_GFX90A:TG_SPLIT: 0
	.section	.text._ZN9rocsolver6v33100L18getri_kernel_smallILi38E19rocblas_complex_numIfEPS3_EEvT1_iilPiilS6_bb,"axG",@progbits,_ZN9rocsolver6v33100L18getri_kernel_smallILi38E19rocblas_complex_numIfEPS3_EEvT1_iilPiilS6_bb,comdat
	.globl	_ZN9rocsolver6v33100L18getri_kernel_smallILi38E19rocblas_complex_numIfEPS3_EEvT1_iilPiilS6_bb ; -- Begin function _ZN9rocsolver6v33100L18getri_kernel_smallILi38E19rocblas_complex_numIfEPS3_EEvT1_iilPiilS6_bb
	.p2align	8
	.type	_ZN9rocsolver6v33100L18getri_kernel_smallILi38E19rocblas_complex_numIfEPS3_EEvT1_iilPiilS6_bb,@function
_ZN9rocsolver6v33100L18getri_kernel_smallILi38E19rocblas_complex_numIfEPS3_EEvT1_iilPiilS6_bb: ; @_ZN9rocsolver6v33100L18getri_kernel_smallILi38E19rocblas_complex_numIfEPS3_EEvT1_iilPiilS6_bb
; %bb.0:
	v_cmp_gt_u32_e32 vcc, 38, v0
	s_and_saveexec_b64 s[4:5], vcc
	s_cbranch_execz .LBB37_166
; %bb.1:
	s_load_dword s8, s[0:1], 0x38
	s_load_dwordx4 s[12:15], s[0:1], 0x10
	s_load_dwordx4 s[4:7], s[0:1], 0x28
                                        ; implicit-def: $sgpr16_sgpr17
	s_waitcnt lgkmcnt(0)
	s_bitcmp1_b32 s8, 8
	s_cselect_b64 s[18:19], -1, 0
	s_ashr_i32 s3, s2, 31
	s_bfe_u32 s8, s8, 0x10008
	s_cmp_eq_u32 s8, 0
	s_cbranch_scc1 .LBB37_3
; %bb.2:
	s_load_dword s8, s[0:1], 0x20
	s_mul_i32 s9, s4, s3
	s_mul_hi_u32 s10, s4, s2
	s_mul_i32 s5, s5, s2
	s_add_i32 s10, s10, s9
	s_add_i32 s5, s10, s5
	s_mul_i32 s4, s4, s2
	s_waitcnt lgkmcnt(0)
	s_ashr_i32 s9, s8, 31
	s_lshl_b64 s[4:5], s[4:5], 2
	s_add_u32 s10, s14, s4
	s_addc_u32 s11, s15, s5
	s_lshl_b64 s[4:5], s[8:9], 2
	s_add_u32 s16, s10, s4
	s_addc_u32 s17, s11, s5
.LBB37_3:
	s_load_dwordx4 s[8:11], s[0:1], 0x0
	s_load_dword s4, s[0:1], 0x38
	s_mul_i32 s5, s12, s3
	s_mul_hi_u32 s14, s12, s2
	s_add_i32 s5, s14, s5
	s_waitcnt lgkmcnt(0)
	s_ashr_i32 s1, s10, 31
	s_mov_b32 s0, s10
	s_mul_i32 s10, s13, s2
	s_add_i32 s13, s5, s10
	s_mul_i32 s12, s12, s2
	s_lshl_b64 s[12:13], s[12:13], 3
	s_add_u32 s5, s8, s12
	s_addc_u32 s8, s9, s13
	s_lshl_b64 s[0:1], s[0:1], 3
	s_add_u32 s0, s5, s0
	s_addc_u32 s1, s8, s1
	s_add_i32 s5, s11, s11
	v_add_u32_e32 v4, s5, v0
	v_ashrrev_i32_e32 v5, 31, v4
	v_lshl_add_u64 v[118:119], v[4:5], 3, s[0:1]
	v_add_u32_e32 v4, s11, v4
	v_ashrrev_i32_e32 v5, 31, v4
	v_lshl_add_u64 v[120:121], v[4:5], 3, s[0:1]
	;; [unrolled: 3-line block ×33, first 2 shown]
	v_add_u32_e32 v4, s11, v4
	v_lshlrev_b32_e32 v2, 3, v0
	v_mov_b32_e32 v3, 0
	v_ashrrev_i32_e32 v5, 31, v4
	v_lshl_add_u64 v[114:115], s[0:1], 0, v[2:3]
	s_ashr_i32 s9, s11, 31
	s_mov_b32 s8, s11
	v_lshl_add_u64 v[184:185], v[4:5], 3, s[0:1]
	v_add_u32_e32 v4, s11, v4
	v_lshl_add_u64 v[116:117], s[8:9], 3, v[114:115]
	v_ashrrev_i32_e32 v5, 31, v4
	global_load_dwordx2 v[6:7], v2, s[0:1]
	global_load_dwordx2 v[8:9], v[116:117], off
	global_load_dwordx2 v[10:11], v[118:119], off
	;; [unrolled: 1-line block ×32, first 2 shown]
	v_lshl_add_u64 v[186:187], v[4:5], 3, s[0:1]
	global_load_dwordx2 v[72:73], v[180:181], off
	global_load_dwordx2 v[74:75], v[182:183], off
	;; [unrolled: 1-line block ×4, first 2 shown]
	v_add_u32_e32 v4, s11, v4
	v_ashrrev_i32_e32 v5, 31, v4
	v_lshl_add_u64 v[188:189], v[4:5], 3, s[0:1]
	global_load_dwordx2 v[80:81], v[188:189], off
	s_bitcmp0_b32 s4, 0
	s_mov_b64 s[4:5], -1
	s_waitcnt vmcnt(36)
	scratch_store_dwordx4 off, v[6:9], off
	s_waitcnt vmcnt(35)
	scratch_store_dwordx4 off, v[10:13], off offset:16
	s_waitcnt vmcnt(34)
	scratch_store_dwordx4 off, v[14:17], off offset:32
	;; [unrolled: 2-line block ×18, first 2 shown]
	s_cbranch_scc1 .LBB37_164
; %bb.4:
	v_cmp_eq_u32_e64 s[0:1], 0, v0
	s_and_saveexec_b64 s[4:5], s[0:1]
; %bb.5:
	v_mov_b32_e32 v1, 0
	ds_write_b32 v1, v1 offset:608
; %bb.6:
	s_or_b64 exec, exec, s[4:5]
	s_waitcnt lgkmcnt(0)
	; wave barrier
	scratch_load_dwordx2 v[4:5], v2, off
	s_waitcnt vmcnt(0)
	v_cmp_eq_f32_e32 vcc, 0, v4
	v_cmp_eq_f32_e64 s[4:5], 0, v5
	s_and_b64 s[4:5], vcc, s[4:5]
	s_and_saveexec_b64 s[8:9], s[4:5]
	s_cbranch_execz .LBB37_10
; %bb.7:
	v_mov_b32_e32 v1, 0
	ds_read_b32 v4, v1 offset:608
	v_add_u32_e32 v3, 1, v0
	s_waitcnt lgkmcnt(0)
	v_readfirstlane_b32 s4, v4
	s_cmp_eq_u32 s4, 0
	s_cselect_b64 s[10:11], -1, 0
	v_cmp_gt_i32_e32 vcc, s4, v3
	s_or_b64 s[10:11], s[10:11], vcc
	s_and_b64 exec, exec, s[10:11]
	s_cbranch_execz .LBB37_10
; %bb.8:
	s_mov_b64 s[10:11], 0
	v_mov_b32_e32 v4, s4
.LBB37_9:                               ; =>This Inner Loop Header: Depth=1
	ds_cmpst_rtn_b32 v4, v1, v4, v3 offset:608
	s_waitcnt lgkmcnt(0)
	v_cmp_ne_u32_e32 vcc, 0, v4
	v_cmp_le_i32_e64 s[4:5], v4, v3
	s_and_b64 s[4:5], vcc, s[4:5]
	s_and_b64 s[4:5], exec, s[4:5]
	s_or_b64 s[10:11], s[4:5], s[10:11]
	s_andn2_b64 exec, exec, s[10:11]
	s_cbranch_execnz .LBB37_9
.LBB37_10:
	s_or_b64 exec, exec, s[8:9]
	v_mov_b32_e32 v3, 0
	; wave barrier
	ds_read_b32 v1, v3 offset:608
	s_and_saveexec_b64 s[4:5], s[0:1]
	s_cbranch_execz .LBB37_12
; %bb.11:
	s_lshl_b64 s[8:9], s[2:3], 2
	s_add_u32 s8, s6, s8
	s_addc_u32 s9, s7, s9
	s_waitcnt lgkmcnt(0)
	global_store_dword v3, v1, s[8:9]
.LBB37_12:
	s_or_b64 exec, exec, s[4:5]
	s_waitcnt lgkmcnt(0)
	v_cmp_ne_u32_e32 vcc, 0, v1
	s_mov_b64 s[4:5], 0
	s_cbranch_vccnz .LBB37_164
; %bb.13:
	v_mov_b32_e32 v3, v2
	scratch_load_dwordx2 v[4:5], v3, off
                                        ; implicit-def: $vgpr7
                                        ; implicit-def: $vgpr8
	s_waitcnt vmcnt(0)
	v_cmp_ngt_f32_e64 s[4:5], |v4|, |v5|
	s_and_saveexec_b64 s[8:9], s[4:5]
	s_xor_b64 s[4:5], exec, s[8:9]
	s_cbranch_execz .LBB37_15
; %bb.14:
	v_div_scale_f32 v1, s[8:9], v5, v5, v4
	v_rcp_f32_e32 v6, v1
	v_div_scale_f32 v7, vcc, v4, v5, v4
	v_fma_f32 v8, -v1, v6, 1.0
	v_fmac_f32_e32 v6, v8, v6
	v_mul_f32_e32 v8, v7, v6
	v_fma_f32 v9, -v1, v8, v7
	v_fmac_f32_e32 v8, v9, v6
	v_fma_f32 v1, -v1, v8, v7
	v_div_fmas_f32 v1, v1, v6, v8
	v_div_fixup_f32 v1, v1, v5, v4
	v_fmac_f32_e32 v5, v4, v1
	v_div_scale_f32 v4, s[8:9], v5, v5, -1.0
	v_rcp_f32_e32 v6, v4
	s_nop 0
	v_fma_f32 v7, -v4, v6, 1.0
	v_fmac_f32_e32 v6, v7, v6
	v_div_scale_f32 v7, vcc, -1.0, v5, -1.0
	v_mul_f32_e32 v8, v7, v6
	v_fma_f32 v9, -v4, v8, v7
	v_fmac_f32_e32 v8, v9, v6
	v_fma_f32 v4, -v4, v8, v7
	v_div_fmas_f32 v4, v4, v6, v8
	v_div_fixup_f32 v7, v4, v5, -1.0
	v_mul_f32_e32 v8, v1, v7
	v_xor_b32_e32 v6, 0x80000000, v8
                                        ; implicit-def: $vgpr4_vgpr5
.LBB37_15:
	s_andn2_saveexec_b64 s[4:5], s[4:5]
	s_cbranch_execz .LBB37_17
; %bb.16:
	v_div_scale_f32 v1, s[8:9], v4, v4, v5
	v_rcp_f32_e32 v6, v1
	v_div_scale_f32 v7, vcc, v5, v4, v5
	v_fma_f32 v8, -v1, v6, 1.0
	v_fmac_f32_e32 v6, v8, v6
	v_mul_f32_e32 v8, v7, v6
	v_fma_f32 v9, -v1, v8, v7
	v_fmac_f32_e32 v8, v9, v6
	v_fma_f32 v1, -v1, v8, v7
	v_div_fmas_f32 v1, v1, v6, v8
	v_div_fixup_f32 v1, v1, v4, v5
	v_fmac_f32_e32 v4, v5, v1
	v_div_scale_f32 v5, s[8:9], v4, v4, 1.0
	v_rcp_f32_e32 v6, v5
	s_nop 0
	v_fma_f32 v7, -v5, v6, 1.0
	v_fmac_f32_e32 v6, v7, v6
	v_div_scale_f32 v7, vcc, 1.0, v4, 1.0
	v_mul_f32_e32 v8, v7, v6
	v_fma_f32 v9, -v5, v8, v7
	v_fmac_f32_e32 v8, v9, v6
	v_fma_f32 v5, -v5, v8, v7
	v_div_fmas_f32 v5, v5, v6, v8
	v_div_fixup_f32 v6, v5, v4, 1.0
	v_xor_b32_e32 v8, 0x80000000, v6
	v_mul_f32_e64 v7, v1, -v6
.LBB37_17:
	s_or_b64 exec, exec, s[4:5]
	scratch_store_dwordx2 v3, v[6:7], off
	scratch_load_dwordx2 v[4:5], off, off offset:8
	v_xor_b32_e32 v9, 0x80000000, v7
	v_add_u32_e32 v1, 0x130, v2
	s_waitcnt vmcnt(0)
	ds_write2_b64 v2, v[8:9], v[4:5] offset1:38
	s_waitcnt lgkmcnt(0)
	; wave barrier
	s_and_saveexec_b64 s[4:5], s[0:1]
	s_cbranch_execz .LBB37_19
; %bb.18:
	scratch_load_dwordx2 v[4:5], v3, off
	ds_read_b64 v[6:7], v1
	v_mov_b32_e32 v8, 0
	ds_read_b64 v[8:9], v8 offset:8
	s_waitcnt vmcnt(0) lgkmcnt(1)
	v_pk_mul_f32 v[10:11], v[6:7], v[4:5] op_sel:[1,1] op_sel_hi:[0,1]
	v_pk_fma_f32 v[12:13], v[6:7], v[4:5], v[10:11] neg_lo:[0,0,1] neg_hi:[0,0,1]
	v_pk_fma_f32 v[4:5], v[6:7], v[4:5], v[10:11] op_sel_hi:[1,0,1]
	s_nop 0
	v_mov_b32_e32 v13, v5
	v_pk_add_f32 v[4:5], v[12:13], 0 op_sel_hi:[1,0]
	s_waitcnt lgkmcnt(0)
	v_pk_mul_f32 v[6:7], v[4:5], v[8:9] op_sel:[1,1] op_sel_hi:[0,1]
	v_pk_fma_f32 v[10:11], v[4:5], v[8:9], v[6:7] neg_lo:[0,0,1] neg_hi:[0,0,1]
	v_pk_fma_f32 v[4:5], v[4:5], v[8:9], v[6:7] op_sel_hi:[1,0,1]
	s_nop 0
	v_mov_b32_e32 v11, v5
	scratch_store_dwordx2 off, v[10:11], off offset:8
.LBB37_19:
	s_or_b64 exec, exec, s[4:5]
	; wave barrier
	scratch_load_dwordx2 v[4:5], off, off offset:16
	v_cmp_gt_u32_e32 vcc, 2, v0
	s_waitcnt vmcnt(0)
	ds_write_b64 v1, v[4:5]
	s_waitcnt lgkmcnt(0)
	; wave barrier
	s_and_saveexec_b64 s[4:5], vcc
	s_cbranch_execz .LBB37_23
; %bb.20:
	scratch_load_dwordx2 v[4:5], v3, off
	ds_read_b64 v[6:7], v1
	s_waitcnt vmcnt(0) lgkmcnt(0)
	v_pk_mul_f32 v[8:9], v[6:7], v[4:5] op_sel:[1,1] op_sel_hi:[0,1]
	v_pk_fma_f32 v[10:11], v[6:7], v[4:5], v[8:9] neg_lo:[0,0,1] neg_hi:[0,0,1]
	v_pk_fma_f32 v[4:5], v[6:7], v[4:5], v[8:9] op_sel_hi:[1,0,1]
	s_nop 0
	v_mov_b32_e32 v11, v5
	v_pk_add_f32 v[4:5], v[10:11], 0 op_sel_hi:[1,0]
	s_and_saveexec_b64 s[8:9], s[0:1]
	s_cbranch_execz .LBB37_22
; %bb.21:
	scratch_load_dwordx2 v[6:7], off, off offset:8
	v_mov_b32_e32 v3, 0
	ds_read_b64 v[8:9], v3 offset:312
	s_waitcnt vmcnt(0) lgkmcnt(0)
	v_pk_mul_f32 v[10:11], v[8:9], v[6:7] op_sel:[1,1] op_sel_hi:[0,1]
	v_pk_fma_f32 v[12:13], v[8:9], v[6:7], v[10:11] neg_lo:[0,0,1] neg_hi:[0,0,1]
	v_pk_fma_f32 v[6:7], v[8:9], v[6:7], v[10:11] op_sel_hi:[1,0,1]
	s_nop 0
	v_mov_b32_e32 v13, v7
	v_pk_add_f32 v[4:5], v[4:5], v[12:13]
.LBB37_22:
	s_or_b64 exec, exec, s[8:9]
	v_mov_b32_e32 v3, 0
	ds_read_b64 v[6:7], v3 offset:16
	s_waitcnt lgkmcnt(0)
	v_pk_mul_f32 v[8:9], v[4:5], v[6:7] op_sel:[1,1] op_sel_hi:[0,1]
	v_pk_fma_f32 v[10:11], v[4:5], v[6:7], v[8:9] neg_lo:[0,0,1] neg_hi:[0,0,1]
	v_pk_fma_f32 v[4:5], v[4:5], v[6:7], v[8:9] op_sel_hi:[1,0,1]
	s_nop 0
	v_mov_b32_e32 v11, v5
	scratch_store_dwordx2 off, v[10:11], off offset:16
.LBB37_23:
	s_or_b64 exec, exec, s[4:5]
	; wave barrier
	scratch_load_dwordx2 v[4:5], off, off offset:24
	v_cmp_gt_u32_e32 vcc, 3, v0
	v_add_u32_e32 v6, -1, v0
	s_waitcnt vmcnt(0)
	ds_write_b64 v1, v[4:5]
	s_waitcnt lgkmcnt(0)
	; wave barrier
	s_and_saveexec_b64 s[0:1], vcc
	s_cbranch_execz .LBB37_27
; %bb.24:
	v_mov_b32_e32 v4, 0
	v_add_u32_e32 v3, -1, v0
	v_add_u32_e32 v7, 0x130, v2
	v_mov_b32_e32 v8, v2
	s_mov_b64 s[4:5], 0
	v_mov_b32_e32 v5, v4
.LBB37_25:                              ; =>This Inner Loop Header: Depth=1
	scratch_load_dwordx2 v[10:11], v8, off
	ds_read_b64 v[12:13], v7
	v_add_u32_e32 v3, 1, v3
	v_cmp_lt_u32_e32 vcc, 1, v3
	v_add_u32_e32 v7, 8, v7
	v_add_u32_e32 v8, 8, v8
	s_or_b64 s[4:5], vcc, s[4:5]
	s_waitcnt vmcnt(0) lgkmcnt(0)
	v_pk_mul_f32 v[14:15], v[12:13], v[10:11] op_sel:[1,1] op_sel_hi:[0,1]
	v_pk_fma_f32 v[16:17], v[12:13], v[10:11], v[14:15] neg_lo:[0,0,1] neg_hi:[0,0,1]
	v_pk_fma_f32 v[10:11], v[12:13], v[10:11], v[14:15] op_sel_hi:[1,0,1]
	s_nop 0
	v_mov_b32_e32 v17, v11
	v_pk_add_f32 v[4:5], v[4:5], v[16:17]
	s_andn2_b64 exec, exec, s[4:5]
	s_cbranch_execnz .LBB37_25
; %bb.26:
	s_or_b64 exec, exec, s[4:5]
	v_mov_b32_e32 v3, 0
	ds_read_b64 v[8:9], v3 offset:24
	s_waitcnt lgkmcnt(0)
	v_pk_mul_f32 v[10:11], v[4:5], v[8:9] op_sel:[1,1] op_sel_hi:[0,1]
	v_pk_fma_f32 v[12:13], v[4:5], v[8:9], v[10:11] neg_lo:[0,0,1] neg_hi:[0,0,1]
	v_pk_fma_f32 v[4:5], v[4:5], v[8:9], v[10:11] op_sel_hi:[1,0,1]
	s_nop 0
	v_mov_b32_e32 v13, v5
	scratch_store_dwordx2 off, v[12:13], off offset:24
.LBB37_27:
	s_or_b64 exec, exec, s[0:1]
	; wave barrier
	scratch_load_dwordx2 v[4:5], off, off offset:32
	v_cmp_gt_u32_e32 vcc, 4, v0
	s_waitcnt vmcnt(0)
	ds_write_b64 v1, v[4:5]
	s_waitcnt lgkmcnt(0)
	; wave barrier
	s_and_saveexec_b64 s[0:1], vcc
	s_cbranch_execz .LBB37_31
; %bb.28:
	v_mov_b32_e32 v4, 0
	v_add_u32_e32 v3, -1, v0
	v_add_u32_e32 v7, 0x130, v2
	v_mov_b32_e32 v8, v2
	s_mov_b64 s[4:5], 0
	v_mov_b32_e32 v5, v4
.LBB37_29:                              ; =>This Inner Loop Header: Depth=1
	scratch_load_dwordx2 v[10:11], v8, off
	ds_read_b64 v[12:13], v7
	v_add_u32_e32 v3, 1, v3
	v_cmp_lt_u32_e32 vcc, 2, v3
	v_add_u32_e32 v7, 8, v7
	v_add_u32_e32 v8, 8, v8
	s_or_b64 s[4:5], vcc, s[4:5]
	s_waitcnt vmcnt(0) lgkmcnt(0)
	v_pk_mul_f32 v[14:15], v[12:13], v[10:11] op_sel:[1,1] op_sel_hi:[0,1]
	v_pk_fma_f32 v[16:17], v[12:13], v[10:11], v[14:15] neg_lo:[0,0,1] neg_hi:[0,0,1]
	v_pk_fma_f32 v[10:11], v[12:13], v[10:11], v[14:15] op_sel_hi:[1,0,1]
	s_nop 0
	v_mov_b32_e32 v17, v11
	v_pk_add_f32 v[4:5], v[4:5], v[16:17]
	s_andn2_b64 exec, exec, s[4:5]
	s_cbranch_execnz .LBB37_29
; %bb.30:
	s_or_b64 exec, exec, s[4:5]
	v_mov_b32_e32 v3, 0
	ds_read_b64 v[8:9], v3 offset:32
	s_waitcnt lgkmcnt(0)
	v_pk_mul_f32 v[10:11], v[4:5], v[8:9] op_sel:[1,1] op_sel_hi:[0,1]
	v_pk_fma_f32 v[12:13], v[4:5], v[8:9], v[10:11] neg_lo:[0,0,1] neg_hi:[0,0,1]
	v_pk_fma_f32 v[4:5], v[4:5], v[8:9], v[10:11] op_sel_hi:[1,0,1]
	s_nop 0
	v_mov_b32_e32 v13, v5
	scratch_store_dwordx2 off, v[12:13], off offset:32
.LBB37_31:
	s_or_b64 exec, exec, s[0:1]
	; wave barrier
	scratch_load_dwordx2 v[4:5], off, off offset:40
	v_cmp_gt_u32_e32 vcc, 5, v0
	;; [unrolled: 46-line block ×19, first 2 shown]
	s_waitcnt vmcnt(0)
	ds_write_b64 v1, v[4:5]
	s_waitcnt lgkmcnt(0)
	; wave barrier
	s_and_saveexec_b64 s[0:1], vcc
	s_cbranch_execz .LBB37_103
; %bb.100:
	v_mov_b32_e32 v4, 0
	v_add_u32_e32 v3, -1, v0
	v_add_u32_e32 v7, 0x130, v2
	v_mov_b32_e32 v8, v2
	s_mov_b64 s[4:5], 0
	v_mov_b32_e32 v5, v4
.LBB37_101:                             ; =>This Inner Loop Header: Depth=1
	scratch_load_dwordx2 v[10:11], v8, off
	ds_read_b64 v[12:13], v7
	v_add_u32_e32 v3, 1, v3
	v_cmp_lt_u32_e32 vcc, 20, v3
	v_add_u32_e32 v7, 8, v7
	v_add_u32_e32 v8, 8, v8
	s_or_b64 s[4:5], vcc, s[4:5]
	s_waitcnt vmcnt(0) lgkmcnt(0)
	v_pk_mul_f32 v[14:15], v[12:13], v[10:11] op_sel:[1,1] op_sel_hi:[0,1]
	v_pk_fma_f32 v[16:17], v[12:13], v[10:11], v[14:15] neg_lo:[0,0,1] neg_hi:[0,0,1]
	v_pk_fma_f32 v[10:11], v[12:13], v[10:11], v[14:15] op_sel_hi:[1,0,1]
	s_nop 0
	v_mov_b32_e32 v17, v11
	v_pk_add_f32 v[4:5], v[4:5], v[16:17]
	s_andn2_b64 exec, exec, s[4:5]
	s_cbranch_execnz .LBB37_101
; %bb.102:
	s_or_b64 exec, exec, s[4:5]
	v_mov_b32_e32 v3, 0
	ds_read_b64 v[8:9], v3 offset:176
	s_waitcnt lgkmcnt(0)
	v_pk_mul_f32 v[10:11], v[4:5], v[8:9] op_sel:[1,1] op_sel_hi:[0,1]
	v_pk_fma_f32 v[12:13], v[4:5], v[8:9], v[10:11] neg_lo:[0,0,1] neg_hi:[0,0,1]
	v_pk_fma_f32 v[4:5], v[4:5], v[8:9], v[10:11] op_sel_hi:[1,0,1]
	s_nop 0
	v_mov_b32_e32 v13, v5
	scratch_store_dwordx2 off, v[12:13], off offset:176
.LBB37_103:
	s_or_b64 exec, exec, s[0:1]
	; wave barrier
	scratch_load_dwordx2 v[4:5], off, off offset:184
	v_cmp_gt_u32_e32 vcc, 23, v0
	s_waitcnt vmcnt(0)
	ds_write_b64 v1, v[4:5]
	s_waitcnt lgkmcnt(0)
	; wave barrier
	s_and_saveexec_b64 s[0:1], vcc
	s_cbranch_execz .LBB37_107
; %bb.104:
	v_mov_b32_e32 v4, 0
	v_add_u32_e32 v3, -1, v0
	v_add_u32_e32 v7, 0x130, v2
	v_mov_b32_e32 v8, v2
	s_mov_b64 s[4:5], 0
	v_mov_b32_e32 v5, v4
.LBB37_105:                             ; =>This Inner Loop Header: Depth=1
	scratch_load_dwordx2 v[10:11], v8, off
	ds_read_b64 v[12:13], v7
	v_add_u32_e32 v3, 1, v3
	v_cmp_lt_u32_e32 vcc, 21, v3
	v_add_u32_e32 v7, 8, v7
	v_add_u32_e32 v8, 8, v8
	s_or_b64 s[4:5], vcc, s[4:5]
	s_waitcnt vmcnt(0) lgkmcnt(0)
	v_pk_mul_f32 v[14:15], v[12:13], v[10:11] op_sel:[1,1] op_sel_hi:[0,1]
	v_pk_fma_f32 v[16:17], v[12:13], v[10:11], v[14:15] neg_lo:[0,0,1] neg_hi:[0,0,1]
	v_pk_fma_f32 v[10:11], v[12:13], v[10:11], v[14:15] op_sel_hi:[1,0,1]
	s_nop 0
	v_mov_b32_e32 v17, v11
	v_pk_add_f32 v[4:5], v[4:5], v[16:17]
	s_andn2_b64 exec, exec, s[4:5]
	s_cbranch_execnz .LBB37_105
; %bb.106:
	s_or_b64 exec, exec, s[4:5]
	v_mov_b32_e32 v3, 0
	ds_read_b64 v[8:9], v3 offset:184
	s_waitcnt lgkmcnt(0)
	v_pk_mul_f32 v[10:11], v[4:5], v[8:9] op_sel:[1,1] op_sel_hi:[0,1]
	v_pk_fma_f32 v[12:13], v[4:5], v[8:9], v[10:11] neg_lo:[0,0,1] neg_hi:[0,0,1]
	v_pk_fma_f32 v[4:5], v[4:5], v[8:9], v[10:11] op_sel_hi:[1,0,1]
	s_nop 0
	v_mov_b32_e32 v13, v5
	scratch_store_dwordx2 off, v[12:13], off offset:184
.LBB37_107:
	s_or_b64 exec, exec, s[0:1]
	; wave barrier
	scratch_load_dwordx2 v[4:5], off, off offset:192
	v_cmp_gt_u32_e32 vcc, 24, v0
	;; [unrolled: 46-line block ×14, first 2 shown]
	s_waitcnt vmcnt(0)
	ds_write_b64 v1, v[4:5]
	s_waitcnt lgkmcnt(0)
	; wave barrier
	s_and_saveexec_b64 s[0:1], vcc
	s_cbranch_execz .LBB37_159
; %bb.156:
	v_mov_b32_e32 v4, 0
	v_add_u32_e32 v3, -1, v0
	v_add_u32_e32 v7, 0x130, v2
	v_mov_b32_e32 v8, v2
	s_mov_b64 s[4:5], 0
	v_mov_b32_e32 v5, v4
.LBB37_157:                             ; =>This Inner Loop Header: Depth=1
	scratch_load_dwordx2 v[10:11], v8, off
	ds_read_b64 v[12:13], v7
	v_add_u32_e32 v3, 1, v3
	v_cmp_lt_u32_e32 vcc, 34, v3
	v_add_u32_e32 v7, 8, v7
	v_add_u32_e32 v8, 8, v8
	s_or_b64 s[4:5], vcc, s[4:5]
	s_waitcnt vmcnt(0) lgkmcnt(0)
	v_pk_mul_f32 v[14:15], v[12:13], v[10:11] op_sel:[1,1] op_sel_hi:[0,1]
	v_pk_fma_f32 v[16:17], v[12:13], v[10:11], v[14:15] neg_lo:[0,0,1] neg_hi:[0,0,1]
	v_pk_fma_f32 v[10:11], v[12:13], v[10:11], v[14:15] op_sel_hi:[1,0,1]
	s_nop 0
	v_mov_b32_e32 v17, v11
	v_pk_add_f32 v[4:5], v[4:5], v[16:17]
	s_andn2_b64 exec, exec, s[4:5]
	s_cbranch_execnz .LBB37_157
; %bb.158:
	s_or_b64 exec, exec, s[4:5]
	v_mov_b32_e32 v3, 0
	ds_read_b64 v[8:9], v3 offset:288
	s_waitcnt lgkmcnt(0)
	v_pk_mul_f32 v[10:11], v[4:5], v[8:9] op_sel:[1,1] op_sel_hi:[0,1]
	v_pk_fma_f32 v[12:13], v[4:5], v[8:9], v[10:11] neg_lo:[0,0,1] neg_hi:[0,0,1]
	v_pk_fma_f32 v[4:5], v[4:5], v[8:9], v[10:11] op_sel_hi:[1,0,1]
	s_nop 0
	v_mov_b32_e32 v13, v5
	scratch_store_dwordx2 off, v[12:13], off offset:288
.LBB37_159:
	s_or_b64 exec, exec, s[0:1]
	; wave barrier
	scratch_load_dwordx2 v[4:5], off, off offset:296
	v_cmp_ne_u32_e32 vcc, 37, v0
	s_waitcnt vmcnt(0)
	ds_write_b64 v1, v[4:5]
	s_waitcnt lgkmcnt(0)
	; wave barrier
	s_and_saveexec_b64 s[0:1], vcc
	s_cbranch_execz .LBB37_163
; %bb.160:
	v_add_u32_e32 v1, 0x130, v2
	v_mov_b32_e32 v4, v2
	v_mov_b32_e32 v2, 0
	s_mov_b64 s[4:5], 0
	v_mov_b32_e32 v3, v2
.LBB37_161:                             ; =>This Inner Loop Header: Depth=1
	scratch_load_dwordx2 v[8:9], v4, off
	ds_read_b64 v[10:11], v1
	v_add_u32_e32 v6, 1, v6
	v_cmp_lt_u32_e32 vcc, 35, v6
	v_add_u32_e32 v1, 8, v1
	v_add_u32_e32 v4, 8, v4
	s_or_b64 s[4:5], vcc, s[4:5]
	s_waitcnt vmcnt(0) lgkmcnt(0)
	v_pk_mul_f32 v[12:13], v[10:11], v[8:9] op_sel:[1,1] op_sel_hi:[0,1]
	v_pk_fma_f32 v[14:15], v[10:11], v[8:9], v[12:13] neg_lo:[0,0,1] neg_hi:[0,0,1]
	v_pk_fma_f32 v[8:9], v[10:11], v[8:9], v[12:13] op_sel_hi:[1,0,1]
	s_nop 0
	v_mov_b32_e32 v15, v9
	v_pk_add_f32 v[2:3], v[2:3], v[14:15]
	s_andn2_b64 exec, exec, s[4:5]
	s_cbranch_execnz .LBB37_161
; %bb.162:
	s_or_b64 exec, exec, s[4:5]
	v_mov_b32_e32 v1, 0
	ds_read_b64 v[4:5], v1 offset:296
	s_waitcnt lgkmcnt(0)
	v_pk_mul_f32 v[6:7], v[2:3], v[4:5] op_sel:[1,1] op_sel_hi:[0,1]
	v_pk_fma_f32 v[8:9], v[2:3], v[4:5], v[6:7] neg_lo:[0,0,1] neg_hi:[0,0,1]
	v_pk_fma_f32 v[2:3], v[2:3], v[4:5], v[6:7] op_sel_hi:[1,0,1]
	s_nop 0
	v_mov_b32_e32 v9, v3
	scratch_store_dwordx2 off, v[8:9], off offset:296
.LBB37_163:
	s_or_b64 exec, exec, s[0:1]
	s_mov_b64 s[4:5], -1
	; wave barrier
.LBB37_164:
	s_and_b64 vcc, exec, s[4:5]
	s_cbranch_vccz .LBB37_166
; %bb.165:
	s_lshl_b64 s[0:1], s[2:3], 2
	s_add_u32 s0, s6, s0
	s_addc_u32 s1, s7, s1
	v_mov_b32_e32 v1, 0
	global_load_dword v1, v1, s[0:1]
	s_waitcnt vmcnt(0)
	v_cmp_ne_u32_e32 vcc, 0, v1
	s_cbranch_vccz .LBB37_167
.LBB37_166:
	s_endpgm
.LBB37_167:
	v_mov_b32_e32 v1, 0x130
	v_lshl_add_u32 v1, v0, 3, v1
	v_cmp_eq_u32_e32 vcc, 37, v0
	s_and_saveexec_b64 s[0:1], vcc
	s_cbranch_execz .LBB37_169
; %bb.168:
	scratch_load_dwordx2 v[2:3], off, off offset:288
	v_mov_b32_e32 v4, 0
	v_mov_b32_e32 v5, v4
	scratch_store_dwordx2 off, v[4:5], off offset:288
	s_waitcnt vmcnt(1)
	ds_write_b64 v1, v[2:3]
.LBB37_169:
	s_or_b64 exec, exec, s[0:1]
	s_waitcnt lgkmcnt(0)
	; wave barrier
	scratch_load_dwordx2 v[4:5], off, off offset:296
	scratch_load_dwordx2 v[6:7], off, off offset:288
	v_mov_b32_e32 v2, 0
	ds_read_b64 v[8:9], v2 offset:600
	v_cmp_lt_u32_e32 vcc, 35, v0
	s_waitcnt vmcnt(1) lgkmcnt(0)
	v_pk_mul_f32 v[10:11], v[8:9], v[4:5] op_sel:[1,1] op_sel_hi:[0,1]
	v_pk_fma_f32 v[12:13], v[8:9], v[4:5], v[10:11] neg_lo:[0,0,1] neg_hi:[0,0,1]
	v_pk_fma_f32 v[4:5], v[8:9], v[4:5], v[10:11] op_sel_hi:[1,0,1]
	s_nop 0
	v_mov_b32_e32 v13, v5
	v_pk_add_f32 v[4:5], v[12:13], 0 op_sel_hi:[1,0]
	s_waitcnt vmcnt(0)
	v_pk_add_f32 v[4:5], v[6:7], v[4:5] neg_lo:[0,1] neg_hi:[0,1]
	scratch_store_dwordx2 off, v[4:5], off offset:288
	s_and_saveexec_b64 s[0:1], vcc
	s_cbranch_execz .LBB37_171
; %bb.170:
	scratch_load_dwordx2 v[4:5], off, off offset:280
	v_mov_b32_e32 v3, v2
	scratch_store_dwordx2 off, v[2:3], off offset:280
	s_waitcnt vmcnt(1)
	ds_write_b64 v1, v[4:5]
.LBB37_171:
	s_or_b64 exec, exec, s[0:1]
	s_waitcnt lgkmcnt(0)
	; wave barrier
	scratch_load_dwordx4 v[4:7], off, off offset:288
	scratch_load_dwordx2 v[12:13], off, off offset:280
	ds_read_b128 v[8:11], v2 offset:592
	v_cmp_lt_u32_e32 vcc, 34, v0
	s_waitcnt vmcnt(1) lgkmcnt(0)
	v_pk_mul_f32 v[2:3], v[8:9], v[4:5] op_sel:[1,1] op_sel_hi:[0,1]
	v_mov_b32_e32 v14, v7
	v_pk_fma_f32 v[16:17], v[8:9], v[4:5], v[2:3] neg_lo:[0,0,1] neg_hi:[0,0,1]
	v_pk_fma_f32 v[2:3], v[8:9], v[4:5], v[2:3] op_sel_hi:[1,0,1]
	v_pk_mul_f32 v[4:5], v[10:11], v[14:15] op_sel:[1,0] op_sel_hi:[0,0]
	v_mov_b32_e32 v17, v3
	v_pk_fma_f32 v[2:3], v[10:11], v[6:7], v[4:5] neg_lo:[0,0,1] neg_hi:[0,0,1]
	v_pk_fma_f32 v[4:5], v[10:11], v[6:7], v[4:5] op_sel_hi:[1,0,1]
	v_pk_add_f32 v[6:7], v[16:17], 0 op_sel_hi:[1,0]
	v_mov_b32_e32 v3, v5
	v_pk_add_f32 v[2:3], v[6:7], v[2:3]
	s_waitcnt vmcnt(0)
	v_pk_add_f32 v[2:3], v[12:13], v[2:3] neg_lo:[0,1] neg_hi:[0,1]
	scratch_store_dwordx2 off, v[2:3], off offset:280
	s_and_saveexec_b64 s[0:1], vcc
	s_cbranch_execz .LBB37_173
; %bb.172:
	scratch_load_dwordx2 v[2:3], off, off offset:272
	v_mov_b32_e32 v4, 0
	v_mov_b32_e32 v5, v4
	scratch_store_dwordx2 off, v[4:5], off offset:272
	s_waitcnt vmcnt(1)
	ds_write_b64 v1, v[2:3]
.LBB37_173:
	s_or_b64 exec, exec, s[0:1]
	s_waitcnt lgkmcnt(0)
	; wave barrier
	scratch_load_dwordx4 v[4:7], off, off offset:280
	scratch_load_dwordx2 v[12:13], off, off offset:296
	scratch_load_dwordx2 v[14:15], off, off offset:272
	v_mov_b32_e32 v2, 0
	ds_read2_b64 v[8:11], v2 offset0:73 offset1:74
	ds_read_b64 v[16:17], v2 offset:600
	v_cmp_lt_u32_e32 vcc, 33, v0
	s_waitcnt vmcnt(2) lgkmcnt(1)
	v_pk_mul_f32 v[18:19], v[8:9], v[4:5] op_sel:[1,1] op_sel_hi:[0,1]
	v_mov_b32_e32 v20, v7
	v_pk_fma_f32 v[24:25], v[8:9], v[4:5], v[18:19] neg_lo:[0,0,1] neg_hi:[0,0,1]
	v_pk_fma_f32 v[4:5], v[8:9], v[4:5], v[18:19] op_sel_hi:[1,0,1]
	v_pk_mul_f32 v[8:9], v[10:11], v[20:21] op_sel:[1,0] op_sel_hi:[0,0]
	s_waitcnt vmcnt(1) lgkmcnt(0)
	v_pk_mul_f32 v[22:23], v[16:17], v[12:13] op_sel:[1,1] op_sel_hi:[0,1]
	v_mov_b32_e32 v25, v5
	v_pk_fma_f32 v[4:5], v[10:11], v[6:7], v[8:9] neg_lo:[0,0,1] neg_hi:[0,0,1]
	v_pk_fma_f32 v[6:7], v[10:11], v[6:7], v[8:9] op_sel_hi:[1,0,1]
	v_pk_fma_f32 v[18:19], v[16:17], v[12:13], v[22:23] neg_lo:[0,0,1] neg_hi:[0,0,1]
	v_pk_fma_f32 v[12:13], v[16:17], v[12:13], v[22:23] op_sel_hi:[1,0,1]
	v_pk_add_f32 v[8:9], v[24:25], 0 op_sel_hi:[1,0]
	v_mov_b32_e32 v5, v7
	v_mov_b32_e32 v19, v13
	v_pk_add_f32 v[4:5], v[8:9], v[4:5]
	s_nop 0
	v_pk_add_f32 v[4:5], v[4:5], v[18:19]
	s_waitcnt vmcnt(0)
	v_pk_add_f32 v[4:5], v[14:15], v[4:5] neg_lo:[0,1] neg_hi:[0,1]
	scratch_store_dwordx2 off, v[4:5], off offset:272
	s_and_saveexec_b64 s[0:1], vcc
	s_cbranch_execz .LBB37_175
; %bb.174:
	scratch_load_dwordx2 v[4:5], off, off offset:264
	v_mov_b32_e32 v3, v2
	scratch_store_dwordx2 off, v[2:3], off offset:264
	s_waitcnt vmcnt(1)
	ds_write_b64 v1, v[4:5]
.LBB37_175:
	s_or_b64 exec, exec, s[0:1]
	s_waitcnt lgkmcnt(0)
	; wave barrier
	scratch_load_dwordx4 v[4:7], off, off offset:272
	scratch_load_dwordx4 v[8:11], off, off offset:288
	scratch_load_dwordx2 v[20:21], off, off offset:264
	ds_read_b128 v[12:15], v2 offset:576
	ds_read_b128 v[16:19], v2 offset:592
	v_cmp_lt_u32_e32 vcc, 32, v0
	s_waitcnt vmcnt(2) lgkmcnt(1)
	v_pk_mul_f32 v[2:3], v[12:13], v[4:5] op_sel:[1,1] op_sel_hi:[0,1]
	v_mov_b32_e32 v22, v7
	s_waitcnt vmcnt(1) lgkmcnt(0)
	v_pk_mul_f32 v[24:25], v[16:17], v[8:9] op_sel:[1,1] op_sel_hi:[0,1]
	v_mov_b32_e32 v26, v11
	v_pk_fma_f32 v[28:29], v[12:13], v[4:5], v[2:3] neg_lo:[0,0,1] neg_hi:[0,0,1]
	v_pk_fma_f32 v[2:3], v[12:13], v[4:5], v[2:3] op_sel_hi:[1,0,1]
	v_pk_mul_f32 v[4:5], v[14:15], v[22:23] op_sel:[1,0] op_sel_hi:[0,0]
	v_pk_fma_f32 v[12:13], v[16:17], v[8:9], v[24:25] neg_lo:[0,0,1] neg_hi:[0,0,1]
	v_pk_fma_f32 v[8:9], v[16:17], v[8:9], v[24:25] op_sel_hi:[1,0,1]
	v_pk_mul_f32 v[16:17], v[18:19], v[26:27] op_sel:[1,0] op_sel_hi:[0,0]
	v_mov_b32_e32 v29, v3
	v_pk_fma_f32 v[2:3], v[14:15], v[6:7], v[4:5] neg_lo:[0,0,1] neg_hi:[0,0,1]
	v_pk_fma_f32 v[4:5], v[14:15], v[6:7], v[4:5] op_sel_hi:[1,0,1]
	v_mov_b32_e32 v13, v9
	v_pk_fma_f32 v[6:7], v[18:19], v[10:11], v[16:17] neg_lo:[0,0,1] neg_hi:[0,0,1]
	v_pk_fma_f32 v[8:9], v[18:19], v[10:11], v[16:17] op_sel_hi:[1,0,1]
	v_pk_add_f32 v[10:11], v[28:29], 0 op_sel_hi:[1,0]
	v_mov_b32_e32 v3, v5
	v_pk_add_f32 v[2:3], v[10:11], v[2:3]
	v_mov_b32_e32 v7, v9
	v_pk_add_f32 v[2:3], v[2:3], v[12:13]
	s_nop 0
	v_pk_add_f32 v[2:3], v[2:3], v[6:7]
	s_waitcnt vmcnt(0)
	v_pk_add_f32 v[2:3], v[20:21], v[2:3] neg_lo:[0,1] neg_hi:[0,1]
	scratch_store_dwordx2 off, v[2:3], off offset:264
	s_and_saveexec_b64 s[0:1], vcc
	s_cbranch_execz .LBB37_177
; %bb.176:
	scratch_load_dwordx2 v[2:3], off, off offset:256
	v_mov_b32_e32 v4, 0
	v_mov_b32_e32 v5, v4
	scratch_store_dwordx2 off, v[4:5], off offset:256
	s_waitcnt vmcnt(1)
	ds_write_b64 v1, v[2:3]
.LBB37_177:
	s_or_b64 exec, exec, s[0:1]
	s_waitcnt lgkmcnt(0)
	; wave barrier
	scratch_load_dwordx4 v[4:7], off, off offset:264
	scratch_load_dwordx4 v[8:11], off, off offset:280
	scratch_load_dwordx2 v[20:21], off, off offset:296
	scratch_load_dwordx2 v[22:23], off, off offset:256
	v_mov_b32_e32 v2, 0
	ds_read2_b64 v[12:15], v2 offset0:71 offset1:72
	ds_read2_b64 v[16:19], v2 offset0:73 offset1:74
	ds_read_b64 v[24:25], v2 offset:600
	v_cmp_lt_u32_e32 vcc, 31, v0
	s_waitcnt vmcnt(3) lgkmcnt(2)
	v_pk_mul_f32 v[26:27], v[12:13], v[4:5] op_sel:[1,1] op_sel_hi:[0,1]
	v_mov_b32_e32 v28, v7
	v_pk_fma_f32 v[36:37], v[12:13], v[4:5], v[26:27] neg_lo:[0,0,1] neg_hi:[0,0,1]
	v_pk_fma_f32 v[4:5], v[12:13], v[4:5], v[26:27] op_sel_hi:[1,0,1]
	v_pk_mul_f32 v[12:13], v[14:15], v[28:29] op_sel:[1,0] op_sel_hi:[0,0]
	s_waitcnt vmcnt(2) lgkmcnt(1)
	v_pk_mul_f32 v[30:31], v[16:17], v[8:9] op_sel:[1,1] op_sel_hi:[0,1]
	v_mov_b32_e32 v32, v11
	v_mov_b32_e32 v37, v5
	v_pk_fma_f32 v[4:5], v[14:15], v[6:7], v[12:13] neg_lo:[0,0,1] neg_hi:[0,0,1]
	v_pk_fma_f32 v[6:7], v[14:15], v[6:7], v[12:13] op_sel_hi:[1,0,1]
	v_pk_fma_f32 v[26:27], v[16:17], v[8:9], v[30:31] neg_lo:[0,0,1] neg_hi:[0,0,1]
	v_pk_fma_f32 v[8:9], v[16:17], v[8:9], v[30:31] op_sel_hi:[1,0,1]
	v_pk_mul_f32 v[16:17], v[18:19], v[32:33] op_sel:[1,0] op_sel_hi:[0,0]
	v_pk_add_f32 v[12:13], v[36:37], 0 op_sel_hi:[1,0]
	v_mov_b32_e32 v5, v7
	s_waitcnt vmcnt(1) lgkmcnt(0)
	v_pk_mul_f32 v[34:35], v[24:25], v[20:21] op_sel:[1,1] op_sel_hi:[0,1]
	v_mov_b32_e32 v27, v9
	v_pk_fma_f32 v[8:9], v[18:19], v[10:11], v[16:17] neg_lo:[0,0,1] neg_hi:[0,0,1]
	v_pk_fma_f32 v[10:11], v[18:19], v[10:11], v[16:17] op_sel_hi:[1,0,1]
	v_pk_add_f32 v[4:5], v[12:13], v[4:5]
	v_pk_fma_f32 v[28:29], v[24:25], v[20:21], v[34:35] neg_lo:[0,0,1] neg_hi:[0,0,1]
	v_pk_fma_f32 v[20:21], v[24:25], v[20:21], v[34:35] op_sel_hi:[1,0,1]
	v_mov_b32_e32 v9, v11
	v_pk_add_f32 v[4:5], v[4:5], v[26:27]
	v_mov_b32_e32 v29, v21
	v_pk_add_f32 v[4:5], v[4:5], v[8:9]
	s_nop 0
	v_pk_add_f32 v[4:5], v[4:5], v[28:29]
	s_waitcnt vmcnt(0)
	v_pk_add_f32 v[4:5], v[22:23], v[4:5] neg_lo:[0,1] neg_hi:[0,1]
	scratch_store_dwordx2 off, v[4:5], off offset:256
	s_and_saveexec_b64 s[0:1], vcc
	s_cbranch_execz .LBB37_179
; %bb.178:
	scratch_load_dwordx2 v[4:5], off, off offset:248
	v_mov_b32_e32 v3, v2
	scratch_store_dwordx2 off, v[2:3], off offset:248
	s_waitcnt vmcnt(1)
	ds_write_b64 v1, v[4:5]
.LBB37_179:
	s_or_b64 exec, exec, s[0:1]
	s_waitcnt lgkmcnt(0)
	; wave barrier
	scratch_load_dwordx4 v[4:7], off, off offset:256
	scratch_load_dwordx4 v[8:11], off, off offset:272
	;; [unrolled: 1-line block ×3, first 2 shown]
	scratch_load_dwordx2 v[28:29], off, off offset:248
	ds_read_b128 v[16:19], v2 offset:560
	ds_read_b128 v[20:23], v2 offset:576
	;; [unrolled: 1-line block ×3, first 2 shown]
	v_cmp_lt_u32_e32 vcc, 30, v0
	s_waitcnt vmcnt(3) lgkmcnt(2)
	v_pk_mul_f32 v[2:3], v[16:17], v[4:5] op_sel:[1,1] op_sel_hi:[0,1]
	v_mov_b32_e32 v30, v7
	s_waitcnt vmcnt(2) lgkmcnt(1)
	v_pk_mul_f32 v[32:33], v[20:21], v[8:9] op_sel:[1,1] op_sel_hi:[0,1]
	v_mov_b32_e32 v34, v11
	;; [unrolled: 3-line block ×3, first 2 shown]
	v_pk_fma_f32 v[40:41], v[16:17], v[4:5], v[2:3] neg_lo:[0,0,1] neg_hi:[0,0,1]
	v_pk_fma_f32 v[2:3], v[16:17], v[4:5], v[2:3] op_sel_hi:[1,0,1]
	v_pk_mul_f32 v[4:5], v[18:19], v[30:31] op_sel:[1,0] op_sel_hi:[0,0]
	v_pk_fma_f32 v[16:17], v[20:21], v[8:9], v[32:33] neg_lo:[0,0,1] neg_hi:[0,0,1]
	v_pk_fma_f32 v[8:9], v[20:21], v[8:9], v[32:33] op_sel_hi:[1,0,1]
	v_pk_mul_f32 v[20:21], v[22:23], v[34:35] op_sel:[1,0] op_sel_hi:[0,0]
	;; [unrolled: 3-line block ×3, first 2 shown]
	v_mov_b32_e32 v41, v3
	v_pk_fma_f32 v[2:3], v[18:19], v[6:7], v[4:5] neg_lo:[0,0,1] neg_hi:[0,0,1]
	v_pk_fma_f32 v[4:5], v[18:19], v[6:7], v[4:5] op_sel_hi:[1,0,1]
	v_mov_b32_e32 v17, v9
	v_pk_fma_f32 v[6:7], v[22:23], v[10:11], v[20:21] neg_lo:[0,0,1] neg_hi:[0,0,1]
	v_pk_fma_f32 v[8:9], v[22:23], v[10:11], v[20:21] op_sel_hi:[1,0,1]
	;; [unrolled: 3-line block ×3, first 2 shown]
	v_pk_add_f32 v[14:15], v[40:41], 0 op_sel_hi:[1,0]
	v_mov_b32_e32 v3, v5
	v_pk_add_f32 v[2:3], v[14:15], v[2:3]
	v_mov_b32_e32 v7, v9
	v_pk_add_f32 v[2:3], v[2:3], v[16:17]
	;; [unrolled: 2-line block ×3, first 2 shown]
	s_nop 0
	v_pk_add_f32 v[2:3], v[2:3], v[30:31]
	s_nop 0
	v_pk_add_f32 v[2:3], v[2:3], v[10:11]
	s_waitcnt vmcnt(0)
	v_pk_add_f32 v[2:3], v[28:29], v[2:3] neg_lo:[0,1] neg_hi:[0,1]
	scratch_store_dwordx2 off, v[2:3], off offset:248
	s_and_saveexec_b64 s[0:1], vcc
	s_cbranch_execz .LBB37_181
; %bb.180:
	scratch_load_dwordx2 v[2:3], off, off offset:240
	v_mov_b32_e32 v4, 0
	v_mov_b32_e32 v5, v4
	scratch_store_dwordx2 off, v[4:5], off offset:240
	s_waitcnt vmcnt(1)
	ds_write_b64 v1, v[2:3]
.LBB37_181:
	s_or_b64 exec, exec, s[0:1]
	s_waitcnt lgkmcnt(0)
	; wave barrier
	scratch_load_dwordx4 v[4:7], off, off offset:248
	scratch_load_dwordx4 v[8:11], off, off offset:264
	;; [unrolled: 1-line block ×3, first 2 shown]
	scratch_load_dwordx2 v[28:29], off, off offset:296
	scratch_load_dwordx2 v[30:31], off, off offset:240
	v_mov_b32_e32 v2, 0
	ds_read2_b64 v[16:19], v2 offset0:69 offset1:70
	ds_read2_b64 v[20:23], v2 offset0:71 offset1:72
	;; [unrolled: 1-line block ×3, first 2 shown]
	ds_read_b64 v[32:33], v2 offset:600
	v_cmp_lt_u32_e32 vcc, 29, v0
	s_waitcnt vmcnt(4) lgkmcnt(3)
	v_pk_mul_f32 v[34:35], v[16:17], v[4:5] op_sel:[1,1] op_sel_hi:[0,1]
	v_mov_b32_e32 v36, v7
	v_pk_fma_f32 v[48:49], v[16:17], v[4:5], v[34:35] neg_lo:[0,0,1] neg_hi:[0,0,1]
	v_pk_fma_f32 v[4:5], v[16:17], v[4:5], v[34:35] op_sel_hi:[1,0,1]
	v_pk_mul_f32 v[16:17], v[18:19], v[36:37] op_sel:[1,0] op_sel_hi:[0,0]
	s_waitcnt vmcnt(3) lgkmcnt(2)
	v_pk_mul_f32 v[38:39], v[20:21], v[8:9] op_sel:[1,1] op_sel_hi:[0,1]
	v_mov_b32_e32 v40, v11
	v_mov_b32_e32 v49, v5
	v_pk_fma_f32 v[4:5], v[18:19], v[6:7], v[16:17] neg_lo:[0,0,1] neg_hi:[0,0,1]
	v_pk_fma_f32 v[6:7], v[18:19], v[6:7], v[16:17] op_sel_hi:[1,0,1]
	v_pk_fma_f32 v[34:35], v[20:21], v[8:9], v[38:39] neg_lo:[0,0,1] neg_hi:[0,0,1]
	v_pk_fma_f32 v[8:9], v[20:21], v[8:9], v[38:39] op_sel_hi:[1,0,1]
	v_pk_mul_f32 v[20:21], v[22:23], v[40:41] op_sel:[1,0] op_sel_hi:[0,0]
	v_pk_add_f32 v[16:17], v[48:49], 0 op_sel_hi:[1,0]
	v_mov_b32_e32 v5, v7
	s_waitcnt vmcnt(2) lgkmcnt(1)
	v_pk_mul_f32 v[42:43], v[24:25], v[12:13] op_sel:[1,1] op_sel_hi:[0,1]
	v_mov_b32_e32 v44, v15
	v_mov_b32_e32 v35, v9
	v_pk_fma_f32 v[8:9], v[22:23], v[10:11], v[20:21] neg_lo:[0,0,1] neg_hi:[0,0,1]
	v_pk_fma_f32 v[10:11], v[22:23], v[10:11], v[20:21] op_sel_hi:[1,0,1]
	v_pk_add_f32 v[4:5], v[16:17], v[4:5]
	v_pk_fma_f32 v[36:37], v[24:25], v[12:13], v[42:43] neg_lo:[0,0,1] neg_hi:[0,0,1]
	v_pk_fma_f32 v[12:13], v[24:25], v[12:13], v[42:43] op_sel_hi:[1,0,1]
	v_pk_mul_f32 v[24:25], v[26:27], v[44:45] op_sel:[1,0] op_sel_hi:[0,0]
	v_mov_b32_e32 v9, v11
	v_pk_add_f32 v[4:5], v[4:5], v[34:35]
	s_waitcnt vmcnt(1) lgkmcnt(0)
	v_pk_mul_f32 v[46:47], v[32:33], v[28:29] op_sel:[1,1] op_sel_hi:[0,1]
	v_mov_b32_e32 v37, v13
	v_pk_fma_f32 v[12:13], v[26:27], v[14:15], v[24:25] neg_lo:[0,0,1] neg_hi:[0,0,1]
	v_pk_fma_f32 v[14:15], v[26:27], v[14:15], v[24:25] op_sel_hi:[1,0,1]
	v_pk_add_f32 v[4:5], v[4:5], v[8:9]
	v_pk_fma_f32 v[38:39], v[32:33], v[28:29], v[46:47] neg_lo:[0,0,1] neg_hi:[0,0,1]
	v_pk_fma_f32 v[28:29], v[32:33], v[28:29], v[46:47] op_sel_hi:[1,0,1]
	v_mov_b32_e32 v13, v15
	v_pk_add_f32 v[4:5], v[4:5], v[36:37]
	v_mov_b32_e32 v39, v29
	v_pk_add_f32 v[4:5], v[4:5], v[12:13]
	s_nop 0
	v_pk_add_f32 v[4:5], v[4:5], v[38:39]
	s_waitcnt vmcnt(0)
	v_pk_add_f32 v[4:5], v[30:31], v[4:5] neg_lo:[0,1] neg_hi:[0,1]
	scratch_store_dwordx2 off, v[4:5], off offset:240
	s_and_saveexec_b64 s[0:1], vcc
	s_cbranch_execz .LBB37_183
; %bb.182:
	scratch_load_dwordx2 v[4:5], off, off offset:232
	v_mov_b32_e32 v3, v2
	scratch_store_dwordx2 off, v[2:3], off offset:232
	s_waitcnt vmcnt(1)
	ds_write_b64 v1, v[4:5]
.LBB37_183:
	s_or_b64 exec, exec, s[0:1]
	s_waitcnt lgkmcnt(0)
	; wave barrier
	scratch_load_dwordx4 v[4:7], off, off offset:240
	scratch_load_dwordx4 v[8:11], off, off offset:256
	;; [unrolled: 1-line block ×4, first 2 shown]
	scratch_load_dwordx2 v[36:37], off, off offset:232
	ds_read_b128 v[20:23], v2 offset:544
	ds_read_b128 v[24:27], v2 offset:560
	;; [unrolled: 1-line block ×4, first 2 shown]
	v_cmp_lt_u32_e32 vcc, 28, v0
	s_waitcnt vmcnt(4) lgkmcnt(3)
	v_pk_mul_f32 v[2:3], v[20:21], v[4:5] op_sel:[1,1] op_sel_hi:[0,1]
	v_mov_b32_e32 v38, v7
	s_waitcnt vmcnt(3) lgkmcnt(2)
	v_pk_mul_f32 v[40:41], v[24:25], v[8:9] op_sel:[1,1] op_sel_hi:[0,1]
	v_mov_b32_e32 v42, v11
	;; [unrolled: 3-line block ×4, first 2 shown]
	v_pk_fma_f32 v[52:53], v[20:21], v[4:5], v[2:3] neg_lo:[0,0,1] neg_hi:[0,0,1]
	v_pk_fma_f32 v[2:3], v[20:21], v[4:5], v[2:3] op_sel_hi:[1,0,1]
	v_pk_mul_f32 v[4:5], v[22:23], v[38:39] op_sel:[1,0] op_sel_hi:[0,0]
	v_pk_fma_f32 v[20:21], v[24:25], v[8:9], v[40:41] neg_lo:[0,0,1] neg_hi:[0,0,1]
	v_pk_fma_f32 v[8:9], v[24:25], v[8:9], v[40:41] op_sel_hi:[1,0,1]
	v_pk_mul_f32 v[24:25], v[26:27], v[42:43] op_sel:[1,0] op_sel_hi:[0,0]
	;; [unrolled: 3-line block ×4, first 2 shown]
	v_mov_b32_e32 v53, v3
	v_pk_fma_f32 v[2:3], v[22:23], v[6:7], v[4:5] neg_lo:[0,0,1] neg_hi:[0,0,1]
	v_pk_fma_f32 v[4:5], v[22:23], v[6:7], v[4:5] op_sel_hi:[1,0,1]
	v_mov_b32_e32 v21, v9
	v_pk_fma_f32 v[6:7], v[26:27], v[10:11], v[24:25] neg_lo:[0,0,1] neg_hi:[0,0,1]
	v_pk_fma_f32 v[8:9], v[26:27], v[10:11], v[24:25] op_sel_hi:[1,0,1]
	;; [unrolled: 3-line block ×4, first 2 shown]
	v_pk_add_f32 v[18:19], v[52:53], 0 op_sel_hi:[1,0]
	v_mov_b32_e32 v3, v5
	v_pk_add_f32 v[2:3], v[18:19], v[2:3]
	v_mov_b32_e32 v7, v9
	v_pk_add_f32 v[2:3], v[2:3], v[20:21]
	;; [unrolled: 2-line block ×4, first 2 shown]
	s_nop 0
	v_pk_add_f32 v[2:3], v[2:3], v[10:11]
	s_nop 0
	v_pk_add_f32 v[2:3], v[2:3], v[40:41]
	;; [unrolled: 2-line block ×3, first 2 shown]
	s_waitcnt vmcnt(0)
	v_pk_add_f32 v[2:3], v[36:37], v[2:3] neg_lo:[0,1] neg_hi:[0,1]
	scratch_store_dwordx2 off, v[2:3], off offset:232
	s_and_saveexec_b64 s[0:1], vcc
	s_cbranch_execz .LBB37_185
; %bb.184:
	scratch_load_dwordx2 v[2:3], off, off offset:224
	v_mov_b32_e32 v4, 0
	v_mov_b32_e32 v5, v4
	scratch_store_dwordx2 off, v[4:5], off offset:224
	s_waitcnt vmcnt(1)
	ds_write_b64 v1, v[2:3]
.LBB37_185:
	s_or_b64 exec, exec, s[0:1]
	s_waitcnt lgkmcnt(0)
	; wave barrier
	scratch_load_dwordx4 v[8:11], off, off offset:232
	v_mov_b32_e32 v2, 0
	ds_read2_b64 v[4:7], v2 offset0:67 offset1:68
	scratch_load_dwordx4 v[12:15], off, off offset:248
	scratch_load_dwordx4 v[16:19], off, off offset:264
	;; [unrolled: 1-line block ×3, first 2 shown]
	scratch_load_dwordx2 v[38:39], off, off offset:296
	v_cmp_lt_u32_e32 vcc, 27, v0
	s_waitcnt vmcnt(4) lgkmcnt(0)
	v_mul_f32_e32 v37, v4, v9
	v_mul_f32_e32 v3, v5, v9
	v_fmac_f32_e32 v37, v5, v8
	v_fma_f32 v36, v4, v8, -v3
	v_pk_add_f32 v[8:9], v[36:37], 0 op_sel_hi:[1,0]
	v_mov_b32_e32 v36, v11
	v_pk_mul_f32 v[36:37], v[6:7], v[36:37] op_sel:[1,0] op_sel_hi:[0,0]
	ds_read2_b64 v[24:27], v2 offset0:69 offset1:70
	ds_read2_b64 v[28:31], v2 offset0:71 offset1:72
	;; [unrolled: 1-line block ×3, first 2 shown]
	ds_read_b64 v[4:5], v2 offset:600
	v_pk_fma_f32 v[40:41], v[6:7], v[10:11], v[36:37] neg_lo:[0,0,1] neg_hi:[0,0,1]
	v_pk_fma_f32 v[6:7], v[6:7], v[10:11], v[36:37] op_sel_hi:[1,0,1]
	s_nop 0
	v_mov_b32_e32 v41, v7
	v_pk_add_f32 v[6:7], v[8:9], v[40:41]
	s_waitcnt vmcnt(3) lgkmcnt(3)
	v_pk_mul_f32 v[8:9], v[24:25], v[12:13] op_sel:[1,1] op_sel_hi:[0,1]
	v_pk_fma_f32 v[10:11], v[24:25], v[12:13], v[8:9] neg_lo:[0,0,1] neg_hi:[0,0,1]
	v_pk_fma_f32 v[8:9], v[24:25], v[12:13], v[8:9] op_sel_hi:[1,0,1]
	s_nop 0
	v_mov_b32_e32 v8, v15
	v_mov_b32_e32 v11, v9
	v_pk_mul_f32 v[8:9], v[26:27], v[8:9] op_sel:[1,0] op_sel_hi:[0,0]
	v_pk_add_f32 v[6:7], v[6:7], v[10:11]
	v_pk_fma_f32 v[10:11], v[26:27], v[14:15], v[8:9] neg_lo:[0,0,1] neg_hi:[0,0,1]
	v_pk_fma_f32 v[8:9], v[26:27], v[14:15], v[8:9] op_sel_hi:[1,0,1]
	s_nop 0
	v_mov_b32_e32 v11, v9
	s_waitcnt vmcnt(2) lgkmcnt(2)
	v_pk_mul_f32 v[8:9], v[28:29], v[16:17] op_sel:[1,1] op_sel_hi:[0,1]
	v_pk_add_f32 v[6:7], v[6:7], v[10:11]
	v_pk_fma_f32 v[10:11], v[28:29], v[16:17], v[8:9] neg_lo:[0,0,1] neg_hi:[0,0,1]
	v_pk_fma_f32 v[8:9], v[28:29], v[16:17], v[8:9] op_sel_hi:[1,0,1]
	s_nop 0
	v_mov_b32_e32 v8, v19
	v_mov_b32_e32 v11, v9
	v_pk_mul_f32 v[8:9], v[30:31], v[8:9] op_sel:[1,0] op_sel_hi:[0,0]
	v_pk_add_f32 v[6:7], v[6:7], v[10:11]
	v_pk_fma_f32 v[10:11], v[30:31], v[18:19], v[8:9] neg_lo:[0,0,1] neg_hi:[0,0,1]
	v_pk_fma_f32 v[8:9], v[30:31], v[18:19], v[8:9] op_sel_hi:[1,0,1]
	s_nop 0
	v_mov_b32_e32 v11, v9
	s_waitcnt vmcnt(1) lgkmcnt(1)
	v_pk_mul_f32 v[8:9], v[32:33], v[20:21] op_sel:[1,1] op_sel_hi:[0,1]
	v_pk_add_f32 v[6:7], v[6:7], v[10:11]
	;; [unrolled: 14-line block ×3, first 2 shown]
	v_pk_fma_f32 v[10:11], v[4:5], v[38:39], v[8:9] neg_lo:[0,0,1] neg_hi:[0,0,1]
	v_pk_fma_f32 v[4:5], v[4:5], v[38:39], v[8:9] op_sel_hi:[1,0,1]
	s_nop 0
	v_mov_b32_e32 v11, v5
	v_pk_add_f32 v[4:5], v[6:7], v[10:11]
	scratch_load_dwordx2 v[6:7], off, off offset:224
	s_waitcnt vmcnt(0)
	v_pk_add_f32 v[4:5], v[6:7], v[4:5] neg_lo:[0,1] neg_hi:[0,1]
	scratch_store_dwordx2 off, v[4:5], off offset:224
	s_and_saveexec_b64 s[0:1], vcc
	s_cbranch_execz .LBB37_187
; %bb.186:
	scratch_load_dwordx2 v[4:5], off, off offset:216
	v_mov_b32_e32 v3, v2
	scratch_store_dwordx2 off, v[2:3], off offset:216
	s_waitcnt vmcnt(1)
	ds_write_b64 v1, v[4:5]
.LBB37_187:
	s_or_b64 exec, exec, s[0:1]
	s_waitcnt lgkmcnt(0)
	; wave barrier
	ds_read_b128 v[4:7], v2 offset:528
	ds_read_b128 v[8:11], v2 offset:544
	ds_read_b128 v[12:15], v2 offset:560
	ds_read_b128 v[16:19], v2 offset:576
	scratch_load_dwordx4 v[20:23], off, off offset:224
	scratch_load_dwordx4 v[24:27], off, off offset:240
	;; [unrolled: 1-line block ×5, first 2 shown]
	v_cmp_lt_u32_e32 vcc, 26, v0
	s_waitcnt vmcnt(4) lgkmcnt(3)
	v_mul_f32_e32 v41, v4, v21
	v_mul_f32_e32 v3, v5, v21
	v_fmac_f32_e32 v41, v5, v20
	v_mul_f32_e32 v43, v6, v23
	v_fma_f32 v40, v4, v20, -v3
	v_mul_f32_e32 v3, v7, v23
	s_waitcnt vmcnt(3) lgkmcnt(2)
	v_pk_mul_f32 v[20:21], v[8:9], v[24:25] op_sel:[1,1] op_sel_hi:[0,1]
	v_fmac_f32_e32 v43, v7, v22
	v_fma_f32 v42, v6, v22, -v3
	v_pk_fma_f32 v[22:23], v[8:9], v[24:25], v[20:21] neg_lo:[0,0,1] neg_hi:[0,0,1]
	v_pk_fma_f32 v[8:9], v[8:9], v[24:25], v[20:21] op_sel_hi:[1,0,1]
	v_pk_add_f32 v[6:7], v[40:41], 0 op_sel_hi:[1,0]
	v_mov_b32_e32 v8, v27
	v_mov_b32_e32 v23, v9
	v_pk_mul_f32 v[8:9], v[10:11], v[8:9] op_sel:[1,0] op_sel_hi:[0,0]
	v_pk_fma_f32 v[20:21], v[10:11], v[26:27], v[8:9] neg_lo:[0,0,1] neg_hi:[0,0,1]
	v_pk_fma_f32 v[8:9], v[10:11], v[26:27], v[8:9] op_sel_hi:[1,0,1]
	v_pk_add_f32 v[6:7], v[6:7], v[42:43]
	v_mov_b32_e32 v21, v9
	s_waitcnt vmcnt(2) lgkmcnt(1)
	v_pk_mul_f32 v[8:9], v[12:13], v[28:29] op_sel:[1,1] op_sel_hi:[0,1]
	v_pk_fma_f32 v[10:11], v[12:13], v[28:29], v[8:9] neg_lo:[0,0,1] neg_hi:[0,0,1]
	v_pk_fma_f32 v[8:9], v[12:13], v[28:29], v[8:9] op_sel_hi:[1,0,1]
	v_pk_add_f32 v[6:7], v[6:7], v[22:23]
	v_mov_b32_e32 v8, v31
	v_pk_add_f32 v[6:7], v[6:7], v[20:21]
	v_mov_b32_e32 v11, v9
	v_pk_mul_f32 v[8:9], v[14:15], v[8:9] op_sel:[1,0] op_sel_hi:[0,0]
	v_pk_add_f32 v[6:7], v[6:7], v[10:11]
	v_pk_fma_f32 v[10:11], v[14:15], v[30:31], v[8:9] neg_lo:[0,0,1] neg_hi:[0,0,1]
	v_pk_fma_f32 v[8:9], v[14:15], v[30:31], v[8:9] op_sel_hi:[1,0,1]
	ds_read_b128 v[2:5], v2 offset:592
	v_mov_b32_e32 v11, v9
	s_waitcnt vmcnt(1) lgkmcnt(1)
	v_pk_mul_f32 v[8:9], v[16:17], v[32:33] op_sel:[1,1] op_sel_hi:[0,1]
	v_pk_add_f32 v[6:7], v[6:7], v[10:11]
	v_pk_fma_f32 v[10:11], v[16:17], v[32:33], v[8:9] neg_lo:[0,0,1] neg_hi:[0,0,1]
	v_pk_fma_f32 v[8:9], v[16:17], v[32:33], v[8:9] op_sel_hi:[1,0,1]
	s_nop 0
	v_mov_b32_e32 v8, v35
	v_mov_b32_e32 v11, v9
	v_pk_mul_f32 v[8:9], v[18:19], v[8:9] op_sel:[1,0] op_sel_hi:[0,0]
	v_pk_add_f32 v[6:7], v[6:7], v[10:11]
	v_pk_fma_f32 v[10:11], v[18:19], v[34:35], v[8:9] neg_lo:[0,0,1] neg_hi:[0,0,1]
	v_pk_fma_f32 v[8:9], v[18:19], v[34:35], v[8:9] op_sel_hi:[1,0,1]
	s_nop 0
	v_mov_b32_e32 v11, v9
	s_waitcnt vmcnt(0) lgkmcnt(0)
	v_pk_mul_f32 v[8:9], v[2:3], v[36:37] op_sel:[1,1] op_sel_hi:[0,1]
	v_pk_add_f32 v[6:7], v[6:7], v[10:11]
	v_pk_fma_f32 v[10:11], v[2:3], v[36:37], v[8:9] neg_lo:[0,0,1] neg_hi:[0,0,1]
	v_pk_fma_f32 v[2:3], v[2:3], v[36:37], v[8:9] op_sel_hi:[1,0,1]
	s_nop 0
	v_mov_b32_e32 v11, v3
	v_pk_add_f32 v[2:3], v[6:7], v[10:11]
	v_mov_b32_e32 v6, v39
	v_pk_mul_f32 v[6:7], v[4:5], v[6:7] op_sel:[1,0] op_sel_hi:[0,0]
	v_pk_fma_f32 v[8:9], v[4:5], v[38:39], v[6:7] neg_lo:[0,0,1] neg_hi:[0,0,1]
	v_pk_fma_f32 v[4:5], v[4:5], v[38:39], v[6:7] op_sel_hi:[1,0,1]
	s_nop 0
	v_mov_b32_e32 v9, v5
	scratch_load_dwordx2 v[4:5], off, off offset:216
	v_pk_add_f32 v[2:3], v[2:3], v[8:9]
	s_waitcnt vmcnt(0)
	v_pk_add_f32 v[2:3], v[4:5], v[2:3] neg_lo:[0,1] neg_hi:[0,1]
	scratch_store_dwordx2 off, v[2:3], off offset:216
	s_and_saveexec_b64 s[0:1], vcc
	s_cbranch_execz .LBB37_189
; %bb.188:
	scratch_load_dwordx2 v[2:3], off, off offset:208
	v_mov_b32_e32 v4, 0
	v_mov_b32_e32 v5, v4
	scratch_store_dwordx2 off, v[4:5], off offset:208
	s_waitcnt vmcnt(1)
	ds_write_b64 v1, v[2:3]
.LBB37_189:
	s_or_b64 exec, exec, s[0:1]
	s_waitcnt lgkmcnt(0)
	; wave barrier
	scratch_load_dwordx4 v[8:11], off, off offset:216
	scratch_load_dwordx4 v[16:19], off, off offset:232
	v_mov_b32_e32 v2, 0
	ds_read2_b64 v[4:7], v2 offset0:65 offset1:66
	ds_read2_b64 v[12:15], v2 offset0:67 offset1:68
	scratch_load_dwordx4 v[20:23], off, off offset:248
	scratch_load_dwordx4 v[24:27], off, off offset:264
	;; [unrolled: 1-line block ×3, first 2 shown]
	scratch_load_dwordx2 v[42:43], off, off offset:296
	v_cmp_lt_u32_e32 vcc, 25, v0
	s_waitcnt vmcnt(5) lgkmcnt(1)
	v_mul_f32_e32 v3, v4, v9
	v_fmac_f32_e32 v3, v5, v8
	v_add_f32_e32 v37, 0, v3
	v_mul_f32_e32 v3, v5, v9
	v_fma_f32 v3, v4, v8, -v3
	v_mul_f32_e32 v39, v6, v11
	v_add_f32_e32 v36, 0, v3
	v_mul_f32_e32 v3, v7, v11
	v_fmac_f32_e32 v39, v7, v10
	s_waitcnt vmcnt(4) lgkmcnt(0)
	v_mul_f32_e32 v41, v12, v17
	v_fma_f32 v38, v6, v10, -v3
	v_mul_f32_e32 v3, v13, v17
	v_fmac_f32_e32 v41, v13, v16
	v_fma_f32 v40, v12, v16, -v3
	v_pk_add_f32 v[16:17], v[36:37], v[38:39]
	v_mov_b32_e32 v36, v19
	v_pk_mul_f32 v[36:37], v[14:15], v[36:37] op_sel:[1,0] op_sel_hi:[0,0]
	ds_read2_b64 v[4:7], v2 offset0:69 offset1:70
	ds_read2_b64 v[8:11], v2 offset0:71 offset1:72
	ds_read2_b64 v[32:35], v2 offset0:73 offset1:74
	ds_read_b64 v[12:13], v2 offset:600
	v_pk_fma_f32 v[38:39], v[14:15], v[18:19], v[36:37] neg_lo:[0,0,1] neg_hi:[0,0,1]
	v_pk_fma_f32 v[14:15], v[14:15], v[18:19], v[36:37] op_sel_hi:[1,0,1]
	v_pk_add_f32 v[16:17], v[16:17], v[40:41]
	v_mov_b32_e32 v39, v15
	v_pk_add_f32 v[14:15], v[16:17], v[38:39]
	s_waitcnt vmcnt(3) lgkmcnt(3)
	v_pk_mul_f32 v[16:17], v[4:5], v[20:21] op_sel:[1,1] op_sel_hi:[0,1]
	v_pk_fma_f32 v[18:19], v[4:5], v[20:21], v[16:17] neg_lo:[0,0,1] neg_hi:[0,0,1]
	v_pk_fma_f32 v[4:5], v[4:5], v[20:21], v[16:17] op_sel_hi:[1,0,1]
	s_nop 0
	v_mov_b32_e32 v19, v5
	v_pk_add_f32 v[4:5], v[14:15], v[18:19]
	v_mov_b32_e32 v14, v23
	v_pk_mul_f32 v[14:15], v[6:7], v[14:15] op_sel:[1,0] op_sel_hi:[0,0]
	v_pk_fma_f32 v[16:17], v[6:7], v[22:23], v[14:15] neg_lo:[0,0,1] neg_hi:[0,0,1]
	v_pk_fma_f32 v[6:7], v[6:7], v[22:23], v[14:15] op_sel_hi:[1,0,1]
	s_nop 0
	v_mov_b32_e32 v17, v7
	s_waitcnt vmcnt(2) lgkmcnt(2)
	v_pk_mul_f32 v[6:7], v[8:9], v[24:25] op_sel:[1,1] op_sel_hi:[0,1]
	v_pk_fma_f32 v[14:15], v[8:9], v[24:25], v[6:7] neg_lo:[0,0,1] neg_hi:[0,0,1]
	v_pk_fma_f32 v[6:7], v[8:9], v[24:25], v[6:7] op_sel_hi:[1,0,1]
	v_pk_add_f32 v[4:5], v[4:5], v[16:17]
	v_mov_b32_e32 v6, v27
	v_mov_b32_e32 v15, v7
	v_pk_mul_f32 v[6:7], v[10:11], v[6:7] op_sel:[1,0] op_sel_hi:[0,0]
	v_pk_fma_f32 v[8:9], v[10:11], v[26:27], v[6:7] neg_lo:[0,0,1] neg_hi:[0,0,1]
	v_pk_fma_f32 v[6:7], v[10:11], v[26:27], v[6:7] op_sel_hi:[1,0,1]
	v_pk_add_f32 v[4:5], v[4:5], v[14:15]
	v_mov_b32_e32 v9, v7
	s_waitcnt vmcnt(1) lgkmcnt(1)
	v_pk_mul_f32 v[6:7], v[32:33], v[28:29] op_sel:[1,1] op_sel_hi:[0,1]
	v_pk_add_f32 v[4:5], v[4:5], v[8:9]
	v_pk_fma_f32 v[8:9], v[32:33], v[28:29], v[6:7] neg_lo:[0,0,1] neg_hi:[0,0,1]
	v_pk_fma_f32 v[6:7], v[32:33], v[28:29], v[6:7] op_sel_hi:[1,0,1]
	s_nop 0
	v_mov_b32_e32 v6, v31
	v_mov_b32_e32 v9, v7
	v_pk_mul_f32 v[6:7], v[34:35], v[6:7] op_sel:[1,0] op_sel_hi:[0,0]
	v_pk_add_f32 v[4:5], v[4:5], v[8:9]
	v_pk_fma_f32 v[8:9], v[34:35], v[30:31], v[6:7] neg_lo:[0,0,1] neg_hi:[0,0,1]
	v_pk_fma_f32 v[6:7], v[34:35], v[30:31], v[6:7] op_sel_hi:[1,0,1]
	s_nop 0
	v_mov_b32_e32 v9, v7
	s_waitcnt vmcnt(0) lgkmcnt(0)
	v_pk_mul_f32 v[6:7], v[12:13], v[42:43] op_sel:[1,1] op_sel_hi:[0,1]
	v_pk_add_f32 v[4:5], v[4:5], v[8:9]
	v_pk_fma_f32 v[8:9], v[12:13], v[42:43], v[6:7] neg_lo:[0,0,1] neg_hi:[0,0,1]
	v_pk_fma_f32 v[6:7], v[12:13], v[42:43], v[6:7] op_sel_hi:[1,0,1]
	s_nop 0
	v_mov_b32_e32 v9, v7
	scratch_load_dwordx2 v[6:7], off, off offset:208
	v_pk_add_f32 v[4:5], v[4:5], v[8:9]
	s_waitcnt vmcnt(0)
	v_pk_add_f32 v[4:5], v[6:7], v[4:5] neg_lo:[0,1] neg_hi:[0,1]
	scratch_store_dwordx2 off, v[4:5], off offset:208
	s_and_saveexec_b64 s[0:1], vcc
	s_cbranch_execz .LBB37_191
; %bb.190:
	scratch_load_dwordx2 v[4:5], off, off offset:200
	v_mov_b32_e32 v3, v2
	scratch_store_dwordx2 off, v[2:3], off offset:200
	s_waitcnt vmcnt(1)
	ds_write_b64 v1, v[4:5]
.LBB37_191:
	s_or_b64 exec, exec, s[0:1]
	s_waitcnt lgkmcnt(0)
	; wave barrier
	ds_read_b128 v[4:7], v2 offset:512
	ds_read_b128 v[8:11], v2 offset:528
	;; [unrolled: 1-line block ×4, first 2 shown]
	scratch_load_dwordx4 v[20:23], off, off offset:208
	v_cmp_lt_u32_e32 vcc, 24, v0
	s_waitcnt vmcnt(0) lgkmcnt(3)
	v_mul_f32_e32 v3, v4, v21
	v_fmac_f32_e32 v3, v5, v20
	v_mul_f32_e32 v24, v6, v23
	v_add_f32_e32 v3, 0, v3
	v_fmac_f32_e32 v24, v7, v22
	v_add_f32_e32 v45, v3, v24
	scratch_load_dwordx4 v[24:27], off, off offset:224
	scratch_load_dwordx4 v[28:31], off, off offset:240
	;; [unrolled: 1-line block ×5, first 2 shown]
	v_mul_f32_e32 v3, v5, v21
	v_fma_f32 v3, v4, v20, -v3
	v_mul_f32_e32 v4, v7, v23
	v_fma_f32 v4, v6, v22, -v4
	v_add_f32_e32 v3, 0, v3
	v_add_f32_e32 v44, v3, v4
	s_waitcnt vmcnt(3) lgkmcnt(1)
	v_pk_mul_f32 v[20:21], v[12:13], v[28:29] op_sel:[1,1] op_sel_hi:[0,1]
	v_pk_fma_f32 v[22:23], v[12:13], v[28:29], v[20:21] neg_lo:[0,0,1] neg_hi:[0,0,1]
	v_pk_fma_f32 v[12:13], v[12:13], v[28:29], v[20:21] op_sel_hi:[1,0,1]
	v_mul_f32_e32 v47, v8, v25
	v_mov_b32_e32 v12, v31
	v_mul_f32_e32 v3, v9, v25
	v_mov_b32_e32 v23, v13
	v_pk_mul_f32 v[12:13], v[14:15], v[12:13] op_sel:[1,0] op_sel_hi:[0,0]
	v_fmac_f32_e32 v47, v9, v24
	v_mul_f32_e32 v49, v10, v27
	v_fma_f32 v46, v8, v24, -v3
	v_mul_f32_e32 v3, v11, v27
	v_pk_fma_f32 v[20:21], v[14:15], v[30:31], v[12:13] neg_lo:[0,0,1] neg_hi:[0,0,1]
	v_pk_fma_f32 v[12:13], v[14:15], v[30:31], v[12:13] op_sel_hi:[1,0,1]
	v_fmac_f32_e32 v49, v11, v26
	v_fma_f32 v48, v10, v26, -v3
	ds_read_b128 v[4:7], v2 offset:576
	ds_read_b128 v[8:11], v2 offset:592
	v_pk_add_f32 v[2:3], v[44:45], v[46:47]
	v_mov_b32_e32 v21, v13
	s_waitcnt vmcnt(2) lgkmcnt(2)
	v_pk_mul_f32 v[12:13], v[16:17], v[32:33] op_sel:[1,1] op_sel_hi:[0,1]
	v_pk_add_f32 v[2:3], v[2:3], v[48:49]
	v_pk_fma_f32 v[14:15], v[16:17], v[32:33], v[12:13] neg_lo:[0,0,1] neg_hi:[0,0,1]
	v_pk_fma_f32 v[12:13], v[16:17], v[32:33], v[12:13] op_sel_hi:[1,0,1]
	v_pk_add_f32 v[2:3], v[2:3], v[22:23]
	v_mov_b32_e32 v12, v35
	v_pk_add_f32 v[2:3], v[2:3], v[20:21]
	v_mov_b32_e32 v15, v13
	v_pk_mul_f32 v[12:13], v[18:19], v[12:13] op_sel:[1,0] op_sel_hi:[0,0]
	v_pk_add_f32 v[2:3], v[2:3], v[14:15]
	v_pk_fma_f32 v[14:15], v[18:19], v[34:35], v[12:13] neg_lo:[0,0,1] neg_hi:[0,0,1]
	v_pk_fma_f32 v[12:13], v[18:19], v[34:35], v[12:13] op_sel_hi:[1,0,1]
	s_nop 0
	v_mov_b32_e32 v15, v13
	s_waitcnt vmcnt(1) lgkmcnt(1)
	v_pk_mul_f32 v[12:13], v[4:5], v[36:37] op_sel:[1,1] op_sel_hi:[0,1]
	v_pk_add_f32 v[2:3], v[2:3], v[14:15]
	v_pk_fma_f32 v[14:15], v[4:5], v[36:37], v[12:13] neg_lo:[0,0,1] neg_hi:[0,0,1]
	v_pk_fma_f32 v[4:5], v[4:5], v[36:37], v[12:13] op_sel_hi:[1,0,1]
	s_nop 0
	v_mov_b32_e32 v4, v39
	v_mov_b32_e32 v15, v5
	v_pk_mul_f32 v[4:5], v[6:7], v[4:5] op_sel:[1,0] op_sel_hi:[0,0]
	v_pk_fma_f32 v[12:13], v[6:7], v[38:39], v[4:5] neg_lo:[0,0,1] neg_hi:[0,0,1]
	v_pk_fma_f32 v[4:5], v[6:7], v[38:39], v[4:5] op_sel_hi:[1,0,1]
	v_pk_add_f32 v[2:3], v[2:3], v[14:15]
	v_mov_b32_e32 v13, v5
	s_waitcnt vmcnt(0) lgkmcnt(0)
	v_pk_mul_f32 v[4:5], v[8:9], v[40:41] op_sel:[1,1] op_sel_hi:[0,1]
	v_pk_fma_f32 v[6:7], v[8:9], v[40:41], v[4:5] neg_lo:[0,0,1] neg_hi:[0,0,1]
	v_pk_fma_f32 v[4:5], v[8:9], v[40:41], v[4:5] op_sel_hi:[1,0,1]
	v_pk_add_f32 v[2:3], v[2:3], v[12:13]
	v_mov_b32_e32 v4, v43
	v_mov_b32_e32 v7, v5
	v_pk_mul_f32 v[4:5], v[10:11], v[4:5] op_sel:[1,0] op_sel_hi:[0,0]
	v_pk_add_f32 v[2:3], v[2:3], v[6:7]
	v_pk_fma_f32 v[6:7], v[10:11], v[42:43], v[4:5] neg_lo:[0,0,1] neg_hi:[0,0,1]
	v_pk_fma_f32 v[4:5], v[10:11], v[42:43], v[4:5] op_sel_hi:[1,0,1]
	s_nop 0
	v_mov_b32_e32 v7, v5
	scratch_load_dwordx2 v[4:5], off, off offset:200
	v_pk_add_f32 v[2:3], v[2:3], v[6:7]
	s_waitcnt vmcnt(0)
	v_pk_add_f32 v[2:3], v[4:5], v[2:3] neg_lo:[0,1] neg_hi:[0,1]
	scratch_store_dwordx2 off, v[2:3], off offset:200
	s_and_saveexec_b64 s[0:1], vcc
	s_cbranch_execz .LBB37_193
; %bb.192:
	scratch_load_dwordx2 v[2:3], off, off offset:192
	v_mov_b32_e32 v4, 0
	v_mov_b32_e32 v5, v4
	scratch_store_dwordx2 off, v[4:5], off offset:192
	s_waitcnt vmcnt(1)
	ds_write_b64 v1, v[2:3]
.LBB37_193:
	s_or_b64 exec, exec, s[0:1]
	s_waitcnt lgkmcnt(0)
	; wave barrier
	scratch_load_dwordx4 v[8:11], off, off offset:200
	scratch_load_dwordx4 v[16:19], off, off offset:216
	v_mov_b32_e32 v2, 0
	ds_read2_b64 v[4:7], v2 offset0:63 offset1:64
	scratch_load_dwordx4 v[24:27], off, off offset:232
	v_cmp_lt_u32_e32 vcc, 23, v0
	s_waitcnt vmcnt(2) lgkmcnt(0)
	v_mul_f32_e32 v3, v4, v9
	v_fmac_f32_e32 v3, v5, v8
	v_mul_f32_e32 v12, v6, v11
	v_add_f32_e32 v3, 0, v3
	v_fmac_f32_e32 v12, v7, v10
	v_add_f32_e32 v3, v3, v12
	ds_read2_b64 v[12:15], v2 offset0:65 offset1:66
	s_waitcnt vmcnt(1) lgkmcnt(0)
	v_mul_f32_e32 v20, v12, v17
	v_fmac_f32_e32 v20, v13, v16
	v_add_f32_e32 v41, v3, v20
	ds_read2_b64 v[20:23], v2 offset0:67 offset1:68
	scratch_load_dwordx4 v[28:31], off, off offset:248
	scratch_load_dwordx4 v[32:35], off, off offset:264
	scratch_load_dwordx4 v[36:39], off, off offset:280
	scratch_load_dwordx2 v[46:47], off, off offset:296
	v_mul_f32_e32 v3, v5, v9
	v_fma_f32 v3, v4, v8, -v3
	v_mul_f32_e32 v4, v7, v11
	v_add_f32_e32 v3, 0, v3
	v_fma_f32 v4, v6, v10, -v4
	v_add_f32_e32 v3, v3, v4
	v_mul_f32_e32 v4, v13, v17
	v_fma_f32 v4, v12, v16, -v4
	v_add_f32_e32 v40, v3, v4
	v_mul_f32_e32 v3, v15, v19
	v_fma_f32 v42, v14, v18, -v3
	s_waitcnt vmcnt(4) lgkmcnt(0)
	v_mul_f32_e32 v3, v21, v25
	v_mul_f32_e32 v43, v14, v19
	;; [unrolled: 1-line block ×3, first 2 shown]
	v_fma_f32 v44, v20, v24, -v3
	v_mov_b32_e32 v20, v27
	v_fmac_f32_e32 v43, v15, v18
	v_fmac_f32_e32 v45, v21, v24
	ds_read2_b64 v[4:7], v2 offset0:69 offset1:70
	ds_read2_b64 v[8:11], v2 offset0:71 offset1:72
	;; [unrolled: 1-line block ×3, first 2 shown]
	ds_read_b64 v[16:17], v2 offset:600
	v_pk_mul_f32 v[20:21], v[22:23], v[20:21] op_sel:[1,0] op_sel_hi:[0,0]
	v_pk_fma_f32 v[24:25], v[22:23], v[26:27], v[20:21] neg_lo:[0,0,1] neg_hi:[0,0,1]
	v_pk_fma_f32 v[20:21], v[22:23], v[26:27], v[20:21] op_sel_hi:[1,0,1]
	v_pk_add_f32 v[18:19], v[40:41], v[42:43]
	v_mov_b32_e32 v25, v21
	v_pk_add_f32 v[18:19], v[18:19], v[44:45]
	s_waitcnt vmcnt(3) lgkmcnt(3)
	v_pk_mul_f32 v[20:21], v[4:5], v[28:29] op_sel:[1,1] op_sel_hi:[0,1]
	v_pk_fma_f32 v[22:23], v[4:5], v[28:29], v[20:21] neg_lo:[0,0,1] neg_hi:[0,0,1]
	v_pk_fma_f32 v[4:5], v[4:5], v[28:29], v[20:21] op_sel_hi:[1,0,1]
	v_pk_add_f32 v[18:19], v[18:19], v[24:25]
	v_mov_b32_e32 v23, v5
	v_pk_add_f32 v[4:5], v[18:19], v[22:23]
	v_mov_b32_e32 v18, v31
	v_pk_mul_f32 v[18:19], v[6:7], v[18:19] op_sel:[1,0] op_sel_hi:[0,0]
	v_pk_fma_f32 v[20:21], v[6:7], v[30:31], v[18:19] neg_lo:[0,0,1] neg_hi:[0,0,1]
	v_pk_fma_f32 v[6:7], v[6:7], v[30:31], v[18:19] op_sel_hi:[1,0,1]
	s_nop 0
	v_mov_b32_e32 v21, v7
	s_waitcnt vmcnt(2) lgkmcnt(2)
	v_pk_mul_f32 v[6:7], v[8:9], v[32:33] op_sel:[1,1] op_sel_hi:[0,1]
	v_pk_fma_f32 v[18:19], v[8:9], v[32:33], v[6:7] neg_lo:[0,0,1] neg_hi:[0,0,1]
	v_pk_fma_f32 v[6:7], v[8:9], v[32:33], v[6:7] op_sel_hi:[1,0,1]
	v_pk_add_f32 v[4:5], v[4:5], v[20:21]
	v_mov_b32_e32 v6, v35
	v_mov_b32_e32 v19, v7
	v_pk_mul_f32 v[6:7], v[10:11], v[6:7] op_sel:[1,0] op_sel_hi:[0,0]
	v_pk_fma_f32 v[8:9], v[10:11], v[34:35], v[6:7] neg_lo:[0,0,1] neg_hi:[0,0,1]
	v_pk_fma_f32 v[6:7], v[10:11], v[34:35], v[6:7] op_sel_hi:[1,0,1]
	v_pk_add_f32 v[4:5], v[4:5], v[18:19]
	v_mov_b32_e32 v9, v7
	s_waitcnt vmcnt(1) lgkmcnt(1)
	v_pk_mul_f32 v[6:7], v[12:13], v[36:37] op_sel:[1,1] op_sel_hi:[0,1]
	v_pk_add_f32 v[4:5], v[4:5], v[8:9]
	v_pk_fma_f32 v[8:9], v[12:13], v[36:37], v[6:7] neg_lo:[0,0,1] neg_hi:[0,0,1]
	v_pk_fma_f32 v[6:7], v[12:13], v[36:37], v[6:7] op_sel_hi:[1,0,1]
	s_nop 0
	v_mov_b32_e32 v6, v39
	v_mov_b32_e32 v9, v7
	v_pk_mul_f32 v[6:7], v[14:15], v[6:7] op_sel:[1,0] op_sel_hi:[0,0]
	v_pk_add_f32 v[4:5], v[4:5], v[8:9]
	v_pk_fma_f32 v[8:9], v[14:15], v[38:39], v[6:7] neg_lo:[0,0,1] neg_hi:[0,0,1]
	v_pk_fma_f32 v[6:7], v[14:15], v[38:39], v[6:7] op_sel_hi:[1,0,1]
	s_nop 0
	v_mov_b32_e32 v9, v7
	s_waitcnt vmcnt(0) lgkmcnt(0)
	v_pk_mul_f32 v[6:7], v[16:17], v[46:47] op_sel:[1,1] op_sel_hi:[0,1]
	v_pk_add_f32 v[4:5], v[4:5], v[8:9]
	v_pk_fma_f32 v[8:9], v[16:17], v[46:47], v[6:7] neg_lo:[0,0,1] neg_hi:[0,0,1]
	v_pk_fma_f32 v[6:7], v[16:17], v[46:47], v[6:7] op_sel_hi:[1,0,1]
	s_nop 0
	v_mov_b32_e32 v9, v7
	scratch_load_dwordx2 v[6:7], off, off offset:192
	v_pk_add_f32 v[4:5], v[4:5], v[8:9]
	s_waitcnt vmcnt(0)
	v_pk_add_f32 v[4:5], v[6:7], v[4:5] neg_lo:[0,1] neg_hi:[0,1]
	scratch_store_dwordx2 off, v[4:5], off offset:192
	s_and_saveexec_b64 s[0:1], vcc
	s_cbranch_execz .LBB37_195
; %bb.194:
	scratch_load_dwordx2 v[4:5], off, off offset:184
	v_mov_b32_e32 v3, v2
	scratch_store_dwordx2 off, v[2:3], off offset:184
	s_waitcnt vmcnt(1)
	ds_write_b64 v1, v[4:5]
.LBB37_195:
	s_or_b64 exec, exec, s[0:1]
	s_waitcnt lgkmcnt(0)
	; wave barrier
	ds_read_b128 v[4:7], v2 offset:496
	ds_read_b128 v[8:11], v2 offset:512
	;; [unrolled: 1-line block ×4, first 2 shown]
	scratch_load_dwordx4 v[20:23], off, off offset:192
	v_cmp_lt_u32_e32 vcc, 22, v0
	s_waitcnt vmcnt(0) lgkmcnt(3)
	v_mul_f32_e32 v3, v4, v21
	v_fmac_f32_e32 v3, v5, v20
	v_mul_f32_e32 v24, v6, v23
	v_add_f32_e32 v3, 0, v3
	v_fmac_f32_e32 v24, v7, v22
	v_add_f32_e32 v3, v3, v24
	scratch_load_dwordx4 v[24:27], off, off offset:208
	s_waitcnt vmcnt(0) lgkmcnt(2)
	v_mul_f32_e32 v28, v8, v25
	v_fmac_f32_e32 v28, v9, v24
	v_add_f32_e32 v3, v3, v28
	v_mul_f32_e32 v28, v10, v27
	v_fmac_f32_e32 v28, v11, v26
	v_add_f32_e32 v49, v3, v28
	scratch_load_dwordx4 v[28:31], off, off offset:224
	scratch_load_dwordx4 v[32:35], off, off offset:240
	;; [unrolled: 1-line block ×5, first 2 shown]
	v_mul_f32_e32 v3, v5, v21
	v_fma_f32 v3, v4, v20, -v3
	v_mul_f32_e32 v4, v7, v23
	v_add_f32_e32 v3, 0, v3
	v_fma_f32 v4, v6, v22, -v4
	v_add_f32_e32 v3, v3, v4
	v_mul_f32_e32 v4, v9, v25
	v_fma_f32 v4, v8, v24, -v4
	v_add_f32_e32 v3, v3, v4
	v_mul_f32_e32 v4, v11, v27
	v_fma_f32 v4, v10, v26, -v4
	v_add_f32_e32 v48, v3, v4
	s_waitcnt vmcnt(3) lgkmcnt(0)
	v_pk_mul_f32 v[20:21], v[16:17], v[32:33] op_sel:[1,1] op_sel_hi:[0,1]
	v_pk_fma_f32 v[22:23], v[16:17], v[32:33], v[20:21] neg_lo:[0,0,1] neg_hi:[0,0,1]
	v_mul_f32_e32 v3, v13, v29
	v_mul_f32_e32 v51, v12, v29
	;; [unrolled: 1-line block ×3, first 2 shown]
	v_fma_f32 v50, v12, v28, -v3
	v_mul_f32_e32 v3, v15, v31
	v_pk_fma_f32 v[16:17], v[16:17], v[32:33], v[20:21] op_sel_hi:[1,0,1]
	v_fmac_f32_e32 v51, v13, v28
	v_fmac_f32_e32 v53, v15, v30
	v_fma_f32 v52, v14, v30, -v3
	ds_read_b128 v[4:7], v2 offset:560
	ds_read_b128 v[8:11], v2 offset:576
	;; [unrolled: 1-line block ×3, first 2 shown]
	v_mov_b32_e32 v16, v35
	v_mov_b32_e32 v23, v17
	v_pk_mul_f32 v[16:17], v[18:19], v[16:17] op_sel:[1,0] op_sel_hi:[0,0]
	v_pk_fma_f32 v[20:21], v[18:19], v[34:35], v[16:17] neg_lo:[0,0,1] neg_hi:[0,0,1]
	v_pk_fma_f32 v[16:17], v[18:19], v[34:35], v[16:17] op_sel_hi:[1,0,1]
	v_pk_add_f32 v[2:3], v[48:49], v[50:51]
	v_mov_b32_e32 v21, v17
	s_waitcnt vmcnt(2) lgkmcnt(2)
	v_pk_mul_f32 v[16:17], v[4:5], v[36:37] op_sel:[1,1] op_sel_hi:[0,1]
	v_pk_fma_f32 v[18:19], v[4:5], v[36:37], v[16:17] neg_lo:[0,0,1] neg_hi:[0,0,1]
	v_pk_fma_f32 v[4:5], v[4:5], v[36:37], v[16:17] op_sel_hi:[1,0,1]
	v_pk_add_f32 v[2:3], v[2:3], v[52:53]
	v_mov_b32_e32 v4, v39
	v_mov_b32_e32 v19, v5
	v_pk_mul_f32 v[4:5], v[6:7], v[4:5] op_sel:[1,0] op_sel_hi:[0,0]
	v_pk_fma_f32 v[16:17], v[6:7], v[38:39], v[4:5] neg_lo:[0,0,1] neg_hi:[0,0,1]
	v_pk_fma_f32 v[4:5], v[6:7], v[38:39], v[4:5] op_sel_hi:[1,0,1]
	v_pk_add_f32 v[2:3], v[2:3], v[22:23]
	v_mov_b32_e32 v17, v5
	s_waitcnt vmcnt(1) lgkmcnt(1)
	v_pk_mul_f32 v[4:5], v[8:9], v[40:41] op_sel:[1,1] op_sel_hi:[0,1]
	v_pk_add_f32 v[2:3], v[2:3], v[20:21]
	v_pk_fma_f32 v[6:7], v[8:9], v[40:41], v[4:5] neg_lo:[0,0,1] neg_hi:[0,0,1]
	v_pk_fma_f32 v[4:5], v[8:9], v[40:41], v[4:5] op_sel_hi:[1,0,1]
	v_pk_add_f32 v[2:3], v[2:3], v[18:19]
	v_mov_b32_e32 v4, v43
	v_pk_add_f32 v[2:3], v[2:3], v[16:17]
	v_mov_b32_e32 v7, v5
	v_pk_mul_f32 v[4:5], v[10:11], v[4:5] op_sel:[1,0] op_sel_hi:[0,0]
	v_pk_add_f32 v[2:3], v[2:3], v[6:7]
	v_pk_fma_f32 v[6:7], v[10:11], v[42:43], v[4:5] neg_lo:[0,0,1] neg_hi:[0,0,1]
	v_pk_fma_f32 v[4:5], v[10:11], v[42:43], v[4:5] op_sel_hi:[1,0,1]
	s_nop 0
	v_mov_b32_e32 v7, v5
	s_waitcnt vmcnt(0) lgkmcnt(0)
	v_pk_mul_f32 v[4:5], v[12:13], v[44:45] op_sel:[1,1] op_sel_hi:[0,1]
	v_pk_add_f32 v[2:3], v[2:3], v[6:7]
	v_pk_fma_f32 v[6:7], v[12:13], v[44:45], v[4:5] neg_lo:[0,0,1] neg_hi:[0,0,1]
	v_pk_fma_f32 v[4:5], v[12:13], v[44:45], v[4:5] op_sel_hi:[1,0,1]
	s_nop 0
	v_mov_b32_e32 v4, v47
	v_mov_b32_e32 v7, v5
	v_pk_mul_f32 v[4:5], v[14:15], v[4:5] op_sel:[1,0] op_sel_hi:[0,0]
	v_pk_add_f32 v[2:3], v[2:3], v[6:7]
	v_pk_fma_f32 v[6:7], v[14:15], v[46:47], v[4:5] neg_lo:[0,0,1] neg_hi:[0,0,1]
	v_pk_fma_f32 v[4:5], v[14:15], v[46:47], v[4:5] op_sel_hi:[1,0,1]
	s_nop 0
	v_mov_b32_e32 v7, v5
	scratch_load_dwordx2 v[4:5], off, off offset:184
	v_pk_add_f32 v[2:3], v[2:3], v[6:7]
	s_waitcnt vmcnt(0)
	v_pk_add_f32 v[2:3], v[4:5], v[2:3] neg_lo:[0,1] neg_hi:[0,1]
	scratch_store_dwordx2 off, v[2:3], off offset:184
	s_and_saveexec_b64 s[0:1], vcc
	s_cbranch_execz .LBB37_197
; %bb.196:
	scratch_load_dwordx2 v[2:3], off, off offset:176
	v_mov_b32_e32 v4, 0
	v_mov_b32_e32 v5, v4
	scratch_store_dwordx2 off, v[4:5], off offset:176
	s_waitcnt vmcnt(1)
	ds_write_b64 v1, v[2:3]
.LBB37_197:
	s_or_b64 exec, exec, s[0:1]
	s_waitcnt lgkmcnt(0)
	; wave barrier
	scratch_load_dwordx4 v[4:7], off, off offset:184
	scratch_load_dwordx4 v[8:11], off, off offset:200
	;; [unrolled: 1-line block ×7, first 2 shown]
	scratch_load_dwordx2 v[60:61], off, off offset:296
	scratch_load_dwordx2 v[62:63], off, off offset:176
	v_mov_b32_e32 v2, 0
	ds_read2_b64 v[32:35], v2 offset0:61 offset1:62
	ds_read2_b64 v[36:39], v2 offset0:63 offset1:64
	;; [unrolled: 1-line block ×7, first 2 shown]
	ds_read_b64 v[64:65], v2 offset:600
	v_cmp_lt_u32_e32 vcc, 21, v0
	s_waitcnt vmcnt(8) lgkmcnt(7)
	v_mul_f32_e32 v71, v34, v7
	v_mul_f32_e32 v3, v32, v5
	s_waitcnt vmcnt(7) lgkmcnt(6)
	v_mul_f32_e32 v75, v36, v9
	s_waitcnt vmcnt(6) lgkmcnt(5)
	v_mul_f32_e32 v83, v40, v13
	v_mul_f32_e32 v67, v42, v15
	;; [unrolled: 1-line block ×5, first 2 shown]
	s_waitcnt vmcnt(5)
	v_mov_b32_e32 v70, v19
	s_waitcnt vmcnt(3) lgkmcnt(2)
	v_pk_mul_f32 v[76:77], v[52:53], v[24:25] op_sel:[1,1] op_sel_hi:[0,1]
	s_waitcnt vmcnt(2) lgkmcnt(1)
	v_pk_mul_f32 v[80:81], v[56:57], v[28:29] op_sel:[1,1] op_sel_hi:[0,1]
	v_fmac_f32_e32 v71, v35, v6
	v_mul_f32_e32 v7, v35, v7
	v_mul_f32_e32 v9, v37, v9
	v_fmac_f32_e32 v3, v33, v4
	v_fmac_f32_e32 v75, v37, v8
	;; [unrolled: 1-line block ×4, first 2 shown]
	v_fma_f32 v32, v32, v4, -v5
	v_fma_f32 v37, v40, v12, -v13
	v_fma_f32 v66, v42, v14, -v15
	v_pk_mul_f32 v[4:5], v[46:47], v[70:71] op_sel:[1,0] op_sel_hi:[0,0]
	v_pk_fma_f32 v[12:13], v[52:53], v[24:25], v[76:77] neg_lo:[0,0,1] neg_hi:[0,0,1]
	v_pk_fma_f32 v[14:15], v[52:53], v[24:25], v[76:77] op_sel_hi:[1,0,1]
	v_pk_fma_f32 v[24:25], v[56:57], v[28:29], v[80:81] op_sel_hi:[1,0,1]
	v_fma_f32 v34, v34, v6, -v7
	v_add_f32_e32 v3, 0, v3
	v_add_f32_e32 v24, 0, v32
	v_pk_fma_f32 v[32:33], v[46:47], v[18:19], v[4:5] neg_lo:[0,0,1] neg_hi:[0,0,1]
	v_pk_fma_f32 v[4:5], v[46:47], v[18:19], v[4:5] op_sel_hi:[1,0,1]
	v_mul_f32_e32 v79, v38, v11
	v_mul_f32_e32 v11, v39, v11
	v_fma_f32 v35, v36, v8, -v9
	v_add_f32_e32 v3, v3, v71
	v_add_f32_e32 v4, v24, v34
	v_fmac_f32_e32 v79, v39, v10
	v_fma_f32 v36, v38, v10, -v11
	v_add_f32_e32 v3, v3, v75
	v_add_f32_e32 v4, v4, v35
	;; [unrolled: 1-line block ×4, first 2 shown]
	v_mul_f32_e32 v69, v44, v17
	v_mul_f32_e32 v17, v45, v17
	v_mov_b32_e32 v33, v5
	v_add_f32_e32 v5, v3, v83
	v_add_f32_e32 v4, v4, v37
	v_pk_mul_f32 v[72:73], v[48:49], v[20:21] op_sel:[1,1] op_sel_hi:[0,1]
	v_mov_b32_e32 v74, v23
	v_fmac_f32_e32 v69, v45, v16
	v_fma_f32 v68, v44, v16, -v17
	v_pk_add_f32 v[4:5], v[4:5], v[66:67]
	v_pk_fma_f32 v[6:7], v[48:49], v[20:21], v[72:73] neg_lo:[0,0,1] neg_hi:[0,0,1]
	v_pk_fma_f32 v[8:9], v[48:49], v[20:21], v[72:73] op_sel_hi:[1,0,1]
	v_pk_mul_f32 v[10:11], v[50:51], v[74:75] op_sel:[1,0] op_sel_hi:[0,0]
	v_pk_add_f32 v[4:5], v[4:5], v[68:69]
	v_mov_b32_e32 v78, v27
	v_mov_b32_e32 v7, v9
	v_pk_fma_f32 v[8:9], v[50:51], v[22:23], v[10:11] neg_lo:[0,0,1] neg_hi:[0,0,1]
	v_pk_fma_f32 v[10:11], v[50:51], v[22:23], v[10:11] op_sel_hi:[1,0,1]
	v_pk_add_f32 v[4:5], v[4:5], v[32:33]
	v_pk_mul_f32 v[16:17], v[54:55], v[78:79] op_sel:[1,0] op_sel_hi:[0,0]
	v_mov_b32_e32 v9, v11
	v_pk_add_f32 v[4:5], v[4:5], v[6:7]
	v_mov_b32_e32 v82, v31
	v_mov_b32_e32 v13, v15
	v_pk_fma_f32 v[14:15], v[54:55], v[26:27], v[16:17] neg_lo:[0,0,1] neg_hi:[0,0,1]
	v_pk_fma_f32 v[16:17], v[54:55], v[26:27], v[16:17] op_sel_hi:[1,0,1]
	v_pk_add_f32 v[4:5], v[4:5], v[8:9]
	v_pk_fma_f32 v[20:21], v[56:57], v[28:29], v[80:81] neg_lo:[0,0,1] neg_hi:[0,0,1]
	v_pk_mul_f32 v[28:29], v[58:59], v[82:83] op_sel:[1,0] op_sel_hi:[0,0]
	v_mov_b32_e32 v15, v17
	v_pk_add_f32 v[4:5], v[4:5], v[12:13]
	v_mov_b32_e32 v21, v25
	v_pk_add_f32 v[4:5], v[4:5], v[14:15]
	v_pk_fma_f32 v[6:7], v[58:59], v[30:31], v[28:29] neg_lo:[0,0,1] neg_hi:[0,0,1]
	v_pk_fma_f32 v[8:9], v[58:59], v[30:31], v[28:29] op_sel_hi:[1,0,1]
	v_pk_add_f32 v[4:5], v[4:5], v[20:21]
	v_mov_b32_e32 v7, v9
	v_pk_add_f32 v[4:5], v[4:5], v[6:7]
	s_waitcnt vmcnt(1) lgkmcnt(0)
	v_pk_mul_f32 v[6:7], v[64:65], v[60:61] op_sel:[1,1] op_sel_hi:[0,1]
	v_pk_fma_f32 v[8:9], v[64:65], v[60:61], v[6:7] neg_lo:[0,0,1] neg_hi:[0,0,1]
	v_pk_fma_f32 v[6:7], v[64:65], v[60:61], v[6:7] op_sel_hi:[1,0,1]
	s_nop 0
	v_mov_b32_e32 v9, v7
	v_pk_add_f32 v[4:5], v[4:5], v[8:9]
	s_waitcnt vmcnt(0)
	v_pk_add_f32 v[4:5], v[62:63], v[4:5] neg_lo:[0,1] neg_hi:[0,1]
	scratch_store_dwordx2 off, v[4:5], off offset:176
	s_and_saveexec_b64 s[0:1], vcc
	s_cbranch_execz .LBB37_199
; %bb.198:
	scratch_load_dwordx2 v[4:5], off, off offset:168
	v_mov_b32_e32 v3, v2
	scratch_store_dwordx2 off, v[2:3], off offset:168
	s_waitcnt vmcnt(1)
	ds_write_b64 v1, v[4:5]
.LBB37_199:
	s_or_b64 exec, exec, s[0:1]
	s_waitcnt lgkmcnt(0)
	; wave barrier
	scratch_load_dwordx4 v[4:7], off, off offset:176
	scratch_load_dwordx4 v[8:11], off, off offset:192
	;; [unrolled: 1-line block ×7, first 2 shown]
	ds_read_b128 v[32:35], v2 offset:480
	ds_read_b128 v[36:39], v2 offset:496
	;; [unrolled: 1-line block ×4, first 2 shown]
	scratch_load_dwordx4 v[48:51], off, off offset:288
	ds_read_b128 v[52:55], v2 offset:544
	ds_read_b128 v[56:59], v2 offset:560
	;; [unrolled: 1-line block ×4, first 2 shown]
	scratch_load_dwordx2 v[2:3], off, off offset:168
	v_cmp_lt_u32_e32 vcc, 20, v0
	s_waitcnt vmcnt(8) lgkmcnt(7)
	v_mul_f32_e32 v75, v32, v5
	v_mul_f32_e32 v79, v34, v7
	s_waitcnt vmcnt(7) lgkmcnt(6)
	v_mul_f32_e32 v83, v36, v9
	v_mul_f32_e32 v84, v38, v11
	;; [unrolled: 3-line block ×3, first 2 shown]
	v_mul_f32_e32 v5, v33, v5
	v_mul_f32_e32 v7, v35, v7
	;; [unrolled: 1-line block ×6, first 2 shown]
	s_waitcnt vmcnt(4) lgkmcnt(3)
	v_pk_mul_f32 v[72:73], v[52:53], v[20:21] op_sel:[1,1] op_sel_hi:[0,1]
	v_mov_b32_e32 v74, v23
	s_waitcnt vmcnt(3) lgkmcnt(2)
	v_pk_mul_f32 v[76:77], v[56:57], v[24:25] op_sel:[1,1] op_sel_hi:[0,1]
	v_mov_b32_e32 v78, v27
	v_fmac_f32_e32 v75, v33, v4
	v_fmac_f32_e32 v79, v35, v6
	;; [unrolled: 1-line block ×6, first 2 shown]
	v_fma_f32 v32, v32, v4, -v5
	v_fma_f32 v33, v34, v6, -v7
	;; [unrolled: 1-line block ×6, first 2 shown]
	v_pk_fma_f32 v[4:5], v[52:53], v[20:21], v[72:73] neg_lo:[0,0,1] neg_hi:[0,0,1]
	v_pk_fma_f32 v[6:7], v[52:53], v[20:21], v[72:73] op_sel_hi:[1,0,1]
	v_pk_mul_f32 v[8:9], v[54:55], v[74:75] op_sel:[1,0] op_sel_hi:[0,0]
	v_pk_fma_f32 v[10:11], v[56:57], v[24:25], v[76:77] neg_lo:[0,0,1] neg_hi:[0,0,1]
	v_pk_fma_f32 v[12:13], v[56:57], v[24:25], v[76:77] op_sel_hi:[1,0,1]
	v_pk_mul_f32 v[14:15], v[58:59], v[78:79] op_sel:[1,0] op_sel_hi:[0,0]
	v_add_f32_e32 v24, 0, v75
	v_add_f32_e32 v25, 0, v32
	v_mov_b32_e32 v5, v7
	v_pk_fma_f32 v[6:7], v[54:55], v[22:23], v[8:9] neg_lo:[0,0,1] neg_hi:[0,0,1]
	v_pk_fma_f32 v[8:9], v[54:55], v[22:23], v[8:9] op_sel_hi:[1,0,1]
	v_mov_b32_e32 v11, v13
	v_pk_fma_f32 v[12:13], v[58:59], v[26:27], v[14:15] neg_lo:[0,0,1] neg_hi:[0,0,1]
	v_pk_fma_f32 v[14:15], v[58:59], v[26:27], v[14:15] op_sel_hi:[1,0,1]
	v_add_f32_e32 v8, v24, v79
	v_add_f32_e32 v14, v25, v33
	v_mov_b32_e32 v7, v9
	v_add_f32_e32 v8, v8, v83
	v_add_f32_e32 v9, v14, v34
	;; [unrolled: 1-line block ×4, first 2 shown]
	v_mul_f32_e32 v69, v44, v17
	v_mul_f32_e32 v17, v45, v17
	v_add_f32_e32 v8, v8, v85
	v_add_f32_e32 v14, v9, v36
	v_mul_f32_e32 v71, v46, v19
	v_mul_f32_e32 v19, v47, v19
	v_fmac_f32_e32 v69, v45, v16
	v_fma_f32 v68, v44, v16, -v17
	v_add_f32_e32 v9, v8, v86
	v_add_f32_e32 v8, v14, v37
	v_fmac_f32_e32 v71, v47, v18
	v_fma_f32 v70, v46, v18, -v19
	v_pk_add_f32 v[8:9], v[8:9], v[68:69]
	s_waitcnt vmcnt(2) lgkmcnt(1)
	v_pk_mul_f32 v[80:81], v[60:61], v[28:29] op_sel:[1,1] op_sel_hi:[0,1]
	v_mov_b32_e32 v82, v31
	v_pk_add_f32 v[8:9], v[8:9], v[70:71]
	v_pk_fma_f32 v[16:17], v[60:61], v[28:29], v[80:81] neg_lo:[0,0,1] neg_hi:[0,0,1]
	v_pk_fma_f32 v[18:19], v[60:61], v[28:29], v[80:81] op_sel_hi:[1,0,1]
	v_pk_mul_f32 v[20:21], v[62:63], v[82:83] op_sel:[1,0] op_sel_hi:[0,0]
	v_pk_add_f32 v[4:5], v[8:9], v[4:5]
	v_mov_b32_e32 v17, v19
	v_pk_fma_f32 v[18:19], v[62:63], v[30:31], v[20:21] neg_lo:[0,0,1] neg_hi:[0,0,1]
	v_pk_add_f32 v[4:5], v[4:5], v[6:7]
	v_pk_fma_f32 v[6:7], v[62:63], v[30:31], v[20:21] op_sel_hi:[1,0,1]
	v_mov_b32_e32 v13, v15
	v_pk_add_f32 v[4:5], v[4:5], v[10:11]
	v_mov_b32_e32 v19, v7
	s_waitcnt vmcnt(1) lgkmcnt(0)
	v_pk_mul_f32 v[6:7], v[64:65], v[48:49] op_sel:[1,1] op_sel_hi:[0,1]
	v_pk_add_f32 v[4:5], v[4:5], v[12:13]
	v_pk_fma_f32 v[8:9], v[64:65], v[48:49], v[6:7] neg_lo:[0,0,1] neg_hi:[0,0,1]
	v_pk_fma_f32 v[6:7], v[64:65], v[48:49], v[6:7] op_sel_hi:[1,0,1]
	v_pk_add_f32 v[4:5], v[4:5], v[16:17]
	v_mov_b32_e32 v6, v51
	v_pk_add_f32 v[4:5], v[4:5], v[18:19]
	v_mov_b32_e32 v9, v7
	v_pk_mul_f32 v[6:7], v[66:67], v[6:7] op_sel:[1,0] op_sel_hi:[0,0]
	v_pk_add_f32 v[4:5], v[4:5], v[8:9]
	v_pk_fma_f32 v[8:9], v[66:67], v[50:51], v[6:7] neg_lo:[0,0,1] neg_hi:[0,0,1]
	v_pk_fma_f32 v[6:7], v[66:67], v[50:51], v[6:7] op_sel_hi:[1,0,1]
	s_nop 0
	v_mov_b32_e32 v9, v7
	v_pk_add_f32 v[4:5], v[4:5], v[8:9]
	s_waitcnt vmcnt(0)
	v_pk_add_f32 v[2:3], v[2:3], v[4:5] neg_lo:[0,1] neg_hi:[0,1]
	scratch_store_dwordx2 off, v[2:3], off offset:168
	s_and_saveexec_b64 s[0:1], vcc
	s_cbranch_execz .LBB37_201
; %bb.200:
	scratch_load_dwordx2 v[2:3], off, off offset:160
	v_mov_b32_e32 v4, 0
	v_mov_b32_e32 v5, v4
	scratch_store_dwordx2 off, v[4:5], off offset:160
	s_waitcnt vmcnt(1)
	ds_write_b64 v1, v[2:3]
.LBB37_201:
	s_or_b64 exec, exec, s[0:1]
	s_waitcnt lgkmcnt(0)
	; wave barrier
	scratch_load_dwordx4 v[4:7], off, off offset:168
	scratch_load_dwordx4 v[8:11], off, off offset:184
	;; [unrolled: 1-line block ×8, first 2 shown]
	scratch_load_dwordx2 v[68:69], off, off offset:296
	scratch_load_dwordx2 v[70:71], off, off offset:160
	v_mov_b32_e32 v2, 0
	ds_read2_b64 v[36:39], v2 offset0:59 offset1:60
	ds_read2_b64 v[40:43], v2 offset0:61 offset1:62
	;; [unrolled: 1-line block ×8, first 2 shown]
	ds_read_b64 v[72:73], v2 offset:600
	v_cmp_lt_u32_e32 vcc, 19, v0
	s_waitcnt vmcnt(9) lgkmcnt(8)
	v_mul_f32_e32 v79, v38, v7
	v_mul_f32_e32 v3, v36, v5
	s_waitcnt vmcnt(8) lgkmcnt(7)
	v_mul_f32_e32 v83, v40, v9
	s_waitcnt vmcnt(7) lgkmcnt(6)
	v_mul_f32_e32 v87, v44, v13
	v_mul_f32_e32 v5, v37, v5
	v_mul_f32_e32 v7, v39, v7
	v_mul_f32_e32 v9, v41, v9
	v_mul_f32_e32 v13, v45, v13
	s_waitcnt vmcnt(5)
	v_mov_b32_e32 v78, v23
	s_waitcnt vmcnt(3) lgkmcnt(2)
	v_pk_mul_f32 v[84:85], v[60:61], v[28:29] op_sel:[1,1] op_sel_hi:[0,1]
	v_fmac_f32_e32 v79, v39, v6
	v_mul_f32_e32 v86, v42, v11
	v_mul_f32_e32 v89, v48, v17
	;; [unrolled: 1-line block ×4, first 2 shown]
	v_fmac_f32_e32 v3, v37, v4
	v_fmac_f32_e32 v87, v45, v12
	v_fma_f32 v36, v36, v4, -v5
	v_fma_f32 v37, v38, v6, -v7
	;; [unrolled: 1-line block ×4, first 2 shown]
	v_pk_mul_f32 v[4:5], v[54:55], v[78:79] op_sel:[1,0] op_sel_hi:[0,0]
	v_pk_fma_f32 v[12:13], v[60:61], v[28:29], v[84:85] neg_lo:[0,0,1] neg_hi:[0,0,1]
	v_fmac_f32_e32 v89, v49, v16
	v_fma_f32 v39, v42, v10, -v11
	v_fma_f32 v42, v48, v16, -v17
	v_add_f32_e32 v3, 0, v3
	v_add_f32_e32 v13, 0, v36
	v_pk_fma_f32 v[16:17], v[54:55], v[22:23], v[4:5] neg_lo:[0,0,1] neg_hi:[0,0,1]
	v_pk_fma_f32 v[4:5], v[54:55], v[22:23], v[4:5] op_sel_hi:[1,0,1]
	v_fmac_f32_e32 v83, v41, v8
	v_add_f32_e32 v3, v3, v79
	v_add_f32_e32 v4, v13, v37
	v_fmac_f32_e32 v86, v43, v10
	v_add_f32_e32 v3, v3, v83
	v_add_f32_e32 v4, v4, v38
	v_mul_f32_e32 v88, v46, v15
	v_mul_f32_e32 v15, v47, v15
	v_add_f32_e32 v3, v3, v86
	v_add_f32_e32 v4, v4, v39
	v_fmac_f32_e32 v88, v47, v14
	v_fma_f32 v41, v46, v14, -v15
	v_add_f32_e32 v3, v3, v87
	v_add_f32_e32 v4, v4, v40
	v_mul_f32_e32 v75, v50, v19
	v_mul_f32_e32 v19, v51, v19
	v_add_f32_e32 v3, v3, v88
	v_add_f32_e32 v4, v4, v41
	v_mul_f32_e32 v77, v52, v21
	v_mul_f32_e32 v21, v53, v21
	v_fmac_f32_e32 v75, v51, v18
	v_fma_f32 v74, v50, v18, -v19
	v_mov_b32_e32 v17, v5
	v_add_f32_e32 v5, v3, v89
	v_add_f32_e32 v4, v4, v42
	v_pk_mul_f32 v[80:81], v[56:57], v[24:25] op_sel:[1,1] op_sel_hi:[0,1]
	v_fmac_f32_e32 v77, v53, v20
	v_fma_f32 v76, v52, v20, -v21
	v_pk_add_f32 v[4:5], v[4:5], v[74:75]
	v_mov_b32_e32 v82, v27
	v_pk_fma_f32 v[6:7], v[56:57], v[24:25], v[80:81] neg_lo:[0,0,1] neg_hi:[0,0,1]
	v_pk_fma_f32 v[8:9], v[56:57], v[24:25], v[80:81] op_sel_hi:[1,0,1]
	v_pk_add_f32 v[4:5], v[4:5], v[76:77]
	v_pk_mul_f32 v[10:11], v[58:59], v[82:83] op_sel:[1,0] op_sel_hi:[0,0]
	v_mov_b32_e32 v7, v9
	v_pk_add_f32 v[4:5], v[4:5], v[16:17]
	v_pk_fma_f32 v[8:9], v[58:59], v[26:27], v[10:11] neg_lo:[0,0,1] neg_hi:[0,0,1]
	v_pk_fma_f32 v[10:11], v[58:59], v[26:27], v[10:11] op_sel_hi:[1,0,1]
	v_pk_add_f32 v[4:5], v[4:5], v[6:7]
	v_mov_b32_e32 v6, v31
	v_pk_fma_f32 v[14:15], v[60:61], v[28:29], v[84:85] op_sel_hi:[1,0,1]
	v_mov_b32_e32 v9, v11
	v_pk_mul_f32 v[6:7], v[62:63], v[6:7] op_sel:[1,0] op_sel_hi:[0,0]
	v_pk_add_f32 v[4:5], v[4:5], v[8:9]
	v_mov_b32_e32 v13, v15
	v_pk_fma_f32 v[8:9], v[62:63], v[30:31], v[6:7] neg_lo:[0,0,1] neg_hi:[0,0,1]
	v_pk_fma_f32 v[6:7], v[62:63], v[30:31], v[6:7] op_sel_hi:[1,0,1]
	v_pk_add_f32 v[4:5], v[4:5], v[12:13]
	v_mov_b32_e32 v9, v7
	s_waitcnt vmcnt(2) lgkmcnt(1)
	v_pk_mul_f32 v[6:7], v[64:65], v[32:33] op_sel:[1,1] op_sel_hi:[0,1]
	v_pk_add_f32 v[4:5], v[4:5], v[8:9]
	v_pk_fma_f32 v[8:9], v[64:65], v[32:33], v[6:7] neg_lo:[0,0,1] neg_hi:[0,0,1]
	v_pk_fma_f32 v[6:7], v[64:65], v[32:33], v[6:7] op_sel_hi:[1,0,1]
	s_nop 0
	v_mov_b32_e32 v6, v35
	v_mov_b32_e32 v9, v7
	v_pk_mul_f32 v[6:7], v[66:67], v[6:7] op_sel:[1,0] op_sel_hi:[0,0]
	v_pk_add_f32 v[4:5], v[4:5], v[8:9]
	v_pk_fma_f32 v[8:9], v[66:67], v[34:35], v[6:7] neg_lo:[0,0,1] neg_hi:[0,0,1]
	v_pk_fma_f32 v[6:7], v[66:67], v[34:35], v[6:7] op_sel_hi:[1,0,1]
	s_nop 0
	v_mov_b32_e32 v9, v7
	s_waitcnt vmcnt(1) lgkmcnt(0)
	v_pk_mul_f32 v[6:7], v[72:73], v[68:69] op_sel:[1,1] op_sel_hi:[0,1]
	v_pk_add_f32 v[4:5], v[4:5], v[8:9]
	v_pk_fma_f32 v[8:9], v[72:73], v[68:69], v[6:7] neg_lo:[0,0,1] neg_hi:[0,0,1]
	v_pk_fma_f32 v[6:7], v[72:73], v[68:69], v[6:7] op_sel_hi:[1,0,1]
	s_nop 0
	v_mov_b32_e32 v9, v7
	v_pk_add_f32 v[4:5], v[4:5], v[8:9]
	s_waitcnt vmcnt(0)
	v_pk_add_f32 v[4:5], v[70:71], v[4:5] neg_lo:[0,1] neg_hi:[0,1]
	scratch_store_dwordx2 off, v[4:5], off offset:160
	s_and_saveexec_b64 s[0:1], vcc
	s_cbranch_execz .LBB37_203
; %bb.202:
	scratch_load_dwordx2 v[4:5], off, off offset:152
	v_mov_b32_e32 v3, v2
	scratch_store_dwordx2 off, v[2:3], off offset:152
	s_waitcnt vmcnt(1)
	ds_write_b64 v1, v[4:5]
.LBB37_203:
	s_or_b64 exec, exec, s[0:1]
	s_waitcnt lgkmcnt(0)
	; wave barrier
	scratch_load_dwordx4 v[4:7], off, off offset:160
	scratch_load_dwordx4 v[8:11], off, off offset:176
	;; [unrolled: 1-line block ×7, first 2 shown]
	ds_read_b128 v[32:35], v2 offset:464
	ds_read_b128 v[36:39], v2 offset:480
	;; [unrolled: 1-line block ×4, first 2 shown]
	scratch_load_dwordx4 v[48:51], off, off offset:272
	scratch_load_dwordx4 v[52:55], off, off offset:288
	ds_read_b128 v[56:59], v2 offset:528
	ds_read_b128 v[60:63], v2 offset:544
	;; [unrolled: 1-line block ×5, first 2 shown]
	scratch_load_dwordx2 v[2:3], off, off offset:152
	v_cmp_lt_u32_e32 vcc, 18, v0
	s_waitcnt vmcnt(9) lgkmcnt(8)
	v_mul_f32_e32 v83, v32, v5
	v_mul_f32_e32 v86, v34, v7
	s_waitcnt vmcnt(8) lgkmcnt(7)
	v_mul_f32_e32 v87, v36, v9
	s_waitcnt vmcnt(7) lgkmcnt(6)
	v_mul_f32_e32 v89, v40, v13
	v_mul_f32_e32 v5, v33, v5
	;; [unrolled: 1-line block ×5, first 2 shown]
	s_waitcnt vmcnt(4) lgkmcnt(3)
	v_pk_mul_f32 v[80:81], v[60:61], v[24:25] op_sel:[1,1] op_sel_hi:[0,1]
	v_mov_b32_e32 v82, v27
	s_waitcnt vmcnt(3) lgkmcnt(2)
	v_pk_mul_f32 v[84:85], v[64:65], v[28:29] op_sel:[1,1] op_sel_hi:[0,1]
	v_fmac_f32_e32 v83, v33, v4
	v_mul_f32_e32 v90, v42, v15
	v_mul_f32_e32 v91, v44, v17
	v_mul_f32_e32 v15, v43, v15
	v_mul_f32_e32 v17, v45, v17
	v_fmac_f32_e32 v86, v35, v6
	v_fmac_f32_e32 v87, v37, v8
	;; [unrolled: 1-line block ×3, first 2 shown]
	v_fma_f32 v32, v32, v4, -v5
	v_fma_f32 v33, v34, v6, -v7
	;; [unrolled: 1-line block ×4, first 2 shown]
	v_pk_fma_f32 v[4:5], v[60:61], v[24:25], v[80:81] neg_lo:[0,0,1] neg_hi:[0,0,1]
	v_pk_fma_f32 v[6:7], v[60:61], v[24:25], v[80:81] op_sel_hi:[1,0,1]
	v_pk_mul_f32 v[8:9], v[62:63], v[82:83] op_sel:[1,0] op_sel_hi:[0,0]
	v_pk_fma_f32 v[12:13], v[64:65], v[28:29], v[84:85] op_sel_hi:[1,0,1]
	v_fmac_f32_e32 v90, v43, v14
	v_fma_f32 v14, v42, v14, -v15
	v_fma_f32 v15, v44, v16, -v17
	v_add_f32_e32 v12, 0, v83
	v_add_f32_e32 v17, 0, v32
	v_mov_b32_e32 v5, v7
	v_pk_fma_f32 v[6:7], v[62:63], v[26:27], v[8:9] neg_lo:[0,0,1] neg_hi:[0,0,1]
	v_pk_fma_f32 v[8:9], v[62:63], v[26:27], v[8:9] op_sel_hi:[1,0,1]
	v_mul_f32_e32 v88, v38, v11
	v_mul_f32_e32 v11, v39, v11
	v_add_f32_e32 v8, v12, v86
	v_add_f32_e32 v12, v17, v33
	v_fmac_f32_e32 v88, v39, v10
	v_fma_f32 v35, v38, v10, -v11
	v_mov_b32_e32 v7, v9
	v_add_f32_e32 v8, v8, v87
	v_add_f32_e32 v9, v12, v34
	;; [unrolled: 1-line block ×6, first 2 shown]
	v_mul_f32_e32 v92, v46, v19
	v_mul_f32_e32 v19, v47, v19
	v_fmac_f32_e32 v91, v45, v16
	v_add_f32_e32 v8, v8, v90
	v_add_f32_e32 v9, v9, v14
	v_mul_f32_e32 v77, v56, v21
	v_mul_f32_e32 v21, v57, v21
	v_fmac_f32_e32 v92, v47, v18
	v_fma_f32 v16, v46, v18, -v19
	v_add_f32_e32 v8, v8, v91
	v_add_f32_e32 v12, v9, v15
	v_mul_f32_e32 v79, v58, v23
	v_mul_f32_e32 v23, v59, v23
	v_fmac_f32_e32 v77, v57, v20
	v_fma_f32 v76, v56, v20, -v21
	v_add_f32_e32 v9, v8, v92
	v_add_f32_e32 v8, v12, v16
	v_fmac_f32_e32 v79, v59, v22
	v_fma_f32 v78, v58, v22, -v23
	v_pk_add_f32 v[8:9], v[8:9], v[76:77]
	v_pk_fma_f32 v[10:11], v[64:65], v[28:29], v[84:85] neg_lo:[0,0,1] neg_hi:[0,0,1]
	v_pk_add_f32 v[8:9], v[8:9], v[78:79]
	v_mov_b32_e32 v11, v13
	v_pk_add_f32 v[4:5], v[8:9], v[4:5]
	s_nop 0
	v_pk_add_f32 v[4:5], v[4:5], v[6:7]
	v_mov_b32_e32 v6, v31
	v_pk_mul_f32 v[6:7], v[66:67], v[6:7] op_sel:[1,0] op_sel_hi:[0,0]
	v_pk_fma_f32 v[8:9], v[66:67], v[30:31], v[6:7] neg_lo:[0,0,1] neg_hi:[0,0,1]
	v_pk_fma_f32 v[6:7], v[66:67], v[30:31], v[6:7] op_sel_hi:[1,0,1]
	v_pk_add_f32 v[4:5], v[4:5], v[10:11]
	v_mov_b32_e32 v9, v7
	s_waitcnt vmcnt(2) lgkmcnt(1)
	v_pk_mul_f32 v[6:7], v[68:69], v[48:49] op_sel:[1,1] op_sel_hi:[0,1]
	v_pk_add_f32 v[4:5], v[4:5], v[8:9]
	v_pk_fma_f32 v[8:9], v[68:69], v[48:49], v[6:7] neg_lo:[0,0,1] neg_hi:[0,0,1]
	v_pk_fma_f32 v[6:7], v[68:69], v[48:49], v[6:7] op_sel_hi:[1,0,1]
	s_nop 0
	v_mov_b32_e32 v6, v51
	v_mov_b32_e32 v9, v7
	v_pk_mul_f32 v[6:7], v[70:71], v[6:7] op_sel:[1,0] op_sel_hi:[0,0]
	v_pk_add_f32 v[4:5], v[4:5], v[8:9]
	v_pk_fma_f32 v[8:9], v[70:71], v[50:51], v[6:7] neg_lo:[0,0,1] neg_hi:[0,0,1]
	v_pk_fma_f32 v[6:7], v[70:71], v[50:51], v[6:7] op_sel_hi:[1,0,1]
	s_nop 0
	v_mov_b32_e32 v9, v7
	s_waitcnt vmcnt(1) lgkmcnt(0)
	v_pk_mul_f32 v[6:7], v[72:73], v[52:53] op_sel:[1,1] op_sel_hi:[0,1]
	v_pk_add_f32 v[4:5], v[4:5], v[8:9]
	v_pk_fma_f32 v[8:9], v[72:73], v[52:53], v[6:7] neg_lo:[0,0,1] neg_hi:[0,0,1]
	v_pk_fma_f32 v[6:7], v[72:73], v[52:53], v[6:7] op_sel_hi:[1,0,1]
	s_nop 0
	v_mov_b32_e32 v6, v55
	v_mov_b32_e32 v9, v7
	v_pk_mul_f32 v[6:7], v[74:75], v[6:7] op_sel:[1,0] op_sel_hi:[0,0]
	v_pk_add_f32 v[4:5], v[4:5], v[8:9]
	v_pk_fma_f32 v[8:9], v[74:75], v[54:55], v[6:7] neg_lo:[0,0,1] neg_hi:[0,0,1]
	v_pk_fma_f32 v[6:7], v[74:75], v[54:55], v[6:7] op_sel_hi:[1,0,1]
	s_nop 0
	v_mov_b32_e32 v9, v7
	v_pk_add_f32 v[4:5], v[4:5], v[8:9]
	s_waitcnt vmcnt(0)
	v_pk_add_f32 v[2:3], v[2:3], v[4:5] neg_lo:[0,1] neg_hi:[0,1]
	scratch_store_dwordx2 off, v[2:3], off offset:152
	s_and_saveexec_b64 s[0:1], vcc
	s_cbranch_execz .LBB37_205
; %bb.204:
	scratch_load_dwordx2 v[2:3], off, off offset:144
	v_mov_b32_e32 v4, 0
	v_mov_b32_e32 v5, v4
	scratch_store_dwordx2 off, v[4:5], off offset:144
	s_waitcnt vmcnt(1)
	ds_write_b64 v1, v[2:3]
.LBB37_205:
	s_or_b64 exec, exec, s[0:1]
	s_waitcnt lgkmcnt(0)
	; wave barrier
	scratch_load_dwordx4 v[8:11], off, off offset:152
	scratch_load_dwordx4 v[16:19], off, off offset:168
	;; [unrolled: 1-line block ×6, first 2 shown]
	v_mov_b32_e32 v2, 0
	ds_read2_b64 v[4:7], v2 offset0:57 offset1:58
	v_cmp_lt_u32_e32 vcc, 17, v0
	s_waitcnt vmcnt(5) lgkmcnt(0)
	v_mul_f32_e32 v3, v4, v9
	v_fmac_f32_e32 v3, v5, v8
	v_mul_f32_e32 v12, v6, v11
	v_add_f32_e32 v3, 0, v3
	v_fmac_f32_e32 v12, v7, v10
	v_add_f32_e32 v3, v3, v12
	ds_read2_b64 v[12:15], v2 offset0:59 offset1:60
	s_waitcnt vmcnt(4) lgkmcnt(0)
	v_mul_f32_e32 v20, v12, v17
	v_fmac_f32_e32 v20, v13, v16
	v_add_f32_e32 v3, v3, v20
	v_mul_f32_e32 v20, v14, v19
	v_fmac_f32_e32 v20, v15, v18
	v_add_f32_e32 v3, v3, v20
	ds_read2_b64 v[20:23], v2 offset0:61 offset1:62
	s_waitcnt vmcnt(3) lgkmcnt(0)
	v_mul_f32_e32 v28, v20, v25
	v_fmac_f32_e32 v28, v21, v24
	v_add_f32_e32 v3, v3, v28
	v_mul_f32_e32 v28, v22, v27
	;; [unrolled: 8-line block ×3, first 2 shown]
	v_fmac_f32_e32 v36, v31, v34
	v_add_f32_e32 v3, v3, v36
	ds_read2_b64 v[36:39], v2 offset0:65 offset1:66
	s_waitcnt vmcnt(1) lgkmcnt(0)
	v_mul_f32_e32 v44, v36, v41
	v_fmac_f32_e32 v44, v37, v40
	v_add_f32_e32 v65, v3, v44
	ds_read2_b64 v[44:47], v2 offset0:67 offset1:68
	scratch_load_dwordx4 v[52:55], off, off offset:248
	scratch_load_dwordx4 v[56:59], off, off offset:264
	;; [unrolled: 1-line block ×3, first 2 shown]
	scratch_load_dwordx2 v[70:71], off, off offset:296
	v_mul_f32_e32 v3, v5, v9
	v_fma_f32 v3, v4, v8, -v3
	v_mul_f32_e32 v4, v7, v11
	v_add_f32_e32 v3, 0, v3
	v_fma_f32 v4, v6, v10, -v4
	v_add_f32_e32 v3, v3, v4
	v_mul_f32_e32 v4, v13, v17
	v_fma_f32 v4, v12, v16, -v4
	v_add_f32_e32 v3, v3, v4
	v_mul_f32_e32 v4, v15, v19
	;; [unrolled: 3-line block ×7, first 2 shown]
	v_fma_f32 v4, v36, v40, -v4
	v_mul_f32_e32 v67, v38, v43
	v_add_f32_e32 v64, v3, v4
	v_mul_f32_e32 v3, v39, v43
	s_waitcnt vmcnt(4)
	v_mov_b32_e32 v20, v51
	v_fmac_f32_e32 v67, v39, v42
	s_waitcnt lgkmcnt(0)
	v_mul_f32_e32 v69, v44, v49
	v_fma_f32 v66, v38, v42, -v3
	v_mul_f32_e32 v3, v45, v49
	ds_read2_b64 v[4:7], v2 offset0:69 offset1:70
	ds_read2_b64 v[8:11], v2 offset0:71 offset1:72
	;; [unrolled: 1-line block ×3, first 2 shown]
	ds_read_b64 v[16:17], v2 offset:600
	v_pk_mul_f32 v[20:21], v[46:47], v[20:21] op_sel:[1,0] op_sel_hi:[0,0]
	v_fmac_f32_e32 v69, v45, v48
	v_fma_f32 v68, v44, v48, -v3
	v_pk_add_f32 v[18:19], v[64:65], v[66:67]
	v_pk_fma_f32 v[22:23], v[46:47], v[50:51], v[20:21] neg_lo:[0,0,1] neg_hi:[0,0,1]
	v_pk_fma_f32 v[20:21], v[46:47], v[50:51], v[20:21] op_sel_hi:[1,0,1]
	v_pk_add_f32 v[18:19], v[18:19], v[68:69]
	v_mov_b32_e32 v23, v21
	v_pk_add_f32 v[18:19], v[18:19], v[22:23]
	s_waitcnt vmcnt(3) lgkmcnt(3)
	v_pk_mul_f32 v[20:21], v[4:5], v[52:53] op_sel:[1,1] op_sel_hi:[0,1]
	v_pk_fma_f32 v[22:23], v[4:5], v[52:53], v[20:21] neg_lo:[0,0,1] neg_hi:[0,0,1]
	v_pk_fma_f32 v[4:5], v[4:5], v[52:53], v[20:21] op_sel_hi:[1,0,1]
	s_nop 0
	v_mov_b32_e32 v23, v5
	v_pk_add_f32 v[4:5], v[18:19], v[22:23]
	v_mov_b32_e32 v18, v55
	v_pk_mul_f32 v[18:19], v[6:7], v[18:19] op_sel:[1,0] op_sel_hi:[0,0]
	v_pk_fma_f32 v[20:21], v[6:7], v[54:55], v[18:19] neg_lo:[0,0,1] neg_hi:[0,0,1]
	v_pk_fma_f32 v[6:7], v[6:7], v[54:55], v[18:19] op_sel_hi:[1,0,1]
	s_nop 0
	v_mov_b32_e32 v21, v7
	s_waitcnt vmcnt(2) lgkmcnt(2)
	v_pk_mul_f32 v[6:7], v[8:9], v[56:57] op_sel:[1,1] op_sel_hi:[0,1]
	v_pk_fma_f32 v[18:19], v[8:9], v[56:57], v[6:7] neg_lo:[0,0,1] neg_hi:[0,0,1]
	v_pk_fma_f32 v[6:7], v[8:9], v[56:57], v[6:7] op_sel_hi:[1,0,1]
	v_pk_add_f32 v[4:5], v[4:5], v[20:21]
	v_mov_b32_e32 v6, v59
	v_mov_b32_e32 v19, v7
	v_pk_mul_f32 v[6:7], v[10:11], v[6:7] op_sel:[1,0] op_sel_hi:[0,0]
	v_pk_fma_f32 v[8:9], v[10:11], v[58:59], v[6:7] neg_lo:[0,0,1] neg_hi:[0,0,1]
	v_pk_fma_f32 v[6:7], v[10:11], v[58:59], v[6:7] op_sel_hi:[1,0,1]
	v_pk_add_f32 v[4:5], v[4:5], v[18:19]
	v_mov_b32_e32 v9, v7
	s_waitcnt vmcnt(1) lgkmcnt(1)
	v_pk_mul_f32 v[6:7], v[12:13], v[60:61] op_sel:[1,1] op_sel_hi:[0,1]
	v_pk_add_f32 v[4:5], v[4:5], v[8:9]
	v_pk_fma_f32 v[8:9], v[12:13], v[60:61], v[6:7] neg_lo:[0,0,1] neg_hi:[0,0,1]
	v_pk_fma_f32 v[6:7], v[12:13], v[60:61], v[6:7] op_sel_hi:[1,0,1]
	s_nop 0
	v_mov_b32_e32 v6, v63
	v_mov_b32_e32 v9, v7
	v_pk_mul_f32 v[6:7], v[14:15], v[6:7] op_sel:[1,0] op_sel_hi:[0,0]
	v_pk_add_f32 v[4:5], v[4:5], v[8:9]
	v_pk_fma_f32 v[8:9], v[14:15], v[62:63], v[6:7] neg_lo:[0,0,1] neg_hi:[0,0,1]
	v_pk_fma_f32 v[6:7], v[14:15], v[62:63], v[6:7] op_sel_hi:[1,0,1]
	s_nop 0
	v_mov_b32_e32 v9, v7
	s_waitcnt vmcnt(0) lgkmcnt(0)
	v_pk_mul_f32 v[6:7], v[16:17], v[70:71] op_sel:[1,1] op_sel_hi:[0,1]
	v_pk_add_f32 v[4:5], v[4:5], v[8:9]
	v_pk_fma_f32 v[8:9], v[16:17], v[70:71], v[6:7] neg_lo:[0,0,1] neg_hi:[0,0,1]
	v_pk_fma_f32 v[6:7], v[16:17], v[70:71], v[6:7] op_sel_hi:[1,0,1]
	s_nop 0
	v_mov_b32_e32 v9, v7
	scratch_load_dwordx2 v[6:7], off, off offset:144
	v_pk_add_f32 v[4:5], v[4:5], v[8:9]
	s_waitcnt vmcnt(0)
	v_pk_add_f32 v[4:5], v[6:7], v[4:5] neg_lo:[0,1] neg_hi:[0,1]
	scratch_store_dwordx2 off, v[4:5], off offset:144
	s_and_saveexec_b64 s[0:1], vcc
	s_cbranch_execz .LBB37_207
; %bb.206:
	scratch_load_dwordx2 v[4:5], off, off offset:136
	v_mov_b32_e32 v3, v2
	scratch_store_dwordx2 off, v[2:3], off offset:136
	s_waitcnt vmcnt(1)
	ds_write_b64 v1, v[4:5]
.LBB37_207:
	s_or_b64 exec, exec, s[0:1]
	s_waitcnt lgkmcnt(0)
	; wave barrier
	ds_read_b128 v[4:7], v2 offset:448
	ds_read_b128 v[8:11], v2 offset:464
	;; [unrolled: 1-line block ×4, first 2 shown]
	scratch_load_dwordx4 v[20:23], off, off offset:144
	scratch_load_dwordx4 v[40:43], off, off offset:208
	v_cmp_lt_u32_e32 vcc, 16, v0
	scratch_load_dwordx4 v[48:51], off, off offset:224
	s_waitcnt vmcnt(2) lgkmcnt(3)
	v_mul_f32_e32 v3, v4, v21
	v_fmac_f32_e32 v3, v5, v20
	v_mul_f32_e32 v24, v6, v23
	v_add_f32_e32 v3, 0, v3
	v_fmac_f32_e32 v24, v7, v22
	v_add_f32_e32 v3, v3, v24
	scratch_load_dwordx4 v[24:27], off, off offset:160
	s_waitcnt vmcnt(0) lgkmcnt(2)
	v_mul_f32_e32 v28, v8, v25
	v_fmac_f32_e32 v28, v9, v24
	v_add_f32_e32 v3, v3, v28
	v_mul_f32_e32 v28, v10, v27
	v_fmac_f32_e32 v28, v11, v26
	v_add_f32_e32 v3, v3, v28
	scratch_load_dwordx4 v[28:31], off, off offset:176
	s_waitcnt vmcnt(0) lgkmcnt(1)
	v_mul_f32_e32 v32, v12, v29
	v_fmac_f32_e32 v32, v13, v28
	v_add_f32_e32 v3, v3, v32
	v_mul_f32_e32 v32, v14, v31
	;; [unrolled: 8-line block ×3, first 2 shown]
	v_fmac_f32_e32 v36, v19, v34
	v_add_f32_e32 v3, v3, v36
	ds_read_b128 v[36:39], v2 offset:512
	s_waitcnt lgkmcnt(0)
	v_mul_f32_e32 v44, v36, v41
	v_fmac_f32_e32 v44, v37, v40
	v_add_f32_e32 v3, v3, v44
	v_mul_f32_e32 v44, v38, v43
	v_fmac_f32_e32 v44, v39, v42
	v_add_f32_e32 v69, v3, v44
	ds_read_b128 v[44:47], v2 offset:528
	scratch_load_dwordx4 v[52:55], off, off offset:240
	scratch_load_dwordx4 v[56:59], off, off offset:256
	scratch_load_dwordx4 v[60:63], off, off offset:272
	scratch_load_dwordx4 v[64:67], off, off offset:288
	v_mul_f32_e32 v3, v5, v21
	v_fma_f32 v3, v4, v20, -v3
	v_mul_f32_e32 v4, v7, v23
	v_add_f32_e32 v3, 0, v3
	v_fma_f32 v4, v6, v22, -v4
	v_add_f32_e32 v3, v3, v4
	v_mul_f32_e32 v4, v9, v25
	v_fma_f32 v4, v8, v24, -v4
	v_add_f32_e32 v3, v3, v4
	v_mul_f32_e32 v4, v11, v27
	;; [unrolled: 3-line block ×8, first 2 shown]
	v_fma_f32 v4, v38, v42, -v4
	v_add_f32_e32 v68, v3, v4
	ds_read_b128 v[4:7], v2 offset:544
	ds_read_b128 v[8:11], v2 offset:560
	;; [unrolled: 1-line block ×4, first 2 shown]
	s_waitcnt lgkmcnt(4)
	v_mul_f32_e32 v71, v44, v49
	v_mul_f32_e32 v3, v45, v49
	v_fmac_f32_e32 v71, v45, v48
	v_mul_f32_e32 v73, v46, v51
	v_fma_f32 v70, v44, v48, -v3
	v_mul_f32_e32 v3, v47, v51
	v_fmac_f32_e32 v73, v47, v50
	v_fma_f32 v72, v46, v50, -v3
	v_pk_add_f32 v[2:3], v[68:69], v[70:71]
	s_waitcnt vmcnt(3) lgkmcnt(3)
	v_pk_mul_f32 v[20:21], v[4:5], v[52:53] op_sel:[1,1] op_sel_hi:[0,1]
	v_pk_fma_f32 v[22:23], v[4:5], v[52:53], v[20:21] neg_lo:[0,0,1] neg_hi:[0,0,1]
	v_pk_fma_f32 v[4:5], v[4:5], v[52:53], v[20:21] op_sel_hi:[1,0,1]
	v_pk_add_f32 v[2:3], v[2:3], v[72:73]
	v_mov_b32_e32 v4, v55
	v_mov_b32_e32 v23, v5
	v_pk_mul_f32 v[4:5], v[6:7], v[4:5] op_sel:[1,0] op_sel_hi:[0,0]
	v_pk_fma_f32 v[20:21], v[6:7], v[54:55], v[4:5] neg_lo:[0,0,1] neg_hi:[0,0,1]
	v_pk_fma_f32 v[4:5], v[6:7], v[54:55], v[4:5] op_sel_hi:[1,0,1]
	v_pk_add_f32 v[2:3], v[2:3], v[22:23]
	v_mov_b32_e32 v21, v5
	s_waitcnt vmcnt(2) lgkmcnt(2)
	v_pk_mul_f32 v[4:5], v[8:9], v[56:57] op_sel:[1,1] op_sel_hi:[0,1]
	v_pk_fma_f32 v[6:7], v[8:9], v[56:57], v[4:5] neg_lo:[0,0,1] neg_hi:[0,0,1]
	v_pk_fma_f32 v[4:5], v[8:9], v[56:57], v[4:5] op_sel_hi:[1,0,1]
	v_pk_add_f32 v[2:3], v[2:3], v[20:21]
	v_mov_b32_e32 v4, v59
	v_mov_b32_e32 v7, v5
	v_pk_mul_f32 v[4:5], v[10:11], v[4:5] op_sel:[1,0] op_sel_hi:[0,0]
	v_pk_add_f32 v[2:3], v[2:3], v[6:7]
	v_pk_fma_f32 v[6:7], v[10:11], v[58:59], v[4:5] neg_lo:[0,0,1] neg_hi:[0,0,1]
	v_pk_fma_f32 v[4:5], v[10:11], v[58:59], v[4:5] op_sel_hi:[1,0,1]
	s_nop 0
	v_mov_b32_e32 v7, v5
	s_waitcnt vmcnt(1) lgkmcnt(1)
	v_pk_mul_f32 v[4:5], v[12:13], v[60:61] op_sel:[1,1] op_sel_hi:[0,1]
	v_pk_add_f32 v[2:3], v[2:3], v[6:7]
	v_pk_fma_f32 v[6:7], v[12:13], v[60:61], v[4:5] neg_lo:[0,0,1] neg_hi:[0,0,1]
	v_pk_fma_f32 v[4:5], v[12:13], v[60:61], v[4:5] op_sel_hi:[1,0,1]
	s_nop 0
	v_mov_b32_e32 v4, v63
	v_mov_b32_e32 v7, v5
	v_pk_mul_f32 v[4:5], v[14:15], v[4:5] op_sel:[1,0] op_sel_hi:[0,0]
	v_pk_add_f32 v[2:3], v[2:3], v[6:7]
	v_pk_fma_f32 v[6:7], v[14:15], v[62:63], v[4:5] neg_lo:[0,0,1] neg_hi:[0,0,1]
	v_pk_fma_f32 v[4:5], v[14:15], v[62:63], v[4:5] op_sel_hi:[1,0,1]
	s_nop 0
	v_mov_b32_e32 v7, v5
	s_waitcnt vmcnt(0) lgkmcnt(0)
	v_pk_mul_f32 v[4:5], v[16:17], v[64:65] op_sel:[1,1] op_sel_hi:[0,1]
	v_pk_add_f32 v[2:3], v[2:3], v[6:7]
	v_pk_fma_f32 v[6:7], v[16:17], v[64:65], v[4:5] neg_lo:[0,0,1] neg_hi:[0,0,1]
	v_pk_fma_f32 v[4:5], v[16:17], v[64:65], v[4:5] op_sel_hi:[1,0,1]
	s_nop 0
	v_mov_b32_e32 v4, v67
	v_mov_b32_e32 v7, v5
	v_pk_mul_f32 v[4:5], v[18:19], v[4:5] op_sel:[1,0] op_sel_hi:[0,0]
	v_pk_add_f32 v[2:3], v[2:3], v[6:7]
	v_pk_fma_f32 v[6:7], v[18:19], v[66:67], v[4:5] neg_lo:[0,0,1] neg_hi:[0,0,1]
	v_pk_fma_f32 v[4:5], v[18:19], v[66:67], v[4:5] op_sel_hi:[1,0,1]
	s_nop 0
	v_mov_b32_e32 v7, v5
	scratch_load_dwordx2 v[4:5], off, off offset:136
	v_pk_add_f32 v[2:3], v[2:3], v[6:7]
	s_waitcnt vmcnt(0)
	v_pk_add_f32 v[2:3], v[4:5], v[2:3] neg_lo:[0,1] neg_hi:[0,1]
	scratch_store_dwordx2 off, v[2:3], off offset:136
	s_and_saveexec_b64 s[0:1], vcc
	s_cbranch_execz .LBB37_209
; %bb.208:
	scratch_load_dwordx2 v[2:3], off, off offset:128
	v_mov_b32_e32 v4, 0
	v_mov_b32_e32 v5, v4
	scratch_store_dwordx2 off, v[4:5], off offset:128
	s_waitcnt vmcnt(1)
	ds_write_b64 v1, v[2:3]
.LBB37_209:
	s_or_b64 exec, exec, s[0:1]
	s_waitcnt lgkmcnt(0)
	; wave barrier
	scratch_load_dwordx4 v[8:11], off, off offset:136
	scratch_load_dwordx4 v[16:19], off, off offset:152
	scratch_load_dwordx4 v[24:27], off, off offset:168
	scratch_load_dwordx4 v[32:35], off, off offset:184
	scratch_load_dwordx4 v[40:43], off, off offset:200
	scratch_load_dwordx4 v[48:51], off, off offset:216
	v_mov_b32_e32 v2, 0
	ds_read2_b64 v[4:7], v2 offset0:55 offset1:56
	scratch_load_dwordx4 v[56:59], off, off offset:232
	v_cmp_lt_u32_e32 vcc, 15, v0
	s_waitcnt vmcnt(6) lgkmcnt(0)
	v_mul_f32_e32 v3, v4, v9
	v_fmac_f32_e32 v3, v5, v8
	v_mul_f32_e32 v12, v6, v11
	v_add_f32_e32 v3, 0, v3
	v_fmac_f32_e32 v12, v7, v10
	v_add_f32_e32 v3, v3, v12
	ds_read2_b64 v[12:15], v2 offset0:57 offset1:58
	s_waitcnt vmcnt(5) lgkmcnt(0)
	v_mul_f32_e32 v20, v12, v17
	v_fmac_f32_e32 v20, v13, v16
	v_add_f32_e32 v3, v3, v20
	v_mul_f32_e32 v20, v14, v19
	v_fmac_f32_e32 v20, v15, v18
	v_add_f32_e32 v3, v3, v20
	ds_read2_b64 v[20:23], v2 offset0:59 offset1:60
	s_waitcnt vmcnt(4) lgkmcnt(0)
	v_mul_f32_e32 v28, v20, v25
	v_fmac_f32_e32 v28, v21, v24
	v_add_f32_e32 v3, v3, v28
	v_mul_f32_e32 v28, v22, v27
	;; [unrolled: 8-line block ×4, first 2 shown]
	v_fmac_f32_e32 v44, v39, v42
	v_add_f32_e32 v3, v3, v44
	ds_read2_b64 v[44:47], v2 offset0:65 offset1:66
	s_waitcnt vmcnt(1) lgkmcnt(0)
	v_mul_f32_e32 v52, v44, v49
	v_fmac_f32_e32 v52, v45, v48
	v_add_f32_e32 v73, v3, v52
	ds_read2_b64 v[52:55], v2 offset0:67 offset1:68
	scratch_load_dwordx4 v[60:63], off, off offset:248
	scratch_load_dwordx4 v[64:67], off, off offset:264
	;; [unrolled: 1-line block ×3, first 2 shown]
	scratch_load_dwordx2 v[78:79], off, off offset:296
	v_mul_f32_e32 v3, v5, v9
	v_fma_f32 v3, v4, v8, -v3
	v_mul_f32_e32 v4, v7, v11
	v_add_f32_e32 v3, 0, v3
	v_fma_f32 v4, v6, v10, -v4
	v_add_f32_e32 v3, v3, v4
	v_mul_f32_e32 v4, v13, v17
	v_fma_f32 v4, v12, v16, -v4
	v_add_f32_e32 v3, v3, v4
	v_mul_f32_e32 v4, v15, v19
	;; [unrolled: 3-line block ×9, first 2 shown]
	v_fma_f32 v4, v44, v48, -v4
	v_mul_f32_e32 v75, v46, v51
	v_add_f32_e32 v72, v3, v4
	v_mul_f32_e32 v3, v47, v51
	s_waitcnt vmcnt(4)
	v_mov_b32_e32 v20, v59
	v_fmac_f32_e32 v75, v47, v50
	s_waitcnt lgkmcnt(0)
	v_mul_f32_e32 v77, v52, v57
	v_fma_f32 v74, v46, v50, -v3
	v_mul_f32_e32 v3, v53, v57
	ds_read2_b64 v[4:7], v2 offset0:69 offset1:70
	ds_read2_b64 v[8:11], v2 offset0:71 offset1:72
	;; [unrolled: 1-line block ×3, first 2 shown]
	ds_read_b64 v[16:17], v2 offset:600
	v_pk_mul_f32 v[20:21], v[54:55], v[20:21] op_sel:[1,0] op_sel_hi:[0,0]
	v_fmac_f32_e32 v77, v53, v56
	v_fma_f32 v76, v52, v56, -v3
	v_pk_add_f32 v[18:19], v[72:73], v[74:75]
	v_pk_fma_f32 v[22:23], v[54:55], v[58:59], v[20:21] neg_lo:[0,0,1] neg_hi:[0,0,1]
	v_pk_fma_f32 v[20:21], v[54:55], v[58:59], v[20:21] op_sel_hi:[1,0,1]
	v_pk_add_f32 v[18:19], v[18:19], v[76:77]
	v_mov_b32_e32 v23, v21
	v_pk_add_f32 v[18:19], v[18:19], v[22:23]
	s_waitcnt vmcnt(3) lgkmcnt(3)
	v_pk_mul_f32 v[20:21], v[4:5], v[60:61] op_sel:[1,1] op_sel_hi:[0,1]
	v_pk_fma_f32 v[22:23], v[4:5], v[60:61], v[20:21] neg_lo:[0,0,1] neg_hi:[0,0,1]
	v_pk_fma_f32 v[4:5], v[4:5], v[60:61], v[20:21] op_sel_hi:[1,0,1]
	s_nop 0
	v_mov_b32_e32 v23, v5
	v_pk_add_f32 v[4:5], v[18:19], v[22:23]
	v_mov_b32_e32 v18, v63
	v_pk_mul_f32 v[18:19], v[6:7], v[18:19] op_sel:[1,0] op_sel_hi:[0,0]
	v_pk_fma_f32 v[20:21], v[6:7], v[62:63], v[18:19] neg_lo:[0,0,1] neg_hi:[0,0,1]
	v_pk_fma_f32 v[6:7], v[6:7], v[62:63], v[18:19] op_sel_hi:[1,0,1]
	s_nop 0
	v_mov_b32_e32 v21, v7
	s_waitcnt vmcnt(2) lgkmcnt(2)
	v_pk_mul_f32 v[6:7], v[8:9], v[64:65] op_sel:[1,1] op_sel_hi:[0,1]
	v_pk_fma_f32 v[18:19], v[8:9], v[64:65], v[6:7] neg_lo:[0,0,1] neg_hi:[0,0,1]
	v_pk_fma_f32 v[6:7], v[8:9], v[64:65], v[6:7] op_sel_hi:[1,0,1]
	v_pk_add_f32 v[4:5], v[4:5], v[20:21]
	v_mov_b32_e32 v6, v67
	v_mov_b32_e32 v19, v7
	v_pk_mul_f32 v[6:7], v[10:11], v[6:7] op_sel:[1,0] op_sel_hi:[0,0]
	v_pk_fma_f32 v[8:9], v[10:11], v[66:67], v[6:7] neg_lo:[0,0,1] neg_hi:[0,0,1]
	v_pk_fma_f32 v[6:7], v[10:11], v[66:67], v[6:7] op_sel_hi:[1,0,1]
	v_pk_add_f32 v[4:5], v[4:5], v[18:19]
	v_mov_b32_e32 v9, v7
	s_waitcnt vmcnt(1) lgkmcnt(1)
	v_pk_mul_f32 v[6:7], v[12:13], v[68:69] op_sel:[1,1] op_sel_hi:[0,1]
	v_pk_add_f32 v[4:5], v[4:5], v[8:9]
	v_pk_fma_f32 v[8:9], v[12:13], v[68:69], v[6:7] neg_lo:[0,0,1] neg_hi:[0,0,1]
	v_pk_fma_f32 v[6:7], v[12:13], v[68:69], v[6:7] op_sel_hi:[1,0,1]
	s_nop 0
	v_mov_b32_e32 v6, v71
	v_mov_b32_e32 v9, v7
	v_pk_mul_f32 v[6:7], v[14:15], v[6:7] op_sel:[1,0] op_sel_hi:[0,0]
	v_pk_add_f32 v[4:5], v[4:5], v[8:9]
	v_pk_fma_f32 v[8:9], v[14:15], v[70:71], v[6:7] neg_lo:[0,0,1] neg_hi:[0,0,1]
	v_pk_fma_f32 v[6:7], v[14:15], v[70:71], v[6:7] op_sel_hi:[1,0,1]
	s_nop 0
	v_mov_b32_e32 v9, v7
	s_waitcnt vmcnt(0) lgkmcnt(0)
	v_pk_mul_f32 v[6:7], v[16:17], v[78:79] op_sel:[1,1] op_sel_hi:[0,1]
	v_pk_add_f32 v[4:5], v[4:5], v[8:9]
	v_pk_fma_f32 v[8:9], v[16:17], v[78:79], v[6:7] neg_lo:[0,0,1] neg_hi:[0,0,1]
	v_pk_fma_f32 v[6:7], v[16:17], v[78:79], v[6:7] op_sel_hi:[1,0,1]
	s_nop 0
	v_mov_b32_e32 v9, v7
	scratch_load_dwordx2 v[6:7], off, off offset:128
	v_pk_add_f32 v[4:5], v[4:5], v[8:9]
	s_waitcnt vmcnt(0)
	v_pk_add_f32 v[4:5], v[6:7], v[4:5] neg_lo:[0,1] neg_hi:[0,1]
	scratch_store_dwordx2 off, v[4:5], off offset:128
	s_and_saveexec_b64 s[0:1], vcc
	s_cbranch_execz .LBB37_211
; %bb.210:
	scratch_load_dwordx2 v[4:5], off, off offset:120
	v_mov_b32_e32 v3, v2
	scratch_store_dwordx2 off, v[2:3], off offset:120
	s_waitcnt vmcnt(1)
	ds_write_b64 v1, v[4:5]
.LBB37_211:
	s_or_b64 exec, exec, s[0:1]
	s_waitcnt lgkmcnt(0)
	; wave barrier
	ds_read_b128 v[4:7], v2 offset:432
	ds_read_b128 v[8:11], v2 offset:448
	;; [unrolled: 1-line block ×4, first 2 shown]
	scratch_load_dwordx4 v[20:23], off, off offset:128
	scratch_load_dwordx4 v[40:43], off, off offset:192
	v_cmp_lt_u32_e32 vcc, 14, v0
	scratch_load_dwordx4 v[48:51], off, off offset:208
	scratch_load_dwordx4 v[56:59], off, off offset:224
	s_waitcnt vmcnt(3) lgkmcnt(3)
	v_mul_f32_e32 v3, v4, v21
	v_fmac_f32_e32 v3, v5, v20
	v_mul_f32_e32 v24, v6, v23
	v_add_f32_e32 v3, 0, v3
	v_fmac_f32_e32 v24, v7, v22
	v_add_f32_e32 v3, v3, v24
	scratch_load_dwordx4 v[24:27], off, off offset:144
	s_waitcnt vmcnt(0) lgkmcnt(2)
	v_mul_f32_e32 v28, v8, v25
	v_fmac_f32_e32 v28, v9, v24
	v_add_f32_e32 v3, v3, v28
	v_mul_f32_e32 v28, v10, v27
	v_fmac_f32_e32 v28, v11, v26
	v_add_f32_e32 v3, v3, v28
	scratch_load_dwordx4 v[28:31], off, off offset:160
	s_waitcnt vmcnt(0) lgkmcnt(1)
	v_mul_f32_e32 v32, v12, v29
	v_fmac_f32_e32 v32, v13, v28
	v_add_f32_e32 v3, v3, v32
	v_mul_f32_e32 v32, v14, v31
	;; [unrolled: 8-line block ×3, first 2 shown]
	v_fmac_f32_e32 v36, v19, v34
	v_add_f32_e32 v3, v3, v36
	ds_read_b128 v[36:39], v2 offset:496
	s_waitcnt lgkmcnt(0)
	v_mul_f32_e32 v44, v36, v41
	v_fmac_f32_e32 v44, v37, v40
	v_add_f32_e32 v3, v3, v44
	v_mul_f32_e32 v44, v38, v43
	v_fmac_f32_e32 v44, v39, v42
	v_add_f32_e32 v3, v3, v44
	ds_read_b128 v[44:47], v2 offset:512
	s_waitcnt lgkmcnt(0)
	v_mul_f32_e32 v52, v44, v49
	v_fmac_f32_e32 v52, v45, v48
	v_add_f32_e32 v3, v3, v52
	v_mul_f32_e32 v52, v46, v51
	v_fmac_f32_e32 v52, v47, v50
	v_add_f32_e32 v77, v3, v52
	ds_read_b128 v[52:55], v2 offset:528
	scratch_load_dwordx4 v[60:63], off, off offset:240
	scratch_load_dwordx4 v[64:67], off, off offset:256
	;; [unrolled: 1-line block ×4, first 2 shown]
	v_mul_f32_e32 v3, v5, v21
	v_fma_f32 v3, v4, v20, -v3
	v_mul_f32_e32 v4, v7, v23
	v_add_f32_e32 v3, 0, v3
	v_fma_f32 v4, v6, v22, -v4
	v_add_f32_e32 v3, v3, v4
	v_mul_f32_e32 v4, v9, v25
	v_fma_f32 v4, v8, v24, -v4
	v_add_f32_e32 v3, v3, v4
	v_mul_f32_e32 v4, v11, v27
	;; [unrolled: 3-line block ×10, first 2 shown]
	v_fma_f32 v4, v46, v50, -v4
	v_add_f32_e32 v76, v3, v4
	ds_read_b128 v[4:7], v2 offset:544
	ds_read_b128 v[8:11], v2 offset:560
	;; [unrolled: 1-line block ×4, first 2 shown]
	s_waitcnt lgkmcnt(4)
	v_mul_f32_e32 v79, v52, v57
	v_mul_f32_e32 v3, v53, v57
	v_fmac_f32_e32 v79, v53, v56
	v_mul_f32_e32 v81, v54, v59
	v_fma_f32 v78, v52, v56, -v3
	v_mul_f32_e32 v3, v55, v59
	v_fmac_f32_e32 v81, v55, v58
	v_fma_f32 v80, v54, v58, -v3
	v_pk_add_f32 v[2:3], v[76:77], v[78:79]
	s_waitcnt vmcnt(3) lgkmcnt(3)
	v_pk_mul_f32 v[20:21], v[4:5], v[60:61] op_sel:[1,1] op_sel_hi:[0,1]
	v_pk_fma_f32 v[22:23], v[4:5], v[60:61], v[20:21] neg_lo:[0,0,1] neg_hi:[0,0,1]
	v_pk_fma_f32 v[4:5], v[4:5], v[60:61], v[20:21] op_sel_hi:[1,0,1]
	v_pk_add_f32 v[2:3], v[2:3], v[80:81]
	v_mov_b32_e32 v4, v63
	v_mov_b32_e32 v23, v5
	v_pk_mul_f32 v[4:5], v[6:7], v[4:5] op_sel:[1,0] op_sel_hi:[0,0]
	v_pk_fma_f32 v[20:21], v[6:7], v[62:63], v[4:5] neg_lo:[0,0,1] neg_hi:[0,0,1]
	v_pk_fma_f32 v[4:5], v[6:7], v[62:63], v[4:5] op_sel_hi:[1,0,1]
	v_pk_add_f32 v[2:3], v[2:3], v[22:23]
	v_mov_b32_e32 v21, v5
	s_waitcnt vmcnt(2) lgkmcnt(2)
	v_pk_mul_f32 v[4:5], v[8:9], v[64:65] op_sel:[1,1] op_sel_hi:[0,1]
	v_pk_fma_f32 v[6:7], v[8:9], v[64:65], v[4:5] neg_lo:[0,0,1] neg_hi:[0,0,1]
	v_pk_fma_f32 v[4:5], v[8:9], v[64:65], v[4:5] op_sel_hi:[1,0,1]
	v_pk_add_f32 v[2:3], v[2:3], v[20:21]
	v_mov_b32_e32 v4, v67
	v_mov_b32_e32 v7, v5
	v_pk_mul_f32 v[4:5], v[10:11], v[4:5] op_sel:[1,0] op_sel_hi:[0,0]
	v_pk_add_f32 v[2:3], v[2:3], v[6:7]
	v_pk_fma_f32 v[6:7], v[10:11], v[66:67], v[4:5] neg_lo:[0,0,1] neg_hi:[0,0,1]
	v_pk_fma_f32 v[4:5], v[10:11], v[66:67], v[4:5] op_sel_hi:[1,0,1]
	s_nop 0
	v_mov_b32_e32 v7, v5
	s_waitcnt vmcnt(1) lgkmcnt(1)
	v_pk_mul_f32 v[4:5], v[12:13], v[68:69] op_sel:[1,1] op_sel_hi:[0,1]
	v_pk_add_f32 v[2:3], v[2:3], v[6:7]
	v_pk_fma_f32 v[6:7], v[12:13], v[68:69], v[4:5] neg_lo:[0,0,1] neg_hi:[0,0,1]
	v_pk_fma_f32 v[4:5], v[12:13], v[68:69], v[4:5] op_sel_hi:[1,0,1]
	s_nop 0
	v_mov_b32_e32 v4, v71
	v_mov_b32_e32 v7, v5
	v_pk_mul_f32 v[4:5], v[14:15], v[4:5] op_sel:[1,0] op_sel_hi:[0,0]
	v_pk_add_f32 v[2:3], v[2:3], v[6:7]
	v_pk_fma_f32 v[6:7], v[14:15], v[70:71], v[4:5] neg_lo:[0,0,1] neg_hi:[0,0,1]
	v_pk_fma_f32 v[4:5], v[14:15], v[70:71], v[4:5] op_sel_hi:[1,0,1]
	s_nop 0
	v_mov_b32_e32 v7, v5
	s_waitcnt vmcnt(0) lgkmcnt(0)
	v_pk_mul_f32 v[4:5], v[16:17], v[72:73] op_sel:[1,1] op_sel_hi:[0,1]
	v_pk_add_f32 v[2:3], v[2:3], v[6:7]
	v_pk_fma_f32 v[6:7], v[16:17], v[72:73], v[4:5] neg_lo:[0,0,1] neg_hi:[0,0,1]
	v_pk_fma_f32 v[4:5], v[16:17], v[72:73], v[4:5] op_sel_hi:[1,0,1]
	s_nop 0
	v_mov_b32_e32 v4, v75
	v_mov_b32_e32 v7, v5
	v_pk_mul_f32 v[4:5], v[18:19], v[4:5] op_sel:[1,0] op_sel_hi:[0,0]
	v_pk_add_f32 v[2:3], v[2:3], v[6:7]
	v_pk_fma_f32 v[6:7], v[18:19], v[74:75], v[4:5] neg_lo:[0,0,1] neg_hi:[0,0,1]
	v_pk_fma_f32 v[4:5], v[18:19], v[74:75], v[4:5] op_sel_hi:[1,0,1]
	s_nop 0
	v_mov_b32_e32 v7, v5
	scratch_load_dwordx2 v[4:5], off, off offset:120
	v_pk_add_f32 v[2:3], v[2:3], v[6:7]
	s_waitcnt vmcnt(0)
	v_pk_add_f32 v[2:3], v[4:5], v[2:3] neg_lo:[0,1] neg_hi:[0,1]
	scratch_store_dwordx2 off, v[2:3], off offset:120
	s_and_saveexec_b64 s[0:1], vcc
	s_cbranch_execz .LBB37_213
; %bb.212:
	scratch_load_dwordx2 v[2:3], off, off offset:112
	v_mov_b32_e32 v4, 0
	v_mov_b32_e32 v5, v4
	scratch_store_dwordx2 off, v[4:5], off offset:112
	s_waitcnt vmcnt(1)
	ds_write_b64 v1, v[2:3]
.LBB37_213:
	s_or_b64 exec, exec, s[0:1]
	s_waitcnt lgkmcnt(0)
	; wave barrier
	scratch_load_dwordx4 v[8:11], off, off offset:120
	scratch_load_dwordx4 v[16:19], off, off offset:136
	;; [unrolled: 1-line block ×8, first 2 shown]
	v_mov_b32_e32 v2, 0
	ds_read2_b64 v[4:7], v2 offset0:53 offset1:54
	v_cmp_lt_u32_e32 vcc, 13, v0
	s_waitcnt vmcnt(7) lgkmcnt(0)
	v_mul_f32_e32 v3, v4, v9
	v_fmac_f32_e32 v3, v5, v8
	v_mul_f32_e32 v12, v6, v11
	v_add_f32_e32 v3, 0, v3
	v_fmac_f32_e32 v12, v7, v10
	v_add_f32_e32 v3, v3, v12
	ds_read2_b64 v[12:15], v2 offset0:55 offset1:56
	s_waitcnt vmcnt(6) lgkmcnt(0)
	v_mul_f32_e32 v20, v12, v17
	v_fmac_f32_e32 v20, v13, v16
	v_add_f32_e32 v3, v3, v20
	v_mul_f32_e32 v20, v14, v19
	v_fmac_f32_e32 v20, v15, v18
	v_add_f32_e32 v3, v3, v20
	ds_read2_b64 v[20:23], v2 offset0:57 offset1:58
	s_waitcnt vmcnt(5) lgkmcnt(0)
	v_mul_f32_e32 v28, v20, v25
	v_fmac_f32_e32 v28, v21, v24
	v_add_f32_e32 v3, v3, v28
	v_mul_f32_e32 v28, v22, v27
	;; [unrolled: 8-line block ×5, first 2 shown]
	v_fmac_f32_e32 v52, v47, v50
	v_add_f32_e32 v3, v3, v52
	ds_read2_b64 v[52:55], v2 offset0:65 offset1:66
	s_waitcnt vmcnt(1) lgkmcnt(0)
	v_mul_f32_e32 v60, v52, v57
	v_fmac_f32_e32 v60, v53, v56
	v_add_f32_e32 v81, v3, v60
	ds_read2_b64 v[60:63], v2 offset0:67 offset1:68
	scratch_load_dwordx4 v[68:71], off, off offset:248
	scratch_load_dwordx4 v[72:75], off, off offset:264
	;; [unrolled: 1-line block ×3, first 2 shown]
	scratch_load_dwordx2 v[86:87], off, off offset:296
	v_mul_f32_e32 v3, v5, v9
	v_fma_f32 v3, v4, v8, -v3
	v_mul_f32_e32 v4, v7, v11
	v_add_f32_e32 v3, 0, v3
	v_fma_f32 v4, v6, v10, -v4
	v_add_f32_e32 v3, v3, v4
	v_mul_f32_e32 v4, v13, v17
	v_fma_f32 v4, v12, v16, -v4
	v_add_f32_e32 v3, v3, v4
	v_mul_f32_e32 v4, v15, v19
	;; [unrolled: 3-line block ×11, first 2 shown]
	v_fma_f32 v4, v52, v56, -v4
	v_mul_f32_e32 v83, v54, v59
	v_add_f32_e32 v80, v3, v4
	v_mul_f32_e32 v3, v55, v59
	s_waitcnt vmcnt(4)
	v_mov_b32_e32 v20, v67
	v_fmac_f32_e32 v83, v55, v58
	s_waitcnt lgkmcnt(0)
	v_mul_f32_e32 v85, v60, v65
	v_fma_f32 v82, v54, v58, -v3
	v_mul_f32_e32 v3, v61, v65
	ds_read2_b64 v[4:7], v2 offset0:69 offset1:70
	ds_read2_b64 v[8:11], v2 offset0:71 offset1:72
	;; [unrolled: 1-line block ×3, first 2 shown]
	ds_read_b64 v[16:17], v2 offset:600
	v_pk_mul_f32 v[20:21], v[62:63], v[20:21] op_sel:[1,0] op_sel_hi:[0,0]
	v_fmac_f32_e32 v85, v61, v64
	v_fma_f32 v84, v60, v64, -v3
	v_pk_add_f32 v[18:19], v[80:81], v[82:83]
	v_pk_fma_f32 v[22:23], v[62:63], v[66:67], v[20:21] neg_lo:[0,0,1] neg_hi:[0,0,1]
	v_pk_fma_f32 v[20:21], v[62:63], v[66:67], v[20:21] op_sel_hi:[1,0,1]
	v_pk_add_f32 v[18:19], v[18:19], v[84:85]
	v_mov_b32_e32 v23, v21
	v_pk_add_f32 v[18:19], v[18:19], v[22:23]
	s_waitcnt vmcnt(3) lgkmcnt(3)
	v_pk_mul_f32 v[20:21], v[4:5], v[68:69] op_sel:[1,1] op_sel_hi:[0,1]
	v_pk_fma_f32 v[22:23], v[4:5], v[68:69], v[20:21] neg_lo:[0,0,1] neg_hi:[0,0,1]
	v_pk_fma_f32 v[4:5], v[4:5], v[68:69], v[20:21] op_sel_hi:[1,0,1]
	s_nop 0
	v_mov_b32_e32 v23, v5
	v_pk_add_f32 v[4:5], v[18:19], v[22:23]
	v_mov_b32_e32 v18, v71
	v_pk_mul_f32 v[18:19], v[6:7], v[18:19] op_sel:[1,0] op_sel_hi:[0,0]
	v_pk_fma_f32 v[20:21], v[6:7], v[70:71], v[18:19] neg_lo:[0,0,1] neg_hi:[0,0,1]
	v_pk_fma_f32 v[6:7], v[6:7], v[70:71], v[18:19] op_sel_hi:[1,0,1]
	s_nop 0
	v_mov_b32_e32 v21, v7
	s_waitcnt vmcnt(2) lgkmcnt(2)
	v_pk_mul_f32 v[6:7], v[8:9], v[72:73] op_sel:[1,1] op_sel_hi:[0,1]
	v_pk_fma_f32 v[18:19], v[8:9], v[72:73], v[6:7] neg_lo:[0,0,1] neg_hi:[0,0,1]
	v_pk_fma_f32 v[6:7], v[8:9], v[72:73], v[6:7] op_sel_hi:[1,0,1]
	v_pk_add_f32 v[4:5], v[4:5], v[20:21]
	v_mov_b32_e32 v6, v75
	v_mov_b32_e32 v19, v7
	v_pk_mul_f32 v[6:7], v[10:11], v[6:7] op_sel:[1,0] op_sel_hi:[0,0]
	v_pk_fma_f32 v[8:9], v[10:11], v[74:75], v[6:7] neg_lo:[0,0,1] neg_hi:[0,0,1]
	v_pk_fma_f32 v[6:7], v[10:11], v[74:75], v[6:7] op_sel_hi:[1,0,1]
	v_pk_add_f32 v[4:5], v[4:5], v[18:19]
	v_mov_b32_e32 v9, v7
	s_waitcnt vmcnt(1) lgkmcnt(1)
	v_pk_mul_f32 v[6:7], v[12:13], v[76:77] op_sel:[1,1] op_sel_hi:[0,1]
	v_pk_add_f32 v[4:5], v[4:5], v[8:9]
	v_pk_fma_f32 v[8:9], v[12:13], v[76:77], v[6:7] neg_lo:[0,0,1] neg_hi:[0,0,1]
	v_pk_fma_f32 v[6:7], v[12:13], v[76:77], v[6:7] op_sel_hi:[1,0,1]
	s_nop 0
	v_mov_b32_e32 v6, v79
	v_mov_b32_e32 v9, v7
	v_pk_mul_f32 v[6:7], v[14:15], v[6:7] op_sel:[1,0] op_sel_hi:[0,0]
	v_pk_add_f32 v[4:5], v[4:5], v[8:9]
	v_pk_fma_f32 v[8:9], v[14:15], v[78:79], v[6:7] neg_lo:[0,0,1] neg_hi:[0,0,1]
	v_pk_fma_f32 v[6:7], v[14:15], v[78:79], v[6:7] op_sel_hi:[1,0,1]
	s_nop 0
	v_mov_b32_e32 v9, v7
	s_waitcnt vmcnt(0) lgkmcnt(0)
	v_pk_mul_f32 v[6:7], v[16:17], v[86:87] op_sel:[1,1] op_sel_hi:[0,1]
	v_pk_add_f32 v[4:5], v[4:5], v[8:9]
	v_pk_fma_f32 v[8:9], v[16:17], v[86:87], v[6:7] neg_lo:[0,0,1] neg_hi:[0,0,1]
	v_pk_fma_f32 v[6:7], v[16:17], v[86:87], v[6:7] op_sel_hi:[1,0,1]
	s_nop 0
	v_mov_b32_e32 v9, v7
	scratch_load_dwordx2 v[6:7], off, off offset:112
	v_pk_add_f32 v[4:5], v[4:5], v[8:9]
	s_waitcnt vmcnt(0)
	v_pk_add_f32 v[4:5], v[6:7], v[4:5] neg_lo:[0,1] neg_hi:[0,1]
	scratch_store_dwordx2 off, v[4:5], off offset:112
	s_and_saveexec_b64 s[0:1], vcc
	s_cbranch_execz .LBB37_215
; %bb.214:
	scratch_load_dwordx2 v[4:5], off, off offset:104
	v_mov_b32_e32 v3, v2
	scratch_store_dwordx2 off, v[2:3], off offset:104
	s_waitcnt vmcnt(1)
	ds_write_b64 v1, v[4:5]
.LBB37_215:
	s_or_b64 exec, exec, s[0:1]
	s_waitcnt lgkmcnt(0)
	; wave barrier
	ds_read_b128 v[4:7], v2 offset:416
	ds_read_b128 v[8:11], v2 offset:432
	;; [unrolled: 1-line block ×4, first 2 shown]
	scratch_load_dwordx4 v[20:23], off, off offset:112
	scratch_load_dwordx4 v[40:43], off, off offset:176
	v_cmp_lt_u32_e32 vcc, 12, v0
	scratch_load_dwordx4 v[48:51], off, off offset:192
	scratch_load_dwordx4 v[56:59], off, off offset:208
	;; [unrolled: 1-line block ×3, first 2 shown]
	s_waitcnt vmcnt(4) lgkmcnt(3)
	v_mul_f32_e32 v3, v4, v21
	v_fmac_f32_e32 v3, v5, v20
	v_mul_f32_e32 v24, v6, v23
	v_add_f32_e32 v3, 0, v3
	v_fmac_f32_e32 v24, v7, v22
	v_add_f32_e32 v3, v3, v24
	scratch_load_dwordx4 v[24:27], off, off offset:128
	s_waitcnt vmcnt(0) lgkmcnt(2)
	v_mul_f32_e32 v28, v8, v25
	v_fmac_f32_e32 v28, v9, v24
	v_add_f32_e32 v3, v3, v28
	v_mul_f32_e32 v28, v10, v27
	v_fmac_f32_e32 v28, v11, v26
	v_add_f32_e32 v3, v3, v28
	scratch_load_dwordx4 v[28:31], off, off offset:144
	s_waitcnt vmcnt(0) lgkmcnt(1)
	v_mul_f32_e32 v32, v12, v29
	v_fmac_f32_e32 v32, v13, v28
	v_add_f32_e32 v3, v3, v32
	v_mul_f32_e32 v32, v14, v31
	;; [unrolled: 8-line block ×3, first 2 shown]
	v_fmac_f32_e32 v36, v19, v34
	v_add_f32_e32 v3, v3, v36
	ds_read_b128 v[36:39], v2 offset:480
	s_waitcnt lgkmcnt(0)
	v_mul_f32_e32 v44, v36, v41
	v_fmac_f32_e32 v44, v37, v40
	v_add_f32_e32 v3, v3, v44
	v_mul_f32_e32 v44, v38, v43
	v_fmac_f32_e32 v44, v39, v42
	v_add_f32_e32 v3, v3, v44
	ds_read_b128 v[44:47], v2 offset:496
	s_waitcnt lgkmcnt(0)
	v_mul_f32_e32 v52, v44, v49
	v_fmac_f32_e32 v52, v45, v48
	v_add_f32_e32 v3, v3, v52
	v_mul_f32_e32 v52, v46, v51
	;; [unrolled: 8-line block ×3, first 2 shown]
	v_fmac_f32_e32 v60, v55, v58
	v_add_f32_e32 v85, v3, v60
	ds_read_b128 v[60:63], v2 offset:528
	scratch_load_dwordx4 v[68:71], off, off offset:240
	scratch_load_dwordx4 v[72:75], off, off offset:256
	;; [unrolled: 1-line block ×4, first 2 shown]
	v_mul_f32_e32 v3, v5, v21
	v_fma_f32 v3, v4, v20, -v3
	v_mul_f32_e32 v4, v7, v23
	v_add_f32_e32 v3, 0, v3
	v_fma_f32 v4, v6, v22, -v4
	v_add_f32_e32 v3, v3, v4
	v_mul_f32_e32 v4, v9, v25
	v_fma_f32 v4, v8, v24, -v4
	v_add_f32_e32 v3, v3, v4
	v_mul_f32_e32 v4, v11, v27
	;; [unrolled: 3-line block ×12, first 2 shown]
	v_fma_f32 v4, v54, v58, -v4
	v_add_f32_e32 v84, v3, v4
	ds_read_b128 v[4:7], v2 offset:544
	ds_read_b128 v[8:11], v2 offset:560
	;; [unrolled: 1-line block ×4, first 2 shown]
	s_waitcnt lgkmcnt(4)
	v_mul_f32_e32 v87, v60, v65
	v_mul_f32_e32 v3, v61, v65
	v_fmac_f32_e32 v87, v61, v64
	v_mul_f32_e32 v89, v62, v67
	v_fma_f32 v86, v60, v64, -v3
	v_mul_f32_e32 v3, v63, v67
	v_fmac_f32_e32 v89, v63, v66
	v_fma_f32 v88, v62, v66, -v3
	v_pk_add_f32 v[2:3], v[84:85], v[86:87]
	s_waitcnt vmcnt(3) lgkmcnt(3)
	v_pk_mul_f32 v[20:21], v[4:5], v[68:69] op_sel:[1,1] op_sel_hi:[0,1]
	v_pk_fma_f32 v[22:23], v[4:5], v[68:69], v[20:21] neg_lo:[0,0,1] neg_hi:[0,0,1]
	v_pk_fma_f32 v[4:5], v[4:5], v[68:69], v[20:21] op_sel_hi:[1,0,1]
	v_pk_add_f32 v[2:3], v[2:3], v[88:89]
	v_mov_b32_e32 v4, v71
	v_mov_b32_e32 v23, v5
	v_pk_mul_f32 v[4:5], v[6:7], v[4:5] op_sel:[1,0] op_sel_hi:[0,0]
	v_pk_fma_f32 v[20:21], v[6:7], v[70:71], v[4:5] neg_lo:[0,0,1] neg_hi:[0,0,1]
	v_pk_fma_f32 v[4:5], v[6:7], v[70:71], v[4:5] op_sel_hi:[1,0,1]
	v_pk_add_f32 v[2:3], v[2:3], v[22:23]
	v_mov_b32_e32 v21, v5
	s_waitcnt vmcnt(2) lgkmcnt(2)
	v_pk_mul_f32 v[4:5], v[8:9], v[72:73] op_sel:[1,1] op_sel_hi:[0,1]
	v_pk_fma_f32 v[6:7], v[8:9], v[72:73], v[4:5] neg_lo:[0,0,1] neg_hi:[0,0,1]
	v_pk_fma_f32 v[4:5], v[8:9], v[72:73], v[4:5] op_sel_hi:[1,0,1]
	v_pk_add_f32 v[2:3], v[2:3], v[20:21]
	v_mov_b32_e32 v4, v75
	v_mov_b32_e32 v7, v5
	v_pk_mul_f32 v[4:5], v[10:11], v[4:5] op_sel:[1,0] op_sel_hi:[0,0]
	v_pk_add_f32 v[2:3], v[2:3], v[6:7]
	v_pk_fma_f32 v[6:7], v[10:11], v[74:75], v[4:5] neg_lo:[0,0,1] neg_hi:[0,0,1]
	v_pk_fma_f32 v[4:5], v[10:11], v[74:75], v[4:5] op_sel_hi:[1,0,1]
	s_nop 0
	v_mov_b32_e32 v7, v5
	s_waitcnt vmcnt(1) lgkmcnt(1)
	v_pk_mul_f32 v[4:5], v[12:13], v[76:77] op_sel:[1,1] op_sel_hi:[0,1]
	v_pk_add_f32 v[2:3], v[2:3], v[6:7]
	v_pk_fma_f32 v[6:7], v[12:13], v[76:77], v[4:5] neg_lo:[0,0,1] neg_hi:[0,0,1]
	v_pk_fma_f32 v[4:5], v[12:13], v[76:77], v[4:5] op_sel_hi:[1,0,1]
	s_nop 0
	v_mov_b32_e32 v4, v79
	v_mov_b32_e32 v7, v5
	v_pk_mul_f32 v[4:5], v[14:15], v[4:5] op_sel:[1,0] op_sel_hi:[0,0]
	v_pk_add_f32 v[2:3], v[2:3], v[6:7]
	v_pk_fma_f32 v[6:7], v[14:15], v[78:79], v[4:5] neg_lo:[0,0,1] neg_hi:[0,0,1]
	v_pk_fma_f32 v[4:5], v[14:15], v[78:79], v[4:5] op_sel_hi:[1,0,1]
	s_nop 0
	v_mov_b32_e32 v7, v5
	s_waitcnt vmcnt(0) lgkmcnt(0)
	v_pk_mul_f32 v[4:5], v[16:17], v[80:81] op_sel:[1,1] op_sel_hi:[0,1]
	v_pk_add_f32 v[2:3], v[2:3], v[6:7]
	v_pk_fma_f32 v[6:7], v[16:17], v[80:81], v[4:5] neg_lo:[0,0,1] neg_hi:[0,0,1]
	v_pk_fma_f32 v[4:5], v[16:17], v[80:81], v[4:5] op_sel_hi:[1,0,1]
	s_nop 0
	v_mov_b32_e32 v4, v83
	v_mov_b32_e32 v7, v5
	v_pk_mul_f32 v[4:5], v[18:19], v[4:5] op_sel:[1,0] op_sel_hi:[0,0]
	v_pk_add_f32 v[2:3], v[2:3], v[6:7]
	v_pk_fma_f32 v[6:7], v[18:19], v[82:83], v[4:5] neg_lo:[0,0,1] neg_hi:[0,0,1]
	v_pk_fma_f32 v[4:5], v[18:19], v[82:83], v[4:5] op_sel_hi:[1,0,1]
	s_nop 0
	v_mov_b32_e32 v7, v5
	scratch_load_dwordx2 v[4:5], off, off offset:104
	v_pk_add_f32 v[2:3], v[2:3], v[6:7]
	s_waitcnt vmcnt(0)
	v_pk_add_f32 v[2:3], v[4:5], v[2:3] neg_lo:[0,1] neg_hi:[0,1]
	scratch_store_dwordx2 off, v[2:3], off offset:104
	s_and_saveexec_b64 s[0:1], vcc
	s_cbranch_execz .LBB37_217
; %bb.216:
	scratch_load_dwordx2 v[2:3], off, off offset:96
	v_mov_b32_e32 v4, 0
	v_mov_b32_e32 v5, v4
	scratch_store_dwordx2 off, v[4:5], off offset:96
	s_waitcnt vmcnt(1)
	ds_write_b64 v1, v[2:3]
.LBB37_217:
	s_or_b64 exec, exec, s[0:1]
	s_waitcnt lgkmcnt(0)
	; wave barrier
	scratch_load_dwordx4 v[2:5], off, off offset:104
	scratch_load_dwordx4 v[22:25], off, off offset:120
	;; [unrolled: 1-line block ×12, first 2 shown]
	scratch_load_dwordx2 v[50:51], off, off offset:296
	scratch_load_dwordx2 v[56:57], off, off offset:96
	v_mov_b32_e32 v58, 0
	ds_read2_b64 v[52:55], v58 offset0:51 offset1:52
	ds_read2_b64 v[60:63], v58 offset0:53 offset1:54
	;; [unrolled: 1-line block ×10, first 2 shown]
	v_cmp_lt_u32_e32 vcc, 11, v0
	s_waitcnt vmcnt(13) lgkmcnt(9)
	v_mul_f32_e32 v59, v52, v3
	v_mul_f32_e32 v96, v54, v5
	;; [unrolled: 1-line block ×3, first 2 shown]
	s_waitcnt vmcnt(10) lgkmcnt(6)
	v_mul_f32_e32 v103, v68, v11
	v_mul_f32_e32 v11, v69, v11
	v_fmac_f32_e32 v59, v53, v2
	v_mul_f32_e32 v98, v60, v23
	v_mul_f32_e32 v5, v55, v5
	v_fmac_f32_e32 v96, v55, v4
	v_fmac_f32_e32 v103, v69, v10
	v_fma_f32 v2, v52, v2, -v3
	v_fma_f32 v10, v68, v10, -v11
	v_add_f32_e32 v11, 0, v59
	v_mul_f32_e32 v100, v62, v25
	v_fmac_f32_e32 v98, v61, v22
	v_fma_f32 v3, v54, v4, -v5
	v_add_f32_e32 v2, 0, v2
	v_add_f32_e32 v11, v11, v96
	v_mul_f32_e32 v101, v64, v39
	v_fmac_f32_e32 v100, v63, v24
	v_add_f32_e32 v2, v2, v3
	v_add_f32_e32 v3, v11, v98
	v_mul_f32_e32 v102, v66, v41
	v_fmac_f32_e32 v101, v65, v38
	v_add_f32_e32 v3, v3, v100
	v_fmac_f32_e32 v102, v67, v40
	v_add_f32_e32 v3, v3, v101
	v_mul_f32_e32 v104, v70, v13
	v_add_f32_e32 v3, v3, v102
	s_waitcnt vmcnt(9) lgkmcnt(5)
	v_mul_f32_e32 v105, v72, v15
	v_fmac_f32_e32 v104, v71, v12
	v_add_f32_e32 v3, v3, v103
	v_mul_f32_e32 v106, v74, v17
	v_fmac_f32_e32 v105, v73, v14
	v_add_f32_e32 v3, v3, v104
	s_waitcnt vmcnt(8) lgkmcnt(4)
	v_mul_f32_e32 v107, v76, v27
	v_fmac_f32_e32 v106, v75, v16
	v_add_f32_e32 v3, v3, v105
	v_mul_f32_e32 v108, v78, v29
	v_mul_f32_e32 v23, v61, v23
	v_fmac_f32_e32 v107, v77, v26
	v_add_f32_e32 v3, v3, v106
	s_waitcnt vmcnt(7) lgkmcnt(3)
	v_mul_f32_e32 v109, v80, v31
	v_mul_f32_e32 v25, v63, v25
	v_fmac_f32_e32 v108, v79, v28
	v_fma_f32 v4, v60, v22, -v23
	v_add_f32_e32 v3, v3, v107
	v_mul_f32_e32 v110, v82, v33
	v_mul_f32_e32 v39, v65, v39
	v_fmac_f32_e32 v109, v81, v30
	v_fma_f32 v5, v62, v24, -v25
	v_add_f32_e32 v2, v2, v4
	v_add_f32_e32 v3, v3, v108
	s_waitcnt vmcnt(6) lgkmcnt(2)
	v_mul_f32_e32 v111, v84, v43
	v_mul_f32_e32 v41, v67, v41
	v_fmac_f32_e32 v110, v83, v32
	v_fma_f32 v22, v64, v38, -v39
	v_add_f32_e32 v2, v2, v5
	v_add_f32_e32 v3, v3, v109
	v_fmac_f32_e32 v111, v85, v42
	v_fma_f32 v23, v66, v40, -v41
	v_add_f32_e32 v2, v2, v22
	v_add_f32_e32 v3, v3, v110
	;; [unrolled: 1-line block ×4, first 2 shown]
	v_mul_f32_e32 v3, v71, v13
	v_add_f32_e32 v2, v2, v10
	v_fma_f32 v3, v70, v12, -v3
	v_add_f32_e32 v2, v2, v3
	v_mul_f32_e32 v3, v73, v15
	v_fma_f32 v3, v72, v14, -v3
	v_add_f32_e32 v2, v2, v3
	v_mul_f32_e32 v3, v75, v17
	;; [unrolled: 3-line block ×7, first 2 shown]
	v_fma_f32 v3, v84, v42, -v3
	v_mul_f32_e32 v97, v86, v45
	v_add_f32_e32 v22, v2, v3
	v_mul_f32_e32 v2, v87, v45
	v_fmac_f32_e32 v97, v87, v44
	v_fma_f32 v96, v86, v44, -v2
	v_pk_add_f32 v[16:17], v[22:23], v[96:97]
	s_waitcnt vmcnt(5)
	v_mov_b32_e32 v22, v49
	s_waitcnt lgkmcnt(1)
	v_mul_f32_e32 v99, v88, v47
	v_mul_f32_e32 v2, v89, v47
	v_pk_mul_f32 v[22:23], v[90:91], v[22:23] op_sel:[1,0] op_sel_hi:[0,0]
	v_fmac_f32_e32 v99, v89, v46
	v_fma_f32 v98, v88, v46, -v2
	v_pk_fma_f32 v[24:25], v[90:91], v[48:49], v[22:23] neg_lo:[0,0,1] neg_hi:[0,0,1]
	v_pk_fma_f32 v[22:23], v[90:91], v[48:49], v[22:23] op_sel_hi:[1,0,1]
	v_pk_add_f32 v[16:17], v[16:17], v[98:99]
	v_mov_b32_e32 v25, v23
	s_waitcnt vmcnt(4) lgkmcnt(0)
	v_pk_mul_f32 v[22:23], v[92:93], v[34:35] op_sel:[1,1] op_sel_hi:[0,1]
	v_pk_add_f32 v[16:17], v[16:17], v[24:25]
	v_pk_fma_f32 v[24:25], v[92:93], v[34:35], v[22:23] neg_lo:[0,0,1] neg_hi:[0,0,1]
	v_pk_fma_f32 v[22:23], v[92:93], v[34:35], v[22:23] op_sel_hi:[1,0,1]
	ds_read2_b64 v[2:5], v58 offset0:71 offset1:72
	ds_read2_b64 v[10:13], v58 offset0:73 offset1:74
	ds_read_b64 v[14:15], v58 offset:600
	v_mov_b32_e32 v22, v37
	v_mov_b32_e32 v25, v23
	v_pk_mul_f32 v[22:23], v[94:95], v[22:23] op_sel:[1,0] op_sel_hi:[0,0]
	v_pk_add_f32 v[16:17], v[16:17], v[24:25]
	v_pk_fma_f32 v[24:25], v[94:95], v[36:37], v[22:23] neg_lo:[0,0,1] neg_hi:[0,0,1]
	v_pk_fma_f32 v[22:23], v[94:95], v[36:37], v[22:23] op_sel_hi:[1,0,1]
	s_nop 0
	v_mov_b32_e32 v25, v23
	s_waitcnt vmcnt(3) lgkmcnt(2)
	v_pk_mul_f32 v[22:23], v[2:3], v[18:19] op_sel:[1,1] op_sel_hi:[0,1]
	v_pk_add_f32 v[16:17], v[16:17], v[24:25]
	v_pk_fma_f32 v[24:25], v[2:3], v[18:19], v[22:23] neg_lo:[0,0,1] neg_hi:[0,0,1]
	v_pk_fma_f32 v[2:3], v[2:3], v[18:19], v[22:23] op_sel_hi:[1,0,1]
	s_nop 0
	v_mov_b32_e32 v25, v3
	v_pk_add_f32 v[2:3], v[16:17], v[24:25]
	v_mov_b32_e32 v16, v21
	v_pk_mul_f32 v[16:17], v[4:5], v[16:17] op_sel:[1,0] op_sel_hi:[0,0]
	v_pk_fma_f32 v[18:19], v[4:5], v[20:21], v[16:17] neg_lo:[0,0,1] neg_hi:[0,0,1]
	v_pk_fma_f32 v[4:5], v[4:5], v[20:21], v[16:17] op_sel_hi:[1,0,1]
	s_nop 0
	v_mov_b32_e32 v19, v5
	s_waitcnt vmcnt(2) lgkmcnt(1)
	v_pk_mul_f32 v[4:5], v[10:11], v[6:7] op_sel:[1,1] op_sel_hi:[0,1]
	v_pk_fma_f32 v[16:17], v[10:11], v[6:7], v[4:5] neg_lo:[0,0,1] neg_hi:[0,0,1]
	v_pk_fma_f32 v[4:5], v[10:11], v[6:7], v[4:5] op_sel_hi:[1,0,1]
	v_pk_add_f32 v[2:3], v[2:3], v[18:19]
	v_mov_b32_e32 v4, v9
	v_mov_b32_e32 v17, v5
	v_pk_mul_f32 v[4:5], v[12:13], v[4:5] op_sel:[1,0] op_sel_hi:[0,0]
	v_pk_fma_f32 v[6:7], v[12:13], v[8:9], v[4:5] neg_lo:[0,0,1] neg_hi:[0,0,1]
	v_pk_fma_f32 v[4:5], v[12:13], v[8:9], v[4:5] op_sel_hi:[1,0,1]
	v_pk_add_f32 v[2:3], v[2:3], v[16:17]
	v_mov_b32_e32 v7, v5
	s_waitcnt vmcnt(1) lgkmcnt(0)
	v_pk_mul_f32 v[4:5], v[14:15], v[50:51] op_sel:[1,1] op_sel_hi:[0,1]
	v_pk_add_f32 v[2:3], v[2:3], v[6:7]
	v_pk_fma_f32 v[6:7], v[14:15], v[50:51], v[4:5] neg_lo:[0,0,1] neg_hi:[0,0,1]
	v_pk_fma_f32 v[4:5], v[14:15], v[50:51], v[4:5] op_sel_hi:[1,0,1]
	s_nop 0
	v_mov_b32_e32 v7, v5
	v_pk_add_f32 v[2:3], v[2:3], v[6:7]
	s_waitcnt vmcnt(0)
	v_pk_add_f32 v[2:3], v[56:57], v[2:3] neg_lo:[0,1] neg_hi:[0,1]
	scratch_store_dwordx2 off, v[2:3], off offset:96
	s_and_saveexec_b64 s[0:1], vcc
	s_cbranch_execz .LBB37_219
; %bb.218:
	scratch_load_dwordx2 v[2:3], off, off offset:88
	v_mov_b32_e32 v59, v58
	scratch_store_dwordx2 off, v[58:59], off offset:88
	s_waitcnt vmcnt(1)
	ds_write_b64 v1, v[2:3]
.LBB37_219:
	s_or_b64 exec, exec, s[0:1]
	s_waitcnt lgkmcnt(0)
	; wave barrier
	scratch_load_dwordx4 v[10:13], off, off offset:96
	scratch_load_dwordx4 v[26:29], off, off offset:112
	;; [unrolled: 1-line block ×9, first 2 shown]
	ds_read_b128 v[60:63], v58 offset:400
	ds_read_b128 v[64:67], v58 offset:416
	;; [unrolled: 1-line block ×8, first 2 shown]
	scratch_load_dwordx4 v[50:53], off, off offset:240
	scratch_load_dwordx4 v[34:37], off, off offset:256
	;; [unrolled: 1-line block ×4, first 2 shown]
	ds_read_b128 v[88:91], v58 offset:528
	ds_read_b128 v[92:95], v58 offset:544
	scratch_load_dwordx2 v[96:97], off, off offset:88
	v_cmp_lt_u32_e32 vcc, 10, v0
	s_waitcnt vmcnt(13) lgkmcnt(9)
	v_mul_f32_e32 v59, v60, v11
	v_mul_f32_e32 v98, v62, v13
	v_fmac_f32_e32 v59, v61, v10
	s_waitcnt vmcnt(10) lgkmcnt(6)
	v_mul_f32_e32 v105, v72, v3
	v_mul_f32_e32 v3, v73, v3
	;; [unrolled: 1-line block ×3, first 2 shown]
	v_fmac_f32_e32 v98, v63, v12
	v_fmac_f32_e32 v105, v73, v2
	v_fma_f32 v2, v72, v2, -v3
	v_add_f32_e32 v3, 0, v59
	v_mul_f32_e32 v102, v66, v29
	v_fmac_f32_e32 v100, v65, v26
	v_add_f32_e32 v3, v3, v98
	v_mul_f32_e32 v103, v68, v43
	v_fmac_f32_e32 v102, v67, v28
	v_add_f32_e32 v3, v3, v100
	v_mul_f32_e32 v104, v70, v45
	v_fmac_f32_e32 v103, v69, v42
	v_add_f32_e32 v3, v3, v102
	v_fmac_f32_e32 v104, v71, v44
	v_add_f32_e32 v3, v3, v103
	v_mul_f32_e32 v106, v74, v5
	v_add_f32_e32 v3, v3, v104
	s_waitcnt vmcnt(9) lgkmcnt(5)
	v_mul_f32_e32 v107, v76, v15
	v_fmac_f32_e32 v106, v75, v4
	v_add_f32_e32 v3, v3, v105
	v_mul_f32_e32 v108, v78, v17
	v_fmac_f32_e32 v107, v77, v14
	v_add_f32_e32 v3, v3, v106
	s_waitcnt vmcnt(8) lgkmcnt(4)
	v_mul_f32_e32 v109, v80, v19
	v_mul_f32_e32 v11, v61, v11
	v_fmac_f32_e32 v108, v79, v16
	v_add_f32_e32 v3, v3, v107
	v_mul_f32_e32 v110, v82, v21
	v_mul_f32_e32 v13, v63, v13
	v_fmac_f32_e32 v109, v81, v18
	v_fma_f32 v10, v60, v10, -v11
	v_add_f32_e32 v3, v3, v108
	s_waitcnt vmcnt(7) lgkmcnt(3)
	v_mul_f32_e32 v111, v84, v31
	v_mul_f32_e32 v27, v65, v27
	v_fmac_f32_e32 v110, v83, v20
	v_fma_f32 v11, v62, v12, -v13
	v_add_f32_e32 v10, 0, v10
	v_add_f32_e32 v3, v3, v109
	v_mul_f32_e32 v112, v86, v33
	v_mul_f32_e32 v29, v67, v29
	v_fmac_f32_e32 v111, v85, v30
	v_fma_f32 v12, v64, v26, -v27
	v_add_f32_e32 v10, v10, v11
	v_add_f32_e32 v3, v3, v110
	s_waitcnt vmcnt(6) lgkmcnt(2)
	v_mul_f32_e32 v113, v54, v39
	v_mul_f32_e32 v43, v69, v43
	v_fmac_f32_e32 v112, v87, v32
	v_fma_f32 v13, v66, v28, -v29
	v_add_f32_e32 v10, v10, v12
	v_add_f32_e32 v3, v3, v111
	v_mul_f32_e32 v190, v56, v41
	v_mul_f32_e32 v45, v71, v45
	v_fmac_f32_e32 v113, v55, v38
	v_fma_f32 v26, v68, v42, -v43
	v_add_f32_e32 v10, v10, v13
	v_add_f32_e32 v3, v3, v112
	v_fmac_f32_e32 v190, v57, v40
	v_fma_f32 v27, v70, v44, -v45
	v_add_f32_e32 v10, v10, v26
	v_add_f32_e32 v3, v3, v113
	;; [unrolled: 1-line block ×4, first 2 shown]
	v_mul_f32_e32 v3, v75, v5
	v_add_f32_e32 v2, v10, v2
	v_fma_f32 v3, v74, v4, -v3
	v_add_f32_e32 v2, v2, v3
	v_mul_f32_e32 v3, v77, v15
	v_fma_f32 v3, v76, v14, -v3
	v_add_f32_e32 v2, v2, v3
	v_mul_f32_e32 v3, v79, v17
	v_fma_f32 v3, v78, v16, -v3
	v_add_f32_e32 v2, v2, v3
	v_mul_f32_e32 v3, v81, v19
	v_fma_f32 v3, v80, v18, -v3
	v_add_f32_e32 v2, v2, v3
	v_mul_f32_e32 v3, v83, v21
	v_fma_f32 v3, v82, v20, -v3
	v_add_f32_e32 v2, v2, v3
	v_mul_f32_e32 v3, v85, v31
	v_fma_f32 v3, v84, v30, -v3
	v_add_f32_e32 v2, v2, v3
	v_mul_f32_e32 v3, v87, v33
	v_fma_f32 v3, v86, v32, -v3
	v_add_f32_e32 v2, v2, v3
	v_mul_f32_e32 v3, v55, v39
	v_fma_f32 v3, v54, v38, -v3
	v_add_f32_e32 v2, v2, v3
	v_mul_f32_e32 v3, v57, v41
	v_fma_f32 v3, v56, v40, -v3
	s_waitcnt vmcnt(5) lgkmcnt(1)
	v_mul_f32_e32 v99, v88, v47
	v_add_f32_e32 v26, v2, v3
	v_mul_f32_e32 v2, v89, v47
	v_fmac_f32_e32 v99, v89, v46
	v_fma_f32 v98, v88, v46, -v2
	s_waitcnt vmcnt(4) lgkmcnt(0)
	v_pk_mul_f32 v[20:21], v[92:93], v[50:51] op_sel:[1,1] op_sel_hi:[0,1]
	v_mul_f32_e32 v101, v90, v49
	v_mul_f32_e32 v2, v91, v49
	v_pk_add_f32 v[18:19], v[26:27], v[98:99]
	v_pk_fma_f32 v[26:27], v[92:93], v[50:51], v[20:21] neg_lo:[0,0,1] neg_hi:[0,0,1]
	v_pk_fma_f32 v[20:21], v[92:93], v[50:51], v[20:21] op_sel_hi:[1,0,1]
	v_fmac_f32_e32 v101, v91, v48
	v_fma_f32 v100, v90, v48, -v2
	ds_read_b128 v[2:5], v58 offset:560
	ds_read_b128 v[10:13], v58 offset:576
	;; [unrolled: 1-line block ×3, first 2 shown]
	v_mov_b32_e32 v20, v53
	v_pk_add_f32 v[18:19], v[18:19], v[100:101]
	v_mov_b32_e32 v27, v21
	v_pk_mul_f32 v[20:21], v[94:95], v[20:21] op_sel:[1,0] op_sel_hi:[0,0]
	v_pk_add_f32 v[18:19], v[18:19], v[26:27]
	v_pk_fma_f32 v[26:27], v[94:95], v[52:53], v[20:21] neg_lo:[0,0,1] neg_hi:[0,0,1]
	v_pk_fma_f32 v[20:21], v[94:95], v[52:53], v[20:21] op_sel_hi:[1,0,1]
	s_nop 0
	v_mov_b32_e32 v27, v21
	s_waitcnt vmcnt(3) lgkmcnt(2)
	v_pk_mul_f32 v[20:21], v[2:3], v[34:35] op_sel:[1,1] op_sel_hi:[0,1]
	v_pk_add_f32 v[18:19], v[18:19], v[26:27]
	v_pk_fma_f32 v[26:27], v[2:3], v[34:35], v[20:21] neg_lo:[0,0,1] neg_hi:[0,0,1]
	v_pk_fma_f32 v[2:3], v[2:3], v[34:35], v[20:21] op_sel_hi:[1,0,1]
	s_nop 0
	v_mov_b32_e32 v27, v3
	v_pk_add_f32 v[2:3], v[18:19], v[26:27]
	v_mov_b32_e32 v18, v37
	v_pk_mul_f32 v[18:19], v[4:5], v[18:19] op_sel:[1,0] op_sel_hi:[0,0]
	v_pk_fma_f32 v[20:21], v[4:5], v[36:37], v[18:19] neg_lo:[0,0,1] neg_hi:[0,0,1]
	v_pk_fma_f32 v[4:5], v[4:5], v[36:37], v[18:19] op_sel_hi:[1,0,1]
	s_nop 0
	v_mov_b32_e32 v21, v5
	s_waitcnt vmcnt(2) lgkmcnt(1)
	v_pk_mul_f32 v[4:5], v[10:11], v[22:23] op_sel:[1,1] op_sel_hi:[0,1]
	v_pk_fma_f32 v[18:19], v[10:11], v[22:23], v[4:5] neg_lo:[0,0,1] neg_hi:[0,0,1]
	v_pk_fma_f32 v[4:5], v[10:11], v[22:23], v[4:5] op_sel_hi:[1,0,1]
	v_pk_add_f32 v[2:3], v[2:3], v[20:21]
	v_mov_b32_e32 v4, v25
	v_mov_b32_e32 v19, v5
	v_pk_mul_f32 v[4:5], v[12:13], v[4:5] op_sel:[1,0] op_sel_hi:[0,0]
	v_pk_fma_f32 v[10:11], v[12:13], v[24:25], v[4:5] neg_lo:[0,0,1] neg_hi:[0,0,1]
	v_pk_fma_f32 v[4:5], v[12:13], v[24:25], v[4:5] op_sel_hi:[1,0,1]
	v_pk_add_f32 v[2:3], v[2:3], v[18:19]
	v_mov_b32_e32 v11, v5
	s_waitcnt vmcnt(1) lgkmcnt(0)
	v_pk_mul_f32 v[4:5], v[14:15], v[6:7] op_sel:[1,1] op_sel_hi:[0,1]
	v_pk_add_f32 v[2:3], v[2:3], v[10:11]
	v_pk_fma_f32 v[10:11], v[14:15], v[6:7], v[4:5] neg_lo:[0,0,1] neg_hi:[0,0,1]
	v_pk_fma_f32 v[4:5], v[14:15], v[6:7], v[4:5] op_sel_hi:[1,0,1]
	s_nop 0
	v_mov_b32_e32 v4, v9
	v_mov_b32_e32 v11, v5
	v_pk_mul_f32 v[4:5], v[16:17], v[4:5] op_sel:[1,0] op_sel_hi:[0,0]
	v_pk_fma_f32 v[6:7], v[16:17], v[8:9], v[4:5] neg_lo:[0,0,1] neg_hi:[0,0,1]
	v_pk_fma_f32 v[4:5], v[16:17], v[8:9], v[4:5] op_sel_hi:[1,0,1]
	v_pk_add_f32 v[2:3], v[2:3], v[10:11]
	v_mov_b32_e32 v7, v5
	v_pk_add_f32 v[2:3], v[2:3], v[6:7]
	s_waitcnt vmcnt(0)
	v_pk_add_f32 v[2:3], v[96:97], v[2:3] neg_lo:[0,1] neg_hi:[0,1]
	scratch_store_dwordx2 off, v[2:3], off offset:88
	s_and_saveexec_b64 s[0:1], vcc
	s_cbranch_execz .LBB37_221
; %bb.220:
	scratch_load_dwordx2 v[2:3], off, off offset:80
	v_mov_b32_e32 v4, 0
	v_mov_b32_e32 v5, v4
	scratch_store_dwordx2 off, v[4:5], off offset:80
	s_waitcnt vmcnt(1)
	ds_write_b64 v1, v[2:3]
.LBB37_221:
	s_or_b64 exec, exec, s[0:1]
	s_waitcnt lgkmcnt(0)
	; wave barrier
	scratch_load_dwordx4 v[10:13], off, off offset:88
	scratch_load_dwordx4 v[30:33], off, off offset:104
	;; [unrolled: 1-line block ×13, first 2 shown]
	scratch_load_dwordx2 v[54:55], off, off offset:296
	scratch_load_dwordx2 v[80:81], off, off offset:80
	v_mov_b32_e32 v82, 0
	ds_read2_b64 v[56:59], v82 offset0:49 offset1:50
	ds_read2_b64 v[60:63], v82 offset0:51 offset1:52
	;; [unrolled: 1-line block ×10, first 2 shown]
	v_cmp_lt_u32_e32 vcc, 9, v0
	s_waitcnt vmcnt(14) lgkmcnt(9)
	v_mul_f32_e32 v83, v56, v11
	v_mul_f32_e32 v100, v58, v13
	s_waitcnt vmcnt(12) lgkmcnt(7)
	v_mul_f32_e32 v105, v64, v3
	v_mul_f32_e32 v3, v65, v3
	v_fmac_f32_e32 v83, v57, v10
	v_mul_f32_e32 v102, v60, v31
	v_fmac_f32_e32 v100, v59, v12
	v_fmac_f32_e32 v105, v65, v2
	v_fma_f32 v2, v64, v2, -v3
	v_add_f32_e32 v3, 0, v83
	v_mul_f32_e32 v104, v62, v33
	v_fmac_f32_e32 v102, v61, v30
	v_add_f32_e32 v3, v3, v100
	v_fmac_f32_e32 v104, v63, v32
	v_add_f32_e32 v3, v3, v102
	v_mul_f32_e32 v106, v66, v5
	v_add_f32_e32 v3, v3, v104
	s_waitcnt vmcnt(11) lgkmcnt(6)
	v_mul_f32_e32 v107, v68, v7
	v_fmac_f32_e32 v106, v67, v4
	v_add_f32_e32 v3, v3, v105
	v_mul_f32_e32 v108, v70, v9
	v_fmac_f32_e32 v107, v69, v6
	v_add_f32_e32 v3, v3, v106
	s_waitcnt vmcnt(10) lgkmcnt(5)
	v_mul_f32_e32 v109, v72, v19
	v_fmac_f32_e32 v108, v71, v8
	v_add_f32_e32 v3, v3, v107
	v_mul_f32_e32 v110, v74, v21
	v_fmac_f32_e32 v109, v73, v18
	;; [unrolled: 7-line block ×3, first 2 shown]
	v_add_f32_e32 v3, v3, v110
	s_waitcnt vmcnt(8) lgkmcnt(3)
	v_mul_f32_e32 v113, v84, v35
	v_mul_f32_e32 v11, v57, v11
	v_fmac_f32_e32 v112, v79, v24
	v_add_f32_e32 v3, v3, v111
	v_mul_f32_e32 v190, v86, v37
	v_mul_f32_e32 v13, v59, v13
	v_fmac_f32_e32 v113, v85, v34
	v_fma_f32 v10, v56, v10, -v11
	v_add_f32_e32 v3, v3, v112
	s_waitcnt vmcnt(7) lgkmcnt(2)
	v_mul_f32_e32 v191, v88, v39
	v_mul_f32_e32 v31, v61, v31
	v_fmac_f32_e32 v190, v87, v36
	v_fma_f32 v11, v58, v12, -v13
	v_add_f32_e32 v10, 0, v10
	v_add_f32_e32 v3, v3, v113
	v_mul_f32_e32 v192, v90, v41
	v_mul_f32_e32 v33, v63, v33
	v_fmac_f32_e32 v191, v89, v38
	v_fma_f32 v12, v60, v30, -v31
	v_add_f32_e32 v10, v10, v11
	v_add_f32_e32 v3, v3, v190
	s_waitcnt vmcnt(6) lgkmcnt(1)
	v_mul_f32_e32 v193, v92, v51
	v_fmac_f32_e32 v192, v91, v40
	v_fma_f32 v13, v62, v32, -v33
	v_add_f32_e32 v10, v10, v12
	v_add_f32_e32 v3, v3, v191
	v_mul_f32_e32 v5, v67, v5
	v_fmac_f32_e32 v193, v93, v50
	v_add_f32_e32 v10, v10, v13
	v_add_f32_e32 v3, v3, v192
	;; [unrolled: 1-line block ×4, first 2 shown]
	v_fma_f32 v3, v66, v4, -v5
	v_add_f32_e32 v2, v2, v3
	v_mul_f32_e32 v3, v69, v7
	v_fma_f32 v3, v68, v6, -v3
	v_add_f32_e32 v2, v2, v3
	v_mul_f32_e32 v3, v71, v9
	;; [unrolled: 3-line block ×12, first 2 shown]
	v_mul_f32_e32 v101, v94, v53
	v_fma_f32 v100, v94, v52, -v2
	s_waitcnt vmcnt(5) lgkmcnt(0)
	v_mul_f32_e32 v2, v97, v47
	v_mov_b32_e32 v22, v49
	v_mul_f32_e32 v103, v96, v47
	v_fmac_f32_e32 v101, v95, v52
	v_fma_f32 v102, v96, v46, -v2
	ds_read2_b64 v[2:5], v82 offset0:69 offset1:70
	ds_read2_b64 v[6:9], v82 offset0:71 offset1:72
	;; [unrolled: 1-line block ×3, first 2 shown]
	ds_read_b64 v[18:19], v82 offset:600
	v_pk_mul_f32 v[22:23], v[98:99], v[22:23] op_sel:[1,0] op_sel_hi:[0,0]
	v_fmac_f32_e32 v103, v97, v46
	v_pk_add_f32 v[20:21], v[30:31], v[100:101]
	v_pk_fma_f32 v[24:25], v[98:99], v[48:49], v[22:23] neg_lo:[0,0,1] neg_hi:[0,0,1]
	v_pk_fma_f32 v[22:23], v[98:99], v[48:49], v[22:23] op_sel_hi:[1,0,1]
	v_pk_add_f32 v[20:21], v[20:21], v[102:103]
	v_mov_b32_e32 v25, v23
	s_waitcnt vmcnt(4) lgkmcnt(3)
	v_pk_mul_f32 v[22:23], v[2:3], v[42:43] op_sel:[1,1] op_sel_hi:[0,1]
	v_pk_add_f32 v[20:21], v[20:21], v[24:25]
	v_pk_fma_f32 v[24:25], v[2:3], v[42:43], v[22:23] neg_lo:[0,0,1] neg_hi:[0,0,1]
	v_pk_fma_f32 v[2:3], v[2:3], v[42:43], v[22:23] op_sel_hi:[1,0,1]
	s_nop 0
	v_mov_b32_e32 v25, v3
	v_pk_add_f32 v[2:3], v[20:21], v[24:25]
	v_mov_b32_e32 v20, v45
	v_pk_mul_f32 v[20:21], v[4:5], v[20:21] op_sel:[1,0] op_sel_hi:[0,0]
	v_pk_fma_f32 v[22:23], v[4:5], v[44:45], v[20:21] neg_lo:[0,0,1] neg_hi:[0,0,1]
	v_pk_fma_f32 v[4:5], v[4:5], v[44:45], v[20:21] op_sel_hi:[1,0,1]
	s_nop 0
	v_mov_b32_e32 v23, v5
	s_waitcnt vmcnt(3) lgkmcnt(2)
	v_pk_mul_f32 v[4:5], v[6:7], v[26:27] op_sel:[1,1] op_sel_hi:[0,1]
	v_pk_fma_f32 v[20:21], v[6:7], v[26:27], v[4:5] neg_lo:[0,0,1] neg_hi:[0,0,1]
	v_pk_fma_f32 v[4:5], v[6:7], v[26:27], v[4:5] op_sel_hi:[1,0,1]
	v_pk_add_f32 v[2:3], v[2:3], v[22:23]
	v_mov_b32_e32 v4, v29
	v_mov_b32_e32 v21, v5
	v_pk_mul_f32 v[4:5], v[8:9], v[4:5] op_sel:[1,0] op_sel_hi:[0,0]
	v_pk_fma_f32 v[6:7], v[8:9], v[28:29], v[4:5] neg_lo:[0,0,1] neg_hi:[0,0,1]
	v_pk_fma_f32 v[4:5], v[8:9], v[28:29], v[4:5] op_sel_hi:[1,0,1]
	v_pk_add_f32 v[2:3], v[2:3], v[20:21]
	v_mov_b32_e32 v7, v5
	s_waitcnt vmcnt(2) lgkmcnt(1)
	v_pk_mul_f32 v[4:5], v[10:11], v[14:15] op_sel:[1,1] op_sel_hi:[0,1]
	v_pk_add_f32 v[2:3], v[2:3], v[6:7]
	v_pk_fma_f32 v[6:7], v[10:11], v[14:15], v[4:5] neg_lo:[0,0,1] neg_hi:[0,0,1]
	v_pk_fma_f32 v[4:5], v[10:11], v[14:15], v[4:5] op_sel_hi:[1,0,1]
	s_nop 0
	v_mov_b32_e32 v4, v17
	v_mov_b32_e32 v7, v5
	v_pk_mul_f32 v[4:5], v[12:13], v[4:5] op_sel:[1,0] op_sel_hi:[0,0]
	v_pk_add_f32 v[2:3], v[2:3], v[6:7]
	v_pk_fma_f32 v[6:7], v[12:13], v[16:17], v[4:5] neg_lo:[0,0,1] neg_hi:[0,0,1]
	v_pk_fma_f32 v[4:5], v[12:13], v[16:17], v[4:5] op_sel_hi:[1,0,1]
	s_nop 0
	v_mov_b32_e32 v7, v5
	s_waitcnt vmcnt(1) lgkmcnt(0)
	v_pk_mul_f32 v[4:5], v[18:19], v[54:55] op_sel:[1,1] op_sel_hi:[0,1]
	v_pk_add_f32 v[2:3], v[2:3], v[6:7]
	v_pk_fma_f32 v[6:7], v[18:19], v[54:55], v[4:5] neg_lo:[0,0,1] neg_hi:[0,0,1]
	v_pk_fma_f32 v[4:5], v[18:19], v[54:55], v[4:5] op_sel_hi:[1,0,1]
	s_nop 0
	v_mov_b32_e32 v7, v5
	v_pk_add_f32 v[2:3], v[2:3], v[6:7]
	s_waitcnt vmcnt(0)
	v_pk_add_f32 v[2:3], v[80:81], v[2:3] neg_lo:[0,1] neg_hi:[0,1]
	scratch_store_dwordx2 off, v[2:3], off offset:80
	s_and_saveexec_b64 s[0:1], vcc
	s_cbranch_execz .LBB37_223
; %bb.222:
	scratch_load_dwordx2 v[2:3], off, off offset:72
	v_mov_b32_e32 v83, v82
	scratch_store_dwordx2 off, v[82:83], off offset:72
	s_waitcnt vmcnt(1)
	ds_write_b64 v1, v[2:3]
.LBB37_223:
	s_or_b64 exec, exec, s[0:1]
	s_waitcnt lgkmcnt(0)
	; wave barrier
	scratch_load_dwordx4 v[18:21], off, off offset:80
	scratch_load_dwordx4 v[34:37], off, off offset:96
	;; [unrolled: 1-line block ×10, first 2 shown]
	ds_read_b128 v[84:87], v82 offset:384
	ds_read_b128 v[88:91], v82 offset:400
	;; [unrolled: 1-line block ×10, first 2 shown]
	scratch_load_dwordx4 v[54:57], off, off offset:240
	scratch_load_dwordx4 v[46:49], off, off offset:256
	;; [unrolled: 1-line block ×4, first 2 shown]
	scratch_load_dwordx2 v[100:101], off, off offset:72
	v_cmp_lt_u32_e32 vcc, 8, v0
	s_waitcnt vmcnt(14) lgkmcnt(9)
	v_mul_f32_e32 v83, v84, v19
	v_mul_f32_e32 v102, v86, v21
	s_waitcnt vmcnt(12) lgkmcnt(7)
	v_mul_f32_e32 v107, v92, v3
	v_mul_f32_e32 v3, v93, v3
	v_fmac_f32_e32 v83, v85, v18
	v_mul_f32_e32 v104, v88, v35
	v_fmac_f32_e32 v102, v87, v20
	v_fmac_f32_e32 v107, v93, v2
	v_fma_f32 v2, v92, v2, -v3
	v_add_f32_e32 v3, 0, v83
	v_mul_f32_e32 v106, v90, v37
	v_fmac_f32_e32 v104, v89, v34
	v_add_f32_e32 v3, v3, v102
	v_fmac_f32_e32 v106, v91, v36
	v_add_f32_e32 v3, v3, v104
	v_mul_f32_e32 v108, v94, v5
	v_add_f32_e32 v3, v3, v106
	s_waitcnt vmcnt(11) lgkmcnt(6)
	v_mul_f32_e32 v109, v96, v7
	v_fmac_f32_e32 v108, v95, v4
	v_add_f32_e32 v3, v3, v107
	v_mul_f32_e32 v110, v98, v9
	v_fmac_f32_e32 v109, v97, v6
	v_add_f32_e32 v3, v3, v108
	s_waitcnt vmcnt(10) lgkmcnt(5)
	v_mul_f32_e32 v111, v78, v11
	v_fmac_f32_e32 v110, v99, v8
	v_add_f32_e32 v3, v3, v109
	v_mul_f32_e32 v112, v80, v13
	v_fmac_f32_e32 v111, v79, v10
	;; [unrolled: 7-line block ×4, first 2 shown]
	v_add_f32_e32 v3, v3, v190
	s_waitcnt vmcnt(7) lgkmcnt(2)
	v_mul_f32_e32 v193, v66, v39
	v_mul_f32_e32 v19, v85, v19
	v_fmac_f32_e32 v192, v73, v28
	v_add_f32_e32 v3, v3, v191
	v_mul_f32_e32 v194, v68, v41
	v_mul_f32_e32 v21, v87, v21
	v_fmac_f32_e32 v193, v67, v38
	v_fma_f32 v18, v84, v18, -v19
	v_add_f32_e32 v3, v3, v192
	s_waitcnt vmcnt(6) lgkmcnt(1)
	v_mul_f32_e32 v195, v62, v43
	v_mul_f32_e32 v35, v89, v35
	v_fmac_f32_e32 v194, v69, v40
	v_fma_f32 v19, v86, v20, -v21
	v_add_f32_e32 v18, 0, v18
	v_add_f32_e32 v3, v3, v193
	v_mul_f32_e32 v196, v64, v45
	v_mul_f32_e32 v37, v91, v37
	v_fmac_f32_e32 v195, v63, v42
	v_fma_f32 v20, v88, v34, -v35
	v_add_f32_e32 v18, v18, v19
	v_add_f32_e32 v3, v3, v194
	v_fmac_f32_e32 v196, v65, v44
	v_fma_f32 v21, v90, v36, -v37
	v_add_f32_e32 v18, v18, v20
	v_add_f32_e32 v3, v3, v195
	;; [unrolled: 1-line block ×4, first 2 shown]
	v_mul_f32_e32 v3, v95, v5
	v_add_f32_e32 v2, v18, v2
	v_fma_f32 v3, v94, v4, -v3
	v_add_f32_e32 v2, v2, v3
	v_mul_f32_e32 v3, v97, v7
	v_fma_f32 v3, v96, v6, -v3
	v_add_f32_e32 v2, v2, v3
	v_mul_f32_e32 v3, v99, v9
	;; [unrolled: 3-line block ×12, first 2 shown]
	v_fma_f32 v3, v64, v44, -v3
	v_add_f32_e32 v34, v2, v3
	s_waitcnt vmcnt(5) lgkmcnt(0)
	v_mul_f32_e32 v2, v59, v51
	v_fma_f32 v102, v58, v50, -v2
	v_mul_f32_e32 v2, v61, v53
	v_fma_f32 v104, v60, v52, -v2
	ds_read_b128 v[2:5], v82 offset:544
	ds_read_b128 v[6:9], v82 offset:560
	;; [unrolled: 1-line block ×4, first 2 shown]
	v_mul_f32_e32 v103, v58, v51
	v_mul_f32_e32 v105, v60, v53
	v_fmac_f32_e32 v103, v59, v50
	s_waitcnt vmcnt(4) lgkmcnt(3)
	v_pk_mul_f32 v[24:25], v[2:3], v[54:55] op_sel:[1,1] op_sel_hi:[0,1]
	v_fmac_f32_e32 v105, v61, v52
	v_pk_add_f32 v[22:23], v[34:35], v[102:103]
	v_pk_fma_f32 v[26:27], v[2:3], v[54:55], v[24:25] neg_lo:[0,0,1] neg_hi:[0,0,1]
	v_pk_fma_f32 v[2:3], v[2:3], v[54:55], v[24:25] op_sel_hi:[1,0,1]
	v_pk_add_f32 v[22:23], v[22:23], v[104:105]
	v_mov_b32_e32 v27, v3
	v_pk_add_f32 v[2:3], v[22:23], v[26:27]
	v_mov_b32_e32 v22, v57
	v_pk_mul_f32 v[22:23], v[4:5], v[22:23] op_sel:[1,0] op_sel_hi:[0,0]
	v_pk_fma_f32 v[24:25], v[4:5], v[56:57], v[22:23] neg_lo:[0,0,1] neg_hi:[0,0,1]
	v_pk_fma_f32 v[4:5], v[4:5], v[56:57], v[22:23] op_sel_hi:[1,0,1]
	s_nop 0
	v_mov_b32_e32 v25, v5
	s_waitcnt vmcnt(3) lgkmcnt(2)
	v_pk_mul_f32 v[4:5], v[6:7], v[46:47] op_sel:[1,1] op_sel_hi:[0,1]
	v_pk_fma_f32 v[22:23], v[6:7], v[46:47], v[4:5] neg_lo:[0,0,1] neg_hi:[0,0,1]
	v_pk_fma_f32 v[4:5], v[6:7], v[46:47], v[4:5] op_sel_hi:[1,0,1]
	v_pk_add_f32 v[2:3], v[2:3], v[24:25]
	v_mov_b32_e32 v4, v49
	v_mov_b32_e32 v23, v5
	v_pk_mul_f32 v[4:5], v[8:9], v[4:5] op_sel:[1,0] op_sel_hi:[0,0]
	v_pk_fma_f32 v[6:7], v[8:9], v[48:49], v[4:5] neg_lo:[0,0,1] neg_hi:[0,0,1]
	v_pk_fma_f32 v[4:5], v[8:9], v[48:49], v[4:5] op_sel_hi:[1,0,1]
	v_pk_add_f32 v[2:3], v[2:3], v[22:23]
	v_mov_b32_e32 v7, v5
	s_waitcnt vmcnt(2) lgkmcnt(1)
	v_pk_mul_f32 v[4:5], v[10:11], v[30:31] op_sel:[1,1] op_sel_hi:[0,1]
	v_pk_add_f32 v[2:3], v[2:3], v[6:7]
	v_pk_fma_f32 v[6:7], v[10:11], v[30:31], v[4:5] neg_lo:[0,0,1] neg_hi:[0,0,1]
	v_pk_fma_f32 v[4:5], v[10:11], v[30:31], v[4:5] op_sel_hi:[1,0,1]
	s_nop 0
	v_mov_b32_e32 v4, v33
	v_mov_b32_e32 v7, v5
	v_pk_mul_f32 v[4:5], v[12:13], v[4:5] op_sel:[1,0] op_sel_hi:[0,0]
	v_pk_add_f32 v[2:3], v[2:3], v[6:7]
	v_pk_fma_f32 v[6:7], v[12:13], v[32:33], v[4:5] neg_lo:[0,0,1] neg_hi:[0,0,1]
	v_pk_fma_f32 v[4:5], v[12:13], v[32:33], v[4:5] op_sel_hi:[1,0,1]
	s_nop 0
	v_mov_b32_e32 v7, v5
	s_waitcnt vmcnt(1) lgkmcnt(0)
	v_pk_mul_f32 v[4:5], v[18:19], v[14:15] op_sel:[1,1] op_sel_hi:[0,1]
	v_pk_add_f32 v[2:3], v[2:3], v[6:7]
	v_pk_fma_f32 v[6:7], v[18:19], v[14:15], v[4:5] neg_lo:[0,0,1] neg_hi:[0,0,1]
	v_pk_fma_f32 v[4:5], v[18:19], v[14:15], v[4:5] op_sel_hi:[1,0,1]
	s_nop 0
	v_mov_b32_e32 v4, v17
	v_mov_b32_e32 v7, v5
	v_pk_mul_f32 v[4:5], v[20:21], v[4:5] op_sel:[1,0] op_sel_hi:[0,0]
	v_pk_add_f32 v[2:3], v[2:3], v[6:7]
	v_pk_fma_f32 v[6:7], v[20:21], v[16:17], v[4:5] neg_lo:[0,0,1] neg_hi:[0,0,1]
	v_pk_fma_f32 v[4:5], v[20:21], v[16:17], v[4:5] op_sel_hi:[1,0,1]
	s_nop 0
	v_mov_b32_e32 v7, v5
	v_pk_add_f32 v[2:3], v[2:3], v[6:7]
	s_waitcnt vmcnt(0)
	v_pk_add_f32 v[2:3], v[100:101], v[2:3] neg_lo:[0,1] neg_hi:[0,1]
	scratch_store_dwordx2 off, v[2:3], off offset:72
	s_and_saveexec_b64 s[0:1], vcc
	s_cbranch_execz .LBB37_225
; %bb.224:
	scratch_load_dwordx2 v[2:3], off, off offset:64
	v_mov_b32_e32 v4, 0
	v_mov_b32_e32 v5, v4
	scratch_store_dwordx2 off, v[4:5], off offset:64
	s_waitcnt vmcnt(1)
	ds_write_b64 v1, v[2:3]
.LBB37_225:
	s_or_b64 exec, exec, s[0:1]
	s_waitcnt lgkmcnt(0)
	; wave barrier
	scratch_load_dwordx4 v[18:21], off, off offset:72
	scratch_load_dwordx4 v[2:5], off, off offset:88
	;; [unrolled: 1-line block ×14, first 2 shown]
	scratch_load_dwordx2 v[58:59], off, off offset:296
	scratch_load_dwordx2 v[100:101], off, off offset:64
	v_mov_b32_e32 v102, 0
	ds_read2_b64 v[60:63], v102 offset0:47 offset1:48
	ds_read2_b64 v[64:67], v102 offset0:49 offset1:50
	;; [unrolled: 1-line block ×12, first 2 shown]
	v_cmp_lt_u32_e32 vcc, 7, v0
	s_waitcnt vmcnt(15) lgkmcnt(11)
	v_mul_f32_e32 v103, v60, v19
	v_mul_f32_e32 v112, v62, v21
	s_waitcnt vmcnt(14) lgkmcnt(10)
	v_mul_f32_e32 v190, v64, v3
	v_mul_f32_e32 v3, v65, v3
	v_fmac_f32_e32 v103, v61, v18
	v_fmac_f32_e32 v112, v63, v20
	;; [unrolled: 1-line block ×3, first 2 shown]
	v_fma_f32 v2, v64, v2, -v3
	v_add_f32_e32 v3, 0, v103
	v_mul_f32_e32 v192, v66, v5
	v_add_f32_e32 v3, v3, v112
	s_waitcnt vmcnt(13) lgkmcnt(9)
	v_mul_f32_e32 v193, v68, v7
	v_fmac_f32_e32 v192, v67, v4
	v_add_f32_e32 v3, v3, v190
	v_mul_f32_e32 v194, v70, v9
	v_fmac_f32_e32 v193, v69, v6
	v_add_f32_e32 v3, v3, v192
	s_waitcnt vmcnt(12) lgkmcnt(8)
	v_mul_f32_e32 v195, v72, v11
	v_fmac_f32_e32 v194, v71, v8
	v_add_f32_e32 v3, v3, v193
	v_mul_f32_e32 v196, v74, v13
	v_fmac_f32_e32 v195, v73, v10
	;; [unrolled: 7-line block ×6, first 2 shown]
	v_add_f32_e32 v3, v3, v202
	s_waitcnt vmcnt(7) lgkmcnt(3)
	v_mul_f32_e32 v205, v92, v43
	v_fmac_f32_e32 v204, v91, v40
	v_add_f32_e32 v3, v3, v203
	v_mul_f32_e32 v206, v94, v45
	v_mul_f32_e32 v19, v61, v19
	v_fmac_f32_e32 v205, v93, v42
	v_add_f32_e32 v3, v3, v204
	s_waitcnt vmcnt(6) lgkmcnt(2)
	v_mul_f32_e32 v207, v96, v51
	v_mul_f32_e32 v21, v63, v21
	v_fmac_f32_e32 v206, v95, v44
	v_fma_f32 v18, v60, v18, -v19
	v_add_f32_e32 v3, v3, v205
	v_fmac_f32_e32 v207, v97, v50
	v_fma_f32 v19, v62, v20, -v21
	v_add_f32_e32 v18, 0, v18
	v_add_f32_e32 v3, v3, v206
	;; [unrolled: 1-line block ×4, first 2 shown]
	v_mul_f32_e32 v3, v67, v5
	v_add_f32_e32 v2, v18, v2
	v_fma_f32 v3, v66, v4, -v3
	v_add_f32_e32 v2, v2, v3
	v_mul_f32_e32 v3, v69, v7
	v_fma_f32 v3, v68, v6, -v3
	v_add_f32_e32 v2, v2, v3
	v_mul_f32_e32 v3, v71, v9
	;; [unrolled: 3-line block ×15, first 2 shown]
	v_fma_f32 v3, v96, v50, -v3
	v_mul_f32_e32 v113, v98, v53
	v_add_f32_e32 v18, v2, v3
	v_mul_f32_e32 v2, v99, v53
	s_waitcnt vmcnt(5)
	v_mov_b32_e32 v14, v57
	s_waitcnt lgkmcnt(1)
	v_mul_f32_e32 v191, v104, v55
	v_fmac_f32_e32 v113, v99, v52
	v_fma_f32 v112, v98, v52, -v2
	v_mul_f32_e32 v2, v105, v55
	v_pk_mul_f32 v[14:15], v[106:107], v[14:15] op_sel:[1,0] op_sel_hi:[0,0]
	v_fmac_f32_e32 v191, v105, v54
	v_fma_f32 v190, v104, v54, -v2
	v_pk_add_f32 v[12:13], v[18:19], v[112:113]
	v_pk_fma_f32 v[16:17], v[106:107], v[56:57], v[14:15] neg_lo:[0,0,1] neg_hi:[0,0,1]
	v_pk_fma_f32 v[14:15], v[106:107], v[56:57], v[14:15] op_sel_hi:[1,0,1]
	v_pk_add_f32 v[12:13], v[12:13], v[190:191]
	v_mov_b32_e32 v17, v15
	s_waitcnt vmcnt(4) lgkmcnt(0)
	v_pk_mul_f32 v[14:15], v[108:109], v[46:47] op_sel:[1,1] op_sel_hi:[0,1]
	v_pk_add_f32 v[12:13], v[12:13], v[16:17]
	v_pk_fma_f32 v[16:17], v[108:109], v[46:47], v[14:15] neg_lo:[0,0,1] neg_hi:[0,0,1]
	v_pk_fma_f32 v[14:15], v[108:109], v[46:47], v[14:15] op_sel_hi:[1,0,1]
	ds_read2_b64 v[2:5], v102 offset0:71 offset1:72
	ds_read2_b64 v[6:9], v102 offset0:73 offset1:74
	ds_read_b64 v[10:11], v102 offset:600
	v_mov_b32_e32 v14, v49
	v_mov_b32_e32 v17, v15
	v_pk_mul_f32 v[14:15], v[110:111], v[14:15] op_sel:[1,0] op_sel_hi:[0,0]
	v_pk_add_f32 v[12:13], v[12:13], v[16:17]
	v_pk_fma_f32 v[16:17], v[110:111], v[48:49], v[14:15] neg_lo:[0,0,1] neg_hi:[0,0,1]
	v_pk_fma_f32 v[14:15], v[110:111], v[48:49], v[14:15] op_sel_hi:[1,0,1]
	s_nop 0
	v_mov_b32_e32 v17, v15
	s_waitcnt vmcnt(3) lgkmcnt(2)
	v_pk_mul_f32 v[14:15], v[2:3], v[34:35] op_sel:[1,1] op_sel_hi:[0,1]
	v_pk_add_f32 v[12:13], v[12:13], v[16:17]
	v_pk_fma_f32 v[16:17], v[2:3], v[34:35], v[14:15] neg_lo:[0,0,1] neg_hi:[0,0,1]
	v_pk_fma_f32 v[2:3], v[2:3], v[34:35], v[14:15] op_sel_hi:[1,0,1]
	s_nop 0
	v_mov_b32_e32 v17, v3
	v_pk_add_f32 v[2:3], v[12:13], v[16:17]
	v_mov_b32_e32 v12, v37
	v_pk_mul_f32 v[12:13], v[4:5], v[12:13] op_sel:[1,0] op_sel_hi:[0,0]
	v_pk_fma_f32 v[14:15], v[4:5], v[36:37], v[12:13] neg_lo:[0,0,1] neg_hi:[0,0,1]
	v_pk_fma_f32 v[4:5], v[4:5], v[36:37], v[12:13] op_sel_hi:[1,0,1]
	s_nop 0
	v_mov_b32_e32 v15, v5
	s_waitcnt vmcnt(2) lgkmcnt(1)
	v_pk_mul_f32 v[4:5], v[6:7], v[22:23] op_sel:[1,1] op_sel_hi:[0,1]
	v_pk_fma_f32 v[12:13], v[6:7], v[22:23], v[4:5] neg_lo:[0,0,1] neg_hi:[0,0,1]
	v_pk_fma_f32 v[4:5], v[6:7], v[22:23], v[4:5] op_sel_hi:[1,0,1]
	v_pk_add_f32 v[2:3], v[2:3], v[14:15]
	v_mov_b32_e32 v4, v25
	v_mov_b32_e32 v13, v5
	v_pk_mul_f32 v[4:5], v[8:9], v[4:5] op_sel:[1,0] op_sel_hi:[0,0]
	v_pk_fma_f32 v[6:7], v[8:9], v[24:25], v[4:5] neg_lo:[0,0,1] neg_hi:[0,0,1]
	v_pk_fma_f32 v[4:5], v[8:9], v[24:25], v[4:5] op_sel_hi:[1,0,1]
	v_pk_add_f32 v[2:3], v[2:3], v[12:13]
	v_mov_b32_e32 v7, v5
	s_waitcnt vmcnt(1) lgkmcnt(0)
	v_pk_mul_f32 v[4:5], v[10:11], v[58:59] op_sel:[1,1] op_sel_hi:[0,1]
	v_pk_add_f32 v[2:3], v[2:3], v[6:7]
	v_pk_fma_f32 v[6:7], v[10:11], v[58:59], v[4:5] neg_lo:[0,0,1] neg_hi:[0,0,1]
	v_pk_fma_f32 v[4:5], v[10:11], v[58:59], v[4:5] op_sel_hi:[1,0,1]
	s_nop 0
	v_mov_b32_e32 v7, v5
	v_pk_add_f32 v[2:3], v[2:3], v[6:7]
	s_waitcnt vmcnt(0)
	v_pk_add_f32 v[2:3], v[100:101], v[2:3] neg_lo:[0,1] neg_hi:[0,1]
	scratch_store_dwordx2 off, v[2:3], off offset:64
	s_and_saveexec_b64 s[0:1], vcc
	s_cbranch_execz .LBB37_227
; %bb.226:
	scratch_load_dwordx2 v[2:3], off, off offset:56
	v_mov_b32_e32 v103, v102
	scratch_store_dwordx2 off, v[102:103], off offset:56
	s_waitcnt vmcnt(1)
	ds_write_b64 v1, v[2:3]
.LBB37_227:
	s_or_b64 exec, exec, s[0:1]
	s_waitcnt lgkmcnt(0)
	; wave barrier
	scratch_load_dwordx4 v[22:25], off, off offset:64
	scratch_load_dwordx4 v[2:5], off, off offset:80
	;; [unrolled: 1-line block ×11, first 2 shown]
	ds_read_b128 v[104:107], v102 offset:368
	ds_read_b128 v[98:101], v102 offset:384
	;; [unrolled: 1-line block ×10, first 2 shown]
	scratch_load_dwordx4 v[58:61], off, off offset:240
	scratch_load_dwordx4 v[50:53], off, off offset:256
	;; [unrolled: 1-line block ×4, first 2 shown]
	ds_read_b128 v[78:81], v102 offset:528
	ds_read_b128 v[108:111], v102 offset:544
	scratch_load_dwordx2 v[112:113], off, off offset:56
	v_cmp_lt_u32_e32 vcc, 6, v0
	s_waitcnt vmcnt(15) lgkmcnt(11)
	v_mul_f32_e32 v103, v104, v23
	v_mul_f32_e32 v190, v106, v25
	s_waitcnt vmcnt(14) lgkmcnt(10)
	v_mul_f32_e32 v192, v98, v3
	v_mul_f32_e32 v3, v99, v3
	v_fmac_f32_e32 v103, v105, v22
	v_fmac_f32_e32 v190, v107, v24
	v_fmac_f32_e32 v192, v99, v2
	v_fma_f32 v2, v98, v2, -v3
	v_add_f32_e32 v3, 0, v103
	v_mul_f32_e32 v194, v100, v5
	v_add_f32_e32 v3, v3, v190
	s_waitcnt vmcnt(13) lgkmcnt(9)
	v_mul_f32_e32 v195, v94, v7
	v_fmac_f32_e32 v194, v101, v4
	v_add_f32_e32 v3, v3, v192
	v_mul_f32_e32 v196, v96, v9
	v_fmac_f32_e32 v195, v95, v6
	v_add_f32_e32 v3, v3, v194
	s_waitcnt vmcnt(12) lgkmcnt(8)
	v_mul_f32_e32 v197, v90, v11
	v_fmac_f32_e32 v196, v97, v8
	v_add_f32_e32 v3, v3, v195
	v_mul_f32_e32 v198, v92, v13
	v_fmac_f32_e32 v197, v91, v10
	;; [unrolled: 7-line block ×7, first 2 shown]
	v_add_f32_e32 v3, v3, v206
	s_waitcnt vmcnt(6) lgkmcnt(2)
	v_mul_f32_e32 v209, v62, v47
	v_mul_f32_e32 v23, v105, v23
	v_fmac_f32_e32 v208, v69, v44
	v_add_f32_e32 v3, v3, v207
	v_mul_f32_e32 v210, v64, v49
	v_mul_f32_e32 v25, v107, v25
	v_fmac_f32_e32 v209, v63, v46
	v_fma_f32 v22, v104, v22, -v23
	v_add_f32_e32 v3, v3, v208
	v_fmac_f32_e32 v210, v65, v48
	v_fma_f32 v23, v106, v24, -v25
	v_add_f32_e32 v22, 0, v22
	v_add_f32_e32 v3, v3, v209
	;; [unrolled: 1-line block ×4, first 2 shown]
	v_mul_f32_e32 v3, v101, v5
	v_add_f32_e32 v2, v22, v2
	v_fma_f32 v3, v100, v4, -v3
	v_add_f32_e32 v2, v2, v3
	v_mul_f32_e32 v3, v95, v7
	v_fma_f32 v3, v94, v6, -v3
	v_add_f32_e32 v2, v2, v3
	v_mul_f32_e32 v3, v97, v9
	;; [unrolled: 3-line block ×16, first 2 shown]
	v_fma_f32 v3, v64, v48, -v3
	s_waitcnt vmcnt(5) lgkmcnt(1)
	v_mul_f32_e32 v191, v78, v55
	v_add_f32_e32 v22, v2, v3
	v_mul_f32_e32 v2, v79, v55
	s_waitcnt vmcnt(4) lgkmcnt(0)
	v_pk_mul_f32 v[16:17], v[108:109], v[58:59] op_sel:[1,1] op_sel_hi:[0,1]
	v_mul_f32_e32 v193, v80, v57
	v_fmac_f32_e32 v191, v79, v54
	v_fma_f32 v190, v78, v54, -v2
	v_mul_f32_e32 v2, v81, v57
	v_pk_fma_f32 v[18:19], v[108:109], v[58:59], v[16:17] neg_lo:[0,0,1] neg_hi:[0,0,1]
	v_pk_fma_f32 v[16:17], v[108:109], v[58:59], v[16:17] op_sel_hi:[1,0,1]
	v_fmac_f32_e32 v193, v81, v56
	v_fma_f32 v192, v80, v56, -v2
	ds_read_b128 v[2:5], v102 offset:560
	ds_read_b128 v[6:9], v102 offset:576
	;; [unrolled: 1-line block ×3, first 2 shown]
	v_pk_add_f32 v[14:15], v[22:23], v[190:191]
	v_mov_b32_e32 v16, v61
	v_pk_add_f32 v[14:15], v[14:15], v[192:193]
	v_mov_b32_e32 v19, v17
	v_pk_mul_f32 v[16:17], v[110:111], v[16:17] op_sel:[1,0] op_sel_hi:[0,0]
	v_pk_add_f32 v[14:15], v[14:15], v[18:19]
	v_pk_fma_f32 v[18:19], v[110:111], v[60:61], v[16:17] neg_lo:[0,0,1] neg_hi:[0,0,1]
	v_pk_fma_f32 v[16:17], v[110:111], v[60:61], v[16:17] op_sel_hi:[1,0,1]
	s_nop 0
	v_mov_b32_e32 v19, v17
	s_waitcnt vmcnt(3) lgkmcnt(2)
	v_pk_mul_f32 v[16:17], v[2:3], v[50:51] op_sel:[1,1] op_sel_hi:[0,1]
	v_pk_add_f32 v[14:15], v[14:15], v[18:19]
	v_pk_fma_f32 v[18:19], v[2:3], v[50:51], v[16:17] neg_lo:[0,0,1] neg_hi:[0,0,1]
	v_pk_fma_f32 v[2:3], v[2:3], v[50:51], v[16:17] op_sel_hi:[1,0,1]
	s_nop 0
	v_mov_b32_e32 v19, v3
	v_pk_add_f32 v[2:3], v[14:15], v[18:19]
	v_mov_b32_e32 v14, v53
	v_pk_mul_f32 v[14:15], v[4:5], v[14:15] op_sel:[1,0] op_sel_hi:[0,0]
	v_pk_fma_f32 v[16:17], v[4:5], v[52:53], v[14:15] neg_lo:[0,0,1] neg_hi:[0,0,1]
	v_pk_fma_f32 v[4:5], v[4:5], v[52:53], v[14:15] op_sel_hi:[1,0,1]
	s_nop 0
	v_mov_b32_e32 v17, v5
	s_waitcnt vmcnt(2) lgkmcnt(1)
	v_pk_mul_f32 v[4:5], v[6:7], v[38:39] op_sel:[1,1] op_sel_hi:[0,1]
	v_pk_fma_f32 v[14:15], v[6:7], v[38:39], v[4:5] neg_lo:[0,0,1] neg_hi:[0,0,1]
	v_pk_fma_f32 v[4:5], v[6:7], v[38:39], v[4:5] op_sel_hi:[1,0,1]
	v_pk_add_f32 v[2:3], v[2:3], v[16:17]
	v_mov_b32_e32 v4, v41
	v_mov_b32_e32 v15, v5
	v_pk_mul_f32 v[4:5], v[8:9], v[4:5] op_sel:[1,0] op_sel_hi:[0,0]
	v_pk_fma_f32 v[6:7], v[8:9], v[40:41], v[4:5] neg_lo:[0,0,1] neg_hi:[0,0,1]
	v_pk_fma_f32 v[4:5], v[8:9], v[40:41], v[4:5] op_sel_hi:[1,0,1]
	v_pk_add_f32 v[2:3], v[2:3], v[14:15]
	v_mov_b32_e32 v7, v5
	s_waitcnt vmcnt(1) lgkmcnt(0)
	v_pk_mul_f32 v[4:5], v[10:11], v[26:27] op_sel:[1,1] op_sel_hi:[0,1]
	v_pk_add_f32 v[2:3], v[2:3], v[6:7]
	v_pk_fma_f32 v[6:7], v[10:11], v[26:27], v[4:5] neg_lo:[0,0,1] neg_hi:[0,0,1]
	v_pk_fma_f32 v[4:5], v[10:11], v[26:27], v[4:5] op_sel_hi:[1,0,1]
	s_nop 0
	v_mov_b32_e32 v4, v29
	v_mov_b32_e32 v7, v5
	v_pk_mul_f32 v[4:5], v[12:13], v[4:5] op_sel:[1,0] op_sel_hi:[0,0]
	v_pk_add_f32 v[2:3], v[2:3], v[6:7]
	v_pk_fma_f32 v[6:7], v[12:13], v[28:29], v[4:5] neg_lo:[0,0,1] neg_hi:[0,0,1]
	v_pk_fma_f32 v[4:5], v[12:13], v[28:29], v[4:5] op_sel_hi:[1,0,1]
	s_nop 0
	v_mov_b32_e32 v7, v5
	v_pk_add_f32 v[2:3], v[2:3], v[6:7]
	s_waitcnt vmcnt(0)
	v_pk_add_f32 v[2:3], v[112:113], v[2:3] neg_lo:[0,1] neg_hi:[0,1]
	scratch_store_dwordx2 off, v[2:3], off offset:56
	s_and_saveexec_b64 s[0:1], vcc
	s_cbranch_execz .LBB37_229
; %bb.228:
	scratch_load_dwordx2 v[2:3], off, off offset:48
	v_mov_b32_e32 v4, 0
	v_mov_b32_e32 v5, v4
	scratch_store_dwordx2 off, v[4:5], off offset:48
	s_waitcnt vmcnt(1)
	ds_write_b64 v1, v[2:3]
.LBB37_229:
	s_or_b64 exec, exec, s[0:1]
	s_waitcnt lgkmcnt(0)
	; wave barrier
	scratch_load_dwordx4 v[2:5], off, off offset:56
	scratch_load_dwordx4 v[6:9], off, off offset:72
	;; [unrolled: 1-line block ×15, first 2 shown]
	scratch_load_dwordx2 v[62:63], off, off offset:296
	scratch_load_dwordx2 v[112:113], off, off offset:48
	v_mov_b32_e32 v190, 0
	ds_read2_b64 v[64:67], v190 offset0:45 offset1:46
	ds_read2_b64 v[68:71], v190 offset0:47 offset1:48
	;; [unrolled: 1-line block ×12, first 2 shown]
	v_cmp_lt_u32_e32 vcc, 5, v0
	s_waitcnt vmcnt(16) lgkmcnt(11)
	v_mul_f32_e32 v191, v64, v3
	v_mul_f32_e32 v192, v66, v5
	;; [unrolled: 1-line block ×3, first 2 shown]
	v_fmac_f32_e32 v191, v65, v2
	s_waitcnt vmcnt(15) lgkmcnt(10)
	v_mul_f32_e32 v194, v68, v7
	v_fmac_f32_e32 v192, v67, v4
	v_fma_f32 v2, v64, v2, -v3
	v_add_f32_e32 v3, 0, v191
	v_mul_f32_e32 v196, v70, v9
	v_fmac_f32_e32 v194, v69, v6
	v_add_f32_e32 v3, v3, v192
	s_waitcnt vmcnt(14) lgkmcnt(9)
	v_mul_f32_e32 v197, v72, v11
	v_fmac_f32_e32 v196, v71, v8
	v_add_f32_e32 v3, v3, v194
	v_mul_f32_e32 v198, v74, v13
	v_fmac_f32_e32 v197, v73, v10
	v_add_f32_e32 v3, v3, v196
	s_waitcnt vmcnt(13) lgkmcnt(8)
	v_mul_f32_e32 v199, v76, v15
	v_fmac_f32_e32 v198, v75, v12
	;; [unrolled: 7-line block ×9, first 2 shown]
	v_add_f32_e32 v3, v3, v211
	v_mul_f32_e32 v5, v67, v5
	v_fmac_f32_e32 v213, v105, v58
	v_add_f32_e32 v3, v3, v212
	v_add_f32_e32 v2, 0, v2
	;; [unrolled: 1-line block ×3, first 2 shown]
	v_fma_f32 v3, v66, v4, -v5
	v_add_f32_e32 v2, v2, v3
	v_mul_f32_e32 v3, v69, v7
	v_fma_f32 v3, v68, v6, -v3
	v_add_f32_e32 v2, v2, v3
	v_mul_f32_e32 v3, v71, v9
	;; [unrolled: 3-line block ×20, first 2 shown]
	v_mul_f32_e32 v193, v106, v61
	v_fma_f32 v192, v106, v60, -v2
	s_waitcnt vmcnt(5) lgkmcnt(0)
	v_mul_f32_e32 v2, v109, v55
	v_mov_b32_e32 v18, v57
	v_mul_f32_e32 v195, v108, v55
	v_fmac_f32_e32 v193, v107, v60
	v_fma_f32 v194, v108, v54, -v2
	ds_read2_b64 v[2:5], v190 offset0:69 offset1:70
	ds_read2_b64 v[6:9], v190 offset0:71 offset1:72
	;; [unrolled: 1-line block ×3, first 2 shown]
	ds_read_b64 v[14:15], v190 offset:600
	v_pk_mul_f32 v[18:19], v[110:111], v[18:19] op_sel:[1,0] op_sel_hi:[0,0]
	v_fmac_f32_e32 v195, v109, v54
	v_pk_add_f32 v[16:17], v[64:65], v[192:193]
	v_pk_fma_f32 v[20:21], v[110:111], v[56:57], v[18:19] neg_lo:[0,0,1] neg_hi:[0,0,1]
	v_pk_fma_f32 v[18:19], v[110:111], v[56:57], v[18:19] op_sel_hi:[1,0,1]
	v_pk_add_f32 v[16:17], v[16:17], v[194:195]
	v_mov_b32_e32 v21, v19
	s_waitcnt vmcnt(4) lgkmcnt(3)
	v_pk_mul_f32 v[18:19], v[2:3], v[50:51] op_sel:[1,1] op_sel_hi:[0,1]
	v_pk_add_f32 v[16:17], v[16:17], v[20:21]
	v_pk_fma_f32 v[20:21], v[2:3], v[50:51], v[18:19] neg_lo:[0,0,1] neg_hi:[0,0,1]
	v_pk_fma_f32 v[2:3], v[2:3], v[50:51], v[18:19] op_sel_hi:[1,0,1]
	s_nop 0
	v_mov_b32_e32 v21, v3
	v_pk_add_f32 v[2:3], v[16:17], v[20:21]
	v_mov_b32_e32 v16, v53
	v_pk_mul_f32 v[16:17], v[4:5], v[16:17] op_sel:[1,0] op_sel_hi:[0,0]
	v_pk_fma_f32 v[18:19], v[4:5], v[52:53], v[16:17] neg_lo:[0,0,1] neg_hi:[0,0,1]
	v_pk_fma_f32 v[4:5], v[4:5], v[52:53], v[16:17] op_sel_hi:[1,0,1]
	s_nop 0
	v_mov_b32_e32 v19, v5
	s_waitcnt vmcnt(3) lgkmcnt(2)
	v_pk_mul_f32 v[4:5], v[6:7], v[38:39] op_sel:[1,1] op_sel_hi:[0,1]
	v_pk_fma_f32 v[16:17], v[6:7], v[38:39], v[4:5] neg_lo:[0,0,1] neg_hi:[0,0,1]
	v_pk_fma_f32 v[4:5], v[6:7], v[38:39], v[4:5] op_sel_hi:[1,0,1]
	v_pk_add_f32 v[2:3], v[2:3], v[18:19]
	v_mov_b32_e32 v4, v41
	v_mov_b32_e32 v17, v5
	v_pk_mul_f32 v[4:5], v[8:9], v[4:5] op_sel:[1,0] op_sel_hi:[0,0]
	v_pk_fma_f32 v[6:7], v[8:9], v[40:41], v[4:5] neg_lo:[0,0,1] neg_hi:[0,0,1]
	v_pk_fma_f32 v[4:5], v[8:9], v[40:41], v[4:5] op_sel_hi:[1,0,1]
	v_pk_add_f32 v[2:3], v[2:3], v[16:17]
	v_mov_b32_e32 v7, v5
	s_waitcnt vmcnt(2) lgkmcnt(1)
	v_pk_mul_f32 v[4:5], v[10:11], v[26:27] op_sel:[1,1] op_sel_hi:[0,1]
	v_pk_add_f32 v[2:3], v[2:3], v[6:7]
	v_pk_fma_f32 v[6:7], v[10:11], v[26:27], v[4:5] neg_lo:[0,0,1] neg_hi:[0,0,1]
	v_pk_fma_f32 v[4:5], v[10:11], v[26:27], v[4:5] op_sel_hi:[1,0,1]
	s_nop 0
	v_mov_b32_e32 v4, v29
	v_mov_b32_e32 v7, v5
	v_pk_mul_f32 v[4:5], v[12:13], v[4:5] op_sel:[1,0] op_sel_hi:[0,0]
	v_pk_add_f32 v[2:3], v[2:3], v[6:7]
	v_pk_fma_f32 v[6:7], v[12:13], v[28:29], v[4:5] neg_lo:[0,0,1] neg_hi:[0,0,1]
	v_pk_fma_f32 v[4:5], v[12:13], v[28:29], v[4:5] op_sel_hi:[1,0,1]
	s_nop 0
	v_mov_b32_e32 v7, v5
	s_waitcnt vmcnt(1) lgkmcnt(0)
	v_pk_mul_f32 v[4:5], v[14:15], v[62:63] op_sel:[1,1] op_sel_hi:[0,1]
	v_pk_add_f32 v[2:3], v[2:3], v[6:7]
	v_pk_fma_f32 v[6:7], v[14:15], v[62:63], v[4:5] neg_lo:[0,0,1] neg_hi:[0,0,1]
	v_pk_fma_f32 v[4:5], v[14:15], v[62:63], v[4:5] op_sel_hi:[1,0,1]
	s_nop 0
	v_mov_b32_e32 v7, v5
	v_pk_add_f32 v[2:3], v[2:3], v[6:7]
	s_waitcnt vmcnt(0)
	v_pk_add_f32 v[2:3], v[112:113], v[2:3] neg_lo:[0,1] neg_hi:[0,1]
	scratch_store_dwordx2 off, v[2:3], off offset:48
	s_and_saveexec_b64 s[0:1], vcc
	s_cbranch_execz .LBB37_231
; %bb.230:
	scratch_load_dwordx2 v[2:3], off, off offset:40
	v_mov_b32_e32 v191, v190
	scratch_store_dwordx2 off, v[190:191], off offset:40
	s_waitcnt vmcnt(1)
	ds_write_b64 v1, v[2:3]
.LBB37_231:
	s_or_b64 exec, exec, s[0:1]
	s_waitcnt lgkmcnt(0)
	; wave barrier
	scratch_load_dwordx4 v[2:5], off, off offset:48
	scratch_load_dwordx4 v[6:9], off, off offset:64
	;; [unrolled: 1-line block ×12, first 2 shown]
	ds_read_b128 v[110:113], v190 offset:352
	ds_read_b128 v[106:109], v190 offset:368
	;; [unrolled: 1-line block ×12, first 2 shown]
	scratch_load_dwordx4 v[62:65], off, off offset:240
	scratch_load_dwordx4 v[54:57], off, off offset:256
	;; [unrolled: 1-line block ×4, first 2 shown]
	scratch_load_dwordx2 v[192:193], off, off offset:40
	v_cmp_lt_u32_e32 vcc, 4, v0
	s_waitcnt vmcnt(16) lgkmcnt(11)
	v_mul_f32_e32 v191, v110, v3
	v_mul_f32_e32 v194, v112, v5
	;; [unrolled: 1-line block ×3, first 2 shown]
	v_fmac_f32_e32 v191, v111, v2
	s_waitcnt vmcnt(15) lgkmcnt(10)
	v_mul_f32_e32 v196, v106, v7
	v_fmac_f32_e32 v194, v113, v4
	v_fma_f32 v2, v110, v2, -v3
	v_add_f32_e32 v3, 0, v191
	v_mul_f32_e32 v198, v108, v9
	v_fmac_f32_e32 v196, v107, v6
	v_add_f32_e32 v3, v3, v194
	s_waitcnt vmcnt(14) lgkmcnt(9)
	v_mul_f32_e32 v199, v102, v11
	v_fmac_f32_e32 v198, v109, v8
	v_add_f32_e32 v3, v3, v196
	v_mul_f32_e32 v200, v104, v13
	v_fmac_f32_e32 v199, v103, v10
	v_add_f32_e32 v3, v3, v198
	s_waitcnt vmcnt(13) lgkmcnt(8)
	v_mul_f32_e32 v201, v98, v15
	v_fmac_f32_e32 v200, v105, v12
	;; [unrolled: 7-line block ×9, first 2 shown]
	v_add_f32_e32 v3, v3, v213
	v_mul_f32_e32 v216, v72, v53
	v_fmac_f32_e32 v215, v71, v50
	v_add_f32_e32 v3, v3, v214
	v_fmac_f32_e32 v216, v73, v52
	v_add_f32_e32 v3, v3, v215
	v_add_f32_e32 v111, v3, v216
	v_mul_f32_e32 v3, v113, v5
	v_add_f32_e32 v2, 0, v2
	v_fma_f32 v3, v112, v4, -v3
	v_add_f32_e32 v2, v2, v3
	v_mul_f32_e32 v3, v107, v7
	v_fma_f32 v3, v106, v6, -v3
	v_add_f32_e32 v2, v2, v3
	v_mul_f32_e32 v3, v109, v9
	;; [unrolled: 3-line block ×20, first 2 shown]
	v_fma_f32 v3, v72, v52, -v3
	v_add_f32_e32 v110, v2, v3
	s_waitcnt vmcnt(5) lgkmcnt(0)
	v_mul_f32_e32 v2, v67, v59
	v_fma_f32 v194, v66, v58, -v2
	v_mul_f32_e32 v2, v69, v61
	v_fma_f32 v196, v68, v60, -v2
	ds_read_b128 v[2:5], v190 offset:544
	ds_read_b128 v[6:9], v190 offset:560
	;; [unrolled: 1-line block ×4, first 2 shown]
	v_mul_f32_e32 v195, v66, v59
	v_mul_f32_e32 v197, v68, v61
	v_fmac_f32_e32 v195, v67, v58
	s_waitcnt vmcnt(4) lgkmcnt(3)
	v_pk_mul_f32 v[20:21], v[2:3], v[62:63] op_sel:[1,1] op_sel_hi:[0,1]
	v_fmac_f32_e32 v197, v69, v60
	v_pk_add_f32 v[18:19], v[110:111], v[194:195]
	v_pk_fma_f32 v[22:23], v[2:3], v[62:63], v[20:21] neg_lo:[0,0,1] neg_hi:[0,0,1]
	v_pk_fma_f32 v[2:3], v[2:3], v[62:63], v[20:21] op_sel_hi:[1,0,1]
	v_pk_add_f32 v[18:19], v[18:19], v[196:197]
	v_mov_b32_e32 v23, v3
	v_pk_add_f32 v[2:3], v[18:19], v[22:23]
	v_mov_b32_e32 v18, v65
	v_pk_mul_f32 v[18:19], v[4:5], v[18:19] op_sel:[1,0] op_sel_hi:[0,0]
	v_pk_fma_f32 v[20:21], v[4:5], v[64:65], v[18:19] neg_lo:[0,0,1] neg_hi:[0,0,1]
	v_pk_fma_f32 v[4:5], v[4:5], v[64:65], v[18:19] op_sel_hi:[1,0,1]
	s_nop 0
	v_mov_b32_e32 v21, v5
	s_waitcnt vmcnt(3) lgkmcnt(2)
	v_pk_mul_f32 v[4:5], v[6:7], v[54:55] op_sel:[1,1] op_sel_hi:[0,1]
	v_pk_fma_f32 v[18:19], v[6:7], v[54:55], v[4:5] neg_lo:[0,0,1] neg_hi:[0,0,1]
	v_pk_fma_f32 v[4:5], v[6:7], v[54:55], v[4:5] op_sel_hi:[1,0,1]
	v_pk_add_f32 v[2:3], v[2:3], v[20:21]
	v_mov_b32_e32 v4, v57
	v_mov_b32_e32 v19, v5
	v_pk_mul_f32 v[4:5], v[8:9], v[4:5] op_sel:[1,0] op_sel_hi:[0,0]
	v_pk_fma_f32 v[6:7], v[8:9], v[56:57], v[4:5] neg_lo:[0,0,1] neg_hi:[0,0,1]
	v_pk_fma_f32 v[4:5], v[8:9], v[56:57], v[4:5] op_sel_hi:[1,0,1]
	v_pk_add_f32 v[2:3], v[2:3], v[18:19]
	v_mov_b32_e32 v7, v5
	s_waitcnt vmcnt(2) lgkmcnt(1)
	v_pk_mul_f32 v[4:5], v[10:11], v[42:43] op_sel:[1,1] op_sel_hi:[0,1]
	v_pk_add_f32 v[2:3], v[2:3], v[6:7]
	v_pk_fma_f32 v[6:7], v[10:11], v[42:43], v[4:5] neg_lo:[0,0,1] neg_hi:[0,0,1]
	v_pk_fma_f32 v[4:5], v[10:11], v[42:43], v[4:5] op_sel_hi:[1,0,1]
	s_nop 0
	v_mov_b32_e32 v4, v45
	v_mov_b32_e32 v7, v5
	v_pk_mul_f32 v[4:5], v[12:13], v[4:5] op_sel:[1,0] op_sel_hi:[0,0]
	v_pk_add_f32 v[2:3], v[2:3], v[6:7]
	v_pk_fma_f32 v[6:7], v[12:13], v[44:45], v[4:5] neg_lo:[0,0,1] neg_hi:[0,0,1]
	v_pk_fma_f32 v[4:5], v[12:13], v[44:45], v[4:5] op_sel_hi:[1,0,1]
	s_nop 0
	v_mov_b32_e32 v7, v5
	s_waitcnt vmcnt(1) lgkmcnt(0)
	v_pk_mul_f32 v[4:5], v[14:15], v[34:35] op_sel:[1,1] op_sel_hi:[0,1]
	v_pk_add_f32 v[2:3], v[2:3], v[6:7]
	v_pk_fma_f32 v[6:7], v[14:15], v[34:35], v[4:5] neg_lo:[0,0,1] neg_hi:[0,0,1]
	v_pk_fma_f32 v[4:5], v[14:15], v[34:35], v[4:5] op_sel_hi:[1,0,1]
	s_nop 0
	v_mov_b32_e32 v4, v37
	v_mov_b32_e32 v7, v5
	v_pk_mul_f32 v[4:5], v[16:17], v[4:5] op_sel:[1,0] op_sel_hi:[0,0]
	v_pk_add_f32 v[2:3], v[2:3], v[6:7]
	v_pk_fma_f32 v[6:7], v[16:17], v[36:37], v[4:5] neg_lo:[0,0,1] neg_hi:[0,0,1]
	v_pk_fma_f32 v[4:5], v[16:17], v[36:37], v[4:5] op_sel_hi:[1,0,1]
	s_nop 0
	v_mov_b32_e32 v7, v5
	v_pk_add_f32 v[2:3], v[2:3], v[6:7]
	s_waitcnt vmcnt(0)
	v_pk_add_f32 v[2:3], v[192:193], v[2:3] neg_lo:[0,1] neg_hi:[0,1]
	scratch_store_dwordx2 off, v[2:3], off offset:40
	s_and_saveexec_b64 s[0:1], vcc
	s_cbranch_execz .LBB37_233
; %bb.232:
	scratch_load_dwordx2 v[2:3], off, off offset:32
	v_mov_b32_e32 v4, 0
	v_mov_b32_e32 v5, v4
	scratch_store_dwordx2 off, v[4:5], off offset:32
	s_waitcnt vmcnt(1)
	ds_write_b64 v1, v[2:3]
.LBB37_233:
	s_or_b64 exec, exec, s[0:1]
	s_waitcnt lgkmcnt(0)
	; wave barrier
	scratch_load_dwordx4 v[2:5], off, off offset:40
	scratch_load_dwordx4 v[6:9], off, off offset:56
	;; [unrolled: 1-line block ×13, first 2 shown]
	v_mov_b32_e32 v106, 0
	scratch_load_dwordx2 v[112:113], off, off offset:32
	ds_read2_b64 v[54:57], v106 offset0:43 offset1:44
	ds_read2_b64 v[58:61], v106 offset0:45 offset1:46
	;; [unrolled: 1-line block ×14, first 2 shown]
	v_cmp_lt_u32_e32 vcc, 3, v0
	s_waitcnt vmcnt(13) lgkmcnt(13)
	v_mul_f32_e32 v107, v54, v3
	v_mul_f32_e32 v190, v56, v5
	v_fmac_f32_e32 v107, v55, v2
	s_waitcnt vmcnt(12) lgkmcnt(12)
	v_mul_f32_e32 v191, v58, v7
	v_fmac_f32_e32 v190, v57, v4
	v_add_f32_e32 v107, 0, v107
	v_mul_f32_e32 v192, v60, v9
	v_fmac_f32_e32 v191, v59, v6
	v_add_f32_e32 v107, v107, v190
	s_waitcnt vmcnt(11) lgkmcnt(11)
	v_mul_f32_e32 v193, v62, v11
	v_fmac_f32_e32 v192, v61, v8
	v_add_f32_e32 v107, v107, v191
	v_mul_f32_e32 v194, v64, v13
	v_fmac_f32_e32 v193, v63, v10
	v_add_f32_e32 v107, v107, v192
	;; [unrolled: 7-line block ×8, first 2 shown]
	s_waitcnt vmcnt(4) lgkmcnt(4)
	v_mul_f32_e32 v209, v90, v39
	v_fmac_f32_e32 v208, v89, v36
	v_add_f32_e32 v107, v107, v207
	v_fmac_f32_e32 v209, v91, v38
	v_add_f32_e32 v107, v107, v208
	v_add_f32_e32 v107, v107, v209
	scratch_load_dwordx4 v[190:193], off, off offset:248
	scratch_load_dwordx4 v[194:197], off, off offset:264
	scratch_load_dwordx4 v[198:201], off, off offset:280
	scratch_load_dwordx2 v[208:209], off, off offset:296
	v_mul_f32_e32 v3, v55, v3
	v_fma_f32 v2, v54, v2, -v3
	v_mul_f32_e32 v3, v57, v5
	v_add_f32_e32 v2, 0, v2
	v_fma_f32 v3, v56, v4, -v3
	v_add_f32_e32 v2, v2, v3
	v_mul_f32_e32 v3, v59, v7
	v_fma_f32 v3, v58, v6, -v3
	v_add_f32_e32 v2, v2, v3
	v_mul_f32_e32 v3, v61, v9
	;; [unrolled: 3-line block ×18, first 2 shown]
	v_fma_f32 v3, v92, v40, -v3
	v_add_f32_e32 v2, v2, v3
	s_waitcnt vmcnt(7) lgkmcnt(3)
	v_mul_f32_e32 v3, v95, v43
	v_fma_f32 v3, v94, v42, -v3
	v_mul_f32_e32 v210, v92, v41
	v_add_f32_e32 v2, v2, v3
	v_mul_f32_e32 v3, v97, v45
	v_mul_f32_e32 v211, v94, v43
	v_fmac_f32_e32 v210, v93, v40
	v_fma_f32 v3, v96, v44, -v3
	v_mul_f32_e32 v212, v96, v45
	v_fmac_f32_e32 v211, v95, v42
	v_add_f32_e32 v107, v107, v210
	v_add_f32_e32 v2, v2, v3
	s_waitcnt vmcnt(6) lgkmcnt(2)
	v_mul_f32_e32 v3, v99, v47
	v_mul_f32_e32 v213, v98, v47
	v_fmac_f32_e32 v212, v97, v44
	v_add_f32_e32 v107, v107, v211
	v_fma_f32 v3, v98, v46, -v3
	v_mul_f32_e32 v203, v100, v49
	v_fmac_f32_e32 v213, v99, v46
	v_add_f32_e32 v107, v107, v212
	v_add_f32_e32 v206, v2, v3
	v_mul_f32_e32 v2, v101, v49
	s_waitcnt vmcnt(5)
	v_mov_b32_e32 v14, v53
	s_waitcnt lgkmcnt(1)
	v_mul_f32_e32 v205, v102, v51
	v_fmac_f32_e32 v203, v101, v48
	v_add_f32_e32 v207, v107, v213
	v_fma_f32 v202, v100, v48, -v2
	v_mul_f32_e32 v2, v103, v51
	v_pk_mul_f32 v[14:15], v[104:105], v[14:15] op_sel:[1,0] op_sel_hi:[0,0]
	v_fmac_f32_e32 v205, v103, v50
	v_fma_f32 v204, v102, v50, -v2
	v_pk_add_f32 v[12:13], v[206:207], v[202:203]
	v_pk_fma_f32 v[16:17], v[104:105], v[52:53], v[14:15] neg_lo:[0,0,1] neg_hi:[0,0,1]
	v_pk_fma_f32 v[14:15], v[104:105], v[52:53], v[14:15] op_sel_hi:[1,0,1]
	v_pk_add_f32 v[12:13], v[12:13], v[204:205]
	v_mov_b32_e32 v17, v15
	s_waitcnt vmcnt(3) lgkmcnt(0)
	v_pk_mul_f32 v[14:15], v[108:109], v[190:191] op_sel:[1,1] op_sel_hi:[0,1]
	v_pk_add_f32 v[12:13], v[12:13], v[16:17]
	v_pk_fma_f32 v[16:17], v[108:109], v[190:191], v[14:15] neg_lo:[0,0,1] neg_hi:[0,0,1]
	v_pk_fma_f32 v[14:15], v[108:109], v[190:191], v[14:15] op_sel_hi:[1,0,1]
	ds_read2_b64 v[2:5], v106 offset0:71 offset1:72
	ds_read2_b64 v[6:9], v106 offset0:73 offset1:74
	ds_read_b64 v[10:11], v106 offset:600
	v_mov_b32_e32 v14, v193
	v_mov_b32_e32 v17, v15
	v_pk_mul_f32 v[14:15], v[110:111], v[14:15] op_sel:[1,0] op_sel_hi:[0,0]
	v_pk_add_f32 v[12:13], v[12:13], v[16:17]
	v_pk_fma_f32 v[16:17], v[110:111], v[192:193], v[14:15] neg_lo:[0,0,1] neg_hi:[0,0,1]
	v_pk_fma_f32 v[14:15], v[110:111], v[192:193], v[14:15] op_sel_hi:[1,0,1]
	s_nop 0
	v_mov_b32_e32 v17, v15
	s_waitcnt vmcnt(2) lgkmcnt(2)
	v_pk_mul_f32 v[14:15], v[2:3], v[194:195] op_sel:[1,1] op_sel_hi:[0,1]
	v_pk_add_f32 v[12:13], v[12:13], v[16:17]
	v_pk_fma_f32 v[16:17], v[2:3], v[194:195], v[14:15] neg_lo:[0,0,1] neg_hi:[0,0,1]
	v_pk_fma_f32 v[2:3], v[2:3], v[194:195], v[14:15] op_sel_hi:[1,0,1]
	s_nop 0
	v_mov_b32_e32 v17, v3
	v_pk_add_f32 v[2:3], v[12:13], v[16:17]
	v_mov_b32_e32 v12, v197
	v_pk_mul_f32 v[12:13], v[4:5], v[12:13] op_sel:[1,0] op_sel_hi:[0,0]
	v_pk_fma_f32 v[14:15], v[4:5], v[196:197], v[12:13] neg_lo:[0,0,1] neg_hi:[0,0,1]
	v_pk_fma_f32 v[4:5], v[4:5], v[196:197], v[12:13] op_sel_hi:[1,0,1]
	s_nop 0
	v_mov_b32_e32 v15, v5
	s_waitcnt vmcnt(1) lgkmcnt(1)
	v_pk_mul_f32 v[4:5], v[6:7], v[198:199] op_sel:[1,1] op_sel_hi:[0,1]
	v_pk_fma_f32 v[12:13], v[6:7], v[198:199], v[4:5] neg_lo:[0,0,1] neg_hi:[0,0,1]
	v_pk_fma_f32 v[4:5], v[6:7], v[198:199], v[4:5] op_sel_hi:[1,0,1]
	v_pk_add_f32 v[2:3], v[2:3], v[14:15]
	v_mov_b32_e32 v4, v201
	v_mov_b32_e32 v13, v5
	v_pk_mul_f32 v[4:5], v[8:9], v[4:5] op_sel:[1,0] op_sel_hi:[0,0]
	v_pk_fma_f32 v[6:7], v[8:9], v[200:201], v[4:5] neg_lo:[0,0,1] neg_hi:[0,0,1]
	v_pk_fma_f32 v[4:5], v[8:9], v[200:201], v[4:5] op_sel_hi:[1,0,1]
	v_pk_add_f32 v[2:3], v[2:3], v[12:13]
	v_mov_b32_e32 v7, v5
	s_waitcnt vmcnt(0) lgkmcnt(0)
	v_pk_mul_f32 v[4:5], v[10:11], v[208:209] op_sel:[1,1] op_sel_hi:[0,1]
	v_pk_add_f32 v[2:3], v[2:3], v[6:7]
	v_pk_fma_f32 v[6:7], v[10:11], v[208:209], v[4:5] neg_lo:[0,0,1] neg_hi:[0,0,1]
	v_pk_fma_f32 v[4:5], v[10:11], v[208:209], v[4:5] op_sel_hi:[1,0,1]
	s_nop 0
	v_mov_b32_e32 v7, v5
	v_pk_add_f32 v[2:3], v[2:3], v[6:7]
	s_nop 0
	v_pk_add_f32 v[2:3], v[112:113], v[2:3] neg_lo:[0,1] neg_hi:[0,1]
	scratch_store_dwordx2 off, v[2:3], off offset:32
	s_and_saveexec_b64 s[0:1], vcc
	s_cbranch_execz .LBB37_235
; %bb.234:
	scratch_load_dwordx2 v[2:3], off, off offset:24
	v_mov_b32_e32 v107, v106
	scratch_store_dwordx2 off, v[106:107], off offset:24
	s_waitcnt vmcnt(1)
	ds_write_b64 v1, v[2:3]
.LBB37_235:
	s_or_b64 exec, exec, s[0:1]
	s_waitcnt lgkmcnt(0)
	; wave barrier
	scratch_load_dwordx4 v[2:5], off, off offset:32
	scratch_load_dwordx4 v[6:9], off, off offset:48
	;; [unrolled: 1-line block ×13, first 2 shown]
	ds_read_b128 v[102:105], v106 offset:336
	ds_read_b128 v[98:101], v106 offset:352
	;; [unrolled: 1-line block ×14, first 2 shown]
	scratch_load_dwordx2 v[112:113], off, off offset:24
	v_cmp_lt_u32_e32 vcc, 2, v0
	s_waitcnt vmcnt(13) lgkmcnt(13)
	v_mul_f32_e32 v107, v102, v3
	v_mul_f32_e32 v190, v104, v5
	v_fmac_f32_e32 v107, v103, v2
	s_waitcnt vmcnt(12) lgkmcnt(12)
	v_mul_f32_e32 v191, v98, v7
	v_fmac_f32_e32 v190, v105, v4
	v_add_f32_e32 v107, 0, v107
	v_mul_f32_e32 v192, v100, v9
	v_fmac_f32_e32 v191, v99, v6
	v_add_f32_e32 v107, v107, v190
	s_waitcnt vmcnt(11) lgkmcnt(11)
	v_mul_f32_e32 v193, v94, v11
	v_fmac_f32_e32 v192, v101, v8
	v_add_f32_e32 v107, v107, v191
	v_mul_f32_e32 v194, v96, v13
	v_fmac_f32_e32 v193, v95, v10
	v_add_f32_e32 v107, v107, v192
	;; [unrolled: 7-line block ×7, first 2 shown]
	s_waitcnt vmcnt(5) lgkmcnt(5)
	v_mul_f32_e32 v205, v70, v35
	v_fmac_f32_e32 v204, v77, v32
	v_add_f32_e32 v107, v107, v203
	v_fmac_f32_e32 v205, v71, v34
	v_add_f32_e32 v107, v107, v204
	v_add_f32_e32 v107, v107, v205
	scratch_load_dwordx4 v[190:193], off, off offset:240
	scratch_load_dwordx4 v[194:197], off, off offset:256
	;; [unrolled: 1-line block ×4, first 2 shown]
	v_mul_f32_e32 v3, v103, v3
	v_fma_f32 v2, v102, v2, -v3
	v_mul_f32_e32 v3, v105, v5
	v_add_f32_e32 v2, 0, v2
	v_fma_f32 v3, v104, v4, -v3
	v_add_f32_e32 v2, v2, v3
	v_mul_f32_e32 v3, v99, v7
	v_fma_f32 v3, v98, v6, -v3
	v_add_f32_e32 v2, v2, v3
	v_mul_f32_e32 v3, v101, v9
	;; [unrolled: 3-line block ×16, first 2 shown]
	v_fma_f32 v3, v72, v36, -v3
	v_add_f32_e32 v2, v2, v3
	s_waitcnt vmcnt(8) lgkmcnt(4)
	v_mul_f32_e32 v3, v67, v39
	v_fma_f32 v3, v66, v38, -v3
	v_add_f32_e32 v2, v2, v3
	v_mul_f32_e32 v3, v69, v41
	v_fma_f32 v3, v68, v40, -v3
	v_add_f32_e32 v2, v2, v3
	s_waitcnt vmcnt(7) lgkmcnt(3)
	v_mul_f32_e32 v3, v63, v43
	v_mul_f32_e32 v206, v72, v37
	v_fma_f32 v3, v62, v42, -v3
	v_mul_f32_e32 v208, v66, v39
	v_fmac_f32_e32 v206, v73, v36
	v_add_f32_e32 v2, v2, v3
	v_mul_f32_e32 v3, v65, v45
	v_mul_f32_e32 v210, v68, v41
	v_fmac_f32_e32 v208, v67, v38
	v_add_f32_e32 v107, v107, v206
	v_fma_f32 v3, v64, v44, -v3
	v_mul_f32_e32 v211, v62, v43
	v_fmac_f32_e32 v210, v69, v40
	v_add_f32_e32 v107, v107, v208
	v_add_f32_e32 v2, v2, v3
	s_waitcnt vmcnt(6) lgkmcnt(2)
	v_mul_f32_e32 v3, v59, v47
	v_mul_f32_e32 v212, v64, v45
	v_fmac_f32_e32 v211, v63, v42
	v_add_f32_e32 v107, v107, v210
	v_fma_f32 v3, v58, v46, -v3
	v_mul_f32_e32 v213, v58, v47
	v_fmac_f32_e32 v212, v65, v44
	v_add_f32_e32 v107, v107, v211
	v_add_f32_e32 v2, v2, v3
	v_mul_f32_e32 v3, v61, v49
	v_mul_f32_e32 v214, v60, v49
	v_fmac_f32_e32 v213, v59, v46
	v_add_f32_e32 v107, v107, v212
	v_fma_f32 v3, v60, v48, -v3
	s_waitcnt vmcnt(5) lgkmcnt(1)
	v_mul_f32_e32 v207, v54, v51
	v_fmac_f32_e32 v214, v61, v48
	v_add_f32_e32 v107, v107, v213
	v_add_f32_e32 v210, v2, v3
	v_mul_f32_e32 v2, v55, v51
	s_waitcnt vmcnt(3) lgkmcnt(0)
	v_pk_mul_f32 v[16:17], v[108:109], v[190:191] op_sel:[1,1] op_sel_hi:[0,1]
	v_mul_f32_e32 v209, v56, v53
	v_fmac_f32_e32 v207, v55, v50
	v_add_f32_e32 v211, v107, v214
	v_fma_f32 v206, v54, v50, -v2
	v_mul_f32_e32 v2, v57, v53
	v_pk_fma_f32 v[18:19], v[108:109], v[190:191], v[16:17] neg_lo:[0,0,1] neg_hi:[0,0,1]
	v_pk_fma_f32 v[16:17], v[108:109], v[190:191], v[16:17] op_sel_hi:[1,0,1]
	v_fmac_f32_e32 v209, v57, v52
	v_fma_f32 v208, v56, v52, -v2
	ds_read_b128 v[2:5], v106 offset:560
	ds_read_b128 v[6:9], v106 offset:576
	;; [unrolled: 1-line block ×3, first 2 shown]
	v_pk_add_f32 v[14:15], v[210:211], v[206:207]
	v_mov_b32_e32 v16, v193
	v_pk_add_f32 v[14:15], v[14:15], v[208:209]
	v_mov_b32_e32 v19, v17
	v_pk_mul_f32 v[16:17], v[110:111], v[16:17] op_sel:[1,0] op_sel_hi:[0,0]
	v_pk_add_f32 v[14:15], v[14:15], v[18:19]
	v_pk_fma_f32 v[18:19], v[110:111], v[192:193], v[16:17] neg_lo:[0,0,1] neg_hi:[0,0,1]
	v_pk_fma_f32 v[16:17], v[110:111], v[192:193], v[16:17] op_sel_hi:[1,0,1]
	s_nop 0
	v_mov_b32_e32 v19, v17
	s_waitcnt vmcnt(2) lgkmcnt(2)
	v_pk_mul_f32 v[16:17], v[2:3], v[194:195] op_sel:[1,1] op_sel_hi:[0,1]
	v_pk_add_f32 v[14:15], v[14:15], v[18:19]
	v_pk_fma_f32 v[18:19], v[2:3], v[194:195], v[16:17] neg_lo:[0,0,1] neg_hi:[0,0,1]
	v_pk_fma_f32 v[2:3], v[2:3], v[194:195], v[16:17] op_sel_hi:[1,0,1]
	s_nop 0
	v_mov_b32_e32 v19, v3
	v_pk_add_f32 v[2:3], v[14:15], v[18:19]
	v_mov_b32_e32 v14, v197
	v_pk_mul_f32 v[14:15], v[4:5], v[14:15] op_sel:[1,0] op_sel_hi:[0,0]
	v_pk_fma_f32 v[16:17], v[4:5], v[196:197], v[14:15] neg_lo:[0,0,1] neg_hi:[0,0,1]
	v_pk_fma_f32 v[4:5], v[4:5], v[196:197], v[14:15] op_sel_hi:[1,0,1]
	s_nop 0
	v_mov_b32_e32 v17, v5
	s_waitcnt vmcnt(1) lgkmcnt(1)
	v_pk_mul_f32 v[4:5], v[6:7], v[198:199] op_sel:[1,1] op_sel_hi:[0,1]
	v_pk_fma_f32 v[14:15], v[6:7], v[198:199], v[4:5] neg_lo:[0,0,1] neg_hi:[0,0,1]
	v_pk_fma_f32 v[4:5], v[6:7], v[198:199], v[4:5] op_sel_hi:[1,0,1]
	v_pk_add_f32 v[2:3], v[2:3], v[16:17]
	v_mov_b32_e32 v4, v201
	v_mov_b32_e32 v15, v5
	v_pk_mul_f32 v[4:5], v[8:9], v[4:5] op_sel:[1,0] op_sel_hi:[0,0]
	v_pk_fma_f32 v[6:7], v[8:9], v[200:201], v[4:5] neg_lo:[0,0,1] neg_hi:[0,0,1]
	v_pk_fma_f32 v[4:5], v[8:9], v[200:201], v[4:5] op_sel_hi:[1,0,1]
	v_pk_add_f32 v[2:3], v[2:3], v[14:15]
	v_mov_b32_e32 v7, v5
	s_waitcnt vmcnt(0) lgkmcnt(0)
	v_pk_mul_f32 v[4:5], v[10:11], v[202:203] op_sel:[1,1] op_sel_hi:[0,1]
	v_pk_add_f32 v[2:3], v[2:3], v[6:7]
	v_pk_fma_f32 v[6:7], v[10:11], v[202:203], v[4:5] neg_lo:[0,0,1] neg_hi:[0,0,1]
	v_pk_fma_f32 v[4:5], v[10:11], v[202:203], v[4:5] op_sel_hi:[1,0,1]
	s_nop 0
	v_mov_b32_e32 v4, v205
	v_mov_b32_e32 v7, v5
	v_pk_mul_f32 v[4:5], v[12:13], v[4:5] op_sel:[1,0] op_sel_hi:[0,0]
	v_pk_add_f32 v[2:3], v[2:3], v[6:7]
	v_pk_fma_f32 v[6:7], v[12:13], v[204:205], v[4:5] neg_lo:[0,0,1] neg_hi:[0,0,1]
	v_pk_fma_f32 v[4:5], v[12:13], v[204:205], v[4:5] op_sel_hi:[1,0,1]
	s_nop 0
	v_mov_b32_e32 v7, v5
	v_pk_add_f32 v[2:3], v[2:3], v[6:7]
	s_nop 0
	v_pk_add_f32 v[2:3], v[112:113], v[2:3] neg_lo:[0,1] neg_hi:[0,1]
	scratch_store_dwordx2 off, v[2:3], off offset:24
	s_and_saveexec_b64 s[0:1], vcc
	s_cbranch_execz .LBB37_237
; %bb.236:
	scratch_load_dwordx2 v[2:3], off, off offset:16
	v_mov_b32_e32 v4, 0
	v_mov_b32_e32 v5, v4
	scratch_store_dwordx2 off, v[4:5], off offset:16
	s_waitcnt vmcnt(1)
	ds_write_b64 v1, v[2:3]
.LBB37_237:
	s_or_b64 exec, exec, s[0:1]
	s_waitcnt lgkmcnt(0)
	; wave barrier
	scratch_load_dwordx4 v[2:5], off, off offset:24
	scratch_load_dwordx4 v[6:9], off, off offset:40
	;; [unrolled: 1-line block ×13, first 2 shown]
	v_mov_b32_e32 v190, 0
	scratch_load_dwordx4 v[54:57], off, off offset:232
	scratch_load_dwordx2 v[204:205], off, off offset:16
	ds_read2_b64 v[58:61], v190 offset0:41 offset1:42
	ds_read2_b64 v[62:65], v190 offset0:43 offset1:44
	;; [unrolled: 1-line block ×14, first 2 shown]
	v_cmp_lt_u32_e32 vcc, 1, v0
	s_waitcnt vmcnt(14) lgkmcnt(13)
	v_mul_f32_e32 v191, v58, v3
	v_mul_f32_e32 v192, v60, v5
	v_fmac_f32_e32 v191, v59, v2
	s_waitcnt vmcnt(13) lgkmcnt(12)
	v_mul_f32_e32 v193, v62, v7
	v_fmac_f32_e32 v192, v61, v4
	v_add_f32_e32 v191, 0, v191
	v_mul_f32_e32 v194, v64, v9
	v_fmac_f32_e32 v193, v63, v6
	v_add_f32_e32 v191, v191, v192
	s_waitcnt vmcnt(12) lgkmcnt(11)
	v_mul_f32_e32 v195, v66, v11
	v_fmac_f32_e32 v194, v65, v8
	v_add_f32_e32 v191, v191, v193
	v_mul_f32_e32 v196, v68, v13
	v_fmac_f32_e32 v195, v67, v10
	v_add_f32_e32 v191, v191, v194
	;; [unrolled: 7-line block ×6, first 2 shown]
	s_waitcnt vmcnt(7) lgkmcnt(6)
	v_mul_f32_e32 v207, v86, v31
	v_fmac_f32_e32 v206, v85, v28
	v_add_f32_e32 v191, v191, v203
	scratch_load_dwordx4 v[192:195], off, off offset:248
	v_mul_f32_e32 v208, v88, v33
	v_fmac_f32_e32 v207, v87, v30
	v_add_f32_e32 v191, v191, v206
	s_waitcnt vmcnt(7) lgkmcnt(5)
	v_mul_f32_e32 v209, v90, v35
	v_fmac_f32_e32 v208, v89, v32
	v_add_f32_e32 v191, v191, v207
	v_mul_f32_e32 v210, v92, v37
	v_fmac_f32_e32 v209, v91, v34
	v_add_f32_e32 v191, v191, v208
	s_waitcnt vmcnt(6) lgkmcnt(4)
	v_mul_f32_e32 v211, v94, v39
	v_fmac_f32_e32 v210, v93, v36
	v_add_f32_e32 v191, v191, v209
	;; [unrolled: 7-line block ×3, first 2 shown]
	v_fmac_f32_e32 v213, v99, v42
	v_add_f32_e32 v191, v191, v212
	v_add_f32_e32 v191, v191, v213
	scratch_load_dwordx4 v[196:199], off, off offset:264
	scratch_load_dwordx4 v[200:203], off, off offset:280
	scratch_load_dwordx2 v[212:213], off, off offset:296
	v_mul_f32_e32 v3, v59, v3
	v_fma_f32 v2, v58, v2, -v3
	v_mul_f32_e32 v3, v61, v5
	v_add_f32_e32 v2, 0, v2
	v_fma_f32 v3, v60, v4, -v3
	v_add_f32_e32 v2, v2, v3
	v_mul_f32_e32 v3, v63, v7
	v_fma_f32 v3, v62, v6, -v3
	v_add_f32_e32 v2, v2, v3
	v_mul_f32_e32 v3, v65, v9
	;; [unrolled: 3-line block ×20, first 2 shown]
	v_fma_f32 v3, v100, v44, -v3
	v_add_f32_e32 v2, v2, v3
	s_waitcnt vmcnt(7) lgkmcnt(2)
	v_mul_f32_e32 v3, v103, v47
	v_fma_f32 v3, v102, v46, -v3
	v_add_f32_e32 v2, v2, v3
	v_mul_f32_e32 v3, v105, v49
	v_mul_f32_e32 v214, v100, v45
	v_fma_f32 v3, v104, v48, -v3
	v_mul_f32_e32 v215, v102, v47
	v_fmac_f32_e32 v214, v101, v44
	v_add_f32_e32 v2, v2, v3
	s_waitcnt vmcnt(6) lgkmcnt(1)
	v_mul_f32_e32 v3, v107, v51
	v_mul_f32_e32 v216, v104, v49
	v_fmac_f32_e32 v215, v103, v46
	v_add_f32_e32 v191, v191, v214
	v_fma_f32 v3, v106, v50, -v3
	v_mul_f32_e32 v217, v106, v51
	v_fmac_f32_e32 v216, v105, v48
	v_add_f32_e32 v191, v191, v215
	v_add_f32_e32 v206, v2, v3
	v_mul_f32_e32 v2, v109, v53
	v_fmac_f32_e32 v217, v107, v50
	v_add_f32_e32 v191, v191, v216
	v_mul_f32_e32 v209, v108, v53
	v_fma_f32 v208, v108, v52, -v2
	s_waitcnt vmcnt(5) lgkmcnt(0)
	v_mul_f32_e32 v2, v111, v55
	v_mov_b32_e32 v18, v57
	v_add_f32_e32 v207, v191, v217
	v_fmac_f32_e32 v209, v109, v52
	v_mul_f32_e32 v211, v110, v55
	v_fma_f32 v210, v110, v54, -v2
	ds_read2_b64 v[2:5], v190 offset0:69 offset1:70
	ds_read2_b64 v[6:9], v190 offset0:71 offset1:72
	;; [unrolled: 1-line block ×3, first 2 shown]
	ds_read_b64 v[14:15], v190 offset:600
	v_pk_mul_f32 v[18:19], v[112:113], v[18:19] op_sel:[1,0] op_sel_hi:[0,0]
	v_fmac_f32_e32 v211, v111, v54
	v_pk_add_f32 v[16:17], v[206:207], v[208:209]
	v_pk_fma_f32 v[20:21], v[112:113], v[56:57], v[18:19] neg_lo:[0,0,1] neg_hi:[0,0,1]
	v_pk_fma_f32 v[18:19], v[112:113], v[56:57], v[18:19] op_sel_hi:[1,0,1]
	v_pk_add_f32 v[16:17], v[16:17], v[210:211]
	v_mov_b32_e32 v21, v19
	s_waitcnt vmcnt(3) lgkmcnt(3)
	v_pk_mul_f32 v[18:19], v[2:3], v[192:193] op_sel:[1,1] op_sel_hi:[0,1]
	v_pk_add_f32 v[16:17], v[16:17], v[20:21]
	v_pk_fma_f32 v[20:21], v[2:3], v[192:193], v[18:19] neg_lo:[0,0,1] neg_hi:[0,0,1]
	v_pk_fma_f32 v[2:3], v[2:3], v[192:193], v[18:19] op_sel_hi:[1,0,1]
	s_nop 0
	v_mov_b32_e32 v21, v3
	v_pk_add_f32 v[2:3], v[16:17], v[20:21]
	v_mov_b32_e32 v16, v195
	v_pk_mul_f32 v[16:17], v[4:5], v[16:17] op_sel:[1,0] op_sel_hi:[0,0]
	v_pk_fma_f32 v[18:19], v[4:5], v[194:195], v[16:17] neg_lo:[0,0,1] neg_hi:[0,0,1]
	v_pk_fma_f32 v[4:5], v[4:5], v[194:195], v[16:17] op_sel_hi:[1,0,1]
	s_nop 0
	v_mov_b32_e32 v19, v5
	s_waitcnt vmcnt(2) lgkmcnt(2)
	v_pk_mul_f32 v[4:5], v[6:7], v[196:197] op_sel:[1,1] op_sel_hi:[0,1]
	v_pk_fma_f32 v[16:17], v[6:7], v[196:197], v[4:5] neg_lo:[0,0,1] neg_hi:[0,0,1]
	v_pk_fma_f32 v[4:5], v[6:7], v[196:197], v[4:5] op_sel_hi:[1,0,1]
	v_pk_add_f32 v[2:3], v[2:3], v[18:19]
	v_mov_b32_e32 v4, v199
	v_mov_b32_e32 v17, v5
	v_pk_mul_f32 v[4:5], v[8:9], v[4:5] op_sel:[1,0] op_sel_hi:[0,0]
	v_pk_fma_f32 v[6:7], v[8:9], v[198:199], v[4:5] neg_lo:[0,0,1] neg_hi:[0,0,1]
	v_pk_fma_f32 v[4:5], v[8:9], v[198:199], v[4:5] op_sel_hi:[1,0,1]
	v_pk_add_f32 v[2:3], v[2:3], v[16:17]
	v_mov_b32_e32 v7, v5
	s_waitcnt vmcnt(1) lgkmcnt(1)
	v_pk_mul_f32 v[4:5], v[10:11], v[200:201] op_sel:[1,1] op_sel_hi:[0,1]
	v_pk_add_f32 v[2:3], v[2:3], v[6:7]
	v_pk_fma_f32 v[6:7], v[10:11], v[200:201], v[4:5] neg_lo:[0,0,1] neg_hi:[0,0,1]
	v_pk_fma_f32 v[4:5], v[10:11], v[200:201], v[4:5] op_sel_hi:[1,0,1]
	s_nop 0
	v_mov_b32_e32 v4, v203
	v_mov_b32_e32 v7, v5
	v_pk_mul_f32 v[4:5], v[12:13], v[4:5] op_sel:[1,0] op_sel_hi:[0,0]
	v_pk_add_f32 v[2:3], v[2:3], v[6:7]
	v_pk_fma_f32 v[6:7], v[12:13], v[202:203], v[4:5] neg_lo:[0,0,1] neg_hi:[0,0,1]
	v_pk_fma_f32 v[4:5], v[12:13], v[202:203], v[4:5] op_sel_hi:[1,0,1]
	s_nop 0
	v_mov_b32_e32 v7, v5
	s_waitcnt vmcnt(0) lgkmcnt(0)
	v_pk_mul_f32 v[4:5], v[14:15], v[212:213] op_sel:[1,1] op_sel_hi:[0,1]
	v_pk_add_f32 v[2:3], v[2:3], v[6:7]
	v_pk_fma_f32 v[6:7], v[14:15], v[212:213], v[4:5] neg_lo:[0,0,1] neg_hi:[0,0,1]
	v_pk_fma_f32 v[4:5], v[14:15], v[212:213], v[4:5] op_sel_hi:[1,0,1]
	s_nop 0
	v_mov_b32_e32 v7, v5
	v_pk_add_f32 v[2:3], v[2:3], v[6:7]
	s_nop 0
	v_pk_add_f32 v[2:3], v[204:205], v[2:3] neg_lo:[0,1] neg_hi:[0,1]
	scratch_store_dwordx2 off, v[2:3], off offset:16
	s_and_saveexec_b64 s[0:1], vcc
	s_cbranch_execz .LBB37_239
; %bb.238:
	scratch_load_dwordx2 v[2:3], off, off offset:8
	v_mov_b32_e32 v191, v190
	scratch_store_dwordx2 off, v[190:191], off offset:8
	s_waitcnt vmcnt(1)
	ds_write_b64 v1, v[2:3]
.LBB37_239:
	s_or_b64 exec, exec, s[0:1]
	s_waitcnt lgkmcnt(0)
	; wave barrier
	scratch_load_dwordx4 v[2:5], off, off offset:16
	scratch_load_dwordx4 v[6:9], off, off offset:32
	;; [unrolled: 1-line block ×13, first 2 shown]
	ds_read_b128 v[110:113], v190 offset:320
	ds_read_b128 v[106:109], v190 offset:336
	;; [unrolled: 1-line block ×14, first 2 shown]
	scratch_load_dwordx4 v[66:69], off, off offset:224
	scratch_load_dwordx2 v[208:209], off, off offset:8
	v_cmp_ne_u32_e32 vcc, 0, v0
	s_waitcnt vmcnt(14) lgkmcnt(13)
	v_mul_f32_e32 v191, v110, v3
	v_mul_f32_e32 v192, v112, v5
	v_fmac_f32_e32 v191, v111, v2
	s_waitcnt vmcnt(13) lgkmcnt(12)
	v_mul_f32_e32 v193, v106, v7
	v_fmac_f32_e32 v192, v113, v4
	v_add_f32_e32 v191, 0, v191
	v_mul_f32_e32 v194, v108, v9
	v_fmac_f32_e32 v193, v107, v6
	v_add_f32_e32 v191, v191, v192
	s_waitcnt vmcnt(12) lgkmcnt(11)
	v_mul_f32_e32 v195, v102, v11
	v_fmac_f32_e32 v194, v109, v8
	v_add_f32_e32 v191, v191, v193
	v_mul_f32_e32 v196, v104, v13
	v_fmac_f32_e32 v195, v103, v10
	v_add_f32_e32 v191, v191, v194
	;; [unrolled: 7-line block ×4, first 2 shown]
	s_waitcnt vmcnt(9) lgkmcnt(8)
	v_mul_f32_e32 v201, v90, v23
	v_fmac_f32_e32 v200, v97, v20
	v_add_f32_e32 v191, v191, v199
	scratch_load_dwordx4 v[192:195], off, off offset:240
	v_mul_f32_e32 v202, v92, v25
	v_fmac_f32_e32 v201, v91, v22
	v_add_f32_e32 v191, v191, v200
	s_waitcnt vmcnt(9) lgkmcnt(7)
	v_mul_f32_e32 v203, v86, v27
	v_fmac_f32_e32 v202, v93, v24
	v_add_f32_e32 v191, v191, v201
	v_mul_f32_e32 v204, v88, v29
	v_fmac_f32_e32 v203, v87, v26
	v_add_f32_e32 v191, v191, v202
	s_waitcnt vmcnt(8) lgkmcnt(6)
	v_mul_f32_e32 v205, v82, v31
	v_fmac_f32_e32 v204, v89, v28
	v_add_f32_e32 v191, v191, v203
	;; [unrolled: 7-line block ×3, first 2 shown]
	v_fmac_f32_e32 v207, v79, v34
	v_add_f32_e32 v191, v191, v206
	v_add_f32_e32 v191, v191, v207
	scratch_load_dwordx4 v[196:199], off, off offset:256
	scratch_load_dwordx4 v[200:203], off, off offset:272
	;; [unrolled: 1-line block ×3, first 2 shown]
	v_mul_f32_e32 v3, v111, v3
	v_fma_f32 v2, v110, v2, -v3
	v_mul_f32_e32 v3, v113, v5
	v_add_f32_e32 v2, 0, v2
	v_fma_f32 v3, v112, v4, -v3
	v_add_f32_e32 v2, v2, v3
	v_mul_f32_e32 v3, v107, v7
	v_fma_f32 v3, v106, v6, -v3
	v_add_f32_e32 v2, v2, v3
	v_mul_f32_e32 v3, v109, v9
	;; [unrolled: 3-line block ×16, first 2 shown]
	v_fma_f32 v3, v80, v36, -v3
	v_add_f32_e32 v2, v2, v3
	s_waitcnt vmcnt(9) lgkmcnt(4)
	v_mul_f32_e32 v3, v75, v39
	v_fma_f32 v3, v74, v38, -v3
	v_add_f32_e32 v2, v2, v3
	v_mul_f32_e32 v3, v77, v41
	v_fma_f32 v3, v76, v40, -v3
	v_add_f32_e32 v2, v2, v3
	s_waitcnt vmcnt(8) lgkmcnt(3)
	v_mul_f32_e32 v3, v71, v43
	v_fma_f32 v3, v70, v42, -v3
	v_add_f32_e32 v2, v2, v3
	v_mul_f32_e32 v3, v73, v45
	v_fma_f32 v3, v72, v44, -v3
	v_add_f32_e32 v2, v2, v3
	s_waitcnt vmcnt(7) lgkmcnt(2)
	v_mul_f32_e32 v3, v63, v47
	v_fma_f32 v3, v62, v46, -v3
	v_mul_f32_e32 v210, v80, v37
	v_add_f32_e32 v2, v2, v3
	v_mul_f32_e32 v3, v65, v49
	v_mul_f32_e32 v211, v74, v39
	v_fmac_f32_e32 v210, v81, v36
	v_fma_f32 v3, v64, v48, -v3
	v_mul_f32_e32 v212, v76, v41
	v_fmac_f32_e32 v211, v75, v38
	v_add_f32_e32 v191, v191, v210
	v_add_f32_e32 v2, v2, v3
	s_waitcnt vmcnt(6) lgkmcnt(1)
	v_mul_f32_e32 v3, v55, v51
	v_mul_f32_e32 v213, v70, v43
	v_fmac_f32_e32 v212, v77, v40
	v_add_f32_e32 v191, v191, v211
	v_fma_f32 v3, v54, v50, -v3
	v_mul_f32_e32 v214, v72, v45
	v_fmac_f32_e32 v213, v71, v42
	v_add_f32_e32 v191, v191, v212
	v_add_f32_e32 v2, v2, v3
	v_mul_f32_e32 v3, v57, v53
	v_mul_f32_e32 v215, v62, v47
	v_fmac_f32_e32 v214, v73, v44
	v_add_f32_e32 v191, v191, v213
	v_fma_f32 v3, v56, v52, -v3
	v_mul_f32_e32 v216, v64, v49
	v_fmac_f32_e32 v215, v63, v46
	v_add_f32_e32 v191, v191, v214
	v_add_f32_e32 v210, v2, v3
	s_waitcnt vmcnt(5) lgkmcnt(0)
	v_mul_f32_e32 v2, v59, v67
	v_mul_f32_e32 v217, v54, v51
	v_fmac_f32_e32 v216, v65, v48
	v_add_f32_e32 v191, v191, v215
	v_fma_f32 v212, v58, v66, -v2
	v_mul_f32_e32 v2, v61, v69
	v_mul_f32_e32 v218, v56, v53
	v_fmac_f32_e32 v217, v55, v50
	v_add_f32_e32 v191, v191, v216
	v_fma_f32 v214, v60, v68, -v2
	ds_read_b128 v[2:5], v190 offset:544
	ds_read_b128 v[6:9], v190 offset:560
	;; [unrolled: 1-line block ×4, first 2 shown]
	v_add_f32_e32 v191, v191, v217
	v_fmac_f32_e32 v218, v57, v52
	v_mul_f32_e32 v213, v58, v67
	v_add_f32_e32 v211, v191, v218
	v_fmac_f32_e32 v213, v59, v66
	v_mul_f32_e32 v215, v60, v69
	s_waitcnt vmcnt(3) lgkmcnt(3)
	v_pk_mul_f32 v[20:21], v[2:3], v[192:193] op_sel:[1,1] op_sel_hi:[0,1]
	v_fmac_f32_e32 v215, v61, v68
	v_pk_add_f32 v[18:19], v[210:211], v[212:213]
	v_pk_fma_f32 v[22:23], v[2:3], v[192:193], v[20:21] neg_lo:[0,0,1] neg_hi:[0,0,1]
	v_pk_fma_f32 v[2:3], v[2:3], v[192:193], v[20:21] op_sel_hi:[1,0,1]
	v_pk_add_f32 v[18:19], v[18:19], v[214:215]
	v_mov_b32_e32 v23, v3
	v_pk_add_f32 v[2:3], v[18:19], v[22:23]
	v_mov_b32_e32 v18, v195
	v_pk_mul_f32 v[18:19], v[4:5], v[18:19] op_sel:[1,0] op_sel_hi:[0,0]
	v_pk_fma_f32 v[20:21], v[4:5], v[194:195], v[18:19] neg_lo:[0,0,1] neg_hi:[0,0,1]
	v_pk_fma_f32 v[4:5], v[4:5], v[194:195], v[18:19] op_sel_hi:[1,0,1]
	s_nop 0
	v_mov_b32_e32 v21, v5
	s_waitcnt vmcnt(2) lgkmcnt(2)
	v_pk_mul_f32 v[4:5], v[6:7], v[196:197] op_sel:[1,1] op_sel_hi:[0,1]
	v_pk_fma_f32 v[18:19], v[6:7], v[196:197], v[4:5] neg_lo:[0,0,1] neg_hi:[0,0,1]
	v_pk_fma_f32 v[4:5], v[6:7], v[196:197], v[4:5] op_sel_hi:[1,0,1]
	v_pk_add_f32 v[2:3], v[2:3], v[20:21]
	v_mov_b32_e32 v4, v199
	v_mov_b32_e32 v19, v5
	v_pk_mul_f32 v[4:5], v[8:9], v[4:5] op_sel:[1,0] op_sel_hi:[0,0]
	v_pk_fma_f32 v[6:7], v[8:9], v[198:199], v[4:5] neg_lo:[0,0,1] neg_hi:[0,0,1]
	v_pk_fma_f32 v[4:5], v[8:9], v[198:199], v[4:5] op_sel_hi:[1,0,1]
	v_pk_add_f32 v[2:3], v[2:3], v[18:19]
	v_mov_b32_e32 v7, v5
	s_waitcnt vmcnt(1) lgkmcnt(1)
	v_pk_mul_f32 v[4:5], v[10:11], v[200:201] op_sel:[1,1] op_sel_hi:[0,1]
	v_pk_add_f32 v[2:3], v[2:3], v[6:7]
	v_pk_fma_f32 v[6:7], v[10:11], v[200:201], v[4:5] neg_lo:[0,0,1] neg_hi:[0,0,1]
	v_pk_fma_f32 v[4:5], v[10:11], v[200:201], v[4:5] op_sel_hi:[1,0,1]
	s_nop 0
	v_mov_b32_e32 v4, v203
	v_mov_b32_e32 v7, v5
	v_pk_mul_f32 v[4:5], v[12:13], v[4:5] op_sel:[1,0] op_sel_hi:[0,0]
	v_pk_add_f32 v[2:3], v[2:3], v[6:7]
	v_pk_fma_f32 v[6:7], v[12:13], v[202:203], v[4:5] neg_lo:[0,0,1] neg_hi:[0,0,1]
	v_pk_fma_f32 v[4:5], v[12:13], v[202:203], v[4:5] op_sel_hi:[1,0,1]
	s_nop 0
	v_mov_b32_e32 v7, v5
	s_waitcnt vmcnt(0) lgkmcnt(0)
	v_pk_mul_f32 v[4:5], v[14:15], v[204:205] op_sel:[1,1] op_sel_hi:[0,1]
	v_pk_add_f32 v[2:3], v[2:3], v[6:7]
	v_pk_fma_f32 v[6:7], v[14:15], v[204:205], v[4:5] neg_lo:[0,0,1] neg_hi:[0,0,1]
	v_pk_fma_f32 v[4:5], v[14:15], v[204:205], v[4:5] op_sel_hi:[1,0,1]
	s_nop 0
	v_mov_b32_e32 v4, v207
	v_mov_b32_e32 v7, v5
	v_pk_mul_f32 v[4:5], v[16:17], v[4:5] op_sel:[1,0] op_sel_hi:[0,0]
	v_pk_add_f32 v[2:3], v[2:3], v[6:7]
	v_pk_fma_f32 v[6:7], v[16:17], v[206:207], v[4:5] neg_lo:[0,0,1] neg_hi:[0,0,1]
	v_pk_fma_f32 v[4:5], v[16:17], v[206:207], v[4:5] op_sel_hi:[1,0,1]
	s_nop 0
	v_mov_b32_e32 v7, v5
	v_pk_add_f32 v[2:3], v[2:3], v[6:7]
	s_nop 0
	v_pk_add_f32 v[2:3], v[208:209], v[2:3] neg_lo:[0,1] neg_hi:[0,1]
	scratch_store_dwordx2 off, v[2:3], off offset:8
	s_and_saveexec_b64 s[0:1], vcc
	s_cbranch_execz .LBB37_241
; %bb.240:
	scratch_load_dwordx2 v[2:3], off, off
	v_mov_b32_e32 v4, 0
	v_mov_b32_e32 v5, v4
	scratch_store_dwordx2 off, v[4:5], off
	s_waitcnt vmcnt(1)
	ds_write_b64 v1, v[2:3]
.LBB37_241:
	s_or_b64 exec, exec, s[0:1]
	s_waitcnt lgkmcnt(0)
	; wave barrier
	scratch_load_dwordx4 v[0:3], off, off offset:8
	scratch_load_dwordx4 v[4:7], off, off offset:24
	scratch_load_dwordx4 v[8:11], off, off offset:40
	scratch_load_dwordx4 v[12:15], off, off offset:56
	scratch_load_dwordx4 v[16:19], off, off offset:72
	scratch_load_dwordx4 v[20:23], off, off offset:88
	scratch_load_dwordx4 v[24:27], off, off offset:104
	scratch_load_dwordx4 v[28:31], off, off offset:120
	scratch_load_dwordx4 v[32:35], off, off offset:136
	scratch_load_dwordx4 v[36:39], off, off offset:152
	scratch_load_dwordx4 v[40:43], off, off offset:168
	scratch_load_dwordx4 v[44:47], off, off offset:184
	scratch_load_dwordx4 v[48:51], off, off offset:200
	scratch_load_dwordx4 v[52:55], off, off offset:216
	scratch_load_dwordx4 v[56:59], off, off offset:232
	scratch_load_dwordx2 v[214:215], off, off
	v_mov_b32_e32 v60, 0
	ds_read2_b64 v[62:65], v60 offset0:39 offset1:40
	ds_read2_b64 v[66:69], v60 offset0:41 offset1:42
	ds_read2_b64 v[70:73], v60 offset0:43 offset1:44
	ds_read2_b64 v[74:77], v60 offset0:45 offset1:46
	ds_read2_b64 v[78:81], v60 offset0:47 offset1:48
	ds_read2_b64 v[82:85], v60 offset0:49 offset1:50
	ds_read2_b64 v[86:89], v60 offset0:51 offset1:52
	ds_read2_b64 v[90:93], v60 offset0:53 offset1:54
	ds_read2_b64 v[94:97], v60 offset0:55 offset1:56
	ds_read2_b64 v[98:101], v60 offset0:57 offset1:58
	ds_read2_b64 v[102:105], v60 offset0:59 offset1:60
	ds_read2_b64 v[106:109], v60 offset0:61 offset1:62
	ds_read2_b64 v[110:113], v60 offset0:63 offset1:64
	ds_read2_b64 v[190:193], v60 offset0:65 offset1:66
	s_and_b64 vcc, exec, s[18:19]
	s_waitcnt vmcnt(15) lgkmcnt(13)
	v_mul_f32_e32 v61, v62, v1
	v_mul_f32_e32 v194, v64, v3
	v_fmac_f32_e32 v61, v63, v0
	s_waitcnt vmcnt(14) lgkmcnt(12)
	v_mul_f32_e32 v195, v66, v5
	v_fmac_f32_e32 v194, v65, v2
	v_add_f32_e32 v61, 0, v61
	v_mul_f32_e32 v196, v68, v7
	v_fmac_f32_e32 v195, v67, v4
	v_add_f32_e32 v61, v61, v194
	s_waitcnt vmcnt(13) lgkmcnt(11)
	v_mul_f32_e32 v197, v70, v9
	v_fmac_f32_e32 v196, v69, v6
	v_add_f32_e32 v61, v61, v195
	v_mul_f32_e32 v198, v72, v11
	v_fmac_f32_e32 v197, v71, v8
	v_add_f32_e32 v61, v61, v196
	;; [unrolled: 7-line block ×11, first 2 shown]
	s_waitcnt vmcnt(3) lgkmcnt(1)
	v_mul_f32_e32 v219, v110, v49
	v_fmac_f32_e32 v218, v109, v46
	v_add_f32_e32 v61, v61, v217
	v_add_f32_e32 v61, v61, v218
	v_fmac_f32_e32 v219, v111, v48
	v_mul_f32_e32 v194, v112, v51
	v_add_f32_e32 v61, v61, v219
	v_fmac_f32_e32 v194, v113, v50
	s_waitcnt vmcnt(2) lgkmcnt(0)
	v_mul_f32_e32 v198, v190, v53
	v_add_f32_e32 v61, v61, v194
	v_fmac_f32_e32 v198, v191, v52
	ds_read2_b64 v[194:197], v60 offset0:67 offset1:68
	v_add_f32_e32 v217, v61, v198
	ds_read2_b64 v[198:201], v60 offset0:69 offset1:70
	scratch_load_dwordx4 v[202:205], off, off offset:248
	scratch_load_dwordx4 v[206:209], off, off offset:264
	;; [unrolled: 1-line block ×3, first 2 shown]
	scratch_load_dwordx2 v[222:223], off, off offset:296
	v_mul_f32_e32 v1, v63, v1
	v_fma_f32 v0, v62, v0, -v1
	v_mul_f32_e32 v1, v65, v3
	v_add_f32_e32 v0, 0, v0
	v_fma_f32 v1, v64, v2, -v1
	v_add_f32_e32 v0, v0, v1
	v_mul_f32_e32 v1, v67, v5
	v_fma_f32 v1, v66, v4, -v1
	v_add_f32_e32 v0, v0, v1
	v_mul_f32_e32 v1, v69, v7
	;; [unrolled: 3-line block ×25, first 2 shown]
	v_fma_f32 v1, v190, v52, -v1
	v_mul_f32_e32 v219, v192, v55
	v_add_f32_e32 v216, v0, v1
	v_mul_f32_e32 v0, v193, v55
	s_waitcnt vmcnt(5)
	v_mov_b32_e32 v12, v59
	v_fmac_f32_e32 v219, v193, v54
	s_waitcnt lgkmcnt(1)
	v_mul_f32_e32 v221, v194, v57
	v_fma_f32 v218, v192, v54, -v0
	v_mul_f32_e32 v0, v195, v57
	v_pk_mul_f32 v[12:13], v[196:197], v[12:13] op_sel:[1,0] op_sel_hi:[0,0]
	v_fmac_f32_e32 v221, v195, v56
	v_fma_f32 v220, v194, v56, -v0
	v_pk_add_f32 v[10:11], v[216:217], v[218:219]
	v_pk_fma_f32 v[14:15], v[196:197], v[58:59], v[12:13] neg_lo:[0,0,1] neg_hi:[0,0,1]
	v_pk_fma_f32 v[12:13], v[196:197], v[58:59], v[12:13] op_sel_hi:[1,0,1]
	v_pk_add_f32 v[10:11], v[10:11], v[220:221]
	v_mov_b32_e32 v15, v13
	s_waitcnt vmcnt(3) lgkmcnt(0)
	v_pk_mul_f32 v[12:13], v[198:199], v[202:203] op_sel:[1,1] op_sel_hi:[0,1]
	v_pk_add_f32 v[10:11], v[10:11], v[14:15]
	v_pk_fma_f32 v[14:15], v[198:199], v[202:203], v[12:13] neg_lo:[0,0,1] neg_hi:[0,0,1]
	v_pk_fma_f32 v[12:13], v[198:199], v[202:203], v[12:13] op_sel_hi:[1,0,1]
	ds_read2_b64 v[0:3], v60 offset0:71 offset1:72
	ds_read2_b64 v[4:7], v60 offset0:73 offset1:74
	ds_read_b64 v[8:9], v60 offset:600
	v_mov_b32_e32 v12, v205
	v_mov_b32_e32 v15, v13
	v_pk_mul_f32 v[12:13], v[200:201], v[12:13] op_sel:[1,0] op_sel_hi:[0,0]
	v_pk_add_f32 v[10:11], v[10:11], v[14:15]
	v_pk_fma_f32 v[14:15], v[200:201], v[204:205], v[12:13] neg_lo:[0,0,1] neg_hi:[0,0,1]
	v_pk_fma_f32 v[12:13], v[200:201], v[204:205], v[12:13] op_sel_hi:[1,0,1]
	s_nop 0
	v_mov_b32_e32 v15, v13
	s_waitcnt vmcnt(2) lgkmcnt(2)
	v_pk_mul_f32 v[12:13], v[0:1], v[206:207] op_sel:[1,1] op_sel_hi:[0,1]
	v_pk_add_f32 v[10:11], v[10:11], v[14:15]
	v_pk_fma_f32 v[14:15], v[0:1], v[206:207], v[12:13] neg_lo:[0,0,1] neg_hi:[0,0,1]
	v_pk_fma_f32 v[0:1], v[0:1], v[206:207], v[12:13] op_sel_hi:[1,0,1]
	s_nop 0
	v_mov_b32_e32 v15, v1
	v_pk_add_f32 v[0:1], v[10:11], v[14:15]
	v_mov_b32_e32 v10, v209
	v_pk_mul_f32 v[10:11], v[2:3], v[10:11] op_sel:[1,0] op_sel_hi:[0,0]
	v_pk_fma_f32 v[12:13], v[2:3], v[208:209], v[10:11] neg_lo:[0,0,1] neg_hi:[0,0,1]
	v_pk_fma_f32 v[2:3], v[2:3], v[208:209], v[10:11] op_sel_hi:[1,0,1]
	s_nop 0
	v_mov_b32_e32 v13, v3
	s_waitcnt vmcnt(1) lgkmcnt(1)
	v_pk_mul_f32 v[2:3], v[4:5], v[210:211] op_sel:[1,1] op_sel_hi:[0,1]
	v_pk_fma_f32 v[10:11], v[4:5], v[210:211], v[2:3] neg_lo:[0,0,1] neg_hi:[0,0,1]
	v_pk_fma_f32 v[2:3], v[4:5], v[210:211], v[2:3] op_sel_hi:[1,0,1]
	v_pk_add_f32 v[0:1], v[0:1], v[12:13]
	v_mov_b32_e32 v2, v213
	v_mov_b32_e32 v11, v3
	v_pk_mul_f32 v[2:3], v[6:7], v[2:3] op_sel:[1,0] op_sel_hi:[0,0]
	v_pk_fma_f32 v[4:5], v[6:7], v[212:213], v[2:3] neg_lo:[0,0,1] neg_hi:[0,0,1]
	v_pk_fma_f32 v[2:3], v[6:7], v[212:213], v[2:3] op_sel_hi:[1,0,1]
	v_pk_add_f32 v[0:1], v[0:1], v[10:11]
	v_mov_b32_e32 v5, v3
	s_waitcnt vmcnt(0) lgkmcnt(0)
	v_pk_mul_f32 v[2:3], v[8:9], v[222:223] op_sel:[1,1] op_sel_hi:[0,1]
	v_pk_add_f32 v[0:1], v[0:1], v[4:5]
	v_pk_fma_f32 v[4:5], v[8:9], v[222:223], v[2:3] neg_lo:[0,0,1] neg_hi:[0,0,1]
	v_pk_fma_f32 v[2:3], v[8:9], v[222:223], v[2:3] op_sel_hi:[1,0,1]
	s_nop 0
	v_mov_b32_e32 v5, v3
	v_pk_add_f32 v[0:1], v[0:1], v[4:5]
	s_nop 0
	v_pk_add_f32 v[0:1], v[214:215], v[0:1] neg_lo:[0,1] neg_hi:[0,1]
	scratch_store_dwordx2 off, v[0:1], off
	s_cbranch_vccz .LBB37_316
; %bb.242:
	global_load_dword v0, v60, s[16:17] offset:144
	s_waitcnt vmcnt(0)
	v_readfirstlane_b32 s0, v0
	s_add_i32 s0, s0, -1
	s_cmp_lg_u32 s0, 36
	s_cbranch_scc0 .LBB37_244
; %bb.243:
	s_lshl_b32 s0, s0, 3
	s_nop 0
	scratch_load_dwordx2 v[0:1], off, s0
	scratch_load_dwordx2 v[2:3], off, off offset:288
	s_waitcnt vmcnt(1)
	scratch_store_dwordx2 off, v[0:1], off offset:288
	s_waitcnt vmcnt(1)
	scratch_store_dwordx2 off, v[2:3], s0
.LBB37_244:
	v_mov_b32_e32 v0, 0
	global_load_dword v1, v0, s[16:17] offset:140
	s_waitcnt vmcnt(0)
	v_readfirstlane_b32 s0, v1
	s_add_i32 s0, s0, -1
	s_cmp_eq_u32 s0, 35
	s_cbranch_scc1 .LBB37_246
; %bb.245:
	s_lshl_b32 s0, s0, 3
	s_nop 0
	scratch_load_dwordx2 v[2:3], off, s0
	scratch_load_dwordx2 v[4:5], off, off offset:280
	s_waitcnt vmcnt(1)
	scratch_store_dwordx2 off, v[2:3], off offset:280
	s_waitcnt vmcnt(1)
	scratch_store_dwordx2 off, v[4:5], s0
.LBB37_246:
	global_load_dword v0, v0, s[16:17] offset:136
	s_waitcnt vmcnt(0)
	v_readfirstlane_b32 s0, v0
	s_add_i32 s0, s0, -1
	s_cmp_eq_u32 s0, 34
	s_cbranch_scc1 .LBB37_248
; %bb.247:
	s_lshl_b32 s0, s0, 3
	s_nop 0
	scratch_load_dwordx2 v[0:1], off, s0
	scratch_load_dwordx2 v[2:3], off, off offset:272
	s_waitcnt vmcnt(1)
	scratch_store_dwordx2 off, v[0:1], off offset:272
	s_waitcnt vmcnt(1)
	scratch_store_dwordx2 off, v[2:3], s0
.LBB37_248:
	v_mov_b32_e32 v0, 0
	global_load_dword v1, v0, s[16:17] offset:132
	s_waitcnt vmcnt(0)
	v_readfirstlane_b32 s0, v1
	s_add_i32 s0, s0, -1
	s_cmp_eq_u32 s0, 33
	s_cbranch_scc1 .LBB37_250
; %bb.249:
	s_lshl_b32 s0, s0, 3
	s_nop 0
	scratch_load_dwordx2 v[2:3], off, s0
	scratch_load_dwordx2 v[4:5], off, off offset:264
	s_waitcnt vmcnt(1)
	scratch_store_dwordx2 off, v[2:3], off offset:264
	s_waitcnt vmcnt(1)
	scratch_store_dwordx2 off, v[4:5], s0
.LBB37_250:
	global_load_dword v0, v0, s[16:17] offset:128
	s_waitcnt vmcnt(0)
	v_readfirstlane_b32 s0, v0
	s_add_i32 s0, s0, -1
	s_cmp_eq_u32 s0, 32
	s_cbranch_scc1 .LBB37_252
; %bb.251:
	s_lshl_b32 s0, s0, 3
	s_nop 0
	scratch_load_dwordx2 v[0:1], off, s0
	scratch_load_dwordx2 v[2:3], off, off offset:256
	s_waitcnt vmcnt(1)
	scratch_store_dwordx2 off, v[0:1], off offset:256
	s_waitcnt vmcnt(1)
	scratch_store_dwordx2 off, v[2:3], s0
.LBB37_252:
	;; [unrolled: 33-line block ×17, first 2 shown]
	v_mov_b32_e32 v0, 0
	global_load_dword v1, v0, s[16:17] offset:4
	s_waitcnt vmcnt(0)
	v_readfirstlane_b32 s0, v1
	s_add_i32 s0, s0, -1
	s_cmp_eq_u32 s0, 1
	s_cbranch_scc1 .LBB37_314
; %bb.313:
	s_lshl_b32 s0, s0, 3
	s_nop 0
	scratch_load_dwordx2 v[2:3], off, s0
	scratch_load_dwordx2 v[4:5], off, off offset:8
	s_waitcnt vmcnt(1)
	scratch_store_dwordx2 off, v[2:3], off offset:8
	s_waitcnt vmcnt(1)
	scratch_store_dwordx2 off, v[4:5], s0
.LBB37_314:
	global_load_dword v2, v0, s[16:17]
	s_nop 0
	scratch_load_dwordx2 v[0:1], off, off
	s_waitcnt vmcnt(1)
	v_readfirstlane_b32 s0, v2
	s_add_i32 s0, s0, -1
	s_cmp_eq_u32 s0, 0
	s_cbranch_scc1 .LBB37_316
; %bb.315:
	s_lshl_b32 s0, s0, 3
	s_nop 0
	scratch_load_dwordx2 v[2:3], off, s0
	s_waitcnt vmcnt(0)
	scratch_store_dwordx2 off, v[2:3], off
	scratch_store_dwordx2 off, v[0:1], s0
	scratch_load_dwordx2 v[0:1], off, off
.LBB37_316:
	s_nop 0
	scratch_load_dwordx4 v[4:7], off, off offset:8
	scratch_load_dwordx4 v[8:11], off, off offset:24
	;; [unrolled: 1-line block ×18, first 2 shown]
	scratch_load_dwordx2 v[2:3], off, off offset:296
	s_waitcnt vmcnt(19)
	global_store_dwordx2 v[114:115], v[0:1], off
	s_waitcnt vmcnt(19)
	global_store_dwordx2 v[116:117], v[4:5], off
	global_store_dwordx2 v[118:119], v[6:7], off
	s_waitcnt vmcnt(20)
	global_store_dwordx2 v[120:121], v[8:9], off
	;; [unrolled: 3-line block ×19, first 2 shown]
	s_endpgm
	.section	.rodata,"a",@progbits
	.p2align	6, 0x0
	.amdhsa_kernel _ZN9rocsolver6v33100L18getri_kernel_smallILi38E19rocblas_complex_numIfEPS3_EEvT1_iilPiilS6_bb
		.amdhsa_group_segment_fixed_size 612
		.amdhsa_private_segment_fixed_size 320
		.amdhsa_kernarg_size 60
		.amdhsa_user_sgpr_count 2
		.amdhsa_user_sgpr_dispatch_ptr 0
		.amdhsa_user_sgpr_queue_ptr 0
		.amdhsa_user_sgpr_kernarg_segment_ptr 1
		.amdhsa_user_sgpr_dispatch_id 0
		.amdhsa_user_sgpr_kernarg_preload_length 0
		.amdhsa_user_sgpr_kernarg_preload_offset 0
		.amdhsa_user_sgpr_private_segment_size 0
		.amdhsa_uses_dynamic_stack 0
		.amdhsa_enable_private_segment 1
		.amdhsa_system_sgpr_workgroup_id_x 1
		.amdhsa_system_sgpr_workgroup_id_y 0
		.amdhsa_system_sgpr_workgroup_id_z 0
		.amdhsa_system_sgpr_workgroup_info 0
		.amdhsa_system_vgpr_workitem_id 0
		.amdhsa_next_free_vgpr 224
		.amdhsa_next_free_sgpr 20
		.amdhsa_accum_offset 224
		.amdhsa_reserve_vcc 1
		.amdhsa_float_round_mode_32 0
		.amdhsa_float_round_mode_16_64 0
		.amdhsa_float_denorm_mode_32 3
		.amdhsa_float_denorm_mode_16_64 3
		.amdhsa_dx10_clamp 1
		.amdhsa_ieee_mode 1
		.amdhsa_fp16_overflow 0
		.amdhsa_tg_split 0
		.amdhsa_exception_fp_ieee_invalid_op 0
		.amdhsa_exception_fp_denorm_src 0
		.amdhsa_exception_fp_ieee_div_zero 0
		.amdhsa_exception_fp_ieee_overflow 0
		.amdhsa_exception_fp_ieee_underflow 0
		.amdhsa_exception_fp_ieee_inexact 0
		.amdhsa_exception_int_div_zero 0
	.end_amdhsa_kernel
	.section	.text._ZN9rocsolver6v33100L18getri_kernel_smallILi38E19rocblas_complex_numIfEPS3_EEvT1_iilPiilS6_bb,"axG",@progbits,_ZN9rocsolver6v33100L18getri_kernel_smallILi38E19rocblas_complex_numIfEPS3_EEvT1_iilPiilS6_bb,comdat
.Lfunc_end37:
	.size	_ZN9rocsolver6v33100L18getri_kernel_smallILi38E19rocblas_complex_numIfEPS3_EEvT1_iilPiilS6_bb, .Lfunc_end37-_ZN9rocsolver6v33100L18getri_kernel_smallILi38E19rocblas_complex_numIfEPS3_EEvT1_iilPiilS6_bb
                                        ; -- End function
	.set _ZN9rocsolver6v33100L18getri_kernel_smallILi38E19rocblas_complex_numIfEPS3_EEvT1_iilPiilS6_bb.num_vgpr, 224
	.set _ZN9rocsolver6v33100L18getri_kernel_smallILi38E19rocblas_complex_numIfEPS3_EEvT1_iilPiilS6_bb.num_agpr, 0
	.set _ZN9rocsolver6v33100L18getri_kernel_smallILi38E19rocblas_complex_numIfEPS3_EEvT1_iilPiilS6_bb.numbered_sgpr, 20
	.set _ZN9rocsolver6v33100L18getri_kernel_smallILi38E19rocblas_complex_numIfEPS3_EEvT1_iilPiilS6_bb.num_named_barrier, 0
	.set _ZN9rocsolver6v33100L18getri_kernel_smallILi38E19rocblas_complex_numIfEPS3_EEvT1_iilPiilS6_bb.private_seg_size, 320
	.set _ZN9rocsolver6v33100L18getri_kernel_smallILi38E19rocblas_complex_numIfEPS3_EEvT1_iilPiilS6_bb.uses_vcc, 1
	.set _ZN9rocsolver6v33100L18getri_kernel_smallILi38E19rocblas_complex_numIfEPS3_EEvT1_iilPiilS6_bb.uses_flat_scratch, 0
	.set _ZN9rocsolver6v33100L18getri_kernel_smallILi38E19rocblas_complex_numIfEPS3_EEvT1_iilPiilS6_bb.has_dyn_sized_stack, 0
	.set _ZN9rocsolver6v33100L18getri_kernel_smallILi38E19rocblas_complex_numIfEPS3_EEvT1_iilPiilS6_bb.has_recursion, 0
	.set _ZN9rocsolver6v33100L18getri_kernel_smallILi38E19rocblas_complex_numIfEPS3_EEvT1_iilPiilS6_bb.has_indirect_call, 0
	.section	.AMDGPU.csdata,"",@progbits
; Kernel info:
; codeLenInByte = 46668
; TotalNumSgprs: 26
; NumVgprs: 224
; NumAgprs: 0
; TotalNumVgprs: 224
; ScratchSize: 320
; MemoryBound: 0
; FloatMode: 240
; IeeeMode: 1
; LDSByteSize: 612 bytes/workgroup (compile time only)
; SGPRBlocks: 3
; VGPRBlocks: 27
; NumSGPRsForWavesPerEU: 26
; NumVGPRsForWavesPerEU: 224
; AccumOffset: 224
; Occupancy: 2
; WaveLimiterHint : 1
; COMPUTE_PGM_RSRC2:SCRATCH_EN: 1
; COMPUTE_PGM_RSRC2:USER_SGPR: 2
; COMPUTE_PGM_RSRC2:TRAP_HANDLER: 0
; COMPUTE_PGM_RSRC2:TGID_X_EN: 1
; COMPUTE_PGM_RSRC2:TGID_Y_EN: 0
; COMPUTE_PGM_RSRC2:TGID_Z_EN: 0
; COMPUTE_PGM_RSRC2:TIDIG_COMP_CNT: 0
; COMPUTE_PGM_RSRC3_GFX90A:ACCUM_OFFSET: 55
; COMPUTE_PGM_RSRC3_GFX90A:TG_SPLIT: 0
	.section	.text._ZN9rocsolver6v33100L18getri_kernel_smallILi39E19rocblas_complex_numIfEPS3_EEvT1_iilPiilS6_bb,"axG",@progbits,_ZN9rocsolver6v33100L18getri_kernel_smallILi39E19rocblas_complex_numIfEPS3_EEvT1_iilPiilS6_bb,comdat
	.globl	_ZN9rocsolver6v33100L18getri_kernel_smallILi39E19rocblas_complex_numIfEPS3_EEvT1_iilPiilS6_bb ; -- Begin function _ZN9rocsolver6v33100L18getri_kernel_smallILi39E19rocblas_complex_numIfEPS3_EEvT1_iilPiilS6_bb
	.p2align	8
	.type	_ZN9rocsolver6v33100L18getri_kernel_smallILi39E19rocblas_complex_numIfEPS3_EEvT1_iilPiilS6_bb,@function
_ZN9rocsolver6v33100L18getri_kernel_smallILi39E19rocblas_complex_numIfEPS3_EEvT1_iilPiilS6_bb: ; @_ZN9rocsolver6v33100L18getri_kernel_smallILi39E19rocblas_complex_numIfEPS3_EEvT1_iilPiilS6_bb
; %bb.0:
	v_cmp_gt_u32_e32 vcc, 39, v0
	s_and_saveexec_b64 s[4:5], vcc
	s_cbranch_execz .LBB38_170
; %bb.1:
	s_load_dword s8, s[0:1], 0x38
	s_load_dwordx4 s[12:15], s[0:1], 0x10
	s_load_dwordx4 s[4:7], s[0:1], 0x28
                                        ; implicit-def: $sgpr16_sgpr17
	s_waitcnt lgkmcnt(0)
	s_bitcmp1_b32 s8, 8
	s_cselect_b64 s[18:19], -1, 0
	s_ashr_i32 s3, s2, 31
	s_bfe_u32 s8, s8, 0x10008
	s_cmp_eq_u32 s8, 0
	s_cbranch_scc1 .LBB38_3
; %bb.2:
	s_load_dword s8, s[0:1], 0x20
	s_mul_i32 s9, s4, s3
	s_mul_hi_u32 s10, s4, s2
	s_mul_i32 s5, s5, s2
	s_add_i32 s10, s10, s9
	s_add_i32 s5, s10, s5
	s_mul_i32 s4, s4, s2
	s_waitcnt lgkmcnt(0)
	s_ashr_i32 s9, s8, 31
	s_lshl_b64 s[4:5], s[4:5], 2
	s_add_u32 s10, s14, s4
	s_addc_u32 s11, s15, s5
	s_lshl_b64 s[4:5], s[8:9], 2
	s_add_u32 s16, s10, s4
	s_addc_u32 s17, s11, s5
.LBB38_3:
	s_load_dwordx4 s[8:11], s[0:1], 0x0
	s_load_dword s4, s[0:1], 0x38
	s_mul_i32 s5, s12, s3
	s_mul_hi_u32 s14, s12, s2
	s_add_i32 s5, s14, s5
	s_waitcnt lgkmcnt(0)
	s_ashr_i32 s1, s10, 31
	s_mov_b32 s0, s10
	s_mul_i32 s10, s13, s2
	s_add_i32 s13, s5, s10
	s_mul_i32 s12, s12, s2
	s_lshl_b64 s[12:13], s[12:13], 3
	s_add_u32 s5, s8, s12
	s_addc_u32 s8, s9, s13
	s_lshl_b64 s[0:1], s[0:1], 3
	s_add_u32 s0, s5, s0
	s_addc_u32 s1, s8, s1
	s_add_i32 s5, s11, s11
	v_add_u32_e32 v4, s5, v0
	v_ashrrev_i32_e32 v5, 31, v4
	v_lshl_add_u64 v[120:121], v[4:5], 3, s[0:1]
	v_add_u32_e32 v4, s11, v4
	v_ashrrev_i32_e32 v5, 31, v4
	v_lshl_add_u64 v[122:123], v[4:5], 3, s[0:1]
	;; [unrolled: 3-line block ×35, first 2 shown]
	v_add_u32_e32 v4, s11, v4
	v_lshlrev_b32_e32 v2, 3, v0
	v_mov_b32_e32 v3, 0
	v_ashrrev_i32_e32 v5, 31, v4
	v_lshl_add_u64 v[116:117], s[0:1], 0, v[2:3]
	s_ashr_i32 s9, s11, 31
	s_mov_b32 s8, s11
	v_lshl_add_u64 v[190:191], v[4:5], 3, s[0:1]
	v_add_u32_e32 v4, s11, v4
	v_lshl_add_u64 v[118:119], s[8:9], 3, v[116:117]
	v_ashrrev_i32_e32 v5, 31, v4
	global_load_dwordx2 v[6:7], v2, s[0:1]
	global_load_dwordx2 v[8:9], v[118:119], off
	global_load_dwordx2 v[10:11], v[120:121], off
	;; [unrolled: 1-line block ×36, first 2 shown]
	v_lshl_add_u64 v[192:193], v[4:5], 3, s[0:1]
	global_load_dwordx2 v[80:81], v[190:191], off
	global_load_dwordx2 v[4:5], v[192:193], off
	s_bitcmp0_b32 s4, 0
	s_mov_b64 s[4:5], -1
	s_waitcnt vmcnt(37)
	scratch_store_dwordx4 off, v[6:9], off
	s_waitcnt vmcnt(36)
	scratch_store_dwordx4 off, v[10:13], off offset:16
	s_waitcnt vmcnt(35)
	scratch_store_dwordx4 off, v[14:17], off offset:32
	;; [unrolled: 2-line block ×18, first 2 shown]
	s_waitcnt vmcnt(19)
	scratch_store_dwordx2 off, v[4:5], off offset:304
	s_cbranch_scc1 .LBB38_168
; %bb.4:
	v_cmp_eq_u32_e64 s[0:1], 0, v0
	s_and_saveexec_b64 s[4:5], s[0:1]
; %bb.5:
	v_mov_b32_e32 v1, 0
	ds_write_b32 v1, v1 offset:312
; %bb.6:
	s_or_b64 exec, exec, s[4:5]
	s_waitcnt lgkmcnt(0)
	; wave barrier
	scratch_load_dwordx2 v[4:5], v2, off
	s_waitcnt vmcnt(0)
	v_cmp_eq_f32_e32 vcc, 0, v4
	v_cmp_eq_f32_e64 s[4:5], 0, v5
	s_and_b64 s[4:5], vcc, s[4:5]
	s_and_saveexec_b64 s[8:9], s[4:5]
	s_cbranch_execz .LBB38_10
; %bb.7:
	v_mov_b32_e32 v1, 0
	ds_read_b32 v4, v1 offset:312
	v_add_u32_e32 v3, 1, v0
	s_waitcnt lgkmcnt(0)
	v_readfirstlane_b32 s4, v4
	s_cmp_eq_u32 s4, 0
	s_cselect_b64 s[10:11], -1, 0
	v_cmp_gt_i32_e32 vcc, s4, v3
	s_or_b64 s[10:11], s[10:11], vcc
	s_and_b64 exec, exec, s[10:11]
	s_cbranch_execz .LBB38_10
; %bb.8:
	s_mov_b64 s[10:11], 0
	v_mov_b32_e32 v4, s4
.LBB38_9:                               ; =>This Inner Loop Header: Depth=1
	ds_cmpst_rtn_b32 v4, v1, v4, v3 offset:312
	s_waitcnt lgkmcnt(0)
	v_cmp_ne_u32_e32 vcc, 0, v4
	v_cmp_le_i32_e64 s[4:5], v4, v3
	s_and_b64 s[4:5], vcc, s[4:5]
	s_and_b64 s[4:5], exec, s[4:5]
	s_or_b64 s[10:11], s[4:5], s[10:11]
	s_andn2_b64 exec, exec, s[10:11]
	s_cbranch_execnz .LBB38_9
.LBB38_10:
	s_or_b64 exec, exec, s[8:9]
	v_mov_b32_e32 v3, 0
	; wave barrier
	ds_read_b32 v1, v3 offset:312
	s_and_saveexec_b64 s[4:5], s[0:1]
	s_cbranch_execz .LBB38_12
; %bb.11:
	s_lshl_b64 s[8:9], s[2:3], 2
	s_add_u32 s8, s6, s8
	s_addc_u32 s9, s7, s9
	s_waitcnt lgkmcnt(0)
	global_store_dword v3, v1, s[8:9]
.LBB38_12:
	s_or_b64 exec, exec, s[4:5]
	s_waitcnt lgkmcnt(0)
	v_cmp_ne_u32_e32 vcc, 0, v1
	s_mov_b64 s[4:5], 0
	s_cbranch_vccnz .LBB38_168
; %bb.13:
	v_mov_b32_e32 v3, v2
	scratch_load_dwordx2 v[4:5], v3, off
                                        ; implicit-def: $vgpr7
                                        ; implicit-def: $vgpr8
	s_waitcnt vmcnt(0)
	v_cmp_ngt_f32_e64 s[4:5], |v4|, |v5|
	s_and_saveexec_b64 s[8:9], s[4:5]
	s_xor_b64 s[4:5], exec, s[8:9]
	s_cbranch_execz .LBB38_15
; %bb.14:
	v_div_scale_f32 v1, s[8:9], v5, v5, v4
	v_rcp_f32_e32 v6, v1
	v_div_scale_f32 v7, vcc, v4, v5, v4
	v_fma_f32 v8, -v1, v6, 1.0
	v_fmac_f32_e32 v6, v8, v6
	v_mul_f32_e32 v8, v7, v6
	v_fma_f32 v9, -v1, v8, v7
	v_fmac_f32_e32 v8, v9, v6
	v_fma_f32 v1, -v1, v8, v7
	v_div_fmas_f32 v1, v1, v6, v8
	v_div_fixup_f32 v1, v1, v5, v4
	v_fmac_f32_e32 v5, v4, v1
	v_div_scale_f32 v4, s[8:9], v5, v5, -1.0
	v_rcp_f32_e32 v6, v4
	s_nop 0
	v_fma_f32 v7, -v4, v6, 1.0
	v_fmac_f32_e32 v6, v7, v6
	v_div_scale_f32 v7, vcc, -1.0, v5, -1.0
	v_mul_f32_e32 v8, v7, v6
	v_fma_f32 v9, -v4, v8, v7
	v_fmac_f32_e32 v8, v9, v6
	v_fma_f32 v4, -v4, v8, v7
	v_div_fmas_f32 v4, v4, v6, v8
	v_div_fixup_f32 v7, v4, v5, -1.0
	v_mul_f32_e32 v8, v1, v7
	v_xor_b32_e32 v6, 0x80000000, v8
                                        ; implicit-def: $vgpr4_vgpr5
.LBB38_15:
	s_andn2_saveexec_b64 s[4:5], s[4:5]
	s_cbranch_execz .LBB38_17
; %bb.16:
	v_div_scale_f32 v1, s[8:9], v4, v4, v5
	v_rcp_f32_e32 v6, v1
	v_div_scale_f32 v7, vcc, v5, v4, v5
	v_fma_f32 v8, -v1, v6, 1.0
	v_fmac_f32_e32 v6, v8, v6
	v_mul_f32_e32 v8, v7, v6
	v_fma_f32 v9, -v1, v8, v7
	v_fmac_f32_e32 v8, v9, v6
	v_fma_f32 v1, -v1, v8, v7
	v_div_fmas_f32 v1, v1, v6, v8
	v_div_fixup_f32 v1, v1, v4, v5
	v_fmac_f32_e32 v4, v5, v1
	v_div_scale_f32 v5, s[8:9], v4, v4, 1.0
	v_rcp_f32_e32 v6, v5
	s_nop 0
	v_fma_f32 v7, -v5, v6, 1.0
	v_fmac_f32_e32 v6, v7, v6
	v_div_scale_f32 v7, vcc, 1.0, v4, 1.0
	v_mul_f32_e32 v8, v7, v6
	v_fma_f32 v9, -v5, v8, v7
	v_fmac_f32_e32 v8, v9, v6
	v_fma_f32 v5, -v5, v8, v7
	v_div_fmas_f32 v5, v5, v6, v8
	v_div_fixup_f32 v6, v5, v4, 1.0
	v_xor_b32_e32 v8, 0x80000000, v6
	v_mul_f32_e64 v7, v1, -v6
.LBB38_17:
	s_or_b64 exec, exec, s[4:5]
	scratch_store_dwordx2 v3, v[6:7], off
	scratch_load_dwordx2 v[4:5], off, off offset:8
	v_xor_b32_e32 v9, 0x80000000, v7
	v_add_u32_e32 v1, 0x140, v2
	s_waitcnt vmcnt(0)
	ds_write2_b64 v2, v[8:9], v[4:5] offset1:40
	s_waitcnt lgkmcnt(0)
	; wave barrier
	s_and_saveexec_b64 s[4:5], s[0:1]
	s_cbranch_execz .LBB38_19
; %bb.18:
	scratch_load_dwordx2 v[4:5], v3, off
	ds_read_b64 v[6:7], v1
	v_mov_b32_e32 v8, 0
	ds_read_b64 v[8:9], v8 offset:8
	s_waitcnt vmcnt(0) lgkmcnt(1)
	v_pk_mul_f32 v[10:11], v[6:7], v[4:5] op_sel:[1,1] op_sel_hi:[0,1]
	v_pk_fma_f32 v[12:13], v[6:7], v[4:5], v[10:11] neg_lo:[0,0,1] neg_hi:[0,0,1]
	v_pk_fma_f32 v[4:5], v[6:7], v[4:5], v[10:11] op_sel_hi:[1,0,1]
	s_nop 0
	v_mov_b32_e32 v13, v5
	v_pk_add_f32 v[4:5], v[12:13], 0 op_sel_hi:[1,0]
	s_waitcnt lgkmcnt(0)
	v_pk_mul_f32 v[6:7], v[4:5], v[8:9] op_sel:[1,1] op_sel_hi:[0,1]
	v_pk_fma_f32 v[10:11], v[4:5], v[8:9], v[6:7] neg_lo:[0,0,1] neg_hi:[0,0,1]
	v_pk_fma_f32 v[4:5], v[4:5], v[8:9], v[6:7] op_sel_hi:[1,0,1]
	s_nop 0
	v_mov_b32_e32 v11, v5
	scratch_store_dwordx2 off, v[10:11], off offset:8
.LBB38_19:
	s_or_b64 exec, exec, s[4:5]
	; wave barrier
	scratch_load_dwordx2 v[4:5], off, off offset:16
	v_cmp_gt_u32_e32 vcc, 2, v0
	s_waitcnt vmcnt(0)
	ds_write_b64 v1, v[4:5]
	s_waitcnt lgkmcnt(0)
	; wave barrier
	s_and_saveexec_b64 s[4:5], vcc
	s_cbranch_execz .LBB38_23
; %bb.20:
	scratch_load_dwordx2 v[4:5], v3, off
	ds_read_b64 v[6:7], v1
	s_waitcnt vmcnt(0) lgkmcnt(0)
	v_pk_mul_f32 v[8:9], v[6:7], v[4:5] op_sel:[1,1] op_sel_hi:[0,1]
	v_pk_fma_f32 v[10:11], v[6:7], v[4:5], v[8:9] neg_lo:[0,0,1] neg_hi:[0,0,1]
	v_pk_fma_f32 v[4:5], v[6:7], v[4:5], v[8:9] op_sel_hi:[1,0,1]
	s_nop 0
	v_mov_b32_e32 v11, v5
	v_pk_add_f32 v[4:5], v[10:11], 0 op_sel_hi:[1,0]
	s_and_saveexec_b64 s[8:9], s[0:1]
	s_cbranch_execz .LBB38_22
; %bb.21:
	scratch_load_dwordx2 v[6:7], off, off offset:8
	v_mov_b32_e32 v3, 0
	ds_read_b64 v[8:9], v3 offset:328
	s_waitcnt vmcnt(0) lgkmcnt(0)
	v_pk_mul_f32 v[10:11], v[8:9], v[6:7] op_sel:[1,1] op_sel_hi:[0,1]
	v_pk_fma_f32 v[12:13], v[8:9], v[6:7], v[10:11] neg_lo:[0,0,1] neg_hi:[0,0,1]
	v_pk_fma_f32 v[6:7], v[8:9], v[6:7], v[10:11] op_sel_hi:[1,0,1]
	s_nop 0
	v_mov_b32_e32 v13, v7
	v_pk_add_f32 v[4:5], v[4:5], v[12:13]
.LBB38_22:
	s_or_b64 exec, exec, s[8:9]
	v_mov_b32_e32 v3, 0
	ds_read_b64 v[6:7], v3 offset:16
	s_waitcnt lgkmcnt(0)
	v_pk_mul_f32 v[8:9], v[4:5], v[6:7] op_sel:[1,1] op_sel_hi:[0,1]
	v_pk_fma_f32 v[10:11], v[4:5], v[6:7], v[8:9] neg_lo:[0,0,1] neg_hi:[0,0,1]
	v_pk_fma_f32 v[4:5], v[4:5], v[6:7], v[8:9] op_sel_hi:[1,0,1]
	s_nop 0
	v_mov_b32_e32 v11, v5
	scratch_store_dwordx2 off, v[10:11], off offset:16
.LBB38_23:
	s_or_b64 exec, exec, s[4:5]
	; wave barrier
	scratch_load_dwordx2 v[4:5], off, off offset:24
	v_cmp_gt_u32_e32 vcc, 3, v0
	v_add_u32_e32 v6, -1, v0
	s_waitcnt vmcnt(0)
	ds_write_b64 v1, v[4:5]
	s_waitcnt lgkmcnt(0)
	; wave barrier
	s_and_saveexec_b64 s[0:1], vcc
	s_cbranch_execz .LBB38_27
; %bb.24:
	v_mov_b32_e32 v4, 0
	v_add_u32_e32 v3, -1, v0
	v_add_u32_e32 v7, 0x140, v2
	v_mov_b32_e32 v8, v2
	s_mov_b64 s[4:5], 0
	v_mov_b32_e32 v5, v4
.LBB38_25:                              ; =>This Inner Loop Header: Depth=1
	scratch_load_dwordx2 v[10:11], v8, off
	ds_read_b64 v[12:13], v7
	v_add_u32_e32 v3, 1, v3
	v_cmp_lt_u32_e32 vcc, 1, v3
	v_add_u32_e32 v7, 8, v7
	v_add_u32_e32 v8, 8, v8
	s_or_b64 s[4:5], vcc, s[4:5]
	s_waitcnt vmcnt(0) lgkmcnt(0)
	v_pk_mul_f32 v[14:15], v[12:13], v[10:11] op_sel:[1,1] op_sel_hi:[0,1]
	v_pk_fma_f32 v[16:17], v[12:13], v[10:11], v[14:15] neg_lo:[0,0,1] neg_hi:[0,0,1]
	v_pk_fma_f32 v[10:11], v[12:13], v[10:11], v[14:15] op_sel_hi:[1,0,1]
	s_nop 0
	v_mov_b32_e32 v17, v11
	v_pk_add_f32 v[4:5], v[4:5], v[16:17]
	s_andn2_b64 exec, exec, s[4:5]
	s_cbranch_execnz .LBB38_25
; %bb.26:
	s_or_b64 exec, exec, s[4:5]
	v_mov_b32_e32 v3, 0
	ds_read_b64 v[8:9], v3 offset:24
	s_waitcnt lgkmcnt(0)
	v_pk_mul_f32 v[10:11], v[4:5], v[8:9] op_sel:[1,1] op_sel_hi:[0,1]
	v_pk_fma_f32 v[12:13], v[4:5], v[8:9], v[10:11] neg_lo:[0,0,1] neg_hi:[0,0,1]
	v_pk_fma_f32 v[4:5], v[4:5], v[8:9], v[10:11] op_sel_hi:[1,0,1]
	s_nop 0
	v_mov_b32_e32 v13, v5
	scratch_store_dwordx2 off, v[12:13], off offset:24
.LBB38_27:
	s_or_b64 exec, exec, s[0:1]
	; wave barrier
	scratch_load_dwordx2 v[4:5], off, off offset:32
	v_cmp_gt_u32_e32 vcc, 4, v0
	s_waitcnt vmcnt(0)
	ds_write_b64 v1, v[4:5]
	s_waitcnt lgkmcnt(0)
	; wave barrier
	s_and_saveexec_b64 s[0:1], vcc
	s_cbranch_execz .LBB38_31
; %bb.28:
	v_mov_b32_e32 v4, 0
	v_add_u32_e32 v3, -1, v0
	v_add_u32_e32 v7, 0x140, v2
	v_mov_b32_e32 v8, v2
	s_mov_b64 s[4:5], 0
	v_mov_b32_e32 v5, v4
.LBB38_29:                              ; =>This Inner Loop Header: Depth=1
	scratch_load_dwordx2 v[10:11], v8, off
	ds_read_b64 v[12:13], v7
	v_add_u32_e32 v3, 1, v3
	v_cmp_lt_u32_e32 vcc, 2, v3
	v_add_u32_e32 v7, 8, v7
	v_add_u32_e32 v8, 8, v8
	s_or_b64 s[4:5], vcc, s[4:5]
	s_waitcnt vmcnt(0) lgkmcnt(0)
	v_pk_mul_f32 v[14:15], v[12:13], v[10:11] op_sel:[1,1] op_sel_hi:[0,1]
	v_pk_fma_f32 v[16:17], v[12:13], v[10:11], v[14:15] neg_lo:[0,0,1] neg_hi:[0,0,1]
	v_pk_fma_f32 v[10:11], v[12:13], v[10:11], v[14:15] op_sel_hi:[1,0,1]
	s_nop 0
	v_mov_b32_e32 v17, v11
	v_pk_add_f32 v[4:5], v[4:5], v[16:17]
	s_andn2_b64 exec, exec, s[4:5]
	s_cbranch_execnz .LBB38_29
; %bb.30:
	s_or_b64 exec, exec, s[4:5]
	v_mov_b32_e32 v3, 0
	ds_read_b64 v[8:9], v3 offset:32
	s_waitcnt lgkmcnt(0)
	v_pk_mul_f32 v[10:11], v[4:5], v[8:9] op_sel:[1,1] op_sel_hi:[0,1]
	v_pk_fma_f32 v[12:13], v[4:5], v[8:9], v[10:11] neg_lo:[0,0,1] neg_hi:[0,0,1]
	v_pk_fma_f32 v[4:5], v[4:5], v[8:9], v[10:11] op_sel_hi:[1,0,1]
	s_nop 0
	v_mov_b32_e32 v13, v5
	scratch_store_dwordx2 off, v[12:13], off offset:32
.LBB38_31:
	s_or_b64 exec, exec, s[0:1]
	; wave barrier
	scratch_load_dwordx2 v[4:5], off, off offset:40
	v_cmp_gt_u32_e32 vcc, 5, v0
	;; [unrolled: 46-line block ×19, first 2 shown]
	s_waitcnt vmcnt(0)
	ds_write_b64 v1, v[4:5]
	s_waitcnt lgkmcnt(0)
	; wave barrier
	s_and_saveexec_b64 s[0:1], vcc
	s_cbranch_execz .LBB38_103
; %bb.100:
	v_mov_b32_e32 v4, 0
	v_add_u32_e32 v3, -1, v0
	v_add_u32_e32 v7, 0x140, v2
	v_mov_b32_e32 v8, v2
	s_mov_b64 s[4:5], 0
	v_mov_b32_e32 v5, v4
.LBB38_101:                             ; =>This Inner Loop Header: Depth=1
	scratch_load_dwordx2 v[10:11], v8, off
	ds_read_b64 v[12:13], v7
	v_add_u32_e32 v3, 1, v3
	v_cmp_lt_u32_e32 vcc, 20, v3
	v_add_u32_e32 v7, 8, v7
	v_add_u32_e32 v8, 8, v8
	s_or_b64 s[4:5], vcc, s[4:5]
	s_waitcnt vmcnt(0) lgkmcnt(0)
	v_pk_mul_f32 v[14:15], v[12:13], v[10:11] op_sel:[1,1] op_sel_hi:[0,1]
	v_pk_fma_f32 v[16:17], v[12:13], v[10:11], v[14:15] neg_lo:[0,0,1] neg_hi:[0,0,1]
	v_pk_fma_f32 v[10:11], v[12:13], v[10:11], v[14:15] op_sel_hi:[1,0,1]
	s_nop 0
	v_mov_b32_e32 v17, v11
	v_pk_add_f32 v[4:5], v[4:5], v[16:17]
	s_andn2_b64 exec, exec, s[4:5]
	s_cbranch_execnz .LBB38_101
; %bb.102:
	s_or_b64 exec, exec, s[4:5]
	v_mov_b32_e32 v3, 0
	ds_read_b64 v[8:9], v3 offset:176
	s_waitcnt lgkmcnt(0)
	v_pk_mul_f32 v[10:11], v[4:5], v[8:9] op_sel:[1,1] op_sel_hi:[0,1]
	v_pk_fma_f32 v[12:13], v[4:5], v[8:9], v[10:11] neg_lo:[0,0,1] neg_hi:[0,0,1]
	v_pk_fma_f32 v[4:5], v[4:5], v[8:9], v[10:11] op_sel_hi:[1,0,1]
	s_nop 0
	v_mov_b32_e32 v13, v5
	scratch_store_dwordx2 off, v[12:13], off offset:176
.LBB38_103:
	s_or_b64 exec, exec, s[0:1]
	; wave barrier
	scratch_load_dwordx2 v[4:5], off, off offset:184
	v_cmp_gt_u32_e32 vcc, 23, v0
	s_waitcnt vmcnt(0)
	ds_write_b64 v1, v[4:5]
	s_waitcnt lgkmcnt(0)
	; wave barrier
	s_and_saveexec_b64 s[0:1], vcc
	s_cbranch_execz .LBB38_107
; %bb.104:
	v_mov_b32_e32 v4, 0
	v_add_u32_e32 v3, -1, v0
	v_add_u32_e32 v7, 0x140, v2
	v_mov_b32_e32 v8, v2
	s_mov_b64 s[4:5], 0
	v_mov_b32_e32 v5, v4
.LBB38_105:                             ; =>This Inner Loop Header: Depth=1
	scratch_load_dwordx2 v[10:11], v8, off
	ds_read_b64 v[12:13], v7
	v_add_u32_e32 v3, 1, v3
	v_cmp_lt_u32_e32 vcc, 21, v3
	v_add_u32_e32 v7, 8, v7
	v_add_u32_e32 v8, 8, v8
	s_or_b64 s[4:5], vcc, s[4:5]
	s_waitcnt vmcnt(0) lgkmcnt(0)
	v_pk_mul_f32 v[14:15], v[12:13], v[10:11] op_sel:[1,1] op_sel_hi:[0,1]
	v_pk_fma_f32 v[16:17], v[12:13], v[10:11], v[14:15] neg_lo:[0,0,1] neg_hi:[0,0,1]
	v_pk_fma_f32 v[10:11], v[12:13], v[10:11], v[14:15] op_sel_hi:[1,0,1]
	s_nop 0
	v_mov_b32_e32 v17, v11
	v_pk_add_f32 v[4:5], v[4:5], v[16:17]
	s_andn2_b64 exec, exec, s[4:5]
	s_cbranch_execnz .LBB38_105
; %bb.106:
	s_or_b64 exec, exec, s[4:5]
	v_mov_b32_e32 v3, 0
	ds_read_b64 v[8:9], v3 offset:184
	s_waitcnt lgkmcnt(0)
	v_pk_mul_f32 v[10:11], v[4:5], v[8:9] op_sel:[1,1] op_sel_hi:[0,1]
	v_pk_fma_f32 v[12:13], v[4:5], v[8:9], v[10:11] neg_lo:[0,0,1] neg_hi:[0,0,1]
	v_pk_fma_f32 v[4:5], v[4:5], v[8:9], v[10:11] op_sel_hi:[1,0,1]
	s_nop 0
	v_mov_b32_e32 v13, v5
	scratch_store_dwordx2 off, v[12:13], off offset:184
.LBB38_107:
	s_or_b64 exec, exec, s[0:1]
	; wave barrier
	scratch_load_dwordx2 v[4:5], off, off offset:192
	v_cmp_gt_u32_e32 vcc, 24, v0
	s_waitcnt vmcnt(0)
	ds_write_b64 v1, v[4:5]
	s_waitcnt lgkmcnt(0)
	; wave barrier
	s_and_saveexec_b64 s[0:1], vcc
	s_cbranch_execz .LBB38_111
; %bb.108:
	v_mov_b32_e32 v4, 0
	v_add_u32_e32 v3, -1, v0
	v_add_u32_e32 v7, 0x140, v2
	v_mov_b32_e32 v8, v2
	s_mov_b64 s[4:5], 0
	v_mov_b32_e32 v5, v4
.LBB38_109:                             ; =>This Inner Loop Header: Depth=1
	scratch_load_dwordx2 v[10:11], v8, off
	ds_read_b64 v[12:13], v7
	v_add_u32_e32 v3, 1, v3
	v_cmp_lt_u32_e32 vcc, 22, v3
	v_add_u32_e32 v7, 8, v7
	v_add_u32_e32 v8, 8, v8
	s_or_b64 s[4:5], vcc, s[4:5]
	s_waitcnt vmcnt(0) lgkmcnt(0)
	v_pk_mul_f32 v[14:15], v[12:13], v[10:11] op_sel:[1,1] op_sel_hi:[0,1]
	v_pk_fma_f32 v[16:17], v[12:13], v[10:11], v[14:15] neg_lo:[0,0,1] neg_hi:[0,0,1]
	v_pk_fma_f32 v[10:11], v[12:13], v[10:11], v[14:15] op_sel_hi:[1,0,1]
	s_nop 0
	v_mov_b32_e32 v17, v11
	v_pk_add_f32 v[4:5], v[4:5], v[16:17]
	s_andn2_b64 exec, exec, s[4:5]
	s_cbranch_execnz .LBB38_109
; %bb.110:
	s_or_b64 exec, exec, s[4:5]
	v_mov_b32_e32 v3, 0
	ds_read_b64 v[8:9], v3 offset:192
	s_waitcnt lgkmcnt(0)
	v_pk_mul_f32 v[10:11], v[4:5], v[8:9] op_sel:[1,1] op_sel_hi:[0,1]
	v_pk_fma_f32 v[12:13], v[4:5], v[8:9], v[10:11] neg_lo:[0,0,1] neg_hi:[0,0,1]
	v_pk_fma_f32 v[4:5], v[4:5], v[8:9], v[10:11] op_sel_hi:[1,0,1]
	s_nop 0
	v_mov_b32_e32 v13, v5
	scratch_store_dwordx2 off, v[12:13], off offset:192
.LBB38_111:
	s_or_b64 exec, exec, s[0:1]
	; wave barrier
	scratch_load_dwordx2 v[4:5], off, off offset:200
	v_cmp_gt_u32_e32 vcc, 25, v0
	s_waitcnt vmcnt(0)
	ds_write_b64 v1, v[4:5]
	s_waitcnt lgkmcnt(0)
	; wave barrier
	s_and_saveexec_b64 s[0:1], vcc
	s_cbranch_execz .LBB38_115
; %bb.112:
	v_mov_b32_e32 v4, 0
	v_add_u32_e32 v3, -1, v0
	v_add_u32_e32 v7, 0x140, v2
	v_mov_b32_e32 v8, v2
	s_mov_b64 s[4:5], 0
	v_mov_b32_e32 v5, v4
.LBB38_113:                             ; =>This Inner Loop Header: Depth=1
	scratch_load_dwordx2 v[10:11], v8, off
	ds_read_b64 v[12:13], v7
	v_add_u32_e32 v3, 1, v3
	v_cmp_lt_u32_e32 vcc, 23, v3
	v_add_u32_e32 v7, 8, v7
	v_add_u32_e32 v8, 8, v8
	s_or_b64 s[4:5], vcc, s[4:5]
	s_waitcnt vmcnt(0) lgkmcnt(0)
	v_pk_mul_f32 v[14:15], v[12:13], v[10:11] op_sel:[1,1] op_sel_hi:[0,1]
	v_pk_fma_f32 v[16:17], v[12:13], v[10:11], v[14:15] neg_lo:[0,0,1] neg_hi:[0,0,1]
	v_pk_fma_f32 v[10:11], v[12:13], v[10:11], v[14:15] op_sel_hi:[1,0,1]
	s_nop 0
	v_mov_b32_e32 v17, v11
	v_pk_add_f32 v[4:5], v[4:5], v[16:17]
	s_andn2_b64 exec, exec, s[4:5]
	s_cbranch_execnz .LBB38_113
; %bb.114:
	s_or_b64 exec, exec, s[4:5]
	v_mov_b32_e32 v3, 0
	ds_read_b64 v[8:9], v3 offset:200
	s_waitcnt lgkmcnt(0)
	v_pk_mul_f32 v[10:11], v[4:5], v[8:9] op_sel:[1,1] op_sel_hi:[0,1]
	v_pk_fma_f32 v[12:13], v[4:5], v[8:9], v[10:11] neg_lo:[0,0,1] neg_hi:[0,0,1]
	v_pk_fma_f32 v[4:5], v[4:5], v[8:9], v[10:11] op_sel_hi:[1,0,1]
	s_nop 0
	v_mov_b32_e32 v13, v5
	scratch_store_dwordx2 off, v[12:13], off offset:200
.LBB38_115:
	s_or_b64 exec, exec, s[0:1]
	; wave barrier
	scratch_load_dwordx2 v[4:5], off, off offset:208
	v_cmp_gt_u32_e32 vcc, 26, v0
	s_waitcnt vmcnt(0)
	ds_write_b64 v1, v[4:5]
	s_waitcnt lgkmcnt(0)
	; wave barrier
	s_and_saveexec_b64 s[0:1], vcc
	s_cbranch_execz .LBB38_119
; %bb.116:
	v_mov_b32_e32 v4, 0
	v_add_u32_e32 v3, -1, v0
	v_add_u32_e32 v7, 0x140, v2
	v_mov_b32_e32 v8, v2
	s_mov_b64 s[4:5], 0
	v_mov_b32_e32 v5, v4
.LBB38_117:                             ; =>This Inner Loop Header: Depth=1
	scratch_load_dwordx2 v[10:11], v8, off
	ds_read_b64 v[12:13], v7
	v_add_u32_e32 v3, 1, v3
	v_cmp_lt_u32_e32 vcc, 24, v3
	v_add_u32_e32 v7, 8, v7
	v_add_u32_e32 v8, 8, v8
	s_or_b64 s[4:5], vcc, s[4:5]
	s_waitcnt vmcnt(0) lgkmcnt(0)
	v_pk_mul_f32 v[14:15], v[12:13], v[10:11] op_sel:[1,1] op_sel_hi:[0,1]
	v_pk_fma_f32 v[16:17], v[12:13], v[10:11], v[14:15] neg_lo:[0,0,1] neg_hi:[0,0,1]
	v_pk_fma_f32 v[10:11], v[12:13], v[10:11], v[14:15] op_sel_hi:[1,0,1]
	s_nop 0
	v_mov_b32_e32 v17, v11
	v_pk_add_f32 v[4:5], v[4:5], v[16:17]
	s_andn2_b64 exec, exec, s[4:5]
	s_cbranch_execnz .LBB38_117
; %bb.118:
	s_or_b64 exec, exec, s[4:5]
	v_mov_b32_e32 v3, 0
	ds_read_b64 v[8:9], v3 offset:208
	s_waitcnt lgkmcnt(0)
	v_pk_mul_f32 v[10:11], v[4:5], v[8:9] op_sel:[1,1] op_sel_hi:[0,1]
	v_pk_fma_f32 v[12:13], v[4:5], v[8:9], v[10:11] neg_lo:[0,0,1] neg_hi:[0,0,1]
	v_pk_fma_f32 v[4:5], v[4:5], v[8:9], v[10:11] op_sel_hi:[1,0,1]
	s_nop 0
	v_mov_b32_e32 v13, v5
	scratch_store_dwordx2 off, v[12:13], off offset:208
.LBB38_119:
	s_or_b64 exec, exec, s[0:1]
	; wave barrier
	scratch_load_dwordx2 v[4:5], off, off offset:216
	v_cmp_gt_u32_e32 vcc, 27, v0
	s_waitcnt vmcnt(0)
	ds_write_b64 v1, v[4:5]
	s_waitcnt lgkmcnt(0)
	; wave barrier
	s_and_saveexec_b64 s[0:1], vcc
	s_cbranch_execz .LBB38_123
; %bb.120:
	v_mov_b32_e32 v4, 0
	v_add_u32_e32 v3, -1, v0
	v_add_u32_e32 v7, 0x140, v2
	v_mov_b32_e32 v8, v2
	s_mov_b64 s[4:5], 0
	v_mov_b32_e32 v5, v4
.LBB38_121:                             ; =>This Inner Loop Header: Depth=1
	scratch_load_dwordx2 v[10:11], v8, off
	ds_read_b64 v[12:13], v7
	v_add_u32_e32 v3, 1, v3
	v_cmp_lt_u32_e32 vcc, 25, v3
	v_add_u32_e32 v7, 8, v7
	v_add_u32_e32 v8, 8, v8
	s_or_b64 s[4:5], vcc, s[4:5]
	s_waitcnt vmcnt(0) lgkmcnt(0)
	v_pk_mul_f32 v[14:15], v[12:13], v[10:11] op_sel:[1,1] op_sel_hi:[0,1]
	v_pk_fma_f32 v[16:17], v[12:13], v[10:11], v[14:15] neg_lo:[0,0,1] neg_hi:[0,0,1]
	v_pk_fma_f32 v[10:11], v[12:13], v[10:11], v[14:15] op_sel_hi:[1,0,1]
	s_nop 0
	v_mov_b32_e32 v17, v11
	v_pk_add_f32 v[4:5], v[4:5], v[16:17]
	s_andn2_b64 exec, exec, s[4:5]
	s_cbranch_execnz .LBB38_121
; %bb.122:
	s_or_b64 exec, exec, s[4:5]
	v_mov_b32_e32 v3, 0
	ds_read_b64 v[8:9], v3 offset:216
	s_waitcnt lgkmcnt(0)
	v_pk_mul_f32 v[10:11], v[4:5], v[8:9] op_sel:[1,1] op_sel_hi:[0,1]
	v_pk_fma_f32 v[12:13], v[4:5], v[8:9], v[10:11] neg_lo:[0,0,1] neg_hi:[0,0,1]
	v_pk_fma_f32 v[4:5], v[4:5], v[8:9], v[10:11] op_sel_hi:[1,0,1]
	s_nop 0
	v_mov_b32_e32 v13, v5
	scratch_store_dwordx2 off, v[12:13], off offset:216
.LBB38_123:
	s_or_b64 exec, exec, s[0:1]
	; wave barrier
	scratch_load_dwordx2 v[4:5], off, off offset:224
	v_cmp_gt_u32_e32 vcc, 28, v0
	s_waitcnt vmcnt(0)
	ds_write_b64 v1, v[4:5]
	s_waitcnt lgkmcnt(0)
	; wave barrier
	s_and_saveexec_b64 s[0:1], vcc
	s_cbranch_execz .LBB38_127
; %bb.124:
	v_mov_b32_e32 v4, 0
	v_add_u32_e32 v3, -1, v0
	v_add_u32_e32 v7, 0x140, v2
	v_mov_b32_e32 v8, v2
	s_mov_b64 s[4:5], 0
	v_mov_b32_e32 v5, v4
.LBB38_125:                             ; =>This Inner Loop Header: Depth=1
	scratch_load_dwordx2 v[10:11], v8, off
	ds_read_b64 v[12:13], v7
	v_add_u32_e32 v3, 1, v3
	v_cmp_lt_u32_e32 vcc, 26, v3
	v_add_u32_e32 v7, 8, v7
	v_add_u32_e32 v8, 8, v8
	s_or_b64 s[4:5], vcc, s[4:5]
	s_waitcnt vmcnt(0) lgkmcnt(0)
	v_pk_mul_f32 v[14:15], v[12:13], v[10:11] op_sel:[1,1] op_sel_hi:[0,1]
	v_pk_fma_f32 v[16:17], v[12:13], v[10:11], v[14:15] neg_lo:[0,0,1] neg_hi:[0,0,1]
	v_pk_fma_f32 v[10:11], v[12:13], v[10:11], v[14:15] op_sel_hi:[1,0,1]
	s_nop 0
	v_mov_b32_e32 v17, v11
	v_pk_add_f32 v[4:5], v[4:5], v[16:17]
	s_andn2_b64 exec, exec, s[4:5]
	s_cbranch_execnz .LBB38_125
; %bb.126:
	s_or_b64 exec, exec, s[4:5]
	v_mov_b32_e32 v3, 0
	ds_read_b64 v[8:9], v3 offset:224
	s_waitcnt lgkmcnt(0)
	v_pk_mul_f32 v[10:11], v[4:5], v[8:9] op_sel:[1,1] op_sel_hi:[0,1]
	v_pk_fma_f32 v[12:13], v[4:5], v[8:9], v[10:11] neg_lo:[0,0,1] neg_hi:[0,0,1]
	v_pk_fma_f32 v[4:5], v[4:5], v[8:9], v[10:11] op_sel_hi:[1,0,1]
	s_nop 0
	v_mov_b32_e32 v13, v5
	scratch_store_dwordx2 off, v[12:13], off offset:224
.LBB38_127:
	s_or_b64 exec, exec, s[0:1]
	; wave barrier
	scratch_load_dwordx2 v[4:5], off, off offset:232
	v_cmp_gt_u32_e32 vcc, 29, v0
	s_waitcnt vmcnt(0)
	ds_write_b64 v1, v[4:5]
	s_waitcnt lgkmcnt(0)
	; wave barrier
	s_and_saveexec_b64 s[0:1], vcc
	s_cbranch_execz .LBB38_131
; %bb.128:
	v_mov_b32_e32 v4, 0
	v_add_u32_e32 v3, -1, v0
	v_add_u32_e32 v7, 0x140, v2
	v_mov_b32_e32 v8, v2
	s_mov_b64 s[4:5], 0
	v_mov_b32_e32 v5, v4
.LBB38_129:                             ; =>This Inner Loop Header: Depth=1
	scratch_load_dwordx2 v[10:11], v8, off
	ds_read_b64 v[12:13], v7
	v_add_u32_e32 v3, 1, v3
	v_cmp_lt_u32_e32 vcc, 27, v3
	v_add_u32_e32 v7, 8, v7
	v_add_u32_e32 v8, 8, v8
	s_or_b64 s[4:5], vcc, s[4:5]
	s_waitcnt vmcnt(0) lgkmcnt(0)
	v_pk_mul_f32 v[14:15], v[12:13], v[10:11] op_sel:[1,1] op_sel_hi:[0,1]
	v_pk_fma_f32 v[16:17], v[12:13], v[10:11], v[14:15] neg_lo:[0,0,1] neg_hi:[0,0,1]
	v_pk_fma_f32 v[10:11], v[12:13], v[10:11], v[14:15] op_sel_hi:[1,0,1]
	s_nop 0
	v_mov_b32_e32 v17, v11
	v_pk_add_f32 v[4:5], v[4:5], v[16:17]
	s_andn2_b64 exec, exec, s[4:5]
	s_cbranch_execnz .LBB38_129
; %bb.130:
	s_or_b64 exec, exec, s[4:5]
	v_mov_b32_e32 v3, 0
	ds_read_b64 v[8:9], v3 offset:232
	s_waitcnt lgkmcnt(0)
	v_pk_mul_f32 v[10:11], v[4:5], v[8:9] op_sel:[1,1] op_sel_hi:[0,1]
	v_pk_fma_f32 v[12:13], v[4:5], v[8:9], v[10:11] neg_lo:[0,0,1] neg_hi:[0,0,1]
	v_pk_fma_f32 v[4:5], v[4:5], v[8:9], v[10:11] op_sel_hi:[1,0,1]
	s_nop 0
	v_mov_b32_e32 v13, v5
	scratch_store_dwordx2 off, v[12:13], off offset:232
.LBB38_131:
	s_or_b64 exec, exec, s[0:1]
	; wave barrier
	scratch_load_dwordx2 v[4:5], off, off offset:240
	v_cmp_gt_u32_e32 vcc, 30, v0
	s_waitcnt vmcnt(0)
	ds_write_b64 v1, v[4:5]
	s_waitcnt lgkmcnt(0)
	; wave barrier
	s_and_saveexec_b64 s[0:1], vcc
	s_cbranch_execz .LBB38_135
; %bb.132:
	v_mov_b32_e32 v4, 0
	v_add_u32_e32 v3, -1, v0
	v_add_u32_e32 v7, 0x140, v2
	v_mov_b32_e32 v8, v2
	s_mov_b64 s[4:5], 0
	v_mov_b32_e32 v5, v4
.LBB38_133:                             ; =>This Inner Loop Header: Depth=1
	scratch_load_dwordx2 v[10:11], v8, off
	ds_read_b64 v[12:13], v7
	v_add_u32_e32 v3, 1, v3
	v_cmp_lt_u32_e32 vcc, 28, v3
	v_add_u32_e32 v7, 8, v7
	v_add_u32_e32 v8, 8, v8
	s_or_b64 s[4:5], vcc, s[4:5]
	s_waitcnt vmcnt(0) lgkmcnt(0)
	v_pk_mul_f32 v[14:15], v[12:13], v[10:11] op_sel:[1,1] op_sel_hi:[0,1]
	v_pk_fma_f32 v[16:17], v[12:13], v[10:11], v[14:15] neg_lo:[0,0,1] neg_hi:[0,0,1]
	v_pk_fma_f32 v[10:11], v[12:13], v[10:11], v[14:15] op_sel_hi:[1,0,1]
	s_nop 0
	v_mov_b32_e32 v17, v11
	v_pk_add_f32 v[4:5], v[4:5], v[16:17]
	s_andn2_b64 exec, exec, s[4:5]
	s_cbranch_execnz .LBB38_133
; %bb.134:
	s_or_b64 exec, exec, s[4:5]
	v_mov_b32_e32 v3, 0
	ds_read_b64 v[8:9], v3 offset:240
	s_waitcnt lgkmcnt(0)
	v_pk_mul_f32 v[10:11], v[4:5], v[8:9] op_sel:[1,1] op_sel_hi:[0,1]
	v_pk_fma_f32 v[12:13], v[4:5], v[8:9], v[10:11] neg_lo:[0,0,1] neg_hi:[0,0,1]
	v_pk_fma_f32 v[4:5], v[4:5], v[8:9], v[10:11] op_sel_hi:[1,0,1]
	s_nop 0
	v_mov_b32_e32 v13, v5
	scratch_store_dwordx2 off, v[12:13], off offset:240
.LBB38_135:
	s_or_b64 exec, exec, s[0:1]
	; wave barrier
	scratch_load_dwordx2 v[4:5], off, off offset:248
	v_cmp_gt_u32_e32 vcc, 31, v0
	s_waitcnt vmcnt(0)
	ds_write_b64 v1, v[4:5]
	s_waitcnt lgkmcnt(0)
	; wave barrier
	s_and_saveexec_b64 s[0:1], vcc
	s_cbranch_execz .LBB38_139
; %bb.136:
	v_mov_b32_e32 v4, 0
	v_add_u32_e32 v3, -1, v0
	v_add_u32_e32 v7, 0x140, v2
	v_mov_b32_e32 v8, v2
	s_mov_b64 s[4:5], 0
	v_mov_b32_e32 v5, v4
.LBB38_137:                             ; =>This Inner Loop Header: Depth=1
	scratch_load_dwordx2 v[10:11], v8, off
	ds_read_b64 v[12:13], v7
	v_add_u32_e32 v3, 1, v3
	v_cmp_lt_u32_e32 vcc, 29, v3
	v_add_u32_e32 v7, 8, v7
	v_add_u32_e32 v8, 8, v8
	s_or_b64 s[4:5], vcc, s[4:5]
	s_waitcnt vmcnt(0) lgkmcnt(0)
	v_pk_mul_f32 v[14:15], v[12:13], v[10:11] op_sel:[1,1] op_sel_hi:[0,1]
	v_pk_fma_f32 v[16:17], v[12:13], v[10:11], v[14:15] neg_lo:[0,0,1] neg_hi:[0,0,1]
	v_pk_fma_f32 v[10:11], v[12:13], v[10:11], v[14:15] op_sel_hi:[1,0,1]
	s_nop 0
	v_mov_b32_e32 v17, v11
	v_pk_add_f32 v[4:5], v[4:5], v[16:17]
	s_andn2_b64 exec, exec, s[4:5]
	s_cbranch_execnz .LBB38_137
; %bb.138:
	s_or_b64 exec, exec, s[4:5]
	v_mov_b32_e32 v3, 0
	ds_read_b64 v[8:9], v3 offset:248
	s_waitcnt lgkmcnt(0)
	v_pk_mul_f32 v[10:11], v[4:5], v[8:9] op_sel:[1,1] op_sel_hi:[0,1]
	v_pk_fma_f32 v[12:13], v[4:5], v[8:9], v[10:11] neg_lo:[0,0,1] neg_hi:[0,0,1]
	v_pk_fma_f32 v[4:5], v[4:5], v[8:9], v[10:11] op_sel_hi:[1,0,1]
	s_nop 0
	v_mov_b32_e32 v13, v5
	scratch_store_dwordx2 off, v[12:13], off offset:248
.LBB38_139:
	s_or_b64 exec, exec, s[0:1]
	; wave barrier
	scratch_load_dwordx2 v[4:5], off, off offset:256
	v_cmp_gt_u32_e32 vcc, 32, v0
	s_waitcnt vmcnt(0)
	ds_write_b64 v1, v[4:5]
	s_waitcnt lgkmcnt(0)
	; wave barrier
	s_and_saveexec_b64 s[0:1], vcc
	s_cbranch_execz .LBB38_143
; %bb.140:
	v_mov_b32_e32 v4, 0
	v_add_u32_e32 v3, -1, v0
	v_add_u32_e32 v7, 0x140, v2
	v_mov_b32_e32 v8, v2
	s_mov_b64 s[4:5], 0
	v_mov_b32_e32 v5, v4
.LBB38_141:                             ; =>This Inner Loop Header: Depth=1
	scratch_load_dwordx2 v[10:11], v8, off
	ds_read_b64 v[12:13], v7
	v_add_u32_e32 v3, 1, v3
	v_cmp_lt_u32_e32 vcc, 30, v3
	v_add_u32_e32 v7, 8, v7
	v_add_u32_e32 v8, 8, v8
	s_or_b64 s[4:5], vcc, s[4:5]
	s_waitcnt vmcnt(0) lgkmcnt(0)
	v_pk_mul_f32 v[14:15], v[12:13], v[10:11] op_sel:[1,1] op_sel_hi:[0,1]
	v_pk_fma_f32 v[16:17], v[12:13], v[10:11], v[14:15] neg_lo:[0,0,1] neg_hi:[0,0,1]
	v_pk_fma_f32 v[10:11], v[12:13], v[10:11], v[14:15] op_sel_hi:[1,0,1]
	s_nop 0
	v_mov_b32_e32 v17, v11
	v_pk_add_f32 v[4:5], v[4:5], v[16:17]
	s_andn2_b64 exec, exec, s[4:5]
	s_cbranch_execnz .LBB38_141
; %bb.142:
	s_or_b64 exec, exec, s[4:5]
	v_mov_b32_e32 v3, 0
	ds_read_b64 v[8:9], v3 offset:256
	s_waitcnt lgkmcnt(0)
	v_pk_mul_f32 v[10:11], v[4:5], v[8:9] op_sel:[1,1] op_sel_hi:[0,1]
	v_pk_fma_f32 v[12:13], v[4:5], v[8:9], v[10:11] neg_lo:[0,0,1] neg_hi:[0,0,1]
	v_pk_fma_f32 v[4:5], v[4:5], v[8:9], v[10:11] op_sel_hi:[1,0,1]
	s_nop 0
	v_mov_b32_e32 v13, v5
	scratch_store_dwordx2 off, v[12:13], off offset:256
.LBB38_143:
	s_or_b64 exec, exec, s[0:1]
	; wave barrier
	scratch_load_dwordx2 v[4:5], off, off offset:264
	v_cmp_gt_u32_e32 vcc, 33, v0
	s_waitcnt vmcnt(0)
	ds_write_b64 v1, v[4:5]
	s_waitcnt lgkmcnt(0)
	; wave barrier
	s_and_saveexec_b64 s[0:1], vcc
	s_cbranch_execz .LBB38_147
; %bb.144:
	v_mov_b32_e32 v4, 0
	v_add_u32_e32 v3, -1, v0
	v_add_u32_e32 v7, 0x140, v2
	v_mov_b32_e32 v8, v2
	s_mov_b64 s[4:5], 0
	v_mov_b32_e32 v5, v4
.LBB38_145:                             ; =>This Inner Loop Header: Depth=1
	scratch_load_dwordx2 v[10:11], v8, off
	ds_read_b64 v[12:13], v7
	v_add_u32_e32 v3, 1, v3
	v_cmp_lt_u32_e32 vcc, 31, v3
	v_add_u32_e32 v7, 8, v7
	v_add_u32_e32 v8, 8, v8
	s_or_b64 s[4:5], vcc, s[4:5]
	s_waitcnt vmcnt(0) lgkmcnt(0)
	v_pk_mul_f32 v[14:15], v[12:13], v[10:11] op_sel:[1,1] op_sel_hi:[0,1]
	v_pk_fma_f32 v[16:17], v[12:13], v[10:11], v[14:15] neg_lo:[0,0,1] neg_hi:[0,0,1]
	v_pk_fma_f32 v[10:11], v[12:13], v[10:11], v[14:15] op_sel_hi:[1,0,1]
	s_nop 0
	v_mov_b32_e32 v17, v11
	v_pk_add_f32 v[4:5], v[4:5], v[16:17]
	s_andn2_b64 exec, exec, s[4:5]
	s_cbranch_execnz .LBB38_145
; %bb.146:
	s_or_b64 exec, exec, s[4:5]
	v_mov_b32_e32 v3, 0
	ds_read_b64 v[8:9], v3 offset:264
	s_waitcnt lgkmcnt(0)
	v_pk_mul_f32 v[10:11], v[4:5], v[8:9] op_sel:[1,1] op_sel_hi:[0,1]
	v_pk_fma_f32 v[12:13], v[4:5], v[8:9], v[10:11] neg_lo:[0,0,1] neg_hi:[0,0,1]
	v_pk_fma_f32 v[4:5], v[4:5], v[8:9], v[10:11] op_sel_hi:[1,0,1]
	s_nop 0
	v_mov_b32_e32 v13, v5
	scratch_store_dwordx2 off, v[12:13], off offset:264
.LBB38_147:
	s_or_b64 exec, exec, s[0:1]
	; wave barrier
	scratch_load_dwordx2 v[4:5], off, off offset:272
	v_cmp_gt_u32_e32 vcc, 34, v0
	s_waitcnt vmcnt(0)
	ds_write_b64 v1, v[4:5]
	s_waitcnt lgkmcnt(0)
	; wave barrier
	s_and_saveexec_b64 s[0:1], vcc
	s_cbranch_execz .LBB38_151
; %bb.148:
	v_mov_b32_e32 v4, 0
	v_add_u32_e32 v3, -1, v0
	v_add_u32_e32 v7, 0x140, v2
	v_mov_b32_e32 v8, v2
	s_mov_b64 s[4:5], 0
	v_mov_b32_e32 v5, v4
.LBB38_149:                             ; =>This Inner Loop Header: Depth=1
	scratch_load_dwordx2 v[10:11], v8, off
	ds_read_b64 v[12:13], v7
	v_add_u32_e32 v3, 1, v3
	v_cmp_lt_u32_e32 vcc, 32, v3
	v_add_u32_e32 v7, 8, v7
	v_add_u32_e32 v8, 8, v8
	s_or_b64 s[4:5], vcc, s[4:5]
	s_waitcnt vmcnt(0) lgkmcnt(0)
	v_pk_mul_f32 v[14:15], v[12:13], v[10:11] op_sel:[1,1] op_sel_hi:[0,1]
	v_pk_fma_f32 v[16:17], v[12:13], v[10:11], v[14:15] neg_lo:[0,0,1] neg_hi:[0,0,1]
	v_pk_fma_f32 v[10:11], v[12:13], v[10:11], v[14:15] op_sel_hi:[1,0,1]
	s_nop 0
	v_mov_b32_e32 v17, v11
	v_pk_add_f32 v[4:5], v[4:5], v[16:17]
	s_andn2_b64 exec, exec, s[4:5]
	s_cbranch_execnz .LBB38_149
; %bb.150:
	s_or_b64 exec, exec, s[4:5]
	v_mov_b32_e32 v3, 0
	ds_read_b64 v[8:9], v3 offset:272
	s_waitcnt lgkmcnt(0)
	v_pk_mul_f32 v[10:11], v[4:5], v[8:9] op_sel:[1,1] op_sel_hi:[0,1]
	v_pk_fma_f32 v[12:13], v[4:5], v[8:9], v[10:11] neg_lo:[0,0,1] neg_hi:[0,0,1]
	v_pk_fma_f32 v[4:5], v[4:5], v[8:9], v[10:11] op_sel_hi:[1,0,1]
	s_nop 0
	v_mov_b32_e32 v13, v5
	scratch_store_dwordx2 off, v[12:13], off offset:272
.LBB38_151:
	s_or_b64 exec, exec, s[0:1]
	; wave barrier
	scratch_load_dwordx2 v[4:5], off, off offset:280
	v_cmp_gt_u32_e32 vcc, 35, v0
	s_waitcnt vmcnt(0)
	ds_write_b64 v1, v[4:5]
	s_waitcnt lgkmcnt(0)
	; wave barrier
	s_and_saveexec_b64 s[0:1], vcc
	s_cbranch_execz .LBB38_155
; %bb.152:
	v_mov_b32_e32 v4, 0
	v_add_u32_e32 v3, -1, v0
	v_add_u32_e32 v7, 0x140, v2
	v_mov_b32_e32 v8, v2
	s_mov_b64 s[4:5], 0
	v_mov_b32_e32 v5, v4
.LBB38_153:                             ; =>This Inner Loop Header: Depth=1
	scratch_load_dwordx2 v[10:11], v8, off
	ds_read_b64 v[12:13], v7
	v_add_u32_e32 v3, 1, v3
	v_cmp_lt_u32_e32 vcc, 33, v3
	v_add_u32_e32 v7, 8, v7
	v_add_u32_e32 v8, 8, v8
	s_or_b64 s[4:5], vcc, s[4:5]
	s_waitcnt vmcnt(0) lgkmcnt(0)
	v_pk_mul_f32 v[14:15], v[12:13], v[10:11] op_sel:[1,1] op_sel_hi:[0,1]
	v_pk_fma_f32 v[16:17], v[12:13], v[10:11], v[14:15] neg_lo:[0,0,1] neg_hi:[0,0,1]
	v_pk_fma_f32 v[10:11], v[12:13], v[10:11], v[14:15] op_sel_hi:[1,0,1]
	s_nop 0
	v_mov_b32_e32 v17, v11
	v_pk_add_f32 v[4:5], v[4:5], v[16:17]
	s_andn2_b64 exec, exec, s[4:5]
	s_cbranch_execnz .LBB38_153
; %bb.154:
	s_or_b64 exec, exec, s[4:5]
	v_mov_b32_e32 v3, 0
	ds_read_b64 v[8:9], v3 offset:280
	s_waitcnt lgkmcnt(0)
	v_pk_mul_f32 v[10:11], v[4:5], v[8:9] op_sel:[1,1] op_sel_hi:[0,1]
	v_pk_fma_f32 v[12:13], v[4:5], v[8:9], v[10:11] neg_lo:[0,0,1] neg_hi:[0,0,1]
	v_pk_fma_f32 v[4:5], v[4:5], v[8:9], v[10:11] op_sel_hi:[1,0,1]
	s_nop 0
	v_mov_b32_e32 v13, v5
	scratch_store_dwordx2 off, v[12:13], off offset:280
.LBB38_155:
	s_or_b64 exec, exec, s[0:1]
	; wave barrier
	scratch_load_dwordx2 v[4:5], off, off offset:288
	v_cmp_gt_u32_e32 vcc, 36, v0
	s_waitcnt vmcnt(0)
	ds_write_b64 v1, v[4:5]
	s_waitcnt lgkmcnt(0)
	; wave barrier
	s_and_saveexec_b64 s[0:1], vcc
	s_cbranch_execz .LBB38_159
; %bb.156:
	v_mov_b32_e32 v4, 0
	v_add_u32_e32 v3, -1, v0
	v_add_u32_e32 v7, 0x140, v2
	v_mov_b32_e32 v8, v2
	s_mov_b64 s[4:5], 0
	v_mov_b32_e32 v5, v4
.LBB38_157:                             ; =>This Inner Loop Header: Depth=1
	scratch_load_dwordx2 v[10:11], v8, off
	ds_read_b64 v[12:13], v7
	v_add_u32_e32 v3, 1, v3
	v_cmp_lt_u32_e32 vcc, 34, v3
	v_add_u32_e32 v7, 8, v7
	v_add_u32_e32 v8, 8, v8
	s_or_b64 s[4:5], vcc, s[4:5]
	s_waitcnt vmcnt(0) lgkmcnt(0)
	v_pk_mul_f32 v[14:15], v[12:13], v[10:11] op_sel:[1,1] op_sel_hi:[0,1]
	v_pk_fma_f32 v[16:17], v[12:13], v[10:11], v[14:15] neg_lo:[0,0,1] neg_hi:[0,0,1]
	v_pk_fma_f32 v[10:11], v[12:13], v[10:11], v[14:15] op_sel_hi:[1,0,1]
	s_nop 0
	v_mov_b32_e32 v17, v11
	v_pk_add_f32 v[4:5], v[4:5], v[16:17]
	s_andn2_b64 exec, exec, s[4:5]
	s_cbranch_execnz .LBB38_157
; %bb.158:
	s_or_b64 exec, exec, s[4:5]
	v_mov_b32_e32 v3, 0
	ds_read_b64 v[8:9], v3 offset:288
	s_waitcnt lgkmcnt(0)
	v_pk_mul_f32 v[10:11], v[4:5], v[8:9] op_sel:[1,1] op_sel_hi:[0,1]
	v_pk_fma_f32 v[12:13], v[4:5], v[8:9], v[10:11] neg_lo:[0,0,1] neg_hi:[0,0,1]
	v_pk_fma_f32 v[4:5], v[4:5], v[8:9], v[10:11] op_sel_hi:[1,0,1]
	s_nop 0
	v_mov_b32_e32 v13, v5
	scratch_store_dwordx2 off, v[12:13], off offset:288
.LBB38_159:
	s_or_b64 exec, exec, s[0:1]
	; wave barrier
	scratch_load_dwordx2 v[4:5], off, off offset:296
	v_cmp_gt_u32_e32 vcc, 37, v0
	s_waitcnt vmcnt(0)
	ds_write_b64 v1, v[4:5]
	s_waitcnt lgkmcnt(0)
	; wave barrier
	s_and_saveexec_b64 s[0:1], vcc
	s_cbranch_execz .LBB38_163
; %bb.160:
	v_mov_b32_e32 v4, 0
	v_add_u32_e32 v3, -1, v0
	v_add_u32_e32 v7, 0x140, v2
	v_mov_b32_e32 v8, v2
	s_mov_b64 s[4:5], 0
	v_mov_b32_e32 v5, v4
.LBB38_161:                             ; =>This Inner Loop Header: Depth=1
	scratch_load_dwordx2 v[10:11], v8, off
	ds_read_b64 v[12:13], v7
	v_add_u32_e32 v3, 1, v3
	v_cmp_lt_u32_e32 vcc, 35, v3
	v_add_u32_e32 v7, 8, v7
	v_add_u32_e32 v8, 8, v8
	s_or_b64 s[4:5], vcc, s[4:5]
	s_waitcnt vmcnt(0) lgkmcnt(0)
	v_pk_mul_f32 v[14:15], v[12:13], v[10:11] op_sel:[1,1] op_sel_hi:[0,1]
	v_pk_fma_f32 v[16:17], v[12:13], v[10:11], v[14:15] neg_lo:[0,0,1] neg_hi:[0,0,1]
	v_pk_fma_f32 v[10:11], v[12:13], v[10:11], v[14:15] op_sel_hi:[1,0,1]
	s_nop 0
	v_mov_b32_e32 v17, v11
	v_pk_add_f32 v[4:5], v[4:5], v[16:17]
	s_andn2_b64 exec, exec, s[4:5]
	s_cbranch_execnz .LBB38_161
; %bb.162:
	s_or_b64 exec, exec, s[4:5]
	v_mov_b32_e32 v3, 0
	ds_read_b64 v[8:9], v3 offset:296
	s_waitcnt lgkmcnt(0)
	v_pk_mul_f32 v[10:11], v[4:5], v[8:9] op_sel:[1,1] op_sel_hi:[0,1]
	v_pk_fma_f32 v[12:13], v[4:5], v[8:9], v[10:11] neg_lo:[0,0,1] neg_hi:[0,0,1]
	v_pk_fma_f32 v[4:5], v[4:5], v[8:9], v[10:11] op_sel_hi:[1,0,1]
	s_nop 0
	v_mov_b32_e32 v13, v5
	scratch_store_dwordx2 off, v[12:13], off offset:296
.LBB38_163:
	s_or_b64 exec, exec, s[0:1]
	; wave barrier
	scratch_load_dwordx2 v[4:5], off, off offset:304
	v_cmp_ne_u32_e32 vcc, 38, v0
	s_waitcnt vmcnt(0)
	ds_write_b64 v1, v[4:5]
	s_waitcnt lgkmcnt(0)
	; wave barrier
	s_and_saveexec_b64 s[0:1], vcc
	s_cbranch_execz .LBB38_167
; %bb.164:
	v_add_u32_e32 v1, 0x140, v2
	v_mov_b32_e32 v4, v2
	v_mov_b32_e32 v2, 0
	s_mov_b64 s[4:5], 0
	v_mov_b32_e32 v3, v2
.LBB38_165:                             ; =>This Inner Loop Header: Depth=1
	scratch_load_dwordx2 v[8:9], v4, off
	ds_read_b64 v[10:11], v1
	v_add_u32_e32 v6, 1, v6
	v_cmp_lt_u32_e32 vcc, 36, v6
	v_add_u32_e32 v1, 8, v1
	v_add_u32_e32 v4, 8, v4
	s_or_b64 s[4:5], vcc, s[4:5]
	s_waitcnt vmcnt(0) lgkmcnt(0)
	v_pk_mul_f32 v[12:13], v[10:11], v[8:9] op_sel:[1,1] op_sel_hi:[0,1]
	v_pk_fma_f32 v[14:15], v[10:11], v[8:9], v[12:13] neg_lo:[0,0,1] neg_hi:[0,0,1]
	v_pk_fma_f32 v[8:9], v[10:11], v[8:9], v[12:13] op_sel_hi:[1,0,1]
	s_nop 0
	v_mov_b32_e32 v15, v9
	v_pk_add_f32 v[2:3], v[2:3], v[14:15]
	s_andn2_b64 exec, exec, s[4:5]
	s_cbranch_execnz .LBB38_165
; %bb.166:
	s_or_b64 exec, exec, s[4:5]
	v_mov_b32_e32 v1, 0
	ds_read_b64 v[4:5], v1 offset:304
	s_waitcnt lgkmcnt(0)
	v_pk_mul_f32 v[6:7], v[2:3], v[4:5] op_sel:[1,1] op_sel_hi:[0,1]
	v_pk_fma_f32 v[8:9], v[2:3], v[4:5], v[6:7] neg_lo:[0,0,1] neg_hi:[0,0,1]
	v_pk_fma_f32 v[2:3], v[2:3], v[4:5], v[6:7] op_sel_hi:[1,0,1]
	s_nop 0
	v_mov_b32_e32 v9, v3
	scratch_store_dwordx2 off, v[8:9], off offset:304
.LBB38_167:
	s_or_b64 exec, exec, s[0:1]
	s_mov_b64 s[4:5], -1
	; wave barrier
.LBB38_168:
	s_and_b64 vcc, exec, s[4:5]
	s_cbranch_vccz .LBB38_170
; %bb.169:
	s_lshl_b64 s[0:1], s[2:3], 2
	s_add_u32 s0, s6, s0
	s_addc_u32 s1, s7, s1
	v_mov_b32_e32 v1, 0
	global_load_dword v1, v1, s[0:1]
	s_waitcnt vmcnt(0)
	v_cmp_ne_u32_e32 vcc, 0, v1
	s_cbranch_vccz .LBB38_171
.LBB38_170:
	s_endpgm
.LBB38_171:
	v_mov_b32_e32 v1, 0x140
	v_lshl_add_u32 v1, v0, 3, v1
	v_cmp_eq_u32_e32 vcc, 38, v0
	s_and_saveexec_b64 s[0:1], vcc
	s_cbranch_execz .LBB38_173
; %bb.172:
	scratch_load_dwordx2 v[2:3], off, off offset:296
	v_mov_b32_e32 v4, 0
	v_mov_b32_e32 v5, v4
	scratch_store_dwordx2 off, v[4:5], off offset:296
	s_waitcnt vmcnt(1)
	ds_write_b64 v1, v[2:3]
.LBB38_173:
	s_or_b64 exec, exec, s[0:1]
	s_waitcnt lgkmcnt(0)
	; wave barrier
	scratch_load_dwordx2 v[4:5], off, off offset:304
	scratch_load_dwordx2 v[6:7], off, off offset:296
	v_mov_b32_e32 v2, 0
	ds_read_b64 v[8:9], v2 offset:624
	v_cmp_lt_u32_e32 vcc, 36, v0
	s_waitcnt vmcnt(1) lgkmcnt(0)
	v_pk_mul_f32 v[10:11], v[8:9], v[4:5] op_sel:[1,1] op_sel_hi:[0,1]
	v_pk_fma_f32 v[12:13], v[8:9], v[4:5], v[10:11] neg_lo:[0,0,1] neg_hi:[0,0,1]
	v_pk_fma_f32 v[4:5], v[8:9], v[4:5], v[10:11] op_sel_hi:[1,0,1]
	s_nop 0
	v_mov_b32_e32 v13, v5
	v_pk_add_f32 v[4:5], v[12:13], 0 op_sel_hi:[1,0]
	s_waitcnt vmcnt(0)
	v_pk_add_f32 v[4:5], v[6:7], v[4:5] neg_lo:[0,1] neg_hi:[0,1]
	scratch_store_dwordx2 off, v[4:5], off offset:296
	s_and_saveexec_b64 s[0:1], vcc
	s_cbranch_execz .LBB38_175
; %bb.174:
	scratch_load_dwordx2 v[4:5], off, off offset:288
	v_mov_b32_e32 v3, v2
	scratch_store_dwordx2 off, v[2:3], off offset:288
	s_waitcnt vmcnt(1)
	ds_write_b64 v1, v[4:5]
.LBB38_175:
	s_or_b64 exec, exec, s[0:1]
	s_waitcnt lgkmcnt(0)
	; wave barrier
	scratch_load_dwordx4 v[4:7], off, off offset:296
	scratch_load_dwordx2 v[12:13], off, off offset:288
	ds_read2_b64 v[8:11], v2 offset0:77 offset1:78
	v_cmp_lt_u32_e32 vcc, 35, v0
	s_waitcnt vmcnt(1) lgkmcnt(0)
	v_pk_mul_f32 v[2:3], v[8:9], v[4:5] op_sel:[1,1] op_sel_hi:[0,1]
	v_mov_b32_e32 v14, v7
	v_pk_fma_f32 v[16:17], v[8:9], v[4:5], v[2:3] neg_lo:[0,0,1] neg_hi:[0,0,1]
	v_pk_fma_f32 v[2:3], v[8:9], v[4:5], v[2:3] op_sel_hi:[1,0,1]
	v_pk_mul_f32 v[4:5], v[10:11], v[14:15] op_sel:[1,0] op_sel_hi:[0,0]
	v_mov_b32_e32 v17, v3
	v_pk_fma_f32 v[2:3], v[10:11], v[6:7], v[4:5] neg_lo:[0,0,1] neg_hi:[0,0,1]
	v_pk_fma_f32 v[4:5], v[10:11], v[6:7], v[4:5] op_sel_hi:[1,0,1]
	v_pk_add_f32 v[6:7], v[16:17], 0 op_sel_hi:[1,0]
	v_mov_b32_e32 v3, v5
	v_pk_add_f32 v[2:3], v[6:7], v[2:3]
	s_waitcnt vmcnt(0)
	v_pk_add_f32 v[2:3], v[12:13], v[2:3] neg_lo:[0,1] neg_hi:[0,1]
	scratch_store_dwordx2 off, v[2:3], off offset:288
	s_and_saveexec_b64 s[0:1], vcc
	s_cbranch_execz .LBB38_177
; %bb.176:
	scratch_load_dwordx2 v[2:3], off, off offset:280
	v_mov_b32_e32 v4, 0
	v_mov_b32_e32 v5, v4
	scratch_store_dwordx2 off, v[4:5], off offset:280
	s_waitcnt vmcnt(1)
	ds_write_b64 v1, v[2:3]
.LBB38_177:
	s_or_b64 exec, exec, s[0:1]
	s_waitcnt lgkmcnt(0)
	; wave barrier
	scratch_load_dwordx4 v[4:7], off, off offset:288
	scratch_load_dwordx2 v[12:13], off, off offset:304
	scratch_load_dwordx2 v[14:15], off, off offset:280
	v_mov_b32_e32 v2, 0
	ds_read_b128 v[8:11], v2 offset:608
	ds_read_b64 v[16:17], v2 offset:624
	v_cmp_lt_u32_e32 vcc, 34, v0
	s_waitcnt vmcnt(2) lgkmcnt(1)
	v_pk_mul_f32 v[18:19], v[8:9], v[4:5] op_sel:[1,1] op_sel_hi:[0,1]
	v_mov_b32_e32 v20, v7
	v_pk_fma_f32 v[24:25], v[8:9], v[4:5], v[18:19] neg_lo:[0,0,1] neg_hi:[0,0,1]
	v_pk_fma_f32 v[4:5], v[8:9], v[4:5], v[18:19] op_sel_hi:[1,0,1]
	v_pk_mul_f32 v[8:9], v[10:11], v[20:21] op_sel:[1,0] op_sel_hi:[0,0]
	s_waitcnt vmcnt(1) lgkmcnt(0)
	v_pk_mul_f32 v[22:23], v[16:17], v[12:13] op_sel:[1,1] op_sel_hi:[0,1]
	v_mov_b32_e32 v25, v5
	v_pk_fma_f32 v[4:5], v[10:11], v[6:7], v[8:9] neg_lo:[0,0,1] neg_hi:[0,0,1]
	v_pk_fma_f32 v[6:7], v[10:11], v[6:7], v[8:9] op_sel_hi:[1,0,1]
	v_pk_fma_f32 v[18:19], v[16:17], v[12:13], v[22:23] neg_lo:[0,0,1] neg_hi:[0,0,1]
	v_pk_fma_f32 v[12:13], v[16:17], v[12:13], v[22:23] op_sel_hi:[1,0,1]
	v_pk_add_f32 v[8:9], v[24:25], 0 op_sel_hi:[1,0]
	v_mov_b32_e32 v5, v7
	v_mov_b32_e32 v19, v13
	v_pk_add_f32 v[4:5], v[8:9], v[4:5]
	s_nop 0
	v_pk_add_f32 v[4:5], v[4:5], v[18:19]
	s_waitcnt vmcnt(0)
	v_pk_add_f32 v[4:5], v[14:15], v[4:5] neg_lo:[0,1] neg_hi:[0,1]
	scratch_store_dwordx2 off, v[4:5], off offset:280
	s_and_saveexec_b64 s[0:1], vcc
	s_cbranch_execz .LBB38_179
; %bb.178:
	scratch_load_dwordx2 v[4:5], off, off offset:272
	v_mov_b32_e32 v3, v2
	scratch_store_dwordx2 off, v[2:3], off offset:272
	s_waitcnt vmcnt(1)
	ds_write_b64 v1, v[4:5]
.LBB38_179:
	s_or_b64 exec, exec, s[0:1]
	s_waitcnt lgkmcnt(0)
	; wave barrier
	scratch_load_dwordx4 v[4:7], off, off offset:280
	scratch_load_dwordx4 v[8:11], off, off offset:296
	scratch_load_dwordx2 v[20:21], off, off offset:272
	ds_read2_b64 v[12:15], v2 offset0:75 offset1:76
	ds_read2_b64 v[16:19], v2 offset0:77 offset1:78
	v_cmp_lt_u32_e32 vcc, 33, v0
	s_waitcnt vmcnt(2) lgkmcnt(1)
	v_pk_mul_f32 v[2:3], v[12:13], v[4:5] op_sel:[1,1] op_sel_hi:[0,1]
	v_mov_b32_e32 v22, v7
	s_waitcnt vmcnt(1) lgkmcnt(0)
	v_pk_mul_f32 v[24:25], v[16:17], v[8:9] op_sel:[1,1] op_sel_hi:[0,1]
	v_mov_b32_e32 v26, v11
	v_pk_fma_f32 v[28:29], v[12:13], v[4:5], v[2:3] neg_lo:[0,0,1] neg_hi:[0,0,1]
	v_pk_fma_f32 v[2:3], v[12:13], v[4:5], v[2:3] op_sel_hi:[1,0,1]
	v_pk_mul_f32 v[4:5], v[14:15], v[22:23] op_sel:[1,0] op_sel_hi:[0,0]
	v_pk_fma_f32 v[12:13], v[16:17], v[8:9], v[24:25] neg_lo:[0,0,1] neg_hi:[0,0,1]
	v_pk_fma_f32 v[8:9], v[16:17], v[8:9], v[24:25] op_sel_hi:[1,0,1]
	v_pk_mul_f32 v[16:17], v[18:19], v[26:27] op_sel:[1,0] op_sel_hi:[0,0]
	v_mov_b32_e32 v29, v3
	v_pk_fma_f32 v[2:3], v[14:15], v[6:7], v[4:5] neg_lo:[0,0,1] neg_hi:[0,0,1]
	v_pk_fma_f32 v[4:5], v[14:15], v[6:7], v[4:5] op_sel_hi:[1,0,1]
	v_mov_b32_e32 v13, v9
	v_pk_fma_f32 v[6:7], v[18:19], v[10:11], v[16:17] neg_lo:[0,0,1] neg_hi:[0,0,1]
	v_pk_fma_f32 v[8:9], v[18:19], v[10:11], v[16:17] op_sel_hi:[1,0,1]
	v_pk_add_f32 v[10:11], v[28:29], 0 op_sel_hi:[1,0]
	v_mov_b32_e32 v3, v5
	v_pk_add_f32 v[2:3], v[10:11], v[2:3]
	v_mov_b32_e32 v7, v9
	v_pk_add_f32 v[2:3], v[2:3], v[12:13]
	s_nop 0
	v_pk_add_f32 v[2:3], v[2:3], v[6:7]
	s_waitcnt vmcnt(0)
	v_pk_add_f32 v[2:3], v[20:21], v[2:3] neg_lo:[0,1] neg_hi:[0,1]
	scratch_store_dwordx2 off, v[2:3], off offset:272
	s_and_saveexec_b64 s[0:1], vcc
	s_cbranch_execz .LBB38_181
; %bb.180:
	scratch_load_dwordx2 v[2:3], off, off offset:264
	v_mov_b32_e32 v4, 0
	v_mov_b32_e32 v5, v4
	scratch_store_dwordx2 off, v[4:5], off offset:264
	s_waitcnt vmcnt(1)
	ds_write_b64 v1, v[2:3]
.LBB38_181:
	s_or_b64 exec, exec, s[0:1]
	s_waitcnt lgkmcnt(0)
	; wave barrier
	scratch_load_dwordx4 v[4:7], off, off offset:272
	scratch_load_dwordx4 v[8:11], off, off offset:288
	scratch_load_dwordx2 v[20:21], off, off offset:304
	scratch_load_dwordx2 v[22:23], off, off offset:264
	v_mov_b32_e32 v2, 0
	ds_read_b128 v[12:15], v2 offset:592
	ds_read_b128 v[16:19], v2 offset:608
	ds_read_b64 v[24:25], v2 offset:624
	v_cmp_lt_u32_e32 vcc, 32, v0
	s_waitcnt vmcnt(3) lgkmcnt(2)
	v_pk_mul_f32 v[26:27], v[12:13], v[4:5] op_sel:[1,1] op_sel_hi:[0,1]
	v_mov_b32_e32 v28, v7
	v_pk_fma_f32 v[36:37], v[12:13], v[4:5], v[26:27] neg_lo:[0,0,1] neg_hi:[0,0,1]
	v_pk_fma_f32 v[4:5], v[12:13], v[4:5], v[26:27] op_sel_hi:[1,0,1]
	v_pk_mul_f32 v[12:13], v[14:15], v[28:29] op_sel:[1,0] op_sel_hi:[0,0]
	s_waitcnt vmcnt(2) lgkmcnt(1)
	v_pk_mul_f32 v[30:31], v[16:17], v[8:9] op_sel:[1,1] op_sel_hi:[0,1]
	v_mov_b32_e32 v32, v11
	v_mov_b32_e32 v37, v5
	v_pk_fma_f32 v[4:5], v[14:15], v[6:7], v[12:13] neg_lo:[0,0,1] neg_hi:[0,0,1]
	v_pk_fma_f32 v[6:7], v[14:15], v[6:7], v[12:13] op_sel_hi:[1,0,1]
	v_pk_fma_f32 v[26:27], v[16:17], v[8:9], v[30:31] neg_lo:[0,0,1] neg_hi:[0,0,1]
	v_pk_fma_f32 v[8:9], v[16:17], v[8:9], v[30:31] op_sel_hi:[1,0,1]
	v_pk_mul_f32 v[16:17], v[18:19], v[32:33] op_sel:[1,0] op_sel_hi:[0,0]
	v_pk_add_f32 v[12:13], v[36:37], 0 op_sel_hi:[1,0]
	v_mov_b32_e32 v5, v7
	s_waitcnt vmcnt(1) lgkmcnt(0)
	v_pk_mul_f32 v[34:35], v[24:25], v[20:21] op_sel:[1,1] op_sel_hi:[0,1]
	v_mov_b32_e32 v27, v9
	v_pk_fma_f32 v[8:9], v[18:19], v[10:11], v[16:17] neg_lo:[0,0,1] neg_hi:[0,0,1]
	v_pk_fma_f32 v[10:11], v[18:19], v[10:11], v[16:17] op_sel_hi:[1,0,1]
	v_pk_add_f32 v[4:5], v[12:13], v[4:5]
	v_pk_fma_f32 v[28:29], v[24:25], v[20:21], v[34:35] neg_lo:[0,0,1] neg_hi:[0,0,1]
	v_pk_fma_f32 v[20:21], v[24:25], v[20:21], v[34:35] op_sel_hi:[1,0,1]
	v_mov_b32_e32 v9, v11
	v_pk_add_f32 v[4:5], v[4:5], v[26:27]
	v_mov_b32_e32 v29, v21
	v_pk_add_f32 v[4:5], v[4:5], v[8:9]
	s_nop 0
	v_pk_add_f32 v[4:5], v[4:5], v[28:29]
	s_waitcnt vmcnt(0)
	v_pk_add_f32 v[4:5], v[22:23], v[4:5] neg_lo:[0,1] neg_hi:[0,1]
	scratch_store_dwordx2 off, v[4:5], off offset:264
	s_and_saveexec_b64 s[0:1], vcc
	s_cbranch_execz .LBB38_183
; %bb.182:
	scratch_load_dwordx2 v[4:5], off, off offset:256
	v_mov_b32_e32 v3, v2
	scratch_store_dwordx2 off, v[2:3], off offset:256
	s_waitcnt vmcnt(1)
	ds_write_b64 v1, v[4:5]
.LBB38_183:
	s_or_b64 exec, exec, s[0:1]
	s_waitcnt lgkmcnt(0)
	; wave barrier
	scratch_load_dwordx4 v[4:7], off, off offset:264
	scratch_load_dwordx4 v[8:11], off, off offset:280
	;; [unrolled: 1-line block ×3, first 2 shown]
	scratch_load_dwordx2 v[28:29], off, off offset:256
	ds_read2_b64 v[16:19], v2 offset0:73 offset1:74
	ds_read2_b64 v[20:23], v2 offset0:75 offset1:76
	;; [unrolled: 1-line block ×3, first 2 shown]
	v_cmp_lt_u32_e32 vcc, 31, v0
	s_waitcnt vmcnt(3) lgkmcnt(2)
	v_pk_mul_f32 v[2:3], v[16:17], v[4:5] op_sel:[1,1] op_sel_hi:[0,1]
	v_mov_b32_e32 v30, v7
	s_waitcnt vmcnt(2) lgkmcnt(1)
	v_pk_mul_f32 v[32:33], v[20:21], v[8:9] op_sel:[1,1] op_sel_hi:[0,1]
	v_mov_b32_e32 v34, v11
	;; [unrolled: 3-line block ×3, first 2 shown]
	v_pk_fma_f32 v[40:41], v[16:17], v[4:5], v[2:3] neg_lo:[0,0,1] neg_hi:[0,0,1]
	v_pk_fma_f32 v[2:3], v[16:17], v[4:5], v[2:3] op_sel_hi:[1,0,1]
	v_pk_mul_f32 v[4:5], v[18:19], v[30:31] op_sel:[1,0] op_sel_hi:[0,0]
	v_pk_fma_f32 v[16:17], v[20:21], v[8:9], v[32:33] neg_lo:[0,0,1] neg_hi:[0,0,1]
	v_pk_fma_f32 v[8:9], v[20:21], v[8:9], v[32:33] op_sel_hi:[1,0,1]
	v_pk_mul_f32 v[20:21], v[22:23], v[34:35] op_sel:[1,0] op_sel_hi:[0,0]
	;; [unrolled: 3-line block ×3, first 2 shown]
	v_mov_b32_e32 v41, v3
	v_pk_fma_f32 v[2:3], v[18:19], v[6:7], v[4:5] neg_lo:[0,0,1] neg_hi:[0,0,1]
	v_pk_fma_f32 v[4:5], v[18:19], v[6:7], v[4:5] op_sel_hi:[1,0,1]
	v_mov_b32_e32 v17, v9
	v_pk_fma_f32 v[6:7], v[22:23], v[10:11], v[20:21] neg_lo:[0,0,1] neg_hi:[0,0,1]
	v_pk_fma_f32 v[8:9], v[22:23], v[10:11], v[20:21] op_sel_hi:[1,0,1]
	;; [unrolled: 3-line block ×3, first 2 shown]
	v_pk_add_f32 v[14:15], v[40:41], 0 op_sel_hi:[1,0]
	v_mov_b32_e32 v3, v5
	v_pk_add_f32 v[2:3], v[14:15], v[2:3]
	v_mov_b32_e32 v7, v9
	v_pk_add_f32 v[2:3], v[2:3], v[16:17]
	;; [unrolled: 2-line block ×3, first 2 shown]
	s_nop 0
	v_pk_add_f32 v[2:3], v[2:3], v[30:31]
	s_nop 0
	v_pk_add_f32 v[2:3], v[2:3], v[10:11]
	s_waitcnt vmcnt(0)
	v_pk_add_f32 v[2:3], v[28:29], v[2:3] neg_lo:[0,1] neg_hi:[0,1]
	scratch_store_dwordx2 off, v[2:3], off offset:256
	s_and_saveexec_b64 s[0:1], vcc
	s_cbranch_execz .LBB38_185
; %bb.184:
	scratch_load_dwordx2 v[2:3], off, off offset:248
	v_mov_b32_e32 v4, 0
	v_mov_b32_e32 v5, v4
	scratch_store_dwordx2 off, v[4:5], off offset:248
	s_waitcnt vmcnt(1)
	ds_write_b64 v1, v[2:3]
.LBB38_185:
	s_or_b64 exec, exec, s[0:1]
	s_waitcnt lgkmcnt(0)
	; wave barrier
	scratch_load_dwordx4 v[4:7], off, off offset:256
	scratch_load_dwordx4 v[8:11], off, off offset:272
	;; [unrolled: 1-line block ×3, first 2 shown]
	scratch_load_dwordx2 v[28:29], off, off offset:304
	scratch_load_dwordx2 v[30:31], off, off offset:248
	v_mov_b32_e32 v2, 0
	ds_read_b128 v[16:19], v2 offset:576
	ds_read_b128 v[20:23], v2 offset:592
	;; [unrolled: 1-line block ×3, first 2 shown]
	ds_read_b64 v[32:33], v2 offset:624
	v_cmp_lt_u32_e32 vcc, 30, v0
	s_waitcnt vmcnt(4) lgkmcnt(3)
	v_pk_mul_f32 v[34:35], v[16:17], v[4:5] op_sel:[1,1] op_sel_hi:[0,1]
	v_mov_b32_e32 v36, v7
	v_pk_fma_f32 v[48:49], v[16:17], v[4:5], v[34:35] neg_lo:[0,0,1] neg_hi:[0,0,1]
	v_pk_fma_f32 v[4:5], v[16:17], v[4:5], v[34:35] op_sel_hi:[1,0,1]
	v_pk_mul_f32 v[16:17], v[18:19], v[36:37] op_sel:[1,0] op_sel_hi:[0,0]
	s_waitcnt vmcnt(3) lgkmcnt(2)
	v_pk_mul_f32 v[38:39], v[20:21], v[8:9] op_sel:[1,1] op_sel_hi:[0,1]
	v_mov_b32_e32 v40, v11
	v_mov_b32_e32 v49, v5
	v_pk_fma_f32 v[4:5], v[18:19], v[6:7], v[16:17] neg_lo:[0,0,1] neg_hi:[0,0,1]
	v_pk_fma_f32 v[6:7], v[18:19], v[6:7], v[16:17] op_sel_hi:[1,0,1]
	v_pk_fma_f32 v[34:35], v[20:21], v[8:9], v[38:39] neg_lo:[0,0,1] neg_hi:[0,0,1]
	v_pk_fma_f32 v[8:9], v[20:21], v[8:9], v[38:39] op_sel_hi:[1,0,1]
	v_pk_mul_f32 v[20:21], v[22:23], v[40:41] op_sel:[1,0] op_sel_hi:[0,0]
	v_pk_add_f32 v[16:17], v[48:49], 0 op_sel_hi:[1,0]
	v_mov_b32_e32 v5, v7
	s_waitcnt vmcnt(2) lgkmcnt(1)
	v_pk_mul_f32 v[42:43], v[24:25], v[12:13] op_sel:[1,1] op_sel_hi:[0,1]
	v_mov_b32_e32 v44, v15
	v_mov_b32_e32 v35, v9
	v_pk_fma_f32 v[8:9], v[22:23], v[10:11], v[20:21] neg_lo:[0,0,1] neg_hi:[0,0,1]
	v_pk_fma_f32 v[10:11], v[22:23], v[10:11], v[20:21] op_sel_hi:[1,0,1]
	v_pk_add_f32 v[4:5], v[16:17], v[4:5]
	v_pk_fma_f32 v[36:37], v[24:25], v[12:13], v[42:43] neg_lo:[0,0,1] neg_hi:[0,0,1]
	v_pk_fma_f32 v[12:13], v[24:25], v[12:13], v[42:43] op_sel_hi:[1,0,1]
	v_pk_mul_f32 v[24:25], v[26:27], v[44:45] op_sel:[1,0] op_sel_hi:[0,0]
	v_mov_b32_e32 v9, v11
	v_pk_add_f32 v[4:5], v[4:5], v[34:35]
	s_waitcnt vmcnt(1) lgkmcnt(0)
	v_pk_mul_f32 v[46:47], v[32:33], v[28:29] op_sel:[1,1] op_sel_hi:[0,1]
	v_mov_b32_e32 v37, v13
	v_pk_fma_f32 v[12:13], v[26:27], v[14:15], v[24:25] neg_lo:[0,0,1] neg_hi:[0,0,1]
	v_pk_fma_f32 v[14:15], v[26:27], v[14:15], v[24:25] op_sel_hi:[1,0,1]
	v_pk_add_f32 v[4:5], v[4:5], v[8:9]
	v_pk_fma_f32 v[38:39], v[32:33], v[28:29], v[46:47] neg_lo:[0,0,1] neg_hi:[0,0,1]
	v_pk_fma_f32 v[28:29], v[32:33], v[28:29], v[46:47] op_sel_hi:[1,0,1]
	v_mov_b32_e32 v13, v15
	v_pk_add_f32 v[4:5], v[4:5], v[36:37]
	v_mov_b32_e32 v39, v29
	v_pk_add_f32 v[4:5], v[4:5], v[12:13]
	s_nop 0
	v_pk_add_f32 v[4:5], v[4:5], v[38:39]
	s_waitcnt vmcnt(0)
	v_pk_add_f32 v[4:5], v[30:31], v[4:5] neg_lo:[0,1] neg_hi:[0,1]
	scratch_store_dwordx2 off, v[4:5], off offset:248
	s_and_saveexec_b64 s[0:1], vcc
	s_cbranch_execz .LBB38_187
; %bb.186:
	scratch_load_dwordx2 v[4:5], off, off offset:240
	v_mov_b32_e32 v3, v2
	scratch_store_dwordx2 off, v[2:3], off offset:240
	s_waitcnt vmcnt(1)
	ds_write_b64 v1, v[4:5]
.LBB38_187:
	s_or_b64 exec, exec, s[0:1]
	s_waitcnt lgkmcnt(0)
	; wave barrier
	scratch_load_dwordx4 v[4:7], off, off offset:248
	scratch_load_dwordx4 v[8:11], off, off offset:264
	;; [unrolled: 1-line block ×4, first 2 shown]
	ds_read2_b64 v[20:23], v2 offset0:71 offset1:72
	ds_read2_b64 v[24:27], v2 offset0:73 offset1:74
	;; [unrolled: 1-line block ×4, first 2 shown]
	v_cmp_lt_u32_e32 vcc, 29, v0
	s_waitcnt vmcnt(3) lgkmcnt(3)
	v_pk_mul_f32 v[2:3], v[20:21], v[4:5] op_sel:[1,1] op_sel_hi:[0,1]
	v_pk_fma_f32 v[36:37], v[20:21], v[4:5], v[2:3] neg_lo:[0,0,1] neg_hi:[0,0,1]
	v_pk_fma_f32 v[2:3], v[20:21], v[4:5], v[2:3] op_sel_hi:[1,0,1]
	v_mov_b32_e32 v4, v7
	v_pk_mul_f32 v[4:5], v[22:23], v[4:5] op_sel:[1,0] op_sel_hi:[0,0]
	v_pk_fma_f32 v[20:21], v[22:23], v[6:7], v[4:5] neg_lo:[0,0,1] neg_hi:[0,0,1]
	v_pk_fma_f32 v[4:5], v[22:23], v[6:7], v[4:5] op_sel_hi:[1,0,1]
	v_mov_b32_e32 v37, v3
	v_mov_b32_e32 v21, v5
	s_waitcnt vmcnt(2) lgkmcnt(2)
	v_pk_mul_f32 v[4:5], v[24:25], v[8:9] op_sel:[1,1] op_sel_hi:[0,1]
	v_pk_fma_f32 v[6:7], v[24:25], v[8:9], v[4:5] neg_lo:[0,0,1] neg_hi:[0,0,1]
	v_pk_fma_f32 v[4:5], v[24:25], v[8:9], v[4:5] op_sel_hi:[1,0,1]
	v_pk_add_f32 v[2:3], v[36:37], 0 op_sel_hi:[1,0]
	v_mov_b32_e32 v4, v11
	v_pk_add_f32 v[2:3], v[2:3], v[20:21]
	v_mov_b32_e32 v7, v5
	v_pk_mul_f32 v[4:5], v[26:27], v[4:5] op_sel:[1,0] op_sel_hi:[0,0]
	v_pk_add_f32 v[2:3], v[2:3], v[6:7]
	v_pk_fma_f32 v[6:7], v[26:27], v[10:11], v[4:5] neg_lo:[0,0,1] neg_hi:[0,0,1]
	v_pk_fma_f32 v[4:5], v[26:27], v[10:11], v[4:5] op_sel_hi:[1,0,1]
	s_nop 0
	v_mov_b32_e32 v7, v5
	s_waitcnt vmcnt(1) lgkmcnt(1)
	v_pk_mul_f32 v[4:5], v[28:29], v[12:13] op_sel:[1,1] op_sel_hi:[0,1]
	v_pk_add_f32 v[2:3], v[2:3], v[6:7]
	v_pk_fma_f32 v[6:7], v[28:29], v[12:13], v[4:5] neg_lo:[0,0,1] neg_hi:[0,0,1]
	v_pk_fma_f32 v[4:5], v[28:29], v[12:13], v[4:5] op_sel_hi:[1,0,1]
	s_nop 0
	v_mov_b32_e32 v4, v15
	v_mov_b32_e32 v7, v5
	v_pk_mul_f32 v[4:5], v[30:31], v[4:5] op_sel:[1,0] op_sel_hi:[0,0]
	v_pk_add_f32 v[2:3], v[2:3], v[6:7]
	v_pk_fma_f32 v[6:7], v[30:31], v[14:15], v[4:5] neg_lo:[0,0,1] neg_hi:[0,0,1]
	v_pk_fma_f32 v[4:5], v[30:31], v[14:15], v[4:5] op_sel_hi:[1,0,1]
	s_nop 0
	v_mov_b32_e32 v7, v5
	s_waitcnt vmcnt(0) lgkmcnt(0)
	v_pk_mul_f32 v[4:5], v[32:33], v[16:17] op_sel:[1,1] op_sel_hi:[0,1]
	v_pk_add_f32 v[2:3], v[2:3], v[6:7]
	v_pk_fma_f32 v[6:7], v[32:33], v[16:17], v[4:5] neg_lo:[0,0,1] neg_hi:[0,0,1]
	v_pk_fma_f32 v[4:5], v[32:33], v[16:17], v[4:5] op_sel_hi:[1,0,1]
	s_nop 0
	v_mov_b32_e32 v4, v19
	v_mov_b32_e32 v7, v5
	v_pk_mul_f32 v[4:5], v[34:35], v[4:5] op_sel:[1,0] op_sel_hi:[0,0]
	v_pk_add_f32 v[2:3], v[2:3], v[6:7]
	v_pk_fma_f32 v[6:7], v[34:35], v[18:19], v[4:5] neg_lo:[0,0,1] neg_hi:[0,0,1]
	v_pk_fma_f32 v[4:5], v[34:35], v[18:19], v[4:5] op_sel_hi:[1,0,1]
	s_nop 0
	v_mov_b32_e32 v7, v5
	scratch_load_dwordx2 v[4:5], off, off offset:240
	v_pk_add_f32 v[2:3], v[2:3], v[6:7]
	s_waitcnt vmcnt(0)
	v_pk_add_f32 v[2:3], v[4:5], v[2:3] neg_lo:[0,1] neg_hi:[0,1]
	scratch_store_dwordx2 off, v[2:3], off offset:240
	s_and_saveexec_b64 s[0:1], vcc
	s_cbranch_execz .LBB38_189
; %bb.188:
	scratch_load_dwordx2 v[2:3], off, off offset:232
	v_mov_b32_e32 v4, 0
	v_mov_b32_e32 v5, v4
	scratch_store_dwordx2 off, v[4:5], off offset:232
	s_waitcnt vmcnt(1)
	ds_write_b64 v1, v[2:3]
.LBB38_189:
	s_or_b64 exec, exec, s[0:1]
	v_mov_b32_e32 v2, 0
	s_waitcnt lgkmcnt(0)
	; wave barrier
	ds_read_b128 v[4:7], v2 offset:560
	ds_read_b128 v[8:11], v2 offset:576
	;; [unrolled: 1-line block ×4, first 2 shown]
	scratch_load_dwordx4 v[20:23], off, off offset:240
	scratch_load_dwordx4 v[24:27], off, off offset:256
	;; [unrolled: 1-line block ×4, first 2 shown]
	scratch_load_dwordx2 v[38:39], off, off offset:304
	v_cmp_lt_u32_e32 vcc, 28, v0
	s_waitcnt vmcnt(4) lgkmcnt(3)
	v_mul_f32_e32 v37, v4, v21
	v_mul_f32_e32 v3, v5, v21
	v_fmac_f32_e32 v37, v5, v20
	v_fma_f32 v36, v4, v20, -v3
	v_pk_add_f32 v[20:21], v[36:37], 0 op_sel_hi:[1,0]
	v_mov_b32_e32 v36, v23
	v_pk_mul_f32 v[36:37], v[6:7], v[36:37] op_sel:[1,0] op_sel_hi:[0,0]
	v_pk_fma_f32 v[40:41], v[6:7], v[22:23], v[36:37] neg_lo:[0,0,1] neg_hi:[0,0,1]
	v_pk_fma_f32 v[6:7], v[6:7], v[22:23], v[36:37] op_sel_hi:[1,0,1]
	ds_read_b64 v[4:5], v2 offset:624
	v_mov_b32_e32 v41, v7
	v_pk_add_f32 v[6:7], v[20:21], v[40:41]
	s_waitcnt vmcnt(3) lgkmcnt(3)
	v_pk_mul_f32 v[20:21], v[8:9], v[24:25] op_sel:[1,1] op_sel_hi:[0,1]
	v_pk_fma_f32 v[22:23], v[8:9], v[24:25], v[20:21] neg_lo:[0,0,1] neg_hi:[0,0,1]
	v_pk_fma_f32 v[8:9], v[8:9], v[24:25], v[20:21] op_sel_hi:[1,0,1]
	s_nop 0
	v_mov_b32_e32 v8, v27
	v_mov_b32_e32 v23, v9
	v_pk_mul_f32 v[8:9], v[10:11], v[8:9] op_sel:[1,0] op_sel_hi:[0,0]
	v_pk_fma_f32 v[20:21], v[10:11], v[26:27], v[8:9] neg_lo:[0,0,1] neg_hi:[0,0,1]
	v_pk_fma_f32 v[8:9], v[10:11], v[26:27], v[8:9] op_sel_hi:[1,0,1]
	v_pk_add_f32 v[6:7], v[6:7], v[22:23]
	v_mov_b32_e32 v21, v9
	s_waitcnt vmcnt(2) lgkmcnt(2)
	v_pk_mul_f32 v[8:9], v[12:13], v[28:29] op_sel:[1,1] op_sel_hi:[0,1]
	v_pk_fma_f32 v[10:11], v[12:13], v[28:29], v[8:9] neg_lo:[0,0,1] neg_hi:[0,0,1]
	v_pk_fma_f32 v[8:9], v[12:13], v[28:29], v[8:9] op_sel_hi:[1,0,1]
	v_pk_add_f32 v[6:7], v[6:7], v[20:21]
	v_mov_b32_e32 v8, v31
	v_mov_b32_e32 v11, v9
	v_pk_mul_f32 v[8:9], v[14:15], v[8:9] op_sel:[1,0] op_sel_hi:[0,0]
	v_pk_add_f32 v[6:7], v[6:7], v[10:11]
	v_pk_fma_f32 v[10:11], v[14:15], v[30:31], v[8:9] neg_lo:[0,0,1] neg_hi:[0,0,1]
	v_pk_fma_f32 v[8:9], v[14:15], v[30:31], v[8:9] op_sel_hi:[1,0,1]
	s_nop 0
	v_mov_b32_e32 v11, v9
	s_waitcnt vmcnt(1) lgkmcnt(1)
	v_pk_mul_f32 v[8:9], v[16:17], v[32:33] op_sel:[1,1] op_sel_hi:[0,1]
	v_pk_add_f32 v[6:7], v[6:7], v[10:11]
	v_pk_fma_f32 v[10:11], v[16:17], v[32:33], v[8:9] neg_lo:[0,0,1] neg_hi:[0,0,1]
	v_pk_fma_f32 v[8:9], v[16:17], v[32:33], v[8:9] op_sel_hi:[1,0,1]
	s_nop 0
	v_mov_b32_e32 v8, v35
	v_mov_b32_e32 v11, v9
	v_pk_mul_f32 v[8:9], v[18:19], v[8:9] op_sel:[1,0] op_sel_hi:[0,0]
	v_pk_add_f32 v[6:7], v[6:7], v[10:11]
	v_pk_fma_f32 v[10:11], v[18:19], v[34:35], v[8:9] neg_lo:[0,0,1] neg_hi:[0,0,1]
	v_pk_fma_f32 v[8:9], v[18:19], v[34:35], v[8:9] op_sel_hi:[1,0,1]
	s_nop 0
	v_mov_b32_e32 v11, v9
	s_waitcnt vmcnt(0) lgkmcnt(0)
	v_pk_mul_f32 v[8:9], v[4:5], v[38:39] op_sel:[1,1] op_sel_hi:[0,1]
	v_pk_add_f32 v[6:7], v[6:7], v[10:11]
	v_pk_fma_f32 v[10:11], v[4:5], v[38:39], v[8:9] neg_lo:[0,0,1] neg_hi:[0,0,1]
	v_pk_fma_f32 v[4:5], v[4:5], v[38:39], v[8:9] op_sel_hi:[1,0,1]
	s_nop 0
	v_mov_b32_e32 v11, v5
	v_pk_add_f32 v[4:5], v[6:7], v[10:11]
	scratch_load_dwordx2 v[6:7], off, off offset:232
	s_waitcnt vmcnt(0)
	v_pk_add_f32 v[4:5], v[6:7], v[4:5] neg_lo:[0,1] neg_hi:[0,1]
	scratch_store_dwordx2 off, v[4:5], off offset:232
	s_and_saveexec_b64 s[0:1], vcc
	s_cbranch_execz .LBB38_191
; %bb.190:
	scratch_load_dwordx2 v[4:5], off, off offset:224
	v_mov_b32_e32 v3, v2
	scratch_store_dwordx2 off, v[2:3], off offset:224
	s_waitcnt vmcnt(1)
	ds_write_b64 v1, v[4:5]
.LBB38_191:
	s_or_b64 exec, exec, s[0:1]
	s_waitcnt lgkmcnt(0)
	; wave barrier
	scratch_load_dwordx4 v[8:11], off, off offset:232
	ds_read2_b64 v[4:7], v2 offset0:69 offset1:70
	scratch_load_dwordx4 v[12:15], off, off offset:248
	scratch_load_dwordx4 v[16:19], off, off offset:264
	;; [unrolled: 1-line block ×4, first 2 shown]
	v_cmp_lt_u32_e32 vcc, 27, v0
	s_waitcnt vmcnt(4) lgkmcnt(0)
	v_mul_f32_e32 v3, v5, v9
	v_mul_f32_e32 v37, v4, v9
	;; [unrolled: 1-line block ×3, first 2 shown]
	v_fma_f32 v36, v4, v8, -v3
	v_mul_f32_e32 v3, v7, v11
	v_fmac_f32_e32 v37, v5, v8
	v_fmac_f32_e32 v39, v7, v10
	v_fma_f32 v38, v6, v10, -v3
	ds_read2_b64 v[4:7], v2 offset0:71 offset1:72
	ds_read2_b64 v[8:11], v2 offset0:73 offset1:74
	;; [unrolled: 1-line block ×4, first 2 shown]
	v_pk_add_f32 v[2:3], v[36:37], 0 op_sel_hi:[1,0]
	s_waitcnt vmcnt(3) lgkmcnt(3)
	v_pk_mul_f32 v[36:37], v[4:5], v[12:13] op_sel:[1,1] op_sel_hi:[0,1]
	v_pk_add_f32 v[2:3], v[2:3], v[38:39]
	v_pk_fma_f32 v[38:39], v[4:5], v[12:13], v[36:37] neg_lo:[0,0,1] neg_hi:[0,0,1]
	v_pk_fma_f32 v[4:5], v[4:5], v[12:13], v[36:37] op_sel_hi:[1,0,1]
	s_nop 0
	v_mov_b32_e32 v4, v15
	v_mov_b32_e32 v39, v5
	v_pk_mul_f32 v[4:5], v[6:7], v[4:5] op_sel:[1,0] op_sel_hi:[0,0]
	v_pk_fma_f32 v[12:13], v[6:7], v[14:15], v[4:5] neg_lo:[0,0,1] neg_hi:[0,0,1]
	v_pk_fma_f32 v[4:5], v[6:7], v[14:15], v[4:5] op_sel_hi:[1,0,1]
	v_pk_add_f32 v[2:3], v[2:3], v[38:39]
	v_mov_b32_e32 v13, v5
	s_waitcnt vmcnt(2) lgkmcnt(2)
	v_pk_mul_f32 v[4:5], v[8:9], v[16:17] op_sel:[1,1] op_sel_hi:[0,1]
	v_pk_fma_f32 v[6:7], v[8:9], v[16:17], v[4:5] neg_lo:[0,0,1] neg_hi:[0,0,1]
	v_pk_fma_f32 v[4:5], v[8:9], v[16:17], v[4:5] op_sel_hi:[1,0,1]
	v_pk_add_f32 v[2:3], v[2:3], v[12:13]
	v_mov_b32_e32 v4, v19
	v_mov_b32_e32 v7, v5
	v_pk_mul_f32 v[4:5], v[10:11], v[4:5] op_sel:[1,0] op_sel_hi:[0,0]
	v_pk_add_f32 v[2:3], v[2:3], v[6:7]
	v_pk_fma_f32 v[6:7], v[10:11], v[18:19], v[4:5] neg_lo:[0,0,1] neg_hi:[0,0,1]
	v_pk_fma_f32 v[4:5], v[10:11], v[18:19], v[4:5] op_sel_hi:[1,0,1]
	s_nop 0
	v_mov_b32_e32 v7, v5
	s_waitcnt vmcnt(1) lgkmcnt(1)
	v_pk_mul_f32 v[4:5], v[28:29], v[20:21] op_sel:[1,1] op_sel_hi:[0,1]
	v_pk_add_f32 v[2:3], v[2:3], v[6:7]
	v_pk_fma_f32 v[6:7], v[28:29], v[20:21], v[4:5] neg_lo:[0,0,1] neg_hi:[0,0,1]
	v_pk_fma_f32 v[4:5], v[28:29], v[20:21], v[4:5] op_sel_hi:[1,0,1]
	s_nop 0
	v_mov_b32_e32 v4, v23
	v_mov_b32_e32 v7, v5
	v_pk_mul_f32 v[4:5], v[30:31], v[4:5] op_sel:[1,0] op_sel_hi:[0,0]
	v_pk_add_f32 v[2:3], v[2:3], v[6:7]
	v_pk_fma_f32 v[6:7], v[30:31], v[22:23], v[4:5] neg_lo:[0,0,1] neg_hi:[0,0,1]
	v_pk_fma_f32 v[4:5], v[30:31], v[22:23], v[4:5] op_sel_hi:[1,0,1]
	s_nop 0
	v_mov_b32_e32 v7, v5
	s_waitcnt vmcnt(0) lgkmcnt(0)
	v_pk_mul_f32 v[4:5], v[32:33], v[24:25] op_sel:[1,1] op_sel_hi:[0,1]
	v_pk_add_f32 v[2:3], v[2:3], v[6:7]
	v_pk_fma_f32 v[6:7], v[32:33], v[24:25], v[4:5] neg_lo:[0,0,1] neg_hi:[0,0,1]
	v_pk_fma_f32 v[4:5], v[32:33], v[24:25], v[4:5] op_sel_hi:[1,0,1]
	s_nop 0
	v_mov_b32_e32 v4, v27
	v_mov_b32_e32 v7, v5
	v_pk_mul_f32 v[4:5], v[34:35], v[4:5] op_sel:[1,0] op_sel_hi:[0,0]
	v_pk_add_f32 v[2:3], v[2:3], v[6:7]
	v_pk_fma_f32 v[6:7], v[34:35], v[26:27], v[4:5] neg_lo:[0,0,1] neg_hi:[0,0,1]
	v_pk_fma_f32 v[4:5], v[34:35], v[26:27], v[4:5] op_sel_hi:[1,0,1]
	s_nop 0
	v_mov_b32_e32 v7, v5
	scratch_load_dwordx2 v[4:5], off, off offset:224
	v_pk_add_f32 v[2:3], v[2:3], v[6:7]
	s_waitcnt vmcnt(0)
	v_pk_add_f32 v[2:3], v[4:5], v[2:3] neg_lo:[0,1] neg_hi:[0,1]
	scratch_store_dwordx2 off, v[2:3], off offset:224
	s_and_saveexec_b64 s[0:1], vcc
	s_cbranch_execz .LBB38_193
; %bb.192:
	scratch_load_dwordx2 v[2:3], off, off offset:216
	v_mov_b32_e32 v4, 0
	v_mov_b32_e32 v5, v4
	scratch_store_dwordx2 off, v[4:5], off offset:216
	s_waitcnt vmcnt(1)
	ds_write_b64 v1, v[2:3]
.LBB38_193:
	s_or_b64 exec, exec, s[0:1]
	v_mov_b32_e32 v2, 0
	s_waitcnt lgkmcnt(0)
	; wave barrier
	ds_read_b128 v[4:7], v2 offset:544
	ds_read_b128 v[8:11], v2 offset:560
	;; [unrolled: 1-line block ×4, first 2 shown]
	scratch_load_dwordx4 v[20:23], off, off offset:224
	scratch_load_dwordx4 v[24:27], off, off offset:240
	;; [unrolled: 1-line block ×5, first 2 shown]
	scratch_load_dwordx2 v[46:47], off, off offset:304
	v_cmp_lt_u32_e32 vcc, 26, v0
	s_waitcnt vmcnt(5) lgkmcnt(3)
	v_mul_f32_e32 v3, v4, v21
	v_fmac_f32_e32 v3, v5, v20
	v_add_f32_e32 v41, 0, v3
	v_mul_f32_e32 v3, v5, v21
	v_fma_f32 v3, v4, v20, -v3
	v_mul_f32_e32 v43, v6, v23
	v_add_f32_e32 v40, 0, v3
	v_mul_f32_e32 v3, v7, v23
	v_fmac_f32_e32 v43, v7, v22
	v_fma_f32 v42, v6, v22, -v3
	s_waitcnt vmcnt(4)
	v_mov_b32_e32 v22, v27
	s_waitcnt lgkmcnt(2)
	v_mul_f32_e32 v45, v8, v25
	v_mul_f32_e32 v3, v9, v25
	v_pk_mul_f32 v[22:23], v[10:11], v[22:23] op_sel:[1,0] op_sel_hi:[0,0]
	v_fmac_f32_e32 v45, v9, v24
	v_fma_f32 v44, v8, v24, -v3
	v_pk_add_f32 v[20:21], v[40:41], v[42:43]
	v_pk_fma_f32 v[24:25], v[10:11], v[26:27], v[22:23] neg_lo:[0,0,1] neg_hi:[0,0,1]
	v_pk_fma_f32 v[10:11], v[10:11], v[26:27], v[22:23] op_sel_hi:[1,0,1]
	v_pk_add_f32 v[20:21], v[20:21], v[44:45]
	v_mov_b32_e32 v25, v11
	v_pk_add_f32 v[10:11], v[20:21], v[24:25]
	s_waitcnt vmcnt(3) lgkmcnt(1)
	v_pk_mul_f32 v[20:21], v[12:13], v[28:29] op_sel:[1,1] op_sel_hi:[0,1]
	v_pk_fma_f32 v[22:23], v[12:13], v[28:29], v[20:21] neg_lo:[0,0,1] neg_hi:[0,0,1]
	v_pk_fma_f32 v[12:13], v[12:13], v[28:29], v[20:21] op_sel_hi:[1,0,1]
	ds_read_b128 v[4:7], v2 offset:608
	ds_read_b64 v[8:9], v2 offset:624
	v_mov_b32_e32 v12, v31
	v_mov_b32_e32 v23, v13
	v_pk_mul_f32 v[12:13], v[14:15], v[12:13] op_sel:[1,0] op_sel_hi:[0,0]
	v_pk_fma_f32 v[20:21], v[14:15], v[30:31], v[12:13] neg_lo:[0,0,1] neg_hi:[0,0,1]
	v_pk_fma_f32 v[12:13], v[14:15], v[30:31], v[12:13] op_sel_hi:[1,0,1]
	v_pk_add_f32 v[10:11], v[10:11], v[22:23]
	v_mov_b32_e32 v21, v13
	s_waitcnt vmcnt(2) lgkmcnt(2)
	v_pk_mul_f32 v[12:13], v[16:17], v[32:33] op_sel:[1,1] op_sel_hi:[0,1]
	v_pk_fma_f32 v[14:15], v[16:17], v[32:33], v[12:13] neg_lo:[0,0,1] neg_hi:[0,0,1]
	v_pk_fma_f32 v[12:13], v[16:17], v[32:33], v[12:13] op_sel_hi:[1,0,1]
	v_pk_add_f32 v[10:11], v[10:11], v[20:21]
	v_mov_b32_e32 v12, v35
	v_mov_b32_e32 v15, v13
	v_pk_mul_f32 v[12:13], v[18:19], v[12:13] op_sel:[1,0] op_sel_hi:[0,0]
	v_pk_add_f32 v[10:11], v[10:11], v[14:15]
	v_pk_fma_f32 v[14:15], v[18:19], v[34:35], v[12:13] neg_lo:[0,0,1] neg_hi:[0,0,1]
	v_pk_fma_f32 v[12:13], v[18:19], v[34:35], v[12:13] op_sel_hi:[1,0,1]
	s_nop 0
	v_mov_b32_e32 v15, v13
	s_waitcnt vmcnt(1) lgkmcnt(1)
	v_pk_mul_f32 v[12:13], v[4:5], v[36:37] op_sel:[1,1] op_sel_hi:[0,1]
	v_pk_add_f32 v[10:11], v[10:11], v[14:15]
	v_pk_fma_f32 v[14:15], v[4:5], v[36:37], v[12:13] neg_lo:[0,0,1] neg_hi:[0,0,1]
	v_pk_fma_f32 v[4:5], v[4:5], v[36:37], v[12:13] op_sel_hi:[1,0,1]
	s_nop 0
	v_mov_b32_e32 v15, v5
	v_pk_add_f32 v[4:5], v[10:11], v[14:15]
	v_mov_b32_e32 v10, v39
	v_pk_mul_f32 v[10:11], v[6:7], v[10:11] op_sel:[1,0] op_sel_hi:[0,0]
	v_pk_fma_f32 v[12:13], v[6:7], v[38:39], v[10:11] neg_lo:[0,0,1] neg_hi:[0,0,1]
	v_pk_fma_f32 v[6:7], v[6:7], v[38:39], v[10:11] op_sel_hi:[1,0,1]
	s_nop 0
	v_mov_b32_e32 v13, v7
	s_waitcnt vmcnt(0) lgkmcnt(0)
	v_pk_mul_f32 v[6:7], v[8:9], v[46:47] op_sel:[1,1] op_sel_hi:[0,1]
	v_pk_fma_f32 v[10:11], v[8:9], v[46:47], v[6:7] neg_lo:[0,0,1] neg_hi:[0,0,1]
	v_pk_fma_f32 v[6:7], v[8:9], v[46:47], v[6:7] op_sel_hi:[1,0,1]
	v_pk_add_f32 v[4:5], v[4:5], v[12:13]
	v_mov_b32_e32 v11, v7
	scratch_load_dwordx2 v[6:7], off, off offset:216
	v_pk_add_f32 v[4:5], v[4:5], v[10:11]
	s_waitcnt vmcnt(0)
	v_pk_add_f32 v[4:5], v[6:7], v[4:5] neg_lo:[0,1] neg_hi:[0,1]
	scratch_store_dwordx2 off, v[4:5], off offset:216
	s_and_saveexec_b64 s[0:1], vcc
	s_cbranch_execz .LBB38_195
; %bb.194:
	scratch_load_dwordx2 v[4:5], off, off offset:208
	v_mov_b32_e32 v3, v2
	scratch_store_dwordx2 off, v[2:3], off offset:208
	s_waitcnt vmcnt(1)
	ds_write_b64 v1, v[4:5]
.LBB38_195:
	s_or_b64 exec, exec, s[0:1]
	s_waitcnt lgkmcnt(0)
	; wave barrier
	scratch_load_dwordx4 v[8:11], off, off offset:216
	scratch_load_dwordx4 v[16:19], off, off offset:232
	ds_read2_b64 v[4:7], v2 offset0:67 offset1:68
	v_cmp_lt_u32_e32 vcc, 25, v0
	s_waitcnt vmcnt(1) lgkmcnt(0)
	v_mul_f32_e32 v3, v4, v9
	v_fmac_f32_e32 v3, v5, v8
	v_mul_f32_e32 v12, v6, v11
	v_add_f32_e32 v3, 0, v3
	v_fmac_f32_e32 v12, v7, v10
	v_add_f32_e32 v37, v3, v12
	ds_read2_b64 v[12:15], v2 offset0:69 offset1:70
	scratch_load_dwordx4 v[20:23], off, off offset:248
	scratch_load_dwordx4 v[24:27], off, off offset:264
	scratch_load_dwordx4 v[28:31], off, off offset:280
	scratch_load_dwordx4 v[32:35], off, off offset:296
	v_mul_f32_e32 v3, v5, v9
	v_fma_f32 v3, v4, v8, -v3
	v_mul_f32_e32 v4, v7, v11
	v_add_f32_e32 v3, 0, v3
	v_fma_f32 v4, v6, v10, -v4
	v_add_f32_e32 v36, v3, v4
	s_waitcnt vmcnt(4) lgkmcnt(0)
	v_mul_f32_e32 v3, v13, v17
	v_mul_f32_e32 v39, v12, v17
	;; [unrolled: 1-line block ×3, first 2 shown]
	v_fma_f32 v38, v12, v16, -v3
	v_mul_f32_e32 v3, v15, v19
	v_fmac_f32_e32 v39, v13, v16
	v_fmac_f32_e32 v41, v15, v18
	v_fma_f32 v40, v14, v18, -v3
	ds_read2_b64 v[4:7], v2 offset0:71 offset1:72
	ds_read2_b64 v[8:11], v2 offset0:73 offset1:74
	;; [unrolled: 1-line block ×4, first 2 shown]
	v_pk_add_f32 v[2:3], v[36:37], v[38:39]
	s_waitcnt vmcnt(3) lgkmcnt(3)
	v_pk_mul_f32 v[36:37], v[4:5], v[20:21] op_sel:[1,1] op_sel_hi:[0,1]
	v_pk_fma_f32 v[38:39], v[4:5], v[20:21], v[36:37] neg_lo:[0,0,1] neg_hi:[0,0,1]
	v_pk_fma_f32 v[4:5], v[4:5], v[20:21], v[36:37] op_sel_hi:[1,0,1]
	v_pk_add_f32 v[2:3], v[2:3], v[40:41]
	v_mov_b32_e32 v4, v23
	v_mov_b32_e32 v39, v5
	v_pk_mul_f32 v[4:5], v[6:7], v[4:5] op_sel:[1,0] op_sel_hi:[0,0]
	v_pk_fma_f32 v[20:21], v[6:7], v[22:23], v[4:5] neg_lo:[0,0,1] neg_hi:[0,0,1]
	v_pk_fma_f32 v[4:5], v[6:7], v[22:23], v[4:5] op_sel_hi:[1,0,1]
	v_pk_add_f32 v[2:3], v[2:3], v[38:39]
	v_mov_b32_e32 v21, v5
	s_waitcnt vmcnt(2) lgkmcnt(2)
	v_pk_mul_f32 v[4:5], v[8:9], v[24:25] op_sel:[1,1] op_sel_hi:[0,1]
	v_pk_fma_f32 v[6:7], v[8:9], v[24:25], v[4:5] neg_lo:[0,0,1] neg_hi:[0,0,1]
	v_pk_fma_f32 v[4:5], v[8:9], v[24:25], v[4:5] op_sel_hi:[1,0,1]
	v_pk_add_f32 v[2:3], v[2:3], v[20:21]
	v_mov_b32_e32 v4, v27
	v_mov_b32_e32 v7, v5
	v_pk_mul_f32 v[4:5], v[10:11], v[4:5] op_sel:[1,0] op_sel_hi:[0,0]
	v_pk_add_f32 v[2:3], v[2:3], v[6:7]
	v_pk_fma_f32 v[6:7], v[10:11], v[26:27], v[4:5] neg_lo:[0,0,1] neg_hi:[0,0,1]
	v_pk_fma_f32 v[4:5], v[10:11], v[26:27], v[4:5] op_sel_hi:[1,0,1]
	s_nop 0
	v_mov_b32_e32 v7, v5
	s_waitcnt vmcnt(1) lgkmcnt(1)
	v_pk_mul_f32 v[4:5], v[12:13], v[28:29] op_sel:[1,1] op_sel_hi:[0,1]
	v_pk_add_f32 v[2:3], v[2:3], v[6:7]
	v_pk_fma_f32 v[6:7], v[12:13], v[28:29], v[4:5] neg_lo:[0,0,1] neg_hi:[0,0,1]
	v_pk_fma_f32 v[4:5], v[12:13], v[28:29], v[4:5] op_sel_hi:[1,0,1]
	s_nop 0
	v_mov_b32_e32 v4, v31
	v_mov_b32_e32 v7, v5
	v_pk_mul_f32 v[4:5], v[14:15], v[4:5] op_sel:[1,0] op_sel_hi:[0,0]
	v_pk_add_f32 v[2:3], v[2:3], v[6:7]
	v_pk_fma_f32 v[6:7], v[14:15], v[30:31], v[4:5] neg_lo:[0,0,1] neg_hi:[0,0,1]
	v_pk_fma_f32 v[4:5], v[14:15], v[30:31], v[4:5] op_sel_hi:[1,0,1]
	s_nop 0
	v_mov_b32_e32 v7, v5
	s_waitcnt vmcnt(0) lgkmcnt(0)
	v_pk_mul_f32 v[4:5], v[16:17], v[32:33] op_sel:[1,1] op_sel_hi:[0,1]
	v_pk_add_f32 v[2:3], v[2:3], v[6:7]
	v_pk_fma_f32 v[6:7], v[16:17], v[32:33], v[4:5] neg_lo:[0,0,1] neg_hi:[0,0,1]
	v_pk_fma_f32 v[4:5], v[16:17], v[32:33], v[4:5] op_sel_hi:[1,0,1]
	s_nop 0
	v_mov_b32_e32 v4, v35
	v_mov_b32_e32 v7, v5
	v_pk_mul_f32 v[4:5], v[18:19], v[4:5] op_sel:[1,0] op_sel_hi:[0,0]
	v_pk_add_f32 v[2:3], v[2:3], v[6:7]
	v_pk_fma_f32 v[6:7], v[18:19], v[34:35], v[4:5] neg_lo:[0,0,1] neg_hi:[0,0,1]
	v_pk_fma_f32 v[4:5], v[18:19], v[34:35], v[4:5] op_sel_hi:[1,0,1]
	s_nop 0
	v_mov_b32_e32 v7, v5
	scratch_load_dwordx2 v[4:5], off, off offset:208
	v_pk_add_f32 v[2:3], v[2:3], v[6:7]
	s_waitcnt vmcnt(0)
	v_pk_add_f32 v[2:3], v[4:5], v[2:3] neg_lo:[0,1] neg_hi:[0,1]
	scratch_store_dwordx2 off, v[2:3], off offset:208
	s_and_saveexec_b64 s[0:1], vcc
	s_cbranch_execz .LBB38_197
; %bb.196:
	scratch_load_dwordx2 v[2:3], off, off offset:200
	v_mov_b32_e32 v4, 0
	v_mov_b32_e32 v5, v4
	scratch_store_dwordx2 off, v[4:5], off offset:200
	s_waitcnt vmcnt(1)
	ds_write_b64 v1, v[2:3]
.LBB38_197:
	s_or_b64 exec, exec, s[0:1]
	v_mov_b32_e32 v2, 0
	s_waitcnt lgkmcnt(0)
	; wave barrier
	ds_read_b128 v[4:7], v2 offset:528
	ds_read_b128 v[8:11], v2 offset:544
	;; [unrolled: 1-line block ×4, first 2 shown]
	scratch_load_dwordx4 v[20:23], off, off offset:208
	v_cmp_lt_u32_e32 vcc, 24, v0
	s_waitcnt vmcnt(0) lgkmcnt(3)
	v_mul_f32_e32 v3, v4, v21
	v_fmac_f32_e32 v3, v5, v20
	v_mul_f32_e32 v24, v6, v23
	v_add_f32_e32 v3, 0, v3
	v_fmac_f32_e32 v24, v7, v22
	v_add_f32_e32 v3, v3, v24
	scratch_load_dwordx4 v[24:27], off, off offset:224
	s_waitcnt vmcnt(0) lgkmcnt(2)
	v_mul_f32_e32 v28, v8, v25
	v_fmac_f32_e32 v28, v9, v24
	v_add_f32_e32 v45, v3, v28
	scratch_load_dwordx4 v[28:31], off, off offset:240
	scratch_load_dwordx4 v[32:35], off, off offset:256
	;; [unrolled: 1-line block ×4, first 2 shown]
	scratch_load_dwordx2 v[50:51], off, off offset:304
	v_mul_f32_e32 v3, v5, v21
	v_fma_f32 v3, v4, v20, -v3
	v_mul_f32_e32 v4, v7, v23
	v_add_f32_e32 v3, 0, v3
	v_fma_f32 v4, v6, v22, -v4
	v_add_f32_e32 v3, v3, v4
	v_mul_f32_e32 v4, v9, v25
	v_fma_f32 v4, v8, v24, -v4
	v_mul_f32_e32 v47, v10, v27
	v_add_f32_e32 v44, v3, v4
	v_mul_f32_e32 v3, v11, v27
	v_fmac_f32_e32 v47, v11, v26
	v_fma_f32 v46, v10, v26, -v3
	v_pk_add_f32 v[20:21], v[44:45], v[46:47]
	s_waitcnt vmcnt(4)
	v_mov_b32_e32 v22, v31
	s_waitcnt lgkmcnt(1)
	v_mul_f32_e32 v49, v12, v29
	v_mul_f32_e32 v3, v13, v29
	v_pk_mul_f32 v[22:23], v[14:15], v[22:23] op_sel:[1,0] op_sel_hi:[0,0]
	v_fmac_f32_e32 v49, v13, v28
	v_fma_f32 v48, v12, v28, -v3
	v_pk_fma_f32 v[24:25], v[14:15], v[30:31], v[22:23] neg_lo:[0,0,1] neg_hi:[0,0,1]
	v_pk_fma_f32 v[14:15], v[14:15], v[30:31], v[22:23] op_sel_hi:[1,0,1]
	v_pk_add_f32 v[20:21], v[20:21], v[48:49]
	v_mov_b32_e32 v25, v15
	v_pk_add_f32 v[14:15], v[20:21], v[24:25]
	s_waitcnt vmcnt(3) lgkmcnt(0)
	v_pk_mul_f32 v[20:21], v[16:17], v[32:33] op_sel:[1,1] op_sel_hi:[0,1]
	v_pk_fma_f32 v[22:23], v[16:17], v[32:33], v[20:21] neg_lo:[0,0,1] neg_hi:[0,0,1]
	v_pk_fma_f32 v[16:17], v[16:17], v[32:33], v[20:21] op_sel_hi:[1,0,1]
	ds_read_b128 v[4:7], v2 offset:592
	ds_read_b128 v[8:11], v2 offset:608
	ds_read_b64 v[12:13], v2 offset:624
	v_mov_b32_e32 v16, v35
	v_mov_b32_e32 v23, v17
	v_pk_mul_f32 v[16:17], v[18:19], v[16:17] op_sel:[1,0] op_sel_hi:[0,0]
	v_pk_fma_f32 v[20:21], v[18:19], v[34:35], v[16:17] neg_lo:[0,0,1] neg_hi:[0,0,1]
	v_pk_fma_f32 v[16:17], v[18:19], v[34:35], v[16:17] op_sel_hi:[1,0,1]
	v_pk_add_f32 v[14:15], v[14:15], v[22:23]
	v_mov_b32_e32 v21, v17
	s_waitcnt vmcnt(2) lgkmcnt(2)
	v_pk_mul_f32 v[16:17], v[4:5], v[36:37] op_sel:[1,1] op_sel_hi:[0,1]
	v_pk_fma_f32 v[18:19], v[4:5], v[36:37], v[16:17] neg_lo:[0,0,1] neg_hi:[0,0,1]
	v_pk_fma_f32 v[4:5], v[4:5], v[36:37], v[16:17] op_sel_hi:[1,0,1]
	v_pk_add_f32 v[14:15], v[14:15], v[20:21]
	v_mov_b32_e32 v19, v5
	v_pk_add_f32 v[4:5], v[14:15], v[18:19]
	v_mov_b32_e32 v14, v39
	v_pk_mul_f32 v[14:15], v[6:7], v[14:15] op_sel:[1,0] op_sel_hi:[0,0]
	v_pk_fma_f32 v[16:17], v[6:7], v[38:39], v[14:15] neg_lo:[0,0,1] neg_hi:[0,0,1]
	v_pk_fma_f32 v[6:7], v[6:7], v[38:39], v[14:15] op_sel_hi:[1,0,1]
	s_nop 0
	v_mov_b32_e32 v17, v7
	s_waitcnt vmcnt(1) lgkmcnt(1)
	v_pk_mul_f32 v[6:7], v[8:9], v[40:41] op_sel:[1,1] op_sel_hi:[0,1]
	v_pk_fma_f32 v[14:15], v[8:9], v[40:41], v[6:7] neg_lo:[0,0,1] neg_hi:[0,0,1]
	v_pk_fma_f32 v[6:7], v[8:9], v[40:41], v[6:7] op_sel_hi:[1,0,1]
	v_pk_add_f32 v[4:5], v[4:5], v[16:17]
	v_mov_b32_e32 v6, v43
	v_mov_b32_e32 v15, v7
	v_pk_mul_f32 v[6:7], v[10:11], v[6:7] op_sel:[1,0] op_sel_hi:[0,0]
	v_pk_fma_f32 v[8:9], v[10:11], v[42:43], v[6:7] neg_lo:[0,0,1] neg_hi:[0,0,1]
	v_pk_fma_f32 v[6:7], v[10:11], v[42:43], v[6:7] op_sel_hi:[1,0,1]
	v_pk_add_f32 v[4:5], v[4:5], v[14:15]
	v_mov_b32_e32 v9, v7
	s_waitcnt vmcnt(0) lgkmcnt(0)
	v_pk_mul_f32 v[6:7], v[12:13], v[50:51] op_sel:[1,1] op_sel_hi:[0,1]
	v_pk_add_f32 v[4:5], v[4:5], v[8:9]
	v_pk_fma_f32 v[8:9], v[12:13], v[50:51], v[6:7] neg_lo:[0,0,1] neg_hi:[0,0,1]
	v_pk_fma_f32 v[6:7], v[12:13], v[50:51], v[6:7] op_sel_hi:[1,0,1]
	s_nop 0
	v_mov_b32_e32 v9, v7
	scratch_load_dwordx2 v[6:7], off, off offset:200
	v_pk_add_f32 v[4:5], v[4:5], v[8:9]
	s_waitcnt vmcnt(0)
	v_pk_add_f32 v[4:5], v[6:7], v[4:5] neg_lo:[0,1] neg_hi:[0,1]
	scratch_store_dwordx2 off, v[4:5], off offset:200
	s_and_saveexec_b64 s[0:1], vcc
	s_cbranch_execz .LBB38_199
; %bb.198:
	scratch_load_dwordx2 v[4:5], off, off offset:192
	v_mov_b32_e32 v3, v2
	scratch_store_dwordx2 off, v[2:3], off offset:192
	s_waitcnt vmcnt(1)
	ds_write_b64 v1, v[4:5]
.LBB38_199:
	s_or_b64 exec, exec, s[0:1]
	s_waitcnt lgkmcnt(0)
	; wave barrier
	scratch_load_dwordx4 v[8:11], off, off offset:200
	scratch_load_dwordx4 v[16:19], off, off offset:216
	ds_read2_b64 v[4:7], v2 offset0:65 offset1:66
	scratch_load_dwordx4 v[24:27], off, off offset:232
	v_cmp_lt_u32_e32 vcc, 23, v0
	s_waitcnt vmcnt(2) lgkmcnt(0)
	v_mul_f32_e32 v3, v4, v9
	v_fmac_f32_e32 v3, v5, v8
	v_mul_f32_e32 v12, v6, v11
	v_add_f32_e32 v3, 0, v3
	v_fmac_f32_e32 v12, v7, v10
	v_add_f32_e32 v3, v3, v12
	ds_read2_b64 v[12:15], v2 offset0:67 offset1:68
	s_waitcnt vmcnt(1) lgkmcnt(0)
	v_mul_f32_e32 v20, v12, v17
	v_fmac_f32_e32 v20, v13, v16
	v_add_f32_e32 v3, v3, v20
	v_mul_f32_e32 v20, v14, v19
	v_fmac_f32_e32 v20, v15, v18
	v_add_f32_e32 v45, v3, v20
	ds_read2_b64 v[20:23], v2 offset0:69 offset1:70
	scratch_load_dwordx4 v[28:31], off, off offset:248
	scratch_load_dwordx4 v[32:35], off, off offset:264
	;; [unrolled: 1-line block ×4, first 2 shown]
	v_mul_f32_e32 v3, v5, v9
	v_fma_f32 v3, v4, v8, -v3
	v_mul_f32_e32 v4, v7, v11
	v_add_f32_e32 v3, 0, v3
	v_fma_f32 v4, v6, v10, -v4
	v_add_f32_e32 v3, v3, v4
	v_mul_f32_e32 v4, v13, v17
	v_fma_f32 v4, v12, v16, -v4
	v_add_f32_e32 v3, v3, v4
	v_mul_f32_e32 v4, v15, v19
	v_fma_f32 v4, v14, v18, -v4
	v_add_f32_e32 v44, v3, v4
	ds_read2_b64 v[4:7], v2 offset0:71 offset1:72
	ds_read2_b64 v[8:11], v2 offset0:73 offset1:74
	;; [unrolled: 1-line block ×4, first 2 shown]
	s_waitcnt vmcnt(4) lgkmcnt(4)
	v_mul_f32_e32 v47, v20, v25
	v_mul_f32_e32 v3, v21, v25
	v_fmac_f32_e32 v47, v21, v24
	v_mul_f32_e32 v49, v22, v27
	v_fma_f32 v46, v20, v24, -v3
	v_mul_f32_e32 v3, v23, v27
	v_fmac_f32_e32 v49, v23, v26
	v_fma_f32 v48, v22, v26, -v3
	v_pk_add_f32 v[2:3], v[44:45], v[46:47]
	s_waitcnt vmcnt(3) lgkmcnt(3)
	v_pk_mul_f32 v[20:21], v[4:5], v[28:29] op_sel:[1,1] op_sel_hi:[0,1]
	v_pk_fma_f32 v[22:23], v[4:5], v[28:29], v[20:21] neg_lo:[0,0,1] neg_hi:[0,0,1]
	v_pk_fma_f32 v[4:5], v[4:5], v[28:29], v[20:21] op_sel_hi:[1,0,1]
	v_pk_add_f32 v[2:3], v[2:3], v[48:49]
	v_mov_b32_e32 v4, v31
	v_mov_b32_e32 v23, v5
	v_pk_mul_f32 v[4:5], v[6:7], v[4:5] op_sel:[1,0] op_sel_hi:[0,0]
	v_pk_fma_f32 v[20:21], v[6:7], v[30:31], v[4:5] neg_lo:[0,0,1] neg_hi:[0,0,1]
	v_pk_fma_f32 v[4:5], v[6:7], v[30:31], v[4:5] op_sel_hi:[1,0,1]
	v_pk_add_f32 v[2:3], v[2:3], v[22:23]
	v_mov_b32_e32 v21, v5
	s_waitcnt vmcnt(2) lgkmcnt(2)
	v_pk_mul_f32 v[4:5], v[8:9], v[32:33] op_sel:[1,1] op_sel_hi:[0,1]
	v_pk_fma_f32 v[6:7], v[8:9], v[32:33], v[4:5] neg_lo:[0,0,1] neg_hi:[0,0,1]
	v_pk_fma_f32 v[4:5], v[8:9], v[32:33], v[4:5] op_sel_hi:[1,0,1]
	v_pk_add_f32 v[2:3], v[2:3], v[20:21]
	v_mov_b32_e32 v4, v35
	v_mov_b32_e32 v7, v5
	v_pk_mul_f32 v[4:5], v[10:11], v[4:5] op_sel:[1,0] op_sel_hi:[0,0]
	v_pk_add_f32 v[2:3], v[2:3], v[6:7]
	v_pk_fma_f32 v[6:7], v[10:11], v[34:35], v[4:5] neg_lo:[0,0,1] neg_hi:[0,0,1]
	v_pk_fma_f32 v[4:5], v[10:11], v[34:35], v[4:5] op_sel_hi:[1,0,1]
	s_nop 0
	v_mov_b32_e32 v7, v5
	s_waitcnt vmcnt(1) lgkmcnt(1)
	v_pk_mul_f32 v[4:5], v[12:13], v[36:37] op_sel:[1,1] op_sel_hi:[0,1]
	v_pk_add_f32 v[2:3], v[2:3], v[6:7]
	v_pk_fma_f32 v[6:7], v[12:13], v[36:37], v[4:5] neg_lo:[0,0,1] neg_hi:[0,0,1]
	v_pk_fma_f32 v[4:5], v[12:13], v[36:37], v[4:5] op_sel_hi:[1,0,1]
	s_nop 0
	v_mov_b32_e32 v4, v39
	v_mov_b32_e32 v7, v5
	v_pk_mul_f32 v[4:5], v[14:15], v[4:5] op_sel:[1,0] op_sel_hi:[0,0]
	v_pk_add_f32 v[2:3], v[2:3], v[6:7]
	v_pk_fma_f32 v[6:7], v[14:15], v[38:39], v[4:5] neg_lo:[0,0,1] neg_hi:[0,0,1]
	v_pk_fma_f32 v[4:5], v[14:15], v[38:39], v[4:5] op_sel_hi:[1,0,1]
	s_nop 0
	v_mov_b32_e32 v7, v5
	s_waitcnt vmcnt(0) lgkmcnt(0)
	v_pk_mul_f32 v[4:5], v[16:17], v[40:41] op_sel:[1,1] op_sel_hi:[0,1]
	v_pk_add_f32 v[2:3], v[2:3], v[6:7]
	v_pk_fma_f32 v[6:7], v[16:17], v[40:41], v[4:5] neg_lo:[0,0,1] neg_hi:[0,0,1]
	v_pk_fma_f32 v[4:5], v[16:17], v[40:41], v[4:5] op_sel_hi:[1,0,1]
	s_nop 0
	v_mov_b32_e32 v4, v43
	v_mov_b32_e32 v7, v5
	v_pk_mul_f32 v[4:5], v[18:19], v[4:5] op_sel:[1,0] op_sel_hi:[0,0]
	v_pk_add_f32 v[2:3], v[2:3], v[6:7]
	v_pk_fma_f32 v[6:7], v[18:19], v[42:43], v[4:5] neg_lo:[0,0,1] neg_hi:[0,0,1]
	v_pk_fma_f32 v[4:5], v[18:19], v[42:43], v[4:5] op_sel_hi:[1,0,1]
	s_nop 0
	v_mov_b32_e32 v7, v5
	scratch_load_dwordx2 v[4:5], off, off offset:192
	v_pk_add_f32 v[2:3], v[2:3], v[6:7]
	s_waitcnt vmcnt(0)
	v_pk_add_f32 v[2:3], v[4:5], v[2:3] neg_lo:[0,1] neg_hi:[0,1]
	scratch_store_dwordx2 off, v[2:3], off offset:192
	s_and_saveexec_b64 s[0:1], vcc
	s_cbranch_execz .LBB38_201
; %bb.200:
	scratch_load_dwordx2 v[2:3], off, off offset:184
	v_mov_b32_e32 v4, 0
	v_mov_b32_e32 v5, v4
	scratch_store_dwordx2 off, v[4:5], off offset:184
	s_waitcnt vmcnt(1)
	ds_write_b64 v1, v[2:3]
.LBB38_201:
	s_or_b64 exec, exec, s[0:1]
	s_waitcnt lgkmcnt(0)
	; wave barrier
	scratch_load_dwordx4 v[4:7], off, off offset:192
	scratch_load_dwordx4 v[8:11], off, off offset:208
	;; [unrolled: 1-line block ×7, first 2 shown]
	scratch_load_dwordx2 v[60:61], off, off offset:304
	scratch_load_dwordx2 v[62:63], off, off offset:184
	v_mov_b32_e32 v2, 0
	ds_read_b128 v[32:35], v2 offset:512
	ds_read_b128 v[36:39], v2 offset:528
	;; [unrolled: 1-line block ×7, first 2 shown]
	ds_read_b64 v[64:65], v2 offset:624
	v_cmp_lt_u32_e32 vcc, 22, v0
	s_waitcnt vmcnt(8) lgkmcnt(7)
	v_mul_f32_e32 v71, v34, v7
	v_mul_f32_e32 v3, v32, v5
	s_waitcnt vmcnt(7) lgkmcnt(6)
	v_mul_f32_e32 v75, v36, v9
	s_waitcnt vmcnt(6) lgkmcnt(5)
	v_mul_f32_e32 v83, v40, v13
	v_mul_f32_e32 v67, v42, v15
	;; [unrolled: 1-line block ×5, first 2 shown]
	s_waitcnt vmcnt(5)
	v_mov_b32_e32 v70, v19
	s_waitcnt vmcnt(3) lgkmcnt(2)
	v_pk_mul_f32 v[76:77], v[52:53], v[24:25] op_sel:[1,1] op_sel_hi:[0,1]
	s_waitcnt vmcnt(2) lgkmcnt(1)
	v_pk_mul_f32 v[80:81], v[56:57], v[28:29] op_sel:[1,1] op_sel_hi:[0,1]
	v_fmac_f32_e32 v71, v35, v6
	v_mul_f32_e32 v7, v35, v7
	v_mul_f32_e32 v9, v37, v9
	v_fmac_f32_e32 v3, v33, v4
	v_fmac_f32_e32 v75, v37, v8
	;; [unrolled: 1-line block ×4, first 2 shown]
	v_fma_f32 v32, v32, v4, -v5
	v_fma_f32 v37, v40, v12, -v13
	v_fma_f32 v66, v42, v14, -v15
	v_pk_mul_f32 v[4:5], v[46:47], v[70:71] op_sel:[1,0] op_sel_hi:[0,0]
	v_pk_fma_f32 v[12:13], v[52:53], v[24:25], v[76:77] neg_lo:[0,0,1] neg_hi:[0,0,1]
	v_pk_fma_f32 v[14:15], v[52:53], v[24:25], v[76:77] op_sel_hi:[1,0,1]
	v_pk_fma_f32 v[24:25], v[56:57], v[28:29], v[80:81] op_sel_hi:[1,0,1]
	v_fma_f32 v34, v34, v6, -v7
	v_add_f32_e32 v3, 0, v3
	v_add_f32_e32 v24, 0, v32
	v_pk_fma_f32 v[32:33], v[46:47], v[18:19], v[4:5] neg_lo:[0,0,1] neg_hi:[0,0,1]
	v_pk_fma_f32 v[4:5], v[46:47], v[18:19], v[4:5] op_sel_hi:[1,0,1]
	v_mul_f32_e32 v79, v38, v11
	v_mul_f32_e32 v11, v39, v11
	v_fma_f32 v35, v36, v8, -v9
	v_add_f32_e32 v3, v3, v71
	v_add_f32_e32 v4, v24, v34
	v_fmac_f32_e32 v79, v39, v10
	v_fma_f32 v36, v38, v10, -v11
	v_add_f32_e32 v3, v3, v75
	v_add_f32_e32 v4, v4, v35
	;; [unrolled: 1-line block ×4, first 2 shown]
	v_mul_f32_e32 v69, v44, v17
	v_mul_f32_e32 v17, v45, v17
	v_mov_b32_e32 v33, v5
	v_add_f32_e32 v5, v3, v83
	v_add_f32_e32 v4, v4, v37
	v_pk_mul_f32 v[72:73], v[48:49], v[20:21] op_sel:[1,1] op_sel_hi:[0,1]
	v_mov_b32_e32 v74, v23
	v_fmac_f32_e32 v69, v45, v16
	v_fma_f32 v68, v44, v16, -v17
	v_pk_add_f32 v[4:5], v[4:5], v[66:67]
	v_pk_fma_f32 v[6:7], v[48:49], v[20:21], v[72:73] neg_lo:[0,0,1] neg_hi:[0,0,1]
	v_pk_fma_f32 v[8:9], v[48:49], v[20:21], v[72:73] op_sel_hi:[1,0,1]
	v_pk_mul_f32 v[10:11], v[50:51], v[74:75] op_sel:[1,0] op_sel_hi:[0,0]
	v_pk_add_f32 v[4:5], v[4:5], v[68:69]
	v_mov_b32_e32 v78, v27
	v_mov_b32_e32 v7, v9
	v_pk_fma_f32 v[8:9], v[50:51], v[22:23], v[10:11] neg_lo:[0,0,1] neg_hi:[0,0,1]
	v_pk_fma_f32 v[10:11], v[50:51], v[22:23], v[10:11] op_sel_hi:[1,0,1]
	v_pk_add_f32 v[4:5], v[4:5], v[32:33]
	v_pk_mul_f32 v[16:17], v[54:55], v[78:79] op_sel:[1,0] op_sel_hi:[0,0]
	v_mov_b32_e32 v9, v11
	v_pk_add_f32 v[4:5], v[4:5], v[6:7]
	v_mov_b32_e32 v82, v31
	v_mov_b32_e32 v13, v15
	v_pk_fma_f32 v[14:15], v[54:55], v[26:27], v[16:17] neg_lo:[0,0,1] neg_hi:[0,0,1]
	v_pk_fma_f32 v[16:17], v[54:55], v[26:27], v[16:17] op_sel_hi:[1,0,1]
	v_pk_add_f32 v[4:5], v[4:5], v[8:9]
	v_pk_fma_f32 v[20:21], v[56:57], v[28:29], v[80:81] neg_lo:[0,0,1] neg_hi:[0,0,1]
	v_pk_mul_f32 v[28:29], v[58:59], v[82:83] op_sel:[1,0] op_sel_hi:[0,0]
	v_mov_b32_e32 v15, v17
	v_pk_add_f32 v[4:5], v[4:5], v[12:13]
	v_mov_b32_e32 v21, v25
	v_pk_add_f32 v[4:5], v[4:5], v[14:15]
	v_pk_fma_f32 v[6:7], v[58:59], v[30:31], v[28:29] neg_lo:[0,0,1] neg_hi:[0,0,1]
	v_pk_fma_f32 v[8:9], v[58:59], v[30:31], v[28:29] op_sel_hi:[1,0,1]
	v_pk_add_f32 v[4:5], v[4:5], v[20:21]
	v_mov_b32_e32 v7, v9
	v_pk_add_f32 v[4:5], v[4:5], v[6:7]
	s_waitcnt vmcnt(1) lgkmcnt(0)
	v_pk_mul_f32 v[6:7], v[64:65], v[60:61] op_sel:[1,1] op_sel_hi:[0,1]
	v_pk_fma_f32 v[8:9], v[64:65], v[60:61], v[6:7] neg_lo:[0,0,1] neg_hi:[0,0,1]
	v_pk_fma_f32 v[6:7], v[64:65], v[60:61], v[6:7] op_sel_hi:[1,0,1]
	s_nop 0
	v_mov_b32_e32 v9, v7
	v_pk_add_f32 v[4:5], v[4:5], v[8:9]
	s_waitcnt vmcnt(0)
	v_pk_add_f32 v[4:5], v[62:63], v[4:5] neg_lo:[0,1] neg_hi:[0,1]
	scratch_store_dwordx2 off, v[4:5], off offset:184
	s_and_saveexec_b64 s[0:1], vcc
	s_cbranch_execz .LBB38_203
; %bb.202:
	scratch_load_dwordx2 v[4:5], off, off offset:176
	v_mov_b32_e32 v3, v2
	scratch_store_dwordx2 off, v[2:3], off offset:176
	s_waitcnt vmcnt(1)
	ds_write_b64 v1, v[4:5]
.LBB38_203:
	s_or_b64 exec, exec, s[0:1]
	s_waitcnt lgkmcnt(0)
	; wave barrier
	scratch_load_dwordx4 v[4:7], off, off offset:184
	scratch_load_dwordx4 v[8:11], off, off offset:200
	;; [unrolled: 1-line block ×7, first 2 shown]
	ds_read2_b64 v[32:35], v2 offset0:63 offset1:64
	ds_read2_b64 v[36:39], v2 offset0:65 offset1:66
	;; [unrolled: 1-line block ×4, first 2 shown]
	scratch_load_dwordx4 v[48:51], off, off offset:296
	ds_read2_b64 v[52:55], v2 offset0:71 offset1:72
	ds_read2_b64 v[56:59], v2 offset0:73 offset1:74
	;; [unrolled: 1-line block ×4, first 2 shown]
	scratch_load_dwordx2 v[2:3], off, off offset:176
	v_cmp_lt_u32_e32 vcc, 21, v0
	s_waitcnt vmcnt(8) lgkmcnt(7)
	v_mul_f32_e32 v75, v32, v5
	v_mul_f32_e32 v79, v34, v7
	s_waitcnt vmcnt(7) lgkmcnt(6)
	v_mul_f32_e32 v83, v36, v9
	v_mul_f32_e32 v84, v38, v11
	;; [unrolled: 3-line block ×3, first 2 shown]
	v_mul_f32_e32 v5, v33, v5
	v_mul_f32_e32 v7, v35, v7
	;; [unrolled: 1-line block ×6, first 2 shown]
	s_waitcnt vmcnt(4) lgkmcnt(3)
	v_pk_mul_f32 v[72:73], v[52:53], v[20:21] op_sel:[1,1] op_sel_hi:[0,1]
	v_mov_b32_e32 v74, v23
	s_waitcnt vmcnt(3) lgkmcnt(2)
	v_pk_mul_f32 v[76:77], v[56:57], v[24:25] op_sel:[1,1] op_sel_hi:[0,1]
	v_mov_b32_e32 v78, v27
	v_fmac_f32_e32 v75, v33, v4
	v_fmac_f32_e32 v79, v35, v6
	;; [unrolled: 1-line block ×6, first 2 shown]
	v_fma_f32 v32, v32, v4, -v5
	v_fma_f32 v33, v34, v6, -v7
	v_fma_f32 v34, v36, v8, -v9
	v_fma_f32 v35, v38, v10, -v11
	v_fma_f32 v36, v40, v12, -v13
	v_fma_f32 v37, v42, v14, -v15
	v_pk_fma_f32 v[4:5], v[52:53], v[20:21], v[72:73] neg_lo:[0,0,1] neg_hi:[0,0,1]
	v_pk_fma_f32 v[6:7], v[52:53], v[20:21], v[72:73] op_sel_hi:[1,0,1]
	v_pk_mul_f32 v[8:9], v[54:55], v[74:75] op_sel:[1,0] op_sel_hi:[0,0]
	v_pk_fma_f32 v[10:11], v[56:57], v[24:25], v[76:77] neg_lo:[0,0,1] neg_hi:[0,0,1]
	v_pk_fma_f32 v[12:13], v[56:57], v[24:25], v[76:77] op_sel_hi:[1,0,1]
	v_pk_mul_f32 v[14:15], v[58:59], v[78:79] op_sel:[1,0] op_sel_hi:[0,0]
	v_add_f32_e32 v24, 0, v75
	v_add_f32_e32 v25, 0, v32
	v_mov_b32_e32 v5, v7
	v_pk_fma_f32 v[6:7], v[54:55], v[22:23], v[8:9] neg_lo:[0,0,1] neg_hi:[0,0,1]
	v_pk_fma_f32 v[8:9], v[54:55], v[22:23], v[8:9] op_sel_hi:[1,0,1]
	v_mov_b32_e32 v11, v13
	v_pk_fma_f32 v[12:13], v[58:59], v[26:27], v[14:15] neg_lo:[0,0,1] neg_hi:[0,0,1]
	v_pk_fma_f32 v[14:15], v[58:59], v[26:27], v[14:15] op_sel_hi:[1,0,1]
	v_add_f32_e32 v8, v24, v79
	v_add_f32_e32 v14, v25, v33
	v_mov_b32_e32 v7, v9
	v_add_f32_e32 v8, v8, v83
	v_add_f32_e32 v9, v14, v34
	;; [unrolled: 1-line block ×4, first 2 shown]
	v_mul_f32_e32 v69, v44, v17
	v_mul_f32_e32 v17, v45, v17
	v_add_f32_e32 v8, v8, v85
	v_add_f32_e32 v14, v9, v36
	v_mul_f32_e32 v71, v46, v19
	v_mul_f32_e32 v19, v47, v19
	v_fmac_f32_e32 v69, v45, v16
	v_fma_f32 v68, v44, v16, -v17
	v_add_f32_e32 v9, v8, v86
	v_add_f32_e32 v8, v14, v37
	v_fmac_f32_e32 v71, v47, v18
	v_fma_f32 v70, v46, v18, -v19
	v_pk_add_f32 v[8:9], v[8:9], v[68:69]
	s_waitcnt vmcnt(2) lgkmcnt(1)
	v_pk_mul_f32 v[80:81], v[60:61], v[28:29] op_sel:[1,1] op_sel_hi:[0,1]
	v_mov_b32_e32 v82, v31
	v_pk_add_f32 v[8:9], v[8:9], v[70:71]
	v_pk_fma_f32 v[16:17], v[60:61], v[28:29], v[80:81] neg_lo:[0,0,1] neg_hi:[0,0,1]
	v_pk_fma_f32 v[18:19], v[60:61], v[28:29], v[80:81] op_sel_hi:[1,0,1]
	v_pk_mul_f32 v[20:21], v[62:63], v[82:83] op_sel:[1,0] op_sel_hi:[0,0]
	v_pk_add_f32 v[4:5], v[8:9], v[4:5]
	v_mov_b32_e32 v17, v19
	v_pk_fma_f32 v[18:19], v[62:63], v[30:31], v[20:21] neg_lo:[0,0,1] neg_hi:[0,0,1]
	v_pk_add_f32 v[4:5], v[4:5], v[6:7]
	v_pk_fma_f32 v[6:7], v[62:63], v[30:31], v[20:21] op_sel_hi:[1,0,1]
	v_mov_b32_e32 v13, v15
	v_pk_add_f32 v[4:5], v[4:5], v[10:11]
	v_mov_b32_e32 v19, v7
	s_waitcnt vmcnt(1) lgkmcnt(0)
	v_pk_mul_f32 v[6:7], v[64:65], v[48:49] op_sel:[1,1] op_sel_hi:[0,1]
	v_pk_add_f32 v[4:5], v[4:5], v[12:13]
	v_pk_fma_f32 v[8:9], v[64:65], v[48:49], v[6:7] neg_lo:[0,0,1] neg_hi:[0,0,1]
	v_pk_fma_f32 v[6:7], v[64:65], v[48:49], v[6:7] op_sel_hi:[1,0,1]
	v_pk_add_f32 v[4:5], v[4:5], v[16:17]
	v_mov_b32_e32 v6, v51
	v_pk_add_f32 v[4:5], v[4:5], v[18:19]
	v_mov_b32_e32 v9, v7
	v_pk_mul_f32 v[6:7], v[66:67], v[6:7] op_sel:[1,0] op_sel_hi:[0,0]
	v_pk_add_f32 v[4:5], v[4:5], v[8:9]
	v_pk_fma_f32 v[8:9], v[66:67], v[50:51], v[6:7] neg_lo:[0,0,1] neg_hi:[0,0,1]
	v_pk_fma_f32 v[6:7], v[66:67], v[50:51], v[6:7] op_sel_hi:[1,0,1]
	s_nop 0
	v_mov_b32_e32 v9, v7
	v_pk_add_f32 v[4:5], v[4:5], v[8:9]
	s_waitcnt vmcnt(0)
	v_pk_add_f32 v[2:3], v[2:3], v[4:5] neg_lo:[0,1] neg_hi:[0,1]
	scratch_store_dwordx2 off, v[2:3], off offset:176
	s_and_saveexec_b64 s[0:1], vcc
	s_cbranch_execz .LBB38_205
; %bb.204:
	scratch_load_dwordx2 v[2:3], off, off offset:168
	v_mov_b32_e32 v4, 0
	v_mov_b32_e32 v5, v4
	scratch_store_dwordx2 off, v[4:5], off offset:168
	s_waitcnt vmcnt(1)
	ds_write_b64 v1, v[2:3]
.LBB38_205:
	s_or_b64 exec, exec, s[0:1]
	s_waitcnt lgkmcnt(0)
	; wave barrier
	scratch_load_dwordx4 v[4:7], off, off offset:176
	scratch_load_dwordx4 v[8:11], off, off offset:192
	;; [unrolled: 1-line block ×8, first 2 shown]
	scratch_load_dwordx2 v[68:69], off, off offset:304
	scratch_load_dwordx2 v[70:71], off, off offset:168
	v_mov_b32_e32 v2, 0
	ds_read_b128 v[36:39], v2 offset:496
	ds_read_b128 v[40:43], v2 offset:512
	;; [unrolled: 1-line block ×8, first 2 shown]
	ds_read_b64 v[72:73], v2 offset:624
	v_cmp_lt_u32_e32 vcc, 20, v0
	s_waitcnt vmcnt(9) lgkmcnt(8)
	v_mul_f32_e32 v79, v38, v7
	v_mul_f32_e32 v3, v36, v5
	s_waitcnt vmcnt(8) lgkmcnt(7)
	v_mul_f32_e32 v83, v40, v9
	s_waitcnt vmcnt(7) lgkmcnt(6)
	v_mul_f32_e32 v87, v44, v13
	v_mul_f32_e32 v5, v37, v5
	;; [unrolled: 1-line block ×5, first 2 shown]
	s_waitcnt vmcnt(5)
	v_mov_b32_e32 v78, v23
	s_waitcnt vmcnt(3) lgkmcnt(2)
	v_pk_mul_f32 v[84:85], v[60:61], v[28:29] op_sel:[1,1] op_sel_hi:[0,1]
	v_fmac_f32_e32 v79, v39, v6
	v_mul_f32_e32 v86, v42, v11
	v_mul_f32_e32 v89, v48, v17
	;; [unrolled: 1-line block ×4, first 2 shown]
	v_fmac_f32_e32 v3, v37, v4
	v_fmac_f32_e32 v87, v45, v12
	v_fma_f32 v36, v36, v4, -v5
	v_fma_f32 v37, v38, v6, -v7
	;; [unrolled: 1-line block ×4, first 2 shown]
	v_pk_mul_f32 v[4:5], v[54:55], v[78:79] op_sel:[1,0] op_sel_hi:[0,0]
	v_pk_fma_f32 v[12:13], v[60:61], v[28:29], v[84:85] neg_lo:[0,0,1] neg_hi:[0,0,1]
	v_fmac_f32_e32 v89, v49, v16
	v_fma_f32 v39, v42, v10, -v11
	v_fma_f32 v42, v48, v16, -v17
	v_add_f32_e32 v3, 0, v3
	v_add_f32_e32 v13, 0, v36
	v_pk_fma_f32 v[16:17], v[54:55], v[22:23], v[4:5] neg_lo:[0,0,1] neg_hi:[0,0,1]
	v_pk_fma_f32 v[4:5], v[54:55], v[22:23], v[4:5] op_sel_hi:[1,0,1]
	v_fmac_f32_e32 v83, v41, v8
	v_add_f32_e32 v3, v3, v79
	v_add_f32_e32 v4, v13, v37
	v_fmac_f32_e32 v86, v43, v10
	v_add_f32_e32 v3, v3, v83
	v_add_f32_e32 v4, v4, v38
	v_mul_f32_e32 v88, v46, v15
	v_mul_f32_e32 v15, v47, v15
	v_add_f32_e32 v3, v3, v86
	v_add_f32_e32 v4, v4, v39
	v_fmac_f32_e32 v88, v47, v14
	v_fma_f32 v41, v46, v14, -v15
	v_add_f32_e32 v3, v3, v87
	v_add_f32_e32 v4, v4, v40
	v_mul_f32_e32 v75, v50, v19
	v_mul_f32_e32 v19, v51, v19
	v_add_f32_e32 v3, v3, v88
	v_add_f32_e32 v4, v4, v41
	v_mul_f32_e32 v77, v52, v21
	v_mul_f32_e32 v21, v53, v21
	v_fmac_f32_e32 v75, v51, v18
	v_fma_f32 v74, v50, v18, -v19
	v_mov_b32_e32 v17, v5
	v_add_f32_e32 v5, v3, v89
	v_add_f32_e32 v4, v4, v42
	v_pk_mul_f32 v[80:81], v[56:57], v[24:25] op_sel:[1,1] op_sel_hi:[0,1]
	v_fmac_f32_e32 v77, v53, v20
	v_fma_f32 v76, v52, v20, -v21
	v_pk_add_f32 v[4:5], v[4:5], v[74:75]
	v_mov_b32_e32 v82, v27
	v_pk_fma_f32 v[6:7], v[56:57], v[24:25], v[80:81] neg_lo:[0,0,1] neg_hi:[0,0,1]
	v_pk_fma_f32 v[8:9], v[56:57], v[24:25], v[80:81] op_sel_hi:[1,0,1]
	v_pk_add_f32 v[4:5], v[4:5], v[76:77]
	v_pk_mul_f32 v[10:11], v[58:59], v[82:83] op_sel:[1,0] op_sel_hi:[0,0]
	v_mov_b32_e32 v7, v9
	v_pk_add_f32 v[4:5], v[4:5], v[16:17]
	v_pk_fma_f32 v[8:9], v[58:59], v[26:27], v[10:11] neg_lo:[0,0,1] neg_hi:[0,0,1]
	v_pk_fma_f32 v[10:11], v[58:59], v[26:27], v[10:11] op_sel_hi:[1,0,1]
	v_pk_add_f32 v[4:5], v[4:5], v[6:7]
	v_mov_b32_e32 v6, v31
	v_pk_fma_f32 v[14:15], v[60:61], v[28:29], v[84:85] op_sel_hi:[1,0,1]
	v_mov_b32_e32 v9, v11
	v_pk_mul_f32 v[6:7], v[62:63], v[6:7] op_sel:[1,0] op_sel_hi:[0,0]
	v_pk_add_f32 v[4:5], v[4:5], v[8:9]
	v_mov_b32_e32 v13, v15
	v_pk_fma_f32 v[8:9], v[62:63], v[30:31], v[6:7] neg_lo:[0,0,1] neg_hi:[0,0,1]
	v_pk_fma_f32 v[6:7], v[62:63], v[30:31], v[6:7] op_sel_hi:[1,0,1]
	v_pk_add_f32 v[4:5], v[4:5], v[12:13]
	v_mov_b32_e32 v9, v7
	s_waitcnt vmcnt(2) lgkmcnt(1)
	v_pk_mul_f32 v[6:7], v[64:65], v[32:33] op_sel:[1,1] op_sel_hi:[0,1]
	v_pk_add_f32 v[4:5], v[4:5], v[8:9]
	v_pk_fma_f32 v[8:9], v[64:65], v[32:33], v[6:7] neg_lo:[0,0,1] neg_hi:[0,0,1]
	v_pk_fma_f32 v[6:7], v[64:65], v[32:33], v[6:7] op_sel_hi:[1,0,1]
	s_nop 0
	v_mov_b32_e32 v6, v35
	v_mov_b32_e32 v9, v7
	v_pk_mul_f32 v[6:7], v[66:67], v[6:7] op_sel:[1,0] op_sel_hi:[0,0]
	v_pk_add_f32 v[4:5], v[4:5], v[8:9]
	v_pk_fma_f32 v[8:9], v[66:67], v[34:35], v[6:7] neg_lo:[0,0,1] neg_hi:[0,0,1]
	v_pk_fma_f32 v[6:7], v[66:67], v[34:35], v[6:7] op_sel_hi:[1,0,1]
	s_nop 0
	v_mov_b32_e32 v9, v7
	s_waitcnt vmcnt(1) lgkmcnt(0)
	v_pk_mul_f32 v[6:7], v[72:73], v[68:69] op_sel:[1,1] op_sel_hi:[0,1]
	v_pk_add_f32 v[4:5], v[4:5], v[8:9]
	v_pk_fma_f32 v[8:9], v[72:73], v[68:69], v[6:7] neg_lo:[0,0,1] neg_hi:[0,0,1]
	v_pk_fma_f32 v[6:7], v[72:73], v[68:69], v[6:7] op_sel_hi:[1,0,1]
	s_nop 0
	v_mov_b32_e32 v9, v7
	v_pk_add_f32 v[4:5], v[4:5], v[8:9]
	s_waitcnt vmcnt(0)
	v_pk_add_f32 v[4:5], v[70:71], v[4:5] neg_lo:[0,1] neg_hi:[0,1]
	scratch_store_dwordx2 off, v[4:5], off offset:168
	s_and_saveexec_b64 s[0:1], vcc
	s_cbranch_execz .LBB38_207
; %bb.206:
	scratch_load_dwordx2 v[4:5], off, off offset:160
	v_mov_b32_e32 v3, v2
	scratch_store_dwordx2 off, v[2:3], off offset:160
	s_waitcnt vmcnt(1)
	ds_write_b64 v1, v[4:5]
.LBB38_207:
	s_or_b64 exec, exec, s[0:1]
	s_waitcnt lgkmcnt(0)
	; wave barrier
	scratch_load_dwordx4 v[8:11], off, off offset:168
	scratch_load_dwordx4 v[16:19], off, off offset:184
	;; [unrolled: 1-line block ×4, first 2 shown]
	ds_read2_b64 v[4:7], v2 offset0:61 offset1:62
	scratch_load_dwordx4 v[40:43], off, off offset:232
	v_cmp_lt_u32_e32 vcc, 19, v0
	s_waitcnt vmcnt(4) lgkmcnt(0)
	v_mul_f32_e32 v3, v4, v9
	v_fmac_f32_e32 v3, v5, v8
	v_mul_f32_e32 v12, v6, v11
	v_add_f32_e32 v3, 0, v3
	v_fmac_f32_e32 v12, v7, v10
	v_add_f32_e32 v3, v3, v12
	ds_read2_b64 v[12:15], v2 offset0:63 offset1:64
	s_waitcnt vmcnt(3) lgkmcnt(0)
	v_mul_f32_e32 v20, v12, v17
	v_fmac_f32_e32 v20, v13, v16
	v_add_f32_e32 v3, v3, v20
	v_mul_f32_e32 v20, v14, v19
	v_fmac_f32_e32 v20, v15, v18
	v_add_f32_e32 v3, v3, v20
	ds_read2_b64 v[20:23], v2 offset0:65 offset1:66
	s_waitcnt vmcnt(2) lgkmcnt(0)
	v_mul_f32_e32 v28, v20, v25
	v_fmac_f32_e32 v28, v21, v24
	v_add_f32_e32 v3, v3, v28
	v_mul_f32_e32 v28, v22, v27
	;; [unrolled: 8-line block ×3, first 2 shown]
	v_fmac_f32_e32 v36, v31, v34
	v_add_f32_e32 v61, v3, v36
	ds_read2_b64 v[36:39], v2 offset0:69 offset1:70
	scratch_load_dwordx4 v[44:47], off, off offset:248
	scratch_load_dwordx4 v[48:51], off, off offset:264
	scratch_load_dwordx4 v[52:55], off, off offset:280
	scratch_load_dwordx4 v[56:59], off, off offset:296
	v_mul_f32_e32 v3, v5, v9
	v_fma_f32 v3, v4, v8, -v3
	v_mul_f32_e32 v4, v7, v11
	v_add_f32_e32 v3, 0, v3
	v_fma_f32 v4, v6, v10, -v4
	v_add_f32_e32 v3, v3, v4
	v_mul_f32_e32 v4, v13, v17
	v_fma_f32 v4, v12, v16, -v4
	v_add_f32_e32 v3, v3, v4
	v_mul_f32_e32 v4, v15, v19
	;; [unrolled: 3-line block ×6, first 2 shown]
	v_fma_f32 v4, v30, v34, -v4
	v_add_f32_e32 v60, v3, v4
	ds_read2_b64 v[4:7], v2 offset0:71 offset1:72
	ds_read2_b64 v[8:11], v2 offset0:73 offset1:74
	;; [unrolled: 1-line block ×4, first 2 shown]
	s_waitcnt vmcnt(4) lgkmcnt(4)
	v_mul_f32_e32 v63, v36, v41
	v_mul_f32_e32 v3, v37, v41
	v_fmac_f32_e32 v63, v37, v40
	v_mul_f32_e32 v65, v38, v43
	v_fma_f32 v62, v36, v40, -v3
	v_mul_f32_e32 v3, v39, v43
	v_fmac_f32_e32 v65, v39, v42
	v_fma_f32 v64, v38, v42, -v3
	v_pk_add_f32 v[2:3], v[60:61], v[62:63]
	s_waitcnt vmcnt(3) lgkmcnt(3)
	v_pk_mul_f32 v[20:21], v[4:5], v[44:45] op_sel:[1,1] op_sel_hi:[0,1]
	v_pk_fma_f32 v[22:23], v[4:5], v[44:45], v[20:21] neg_lo:[0,0,1] neg_hi:[0,0,1]
	v_pk_fma_f32 v[4:5], v[4:5], v[44:45], v[20:21] op_sel_hi:[1,0,1]
	v_pk_add_f32 v[2:3], v[2:3], v[64:65]
	v_mov_b32_e32 v4, v47
	v_mov_b32_e32 v23, v5
	v_pk_mul_f32 v[4:5], v[6:7], v[4:5] op_sel:[1,0] op_sel_hi:[0,0]
	v_pk_fma_f32 v[20:21], v[6:7], v[46:47], v[4:5] neg_lo:[0,0,1] neg_hi:[0,0,1]
	v_pk_fma_f32 v[4:5], v[6:7], v[46:47], v[4:5] op_sel_hi:[1,0,1]
	v_pk_add_f32 v[2:3], v[2:3], v[22:23]
	v_mov_b32_e32 v21, v5
	s_waitcnt vmcnt(2) lgkmcnt(2)
	v_pk_mul_f32 v[4:5], v[8:9], v[48:49] op_sel:[1,1] op_sel_hi:[0,1]
	v_pk_fma_f32 v[6:7], v[8:9], v[48:49], v[4:5] neg_lo:[0,0,1] neg_hi:[0,0,1]
	v_pk_fma_f32 v[4:5], v[8:9], v[48:49], v[4:5] op_sel_hi:[1,0,1]
	v_pk_add_f32 v[2:3], v[2:3], v[20:21]
	v_mov_b32_e32 v4, v51
	v_mov_b32_e32 v7, v5
	v_pk_mul_f32 v[4:5], v[10:11], v[4:5] op_sel:[1,0] op_sel_hi:[0,0]
	v_pk_add_f32 v[2:3], v[2:3], v[6:7]
	v_pk_fma_f32 v[6:7], v[10:11], v[50:51], v[4:5] neg_lo:[0,0,1] neg_hi:[0,0,1]
	v_pk_fma_f32 v[4:5], v[10:11], v[50:51], v[4:5] op_sel_hi:[1,0,1]
	s_nop 0
	v_mov_b32_e32 v7, v5
	s_waitcnt vmcnt(1) lgkmcnt(1)
	v_pk_mul_f32 v[4:5], v[12:13], v[52:53] op_sel:[1,1] op_sel_hi:[0,1]
	v_pk_add_f32 v[2:3], v[2:3], v[6:7]
	v_pk_fma_f32 v[6:7], v[12:13], v[52:53], v[4:5] neg_lo:[0,0,1] neg_hi:[0,0,1]
	v_pk_fma_f32 v[4:5], v[12:13], v[52:53], v[4:5] op_sel_hi:[1,0,1]
	s_nop 0
	v_mov_b32_e32 v4, v55
	v_mov_b32_e32 v7, v5
	v_pk_mul_f32 v[4:5], v[14:15], v[4:5] op_sel:[1,0] op_sel_hi:[0,0]
	v_pk_add_f32 v[2:3], v[2:3], v[6:7]
	v_pk_fma_f32 v[6:7], v[14:15], v[54:55], v[4:5] neg_lo:[0,0,1] neg_hi:[0,0,1]
	v_pk_fma_f32 v[4:5], v[14:15], v[54:55], v[4:5] op_sel_hi:[1,0,1]
	s_nop 0
	v_mov_b32_e32 v7, v5
	s_waitcnt vmcnt(0) lgkmcnt(0)
	v_pk_mul_f32 v[4:5], v[16:17], v[56:57] op_sel:[1,1] op_sel_hi:[0,1]
	v_pk_add_f32 v[2:3], v[2:3], v[6:7]
	v_pk_fma_f32 v[6:7], v[16:17], v[56:57], v[4:5] neg_lo:[0,0,1] neg_hi:[0,0,1]
	v_pk_fma_f32 v[4:5], v[16:17], v[56:57], v[4:5] op_sel_hi:[1,0,1]
	s_nop 0
	v_mov_b32_e32 v4, v59
	v_mov_b32_e32 v7, v5
	v_pk_mul_f32 v[4:5], v[18:19], v[4:5] op_sel:[1,0] op_sel_hi:[0,0]
	v_pk_add_f32 v[2:3], v[2:3], v[6:7]
	v_pk_fma_f32 v[6:7], v[18:19], v[58:59], v[4:5] neg_lo:[0,0,1] neg_hi:[0,0,1]
	v_pk_fma_f32 v[4:5], v[18:19], v[58:59], v[4:5] op_sel_hi:[1,0,1]
	s_nop 0
	v_mov_b32_e32 v7, v5
	scratch_load_dwordx2 v[4:5], off, off offset:160
	v_pk_add_f32 v[2:3], v[2:3], v[6:7]
	s_waitcnt vmcnt(0)
	v_pk_add_f32 v[2:3], v[4:5], v[2:3] neg_lo:[0,1] neg_hi:[0,1]
	scratch_store_dwordx2 off, v[2:3], off offset:160
	s_and_saveexec_b64 s[0:1], vcc
	s_cbranch_execz .LBB38_209
; %bb.208:
	scratch_load_dwordx2 v[2:3], off, off offset:152
	v_mov_b32_e32 v4, 0
	v_mov_b32_e32 v5, v4
	scratch_store_dwordx2 off, v[4:5], off offset:152
	s_waitcnt vmcnt(1)
	ds_write_b64 v1, v[2:3]
.LBB38_209:
	s_or_b64 exec, exec, s[0:1]
	v_mov_b32_e32 v2, 0
	s_waitcnt lgkmcnt(0)
	; wave barrier
	ds_read_b128 v[4:7], v2 offset:480
	ds_read_b128 v[8:11], v2 offset:496
	ds_read_b128 v[12:15], v2 offset:512
	ds_read_b128 v[16:19], v2 offset:528
	scratch_load_dwordx4 v[20:23], off, off offset:160
	scratch_load_dwordx4 v[40:43], off, off offset:224
	v_cmp_lt_u32_e32 vcc, 18, v0
	scratch_load_dwordx4 v[48:51], off, off offset:240
	s_waitcnt vmcnt(2) lgkmcnt(3)
	v_mul_f32_e32 v3, v4, v21
	v_fmac_f32_e32 v3, v5, v20
	v_mul_f32_e32 v24, v6, v23
	v_add_f32_e32 v3, 0, v3
	v_fmac_f32_e32 v24, v7, v22
	v_add_f32_e32 v3, v3, v24
	scratch_load_dwordx4 v[24:27], off, off offset:176
	s_waitcnt vmcnt(0) lgkmcnt(2)
	v_mul_f32_e32 v28, v8, v25
	v_fmac_f32_e32 v28, v9, v24
	v_add_f32_e32 v3, v3, v28
	v_mul_f32_e32 v28, v10, v27
	v_fmac_f32_e32 v28, v11, v26
	v_add_f32_e32 v3, v3, v28
	scratch_load_dwordx4 v[28:31], off, off offset:192
	s_waitcnt vmcnt(0) lgkmcnt(1)
	v_mul_f32_e32 v32, v12, v29
	v_fmac_f32_e32 v32, v13, v28
	v_add_f32_e32 v3, v3, v32
	v_mul_f32_e32 v32, v14, v31
	;; [unrolled: 8-line block ×3, first 2 shown]
	v_fmac_f32_e32 v36, v19, v34
	v_add_f32_e32 v3, v3, v36
	ds_read_b128 v[36:39], v2 offset:544
	s_waitcnt lgkmcnt(0)
	v_mul_f32_e32 v44, v36, v41
	v_fmac_f32_e32 v44, v37, v40
	v_add_f32_e32 v65, v3, v44
	ds_read_b128 v[44:47], v2 offset:560
	scratch_load_dwordx4 v[52:55], off, off offset:256
	scratch_load_dwordx4 v[56:59], off, off offset:272
	;; [unrolled: 1-line block ×3, first 2 shown]
	scratch_load_dwordx2 v[70:71], off, off offset:304
	v_mul_f32_e32 v3, v5, v21
	v_fma_f32 v3, v4, v20, -v3
	v_mul_f32_e32 v4, v7, v23
	v_add_f32_e32 v3, 0, v3
	v_fma_f32 v4, v6, v22, -v4
	v_add_f32_e32 v3, v3, v4
	v_mul_f32_e32 v4, v9, v25
	v_fma_f32 v4, v8, v24, -v4
	v_add_f32_e32 v3, v3, v4
	v_mul_f32_e32 v4, v11, v27
	;; [unrolled: 3-line block ×7, first 2 shown]
	v_fma_f32 v4, v36, v40, -v4
	v_mul_f32_e32 v67, v38, v43
	v_add_f32_e32 v64, v3, v4
	v_mul_f32_e32 v3, v39, v43
	v_mov_b32_e32 v20, v51
	v_fmac_f32_e32 v67, v39, v42
	s_waitcnt lgkmcnt(0)
	v_mul_f32_e32 v69, v44, v49
	v_fma_f32 v66, v38, v42, -v3
	v_mul_f32_e32 v3, v45, v49
	ds_read_b128 v[4:7], v2 offset:576
	ds_read_b128 v[8:11], v2 offset:592
	;; [unrolled: 1-line block ×3, first 2 shown]
	ds_read_b64 v[16:17], v2 offset:624
	v_pk_mul_f32 v[20:21], v[46:47], v[20:21] op_sel:[1,0] op_sel_hi:[0,0]
	v_fmac_f32_e32 v69, v45, v48
	v_fma_f32 v68, v44, v48, -v3
	v_pk_add_f32 v[18:19], v[64:65], v[66:67]
	v_pk_fma_f32 v[22:23], v[46:47], v[50:51], v[20:21] neg_lo:[0,0,1] neg_hi:[0,0,1]
	v_pk_fma_f32 v[20:21], v[46:47], v[50:51], v[20:21] op_sel_hi:[1,0,1]
	v_pk_add_f32 v[18:19], v[18:19], v[68:69]
	v_mov_b32_e32 v23, v21
	v_pk_add_f32 v[18:19], v[18:19], v[22:23]
	s_waitcnt vmcnt(3) lgkmcnt(3)
	v_pk_mul_f32 v[20:21], v[4:5], v[52:53] op_sel:[1,1] op_sel_hi:[0,1]
	v_pk_fma_f32 v[22:23], v[4:5], v[52:53], v[20:21] neg_lo:[0,0,1] neg_hi:[0,0,1]
	v_pk_fma_f32 v[4:5], v[4:5], v[52:53], v[20:21] op_sel_hi:[1,0,1]
	s_nop 0
	v_mov_b32_e32 v23, v5
	v_pk_add_f32 v[4:5], v[18:19], v[22:23]
	v_mov_b32_e32 v18, v55
	v_pk_mul_f32 v[18:19], v[6:7], v[18:19] op_sel:[1,0] op_sel_hi:[0,0]
	v_pk_fma_f32 v[20:21], v[6:7], v[54:55], v[18:19] neg_lo:[0,0,1] neg_hi:[0,0,1]
	v_pk_fma_f32 v[6:7], v[6:7], v[54:55], v[18:19] op_sel_hi:[1,0,1]
	s_nop 0
	v_mov_b32_e32 v21, v7
	s_waitcnt vmcnt(2) lgkmcnt(2)
	v_pk_mul_f32 v[6:7], v[8:9], v[56:57] op_sel:[1,1] op_sel_hi:[0,1]
	v_pk_fma_f32 v[18:19], v[8:9], v[56:57], v[6:7] neg_lo:[0,0,1] neg_hi:[0,0,1]
	v_pk_fma_f32 v[6:7], v[8:9], v[56:57], v[6:7] op_sel_hi:[1,0,1]
	v_pk_add_f32 v[4:5], v[4:5], v[20:21]
	v_mov_b32_e32 v6, v59
	v_mov_b32_e32 v19, v7
	v_pk_mul_f32 v[6:7], v[10:11], v[6:7] op_sel:[1,0] op_sel_hi:[0,0]
	v_pk_fma_f32 v[8:9], v[10:11], v[58:59], v[6:7] neg_lo:[0,0,1] neg_hi:[0,0,1]
	v_pk_fma_f32 v[6:7], v[10:11], v[58:59], v[6:7] op_sel_hi:[1,0,1]
	v_pk_add_f32 v[4:5], v[4:5], v[18:19]
	v_mov_b32_e32 v9, v7
	s_waitcnt vmcnt(1) lgkmcnt(1)
	v_pk_mul_f32 v[6:7], v[12:13], v[60:61] op_sel:[1,1] op_sel_hi:[0,1]
	v_pk_add_f32 v[4:5], v[4:5], v[8:9]
	v_pk_fma_f32 v[8:9], v[12:13], v[60:61], v[6:7] neg_lo:[0,0,1] neg_hi:[0,0,1]
	v_pk_fma_f32 v[6:7], v[12:13], v[60:61], v[6:7] op_sel_hi:[1,0,1]
	s_nop 0
	v_mov_b32_e32 v6, v63
	v_mov_b32_e32 v9, v7
	v_pk_mul_f32 v[6:7], v[14:15], v[6:7] op_sel:[1,0] op_sel_hi:[0,0]
	v_pk_add_f32 v[4:5], v[4:5], v[8:9]
	v_pk_fma_f32 v[8:9], v[14:15], v[62:63], v[6:7] neg_lo:[0,0,1] neg_hi:[0,0,1]
	v_pk_fma_f32 v[6:7], v[14:15], v[62:63], v[6:7] op_sel_hi:[1,0,1]
	s_nop 0
	v_mov_b32_e32 v9, v7
	s_waitcnt vmcnt(0) lgkmcnt(0)
	v_pk_mul_f32 v[6:7], v[16:17], v[70:71] op_sel:[1,1] op_sel_hi:[0,1]
	v_pk_add_f32 v[4:5], v[4:5], v[8:9]
	v_pk_fma_f32 v[8:9], v[16:17], v[70:71], v[6:7] neg_lo:[0,0,1] neg_hi:[0,0,1]
	v_pk_fma_f32 v[6:7], v[16:17], v[70:71], v[6:7] op_sel_hi:[1,0,1]
	s_nop 0
	v_mov_b32_e32 v9, v7
	scratch_load_dwordx2 v[6:7], off, off offset:152
	v_pk_add_f32 v[4:5], v[4:5], v[8:9]
	s_waitcnt vmcnt(0)
	v_pk_add_f32 v[4:5], v[6:7], v[4:5] neg_lo:[0,1] neg_hi:[0,1]
	scratch_store_dwordx2 off, v[4:5], off offset:152
	s_and_saveexec_b64 s[0:1], vcc
	s_cbranch_execz .LBB38_211
; %bb.210:
	scratch_load_dwordx2 v[4:5], off, off offset:144
	v_mov_b32_e32 v3, v2
	scratch_store_dwordx2 off, v[2:3], off offset:144
	s_waitcnt vmcnt(1)
	ds_write_b64 v1, v[4:5]
.LBB38_211:
	s_or_b64 exec, exec, s[0:1]
	s_waitcnt lgkmcnt(0)
	; wave barrier
	scratch_load_dwordx4 v[8:11], off, off offset:152
	scratch_load_dwordx4 v[16:19], off, off offset:168
	scratch_load_dwordx4 v[24:27], off, off offset:184
	scratch_load_dwordx4 v[32:35], off, off offset:200
	scratch_load_dwordx4 v[40:43], off, off offset:216
	scratch_load_dwordx4 v[48:51], off, off offset:232
	ds_read2_b64 v[4:7], v2 offset0:59 offset1:60
	v_cmp_lt_u32_e32 vcc, 17, v0
	s_waitcnt vmcnt(5) lgkmcnt(0)
	v_mul_f32_e32 v3, v4, v9
	v_fmac_f32_e32 v3, v5, v8
	v_mul_f32_e32 v12, v6, v11
	v_add_f32_e32 v3, 0, v3
	v_fmac_f32_e32 v12, v7, v10
	v_add_f32_e32 v3, v3, v12
	ds_read2_b64 v[12:15], v2 offset0:61 offset1:62
	s_waitcnt vmcnt(4) lgkmcnt(0)
	v_mul_f32_e32 v20, v12, v17
	v_fmac_f32_e32 v20, v13, v16
	v_add_f32_e32 v3, v3, v20
	v_mul_f32_e32 v20, v14, v19
	v_fmac_f32_e32 v20, v15, v18
	v_add_f32_e32 v3, v3, v20
	ds_read2_b64 v[20:23], v2 offset0:63 offset1:64
	s_waitcnt vmcnt(3) lgkmcnt(0)
	v_mul_f32_e32 v28, v20, v25
	v_fmac_f32_e32 v28, v21, v24
	v_add_f32_e32 v3, v3, v28
	v_mul_f32_e32 v28, v22, v27
	;; [unrolled: 8-line block ×4, first 2 shown]
	v_fmac_f32_e32 v44, v39, v42
	v_add_f32_e32 v69, v3, v44
	ds_read2_b64 v[44:47], v2 offset0:69 offset1:70
	scratch_load_dwordx4 v[52:55], off, off offset:248
	scratch_load_dwordx4 v[56:59], off, off offset:264
	;; [unrolled: 1-line block ×4, first 2 shown]
	v_mul_f32_e32 v3, v5, v9
	v_fma_f32 v3, v4, v8, -v3
	v_mul_f32_e32 v4, v7, v11
	v_add_f32_e32 v3, 0, v3
	v_fma_f32 v4, v6, v10, -v4
	v_add_f32_e32 v3, v3, v4
	v_mul_f32_e32 v4, v13, v17
	v_fma_f32 v4, v12, v16, -v4
	v_add_f32_e32 v3, v3, v4
	v_mul_f32_e32 v4, v15, v19
	;; [unrolled: 3-line block ×8, first 2 shown]
	v_fma_f32 v4, v38, v42, -v4
	v_add_f32_e32 v68, v3, v4
	ds_read2_b64 v[4:7], v2 offset0:71 offset1:72
	ds_read2_b64 v[8:11], v2 offset0:73 offset1:74
	;; [unrolled: 1-line block ×4, first 2 shown]
	s_waitcnt vmcnt(4) lgkmcnt(4)
	v_mul_f32_e32 v71, v44, v49
	v_mul_f32_e32 v3, v45, v49
	v_fmac_f32_e32 v71, v45, v48
	v_mul_f32_e32 v73, v46, v51
	v_fma_f32 v70, v44, v48, -v3
	v_mul_f32_e32 v3, v47, v51
	v_fmac_f32_e32 v73, v47, v50
	v_fma_f32 v72, v46, v50, -v3
	v_pk_add_f32 v[2:3], v[68:69], v[70:71]
	s_waitcnt vmcnt(3) lgkmcnt(3)
	v_pk_mul_f32 v[20:21], v[4:5], v[52:53] op_sel:[1,1] op_sel_hi:[0,1]
	v_pk_fma_f32 v[22:23], v[4:5], v[52:53], v[20:21] neg_lo:[0,0,1] neg_hi:[0,0,1]
	v_pk_fma_f32 v[4:5], v[4:5], v[52:53], v[20:21] op_sel_hi:[1,0,1]
	v_pk_add_f32 v[2:3], v[2:3], v[72:73]
	v_mov_b32_e32 v4, v55
	v_mov_b32_e32 v23, v5
	v_pk_mul_f32 v[4:5], v[6:7], v[4:5] op_sel:[1,0] op_sel_hi:[0,0]
	v_pk_fma_f32 v[20:21], v[6:7], v[54:55], v[4:5] neg_lo:[0,0,1] neg_hi:[0,0,1]
	v_pk_fma_f32 v[4:5], v[6:7], v[54:55], v[4:5] op_sel_hi:[1,0,1]
	v_pk_add_f32 v[2:3], v[2:3], v[22:23]
	v_mov_b32_e32 v21, v5
	s_waitcnt vmcnt(2) lgkmcnt(2)
	v_pk_mul_f32 v[4:5], v[8:9], v[56:57] op_sel:[1,1] op_sel_hi:[0,1]
	v_pk_fma_f32 v[6:7], v[8:9], v[56:57], v[4:5] neg_lo:[0,0,1] neg_hi:[0,0,1]
	v_pk_fma_f32 v[4:5], v[8:9], v[56:57], v[4:5] op_sel_hi:[1,0,1]
	v_pk_add_f32 v[2:3], v[2:3], v[20:21]
	v_mov_b32_e32 v4, v59
	v_mov_b32_e32 v7, v5
	v_pk_mul_f32 v[4:5], v[10:11], v[4:5] op_sel:[1,0] op_sel_hi:[0,0]
	v_pk_add_f32 v[2:3], v[2:3], v[6:7]
	v_pk_fma_f32 v[6:7], v[10:11], v[58:59], v[4:5] neg_lo:[0,0,1] neg_hi:[0,0,1]
	v_pk_fma_f32 v[4:5], v[10:11], v[58:59], v[4:5] op_sel_hi:[1,0,1]
	s_nop 0
	v_mov_b32_e32 v7, v5
	s_waitcnt vmcnt(1) lgkmcnt(1)
	v_pk_mul_f32 v[4:5], v[12:13], v[60:61] op_sel:[1,1] op_sel_hi:[0,1]
	v_pk_add_f32 v[2:3], v[2:3], v[6:7]
	v_pk_fma_f32 v[6:7], v[12:13], v[60:61], v[4:5] neg_lo:[0,0,1] neg_hi:[0,0,1]
	v_pk_fma_f32 v[4:5], v[12:13], v[60:61], v[4:5] op_sel_hi:[1,0,1]
	s_nop 0
	v_mov_b32_e32 v4, v63
	v_mov_b32_e32 v7, v5
	v_pk_mul_f32 v[4:5], v[14:15], v[4:5] op_sel:[1,0] op_sel_hi:[0,0]
	v_pk_add_f32 v[2:3], v[2:3], v[6:7]
	v_pk_fma_f32 v[6:7], v[14:15], v[62:63], v[4:5] neg_lo:[0,0,1] neg_hi:[0,0,1]
	v_pk_fma_f32 v[4:5], v[14:15], v[62:63], v[4:5] op_sel_hi:[1,0,1]
	s_nop 0
	v_mov_b32_e32 v7, v5
	s_waitcnt vmcnt(0) lgkmcnt(0)
	v_pk_mul_f32 v[4:5], v[16:17], v[64:65] op_sel:[1,1] op_sel_hi:[0,1]
	v_pk_add_f32 v[2:3], v[2:3], v[6:7]
	v_pk_fma_f32 v[6:7], v[16:17], v[64:65], v[4:5] neg_lo:[0,0,1] neg_hi:[0,0,1]
	v_pk_fma_f32 v[4:5], v[16:17], v[64:65], v[4:5] op_sel_hi:[1,0,1]
	s_nop 0
	v_mov_b32_e32 v4, v67
	v_mov_b32_e32 v7, v5
	v_pk_mul_f32 v[4:5], v[18:19], v[4:5] op_sel:[1,0] op_sel_hi:[0,0]
	v_pk_add_f32 v[2:3], v[2:3], v[6:7]
	v_pk_fma_f32 v[6:7], v[18:19], v[66:67], v[4:5] neg_lo:[0,0,1] neg_hi:[0,0,1]
	v_pk_fma_f32 v[4:5], v[18:19], v[66:67], v[4:5] op_sel_hi:[1,0,1]
	s_nop 0
	v_mov_b32_e32 v7, v5
	scratch_load_dwordx2 v[4:5], off, off offset:144
	v_pk_add_f32 v[2:3], v[2:3], v[6:7]
	s_waitcnt vmcnt(0)
	v_pk_add_f32 v[2:3], v[4:5], v[2:3] neg_lo:[0,1] neg_hi:[0,1]
	scratch_store_dwordx2 off, v[2:3], off offset:144
	s_and_saveexec_b64 s[0:1], vcc
	s_cbranch_execz .LBB38_213
; %bb.212:
	scratch_load_dwordx2 v[2:3], off, off offset:136
	v_mov_b32_e32 v4, 0
	v_mov_b32_e32 v5, v4
	scratch_store_dwordx2 off, v[4:5], off offset:136
	s_waitcnt vmcnt(1)
	ds_write_b64 v1, v[2:3]
.LBB38_213:
	s_or_b64 exec, exec, s[0:1]
	v_mov_b32_e32 v2, 0
	s_waitcnt lgkmcnt(0)
	; wave barrier
	ds_read_b128 v[4:7], v2 offset:464
	ds_read_b128 v[8:11], v2 offset:480
	;; [unrolled: 1-line block ×4, first 2 shown]
	scratch_load_dwordx4 v[20:23], off, off offset:144
	scratch_load_dwordx4 v[40:43], off, off offset:208
	v_cmp_lt_u32_e32 vcc, 16, v0
	scratch_load_dwordx4 v[48:51], off, off offset:224
	scratch_load_dwordx4 v[56:59], off, off offset:240
	s_waitcnt vmcnt(3) lgkmcnt(3)
	v_mul_f32_e32 v3, v4, v21
	v_fmac_f32_e32 v3, v5, v20
	v_mul_f32_e32 v24, v6, v23
	v_add_f32_e32 v3, 0, v3
	v_fmac_f32_e32 v24, v7, v22
	v_add_f32_e32 v3, v3, v24
	scratch_load_dwordx4 v[24:27], off, off offset:160
	s_waitcnt vmcnt(0) lgkmcnt(2)
	v_mul_f32_e32 v28, v8, v25
	v_fmac_f32_e32 v28, v9, v24
	v_add_f32_e32 v3, v3, v28
	v_mul_f32_e32 v28, v10, v27
	v_fmac_f32_e32 v28, v11, v26
	v_add_f32_e32 v3, v3, v28
	scratch_load_dwordx4 v[28:31], off, off offset:176
	s_waitcnt vmcnt(0) lgkmcnt(1)
	v_mul_f32_e32 v32, v12, v29
	v_fmac_f32_e32 v32, v13, v28
	v_add_f32_e32 v3, v3, v32
	v_mul_f32_e32 v32, v14, v31
	;; [unrolled: 8-line block ×3, first 2 shown]
	v_fmac_f32_e32 v36, v19, v34
	v_add_f32_e32 v3, v3, v36
	ds_read_b128 v[36:39], v2 offset:528
	s_waitcnt lgkmcnt(0)
	v_mul_f32_e32 v44, v36, v41
	v_fmac_f32_e32 v44, v37, v40
	v_add_f32_e32 v3, v3, v44
	v_mul_f32_e32 v44, v38, v43
	v_fmac_f32_e32 v44, v39, v42
	v_add_f32_e32 v3, v3, v44
	ds_read_b128 v[44:47], v2 offset:544
	s_waitcnt lgkmcnt(0)
	v_mul_f32_e32 v52, v44, v49
	v_fmac_f32_e32 v52, v45, v48
	v_add_f32_e32 v73, v3, v52
	ds_read_b128 v[52:55], v2 offset:560
	scratch_load_dwordx4 v[60:63], off, off offset:256
	scratch_load_dwordx4 v[64:67], off, off offset:272
	;; [unrolled: 1-line block ×3, first 2 shown]
	scratch_load_dwordx2 v[78:79], off, off offset:304
	v_mul_f32_e32 v3, v5, v21
	v_fma_f32 v3, v4, v20, -v3
	v_mul_f32_e32 v4, v7, v23
	v_add_f32_e32 v3, 0, v3
	v_fma_f32 v4, v6, v22, -v4
	v_add_f32_e32 v3, v3, v4
	v_mul_f32_e32 v4, v9, v25
	v_fma_f32 v4, v8, v24, -v4
	v_add_f32_e32 v3, v3, v4
	v_mul_f32_e32 v4, v11, v27
	;; [unrolled: 3-line block ×9, first 2 shown]
	v_fma_f32 v4, v44, v48, -v4
	v_mul_f32_e32 v75, v46, v51
	v_add_f32_e32 v72, v3, v4
	v_mul_f32_e32 v3, v47, v51
	v_mov_b32_e32 v20, v59
	v_fmac_f32_e32 v75, v47, v50
	s_waitcnt lgkmcnt(0)
	v_mul_f32_e32 v77, v52, v57
	v_fma_f32 v74, v46, v50, -v3
	v_mul_f32_e32 v3, v53, v57
	ds_read_b128 v[4:7], v2 offset:576
	ds_read_b128 v[8:11], v2 offset:592
	;; [unrolled: 1-line block ×3, first 2 shown]
	ds_read_b64 v[16:17], v2 offset:624
	v_pk_mul_f32 v[20:21], v[54:55], v[20:21] op_sel:[1,0] op_sel_hi:[0,0]
	v_fmac_f32_e32 v77, v53, v56
	v_fma_f32 v76, v52, v56, -v3
	v_pk_add_f32 v[18:19], v[72:73], v[74:75]
	v_pk_fma_f32 v[22:23], v[54:55], v[58:59], v[20:21] neg_lo:[0,0,1] neg_hi:[0,0,1]
	v_pk_fma_f32 v[20:21], v[54:55], v[58:59], v[20:21] op_sel_hi:[1,0,1]
	v_pk_add_f32 v[18:19], v[18:19], v[76:77]
	v_mov_b32_e32 v23, v21
	v_pk_add_f32 v[18:19], v[18:19], v[22:23]
	s_waitcnt vmcnt(3) lgkmcnt(3)
	v_pk_mul_f32 v[20:21], v[4:5], v[60:61] op_sel:[1,1] op_sel_hi:[0,1]
	v_pk_fma_f32 v[22:23], v[4:5], v[60:61], v[20:21] neg_lo:[0,0,1] neg_hi:[0,0,1]
	v_pk_fma_f32 v[4:5], v[4:5], v[60:61], v[20:21] op_sel_hi:[1,0,1]
	s_nop 0
	v_mov_b32_e32 v23, v5
	v_pk_add_f32 v[4:5], v[18:19], v[22:23]
	v_mov_b32_e32 v18, v63
	v_pk_mul_f32 v[18:19], v[6:7], v[18:19] op_sel:[1,0] op_sel_hi:[0,0]
	v_pk_fma_f32 v[20:21], v[6:7], v[62:63], v[18:19] neg_lo:[0,0,1] neg_hi:[0,0,1]
	v_pk_fma_f32 v[6:7], v[6:7], v[62:63], v[18:19] op_sel_hi:[1,0,1]
	s_nop 0
	v_mov_b32_e32 v21, v7
	s_waitcnt vmcnt(2) lgkmcnt(2)
	v_pk_mul_f32 v[6:7], v[8:9], v[64:65] op_sel:[1,1] op_sel_hi:[0,1]
	v_pk_fma_f32 v[18:19], v[8:9], v[64:65], v[6:7] neg_lo:[0,0,1] neg_hi:[0,0,1]
	v_pk_fma_f32 v[6:7], v[8:9], v[64:65], v[6:7] op_sel_hi:[1,0,1]
	v_pk_add_f32 v[4:5], v[4:5], v[20:21]
	v_mov_b32_e32 v6, v67
	v_mov_b32_e32 v19, v7
	v_pk_mul_f32 v[6:7], v[10:11], v[6:7] op_sel:[1,0] op_sel_hi:[0,0]
	v_pk_fma_f32 v[8:9], v[10:11], v[66:67], v[6:7] neg_lo:[0,0,1] neg_hi:[0,0,1]
	v_pk_fma_f32 v[6:7], v[10:11], v[66:67], v[6:7] op_sel_hi:[1,0,1]
	v_pk_add_f32 v[4:5], v[4:5], v[18:19]
	v_mov_b32_e32 v9, v7
	s_waitcnt vmcnt(1) lgkmcnt(1)
	v_pk_mul_f32 v[6:7], v[12:13], v[68:69] op_sel:[1,1] op_sel_hi:[0,1]
	v_pk_add_f32 v[4:5], v[4:5], v[8:9]
	v_pk_fma_f32 v[8:9], v[12:13], v[68:69], v[6:7] neg_lo:[0,0,1] neg_hi:[0,0,1]
	v_pk_fma_f32 v[6:7], v[12:13], v[68:69], v[6:7] op_sel_hi:[1,0,1]
	s_nop 0
	v_mov_b32_e32 v6, v71
	v_mov_b32_e32 v9, v7
	v_pk_mul_f32 v[6:7], v[14:15], v[6:7] op_sel:[1,0] op_sel_hi:[0,0]
	v_pk_add_f32 v[4:5], v[4:5], v[8:9]
	v_pk_fma_f32 v[8:9], v[14:15], v[70:71], v[6:7] neg_lo:[0,0,1] neg_hi:[0,0,1]
	v_pk_fma_f32 v[6:7], v[14:15], v[70:71], v[6:7] op_sel_hi:[1,0,1]
	s_nop 0
	v_mov_b32_e32 v9, v7
	s_waitcnt vmcnt(0) lgkmcnt(0)
	v_pk_mul_f32 v[6:7], v[16:17], v[78:79] op_sel:[1,1] op_sel_hi:[0,1]
	v_pk_add_f32 v[4:5], v[4:5], v[8:9]
	v_pk_fma_f32 v[8:9], v[16:17], v[78:79], v[6:7] neg_lo:[0,0,1] neg_hi:[0,0,1]
	v_pk_fma_f32 v[6:7], v[16:17], v[78:79], v[6:7] op_sel_hi:[1,0,1]
	s_nop 0
	v_mov_b32_e32 v9, v7
	scratch_load_dwordx2 v[6:7], off, off offset:136
	v_pk_add_f32 v[4:5], v[4:5], v[8:9]
	s_waitcnt vmcnt(0)
	v_pk_add_f32 v[4:5], v[6:7], v[4:5] neg_lo:[0,1] neg_hi:[0,1]
	scratch_store_dwordx2 off, v[4:5], off offset:136
	s_and_saveexec_b64 s[0:1], vcc
	s_cbranch_execz .LBB38_215
; %bb.214:
	scratch_load_dwordx2 v[4:5], off, off offset:128
	v_mov_b32_e32 v3, v2
	scratch_store_dwordx2 off, v[2:3], off offset:128
	s_waitcnt vmcnt(1)
	ds_write_b64 v1, v[4:5]
.LBB38_215:
	s_or_b64 exec, exec, s[0:1]
	s_waitcnt lgkmcnt(0)
	; wave barrier
	scratch_load_dwordx4 v[8:11], off, off offset:136
	scratch_load_dwordx4 v[16:19], off, off offset:152
	;; [unrolled: 1-line block ×6, first 2 shown]
	ds_read2_b64 v[4:7], v2 offset0:57 offset1:58
	scratch_load_dwordx4 v[56:59], off, off offset:232
	v_cmp_lt_u32_e32 vcc, 15, v0
	s_waitcnt vmcnt(6) lgkmcnt(0)
	v_mul_f32_e32 v3, v4, v9
	v_fmac_f32_e32 v3, v5, v8
	v_mul_f32_e32 v12, v6, v11
	v_add_f32_e32 v3, 0, v3
	v_fmac_f32_e32 v12, v7, v10
	v_add_f32_e32 v3, v3, v12
	ds_read2_b64 v[12:15], v2 offset0:59 offset1:60
	s_waitcnt vmcnt(5) lgkmcnt(0)
	v_mul_f32_e32 v20, v12, v17
	v_fmac_f32_e32 v20, v13, v16
	v_add_f32_e32 v3, v3, v20
	v_mul_f32_e32 v20, v14, v19
	v_fmac_f32_e32 v20, v15, v18
	v_add_f32_e32 v3, v3, v20
	ds_read2_b64 v[20:23], v2 offset0:61 offset1:62
	s_waitcnt vmcnt(4) lgkmcnt(0)
	v_mul_f32_e32 v28, v20, v25
	v_fmac_f32_e32 v28, v21, v24
	v_add_f32_e32 v3, v3, v28
	v_mul_f32_e32 v28, v22, v27
	;; [unrolled: 8-line block ×5, first 2 shown]
	v_fmac_f32_e32 v52, v47, v50
	v_add_f32_e32 v77, v3, v52
	ds_read2_b64 v[52:55], v2 offset0:69 offset1:70
	scratch_load_dwordx4 v[60:63], off, off offset:248
	scratch_load_dwordx4 v[64:67], off, off offset:264
	;; [unrolled: 1-line block ×4, first 2 shown]
	v_mul_f32_e32 v3, v5, v9
	v_fma_f32 v3, v4, v8, -v3
	v_mul_f32_e32 v4, v7, v11
	v_add_f32_e32 v3, 0, v3
	v_fma_f32 v4, v6, v10, -v4
	v_add_f32_e32 v3, v3, v4
	v_mul_f32_e32 v4, v13, v17
	v_fma_f32 v4, v12, v16, -v4
	v_add_f32_e32 v3, v3, v4
	v_mul_f32_e32 v4, v15, v19
	;; [unrolled: 3-line block ×10, first 2 shown]
	v_fma_f32 v4, v46, v50, -v4
	v_add_f32_e32 v76, v3, v4
	ds_read2_b64 v[4:7], v2 offset0:71 offset1:72
	ds_read2_b64 v[8:11], v2 offset0:73 offset1:74
	;; [unrolled: 1-line block ×4, first 2 shown]
	s_waitcnt vmcnt(4) lgkmcnt(4)
	v_mul_f32_e32 v79, v52, v57
	v_mul_f32_e32 v3, v53, v57
	v_fmac_f32_e32 v79, v53, v56
	v_mul_f32_e32 v81, v54, v59
	v_fma_f32 v78, v52, v56, -v3
	v_mul_f32_e32 v3, v55, v59
	v_fmac_f32_e32 v81, v55, v58
	v_fma_f32 v80, v54, v58, -v3
	v_pk_add_f32 v[2:3], v[76:77], v[78:79]
	s_waitcnt vmcnt(3) lgkmcnt(3)
	v_pk_mul_f32 v[20:21], v[4:5], v[60:61] op_sel:[1,1] op_sel_hi:[0,1]
	v_pk_fma_f32 v[22:23], v[4:5], v[60:61], v[20:21] neg_lo:[0,0,1] neg_hi:[0,0,1]
	v_pk_fma_f32 v[4:5], v[4:5], v[60:61], v[20:21] op_sel_hi:[1,0,1]
	v_pk_add_f32 v[2:3], v[2:3], v[80:81]
	v_mov_b32_e32 v4, v63
	v_mov_b32_e32 v23, v5
	v_pk_mul_f32 v[4:5], v[6:7], v[4:5] op_sel:[1,0] op_sel_hi:[0,0]
	v_pk_fma_f32 v[20:21], v[6:7], v[62:63], v[4:5] neg_lo:[0,0,1] neg_hi:[0,0,1]
	v_pk_fma_f32 v[4:5], v[6:7], v[62:63], v[4:5] op_sel_hi:[1,0,1]
	v_pk_add_f32 v[2:3], v[2:3], v[22:23]
	v_mov_b32_e32 v21, v5
	s_waitcnt vmcnt(2) lgkmcnt(2)
	v_pk_mul_f32 v[4:5], v[8:9], v[64:65] op_sel:[1,1] op_sel_hi:[0,1]
	v_pk_fma_f32 v[6:7], v[8:9], v[64:65], v[4:5] neg_lo:[0,0,1] neg_hi:[0,0,1]
	v_pk_fma_f32 v[4:5], v[8:9], v[64:65], v[4:5] op_sel_hi:[1,0,1]
	v_pk_add_f32 v[2:3], v[2:3], v[20:21]
	v_mov_b32_e32 v4, v67
	v_mov_b32_e32 v7, v5
	v_pk_mul_f32 v[4:5], v[10:11], v[4:5] op_sel:[1,0] op_sel_hi:[0,0]
	v_pk_add_f32 v[2:3], v[2:3], v[6:7]
	v_pk_fma_f32 v[6:7], v[10:11], v[66:67], v[4:5] neg_lo:[0,0,1] neg_hi:[0,0,1]
	v_pk_fma_f32 v[4:5], v[10:11], v[66:67], v[4:5] op_sel_hi:[1,0,1]
	s_nop 0
	v_mov_b32_e32 v7, v5
	s_waitcnt vmcnt(1) lgkmcnt(1)
	v_pk_mul_f32 v[4:5], v[12:13], v[68:69] op_sel:[1,1] op_sel_hi:[0,1]
	v_pk_add_f32 v[2:3], v[2:3], v[6:7]
	v_pk_fma_f32 v[6:7], v[12:13], v[68:69], v[4:5] neg_lo:[0,0,1] neg_hi:[0,0,1]
	v_pk_fma_f32 v[4:5], v[12:13], v[68:69], v[4:5] op_sel_hi:[1,0,1]
	s_nop 0
	v_mov_b32_e32 v4, v71
	v_mov_b32_e32 v7, v5
	v_pk_mul_f32 v[4:5], v[14:15], v[4:5] op_sel:[1,0] op_sel_hi:[0,0]
	v_pk_add_f32 v[2:3], v[2:3], v[6:7]
	v_pk_fma_f32 v[6:7], v[14:15], v[70:71], v[4:5] neg_lo:[0,0,1] neg_hi:[0,0,1]
	v_pk_fma_f32 v[4:5], v[14:15], v[70:71], v[4:5] op_sel_hi:[1,0,1]
	s_nop 0
	v_mov_b32_e32 v7, v5
	s_waitcnt vmcnt(0) lgkmcnt(0)
	v_pk_mul_f32 v[4:5], v[16:17], v[72:73] op_sel:[1,1] op_sel_hi:[0,1]
	v_pk_add_f32 v[2:3], v[2:3], v[6:7]
	v_pk_fma_f32 v[6:7], v[16:17], v[72:73], v[4:5] neg_lo:[0,0,1] neg_hi:[0,0,1]
	v_pk_fma_f32 v[4:5], v[16:17], v[72:73], v[4:5] op_sel_hi:[1,0,1]
	s_nop 0
	v_mov_b32_e32 v4, v75
	v_mov_b32_e32 v7, v5
	v_pk_mul_f32 v[4:5], v[18:19], v[4:5] op_sel:[1,0] op_sel_hi:[0,0]
	v_pk_add_f32 v[2:3], v[2:3], v[6:7]
	v_pk_fma_f32 v[6:7], v[18:19], v[74:75], v[4:5] neg_lo:[0,0,1] neg_hi:[0,0,1]
	v_pk_fma_f32 v[4:5], v[18:19], v[74:75], v[4:5] op_sel_hi:[1,0,1]
	s_nop 0
	v_mov_b32_e32 v7, v5
	scratch_load_dwordx2 v[4:5], off, off offset:128
	v_pk_add_f32 v[2:3], v[2:3], v[6:7]
	s_waitcnt vmcnt(0)
	v_pk_add_f32 v[2:3], v[4:5], v[2:3] neg_lo:[0,1] neg_hi:[0,1]
	scratch_store_dwordx2 off, v[2:3], off offset:128
	s_and_saveexec_b64 s[0:1], vcc
	s_cbranch_execz .LBB38_217
; %bb.216:
	scratch_load_dwordx2 v[2:3], off, off offset:120
	v_mov_b32_e32 v4, 0
	v_mov_b32_e32 v5, v4
	scratch_store_dwordx2 off, v[4:5], off offset:120
	s_waitcnt vmcnt(1)
	ds_write_b64 v1, v[2:3]
.LBB38_217:
	s_or_b64 exec, exec, s[0:1]
	v_mov_b32_e32 v2, 0
	s_waitcnt lgkmcnt(0)
	; wave barrier
	ds_read_b128 v[4:7], v2 offset:448
	ds_read_b128 v[8:11], v2 offset:464
	ds_read_b128 v[12:15], v2 offset:480
	ds_read_b128 v[16:19], v2 offset:496
	scratch_load_dwordx4 v[20:23], off, off offset:128
	scratch_load_dwordx4 v[40:43], off, off offset:192
	v_cmp_lt_u32_e32 vcc, 14, v0
	scratch_load_dwordx4 v[48:51], off, off offset:208
	scratch_load_dwordx4 v[56:59], off, off offset:224
	;; [unrolled: 1-line block ×3, first 2 shown]
	s_waitcnt vmcnt(4) lgkmcnt(3)
	v_mul_f32_e32 v3, v4, v21
	v_fmac_f32_e32 v3, v5, v20
	v_mul_f32_e32 v24, v6, v23
	v_add_f32_e32 v3, 0, v3
	v_fmac_f32_e32 v24, v7, v22
	v_add_f32_e32 v3, v3, v24
	scratch_load_dwordx4 v[24:27], off, off offset:144
	s_waitcnt vmcnt(0) lgkmcnt(2)
	v_mul_f32_e32 v28, v8, v25
	v_fmac_f32_e32 v28, v9, v24
	v_add_f32_e32 v3, v3, v28
	v_mul_f32_e32 v28, v10, v27
	v_fmac_f32_e32 v28, v11, v26
	v_add_f32_e32 v3, v3, v28
	scratch_load_dwordx4 v[28:31], off, off offset:160
	s_waitcnt vmcnt(0) lgkmcnt(1)
	v_mul_f32_e32 v32, v12, v29
	v_fmac_f32_e32 v32, v13, v28
	v_add_f32_e32 v3, v3, v32
	v_mul_f32_e32 v32, v14, v31
	;; [unrolled: 8-line block ×3, first 2 shown]
	v_fmac_f32_e32 v36, v19, v34
	v_add_f32_e32 v3, v3, v36
	ds_read_b128 v[36:39], v2 offset:512
	s_waitcnt lgkmcnt(0)
	v_mul_f32_e32 v44, v36, v41
	v_fmac_f32_e32 v44, v37, v40
	v_add_f32_e32 v3, v3, v44
	v_mul_f32_e32 v44, v38, v43
	v_fmac_f32_e32 v44, v39, v42
	v_add_f32_e32 v3, v3, v44
	ds_read_b128 v[44:47], v2 offset:528
	s_waitcnt lgkmcnt(0)
	v_mul_f32_e32 v52, v44, v49
	v_fmac_f32_e32 v52, v45, v48
	v_add_f32_e32 v3, v3, v52
	v_mul_f32_e32 v52, v46, v51
	v_fmac_f32_e32 v52, v47, v50
	v_add_f32_e32 v3, v3, v52
	ds_read_b128 v[52:55], v2 offset:544
	s_waitcnt lgkmcnt(0)
	v_mul_f32_e32 v60, v52, v57
	v_fmac_f32_e32 v60, v53, v56
	v_add_f32_e32 v81, v3, v60
	ds_read_b128 v[60:63], v2 offset:560
	scratch_load_dwordx4 v[68:71], off, off offset:256
	scratch_load_dwordx4 v[72:75], off, off offset:272
	;; [unrolled: 1-line block ×3, first 2 shown]
	scratch_load_dwordx2 v[86:87], off, off offset:304
	v_mul_f32_e32 v3, v5, v21
	v_fma_f32 v3, v4, v20, -v3
	v_mul_f32_e32 v4, v7, v23
	v_add_f32_e32 v3, 0, v3
	v_fma_f32 v4, v6, v22, -v4
	v_add_f32_e32 v3, v3, v4
	v_mul_f32_e32 v4, v9, v25
	v_fma_f32 v4, v8, v24, -v4
	v_add_f32_e32 v3, v3, v4
	v_mul_f32_e32 v4, v11, v27
	;; [unrolled: 3-line block ×11, first 2 shown]
	v_fma_f32 v4, v52, v56, -v4
	v_mul_f32_e32 v83, v54, v59
	v_add_f32_e32 v80, v3, v4
	v_mul_f32_e32 v3, v55, v59
	v_mov_b32_e32 v20, v67
	v_fmac_f32_e32 v83, v55, v58
	s_waitcnt lgkmcnt(0)
	v_mul_f32_e32 v85, v60, v65
	v_fma_f32 v82, v54, v58, -v3
	v_mul_f32_e32 v3, v61, v65
	ds_read_b128 v[4:7], v2 offset:576
	ds_read_b128 v[8:11], v2 offset:592
	;; [unrolled: 1-line block ×3, first 2 shown]
	ds_read_b64 v[16:17], v2 offset:624
	v_pk_mul_f32 v[20:21], v[62:63], v[20:21] op_sel:[1,0] op_sel_hi:[0,0]
	v_fmac_f32_e32 v85, v61, v64
	v_fma_f32 v84, v60, v64, -v3
	v_pk_add_f32 v[18:19], v[80:81], v[82:83]
	v_pk_fma_f32 v[22:23], v[62:63], v[66:67], v[20:21] neg_lo:[0,0,1] neg_hi:[0,0,1]
	v_pk_fma_f32 v[20:21], v[62:63], v[66:67], v[20:21] op_sel_hi:[1,0,1]
	v_pk_add_f32 v[18:19], v[18:19], v[84:85]
	v_mov_b32_e32 v23, v21
	v_pk_add_f32 v[18:19], v[18:19], v[22:23]
	s_waitcnt vmcnt(3) lgkmcnt(3)
	v_pk_mul_f32 v[20:21], v[4:5], v[68:69] op_sel:[1,1] op_sel_hi:[0,1]
	v_pk_fma_f32 v[22:23], v[4:5], v[68:69], v[20:21] neg_lo:[0,0,1] neg_hi:[0,0,1]
	v_pk_fma_f32 v[4:5], v[4:5], v[68:69], v[20:21] op_sel_hi:[1,0,1]
	s_nop 0
	v_mov_b32_e32 v23, v5
	v_pk_add_f32 v[4:5], v[18:19], v[22:23]
	v_mov_b32_e32 v18, v71
	v_pk_mul_f32 v[18:19], v[6:7], v[18:19] op_sel:[1,0] op_sel_hi:[0,0]
	v_pk_fma_f32 v[20:21], v[6:7], v[70:71], v[18:19] neg_lo:[0,0,1] neg_hi:[0,0,1]
	v_pk_fma_f32 v[6:7], v[6:7], v[70:71], v[18:19] op_sel_hi:[1,0,1]
	s_nop 0
	v_mov_b32_e32 v21, v7
	s_waitcnt vmcnt(2) lgkmcnt(2)
	v_pk_mul_f32 v[6:7], v[8:9], v[72:73] op_sel:[1,1] op_sel_hi:[0,1]
	v_pk_fma_f32 v[18:19], v[8:9], v[72:73], v[6:7] neg_lo:[0,0,1] neg_hi:[0,0,1]
	v_pk_fma_f32 v[6:7], v[8:9], v[72:73], v[6:7] op_sel_hi:[1,0,1]
	v_pk_add_f32 v[4:5], v[4:5], v[20:21]
	v_mov_b32_e32 v6, v75
	v_mov_b32_e32 v19, v7
	v_pk_mul_f32 v[6:7], v[10:11], v[6:7] op_sel:[1,0] op_sel_hi:[0,0]
	v_pk_fma_f32 v[8:9], v[10:11], v[74:75], v[6:7] neg_lo:[0,0,1] neg_hi:[0,0,1]
	v_pk_fma_f32 v[6:7], v[10:11], v[74:75], v[6:7] op_sel_hi:[1,0,1]
	v_pk_add_f32 v[4:5], v[4:5], v[18:19]
	v_mov_b32_e32 v9, v7
	s_waitcnt vmcnt(1) lgkmcnt(1)
	v_pk_mul_f32 v[6:7], v[12:13], v[76:77] op_sel:[1,1] op_sel_hi:[0,1]
	v_pk_add_f32 v[4:5], v[4:5], v[8:9]
	v_pk_fma_f32 v[8:9], v[12:13], v[76:77], v[6:7] neg_lo:[0,0,1] neg_hi:[0,0,1]
	v_pk_fma_f32 v[6:7], v[12:13], v[76:77], v[6:7] op_sel_hi:[1,0,1]
	s_nop 0
	v_mov_b32_e32 v6, v79
	v_mov_b32_e32 v9, v7
	v_pk_mul_f32 v[6:7], v[14:15], v[6:7] op_sel:[1,0] op_sel_hi:[0,0]
	v_pk_add_f32 v[4:5], v[4:5], v[8:9]
	v_pk_fma_f32 v[8:9], v[14:15], v[78:79], v[6:7] neg_lo:[0,0,1] neg_hi:[0,0,1]
	v_pk_fma_f32 v[6:7], v[14:15], v[78:79], v[6:7] op_sel_hi:[1,0,1]
	s_nop 0
	v_mov_b32_e32 v9, v7
	s_waitcnt vmcnt(0) lgkmcnt(0)
	v_pk_mul_f32 v[6:7], v[16:17], v[86:87] op_sel:[1,1] op_sel_hi:[0,1]
	v_pk_add_f32 v[4:5], v[4:5], v[8:9]
	v_pk_fma_f32 v[8:9], v[16:17], v[86:87], v[6:7] neg_lo:[0,0,1] neg_hi:[0,0,1]
	v_pk_fma_f32 v[6:7], v[16:17], v[86:87], v[6:7] op_sel_hi:[1,0,1]
	s_nop 0
	v_mov_b32_e32 v9, v7
	scratch_load_dwordx2 v[6:7], off, off offset:120
	v_pk_add_f32 v[4:5], v[4:5], v[8:9]
	s_waitcnt vmcnt(0)
	v_pk_add_f32 v[4:5], v[6:7], v[4:5] neg_lo:[0,1] neg_hi:[0,1]
	scratch_store_dwordx2 off, v[4:5], off offset:120
	s_and_saveexec_b64 s[0:1], vcc
	s_cbranch_execz .LBB38_219
; %bb.218:
	scratch_load_dwordx2 v[4:5], off, off offset:112
	v_mov_b32_e32 v3, v2
	scratch_store_dwordx2 off, v[2:3], off offset:112
	s_waitcnt vmcnt(1)
	ds_write_b64 v1, v[4:5]
.LBB38_219:
	s_or_b64 exec, exec, s[0:1]
	s_waitcnt lgkmcnt(0)
	; wave barrier
	scratch_load_dwordx4 v[8:11], off, off offset:120
	scratch_load_dwordx4 v[16:19], off, off offset:136
	;; [unrolled: 1-line block ×8, first 2 shown]
	ds_read2_b64 v[4:7], v2 offset0:55 offset1:56
	v_cmp_lt_u32_e32 vcc, 13, v0
	s_waitcnt vmcnt(7) lgkmcnt(0)
	v_mul_f32_e32 v3, v4, v9
	v_fmac_f32_e32 v3, v5, v8
	v_mul_f32_e32 v12, v6, v11
	v_add_f32_e32 v3, 0, v3
	v_fmac_f32_e32 v12, v7, v10
	v_add_f32_e32 v3, v3, v12
	ds_read2_b64 v[12:15], v2 offset0:57 offset1:58
	s_waitcnt vmcnt(6) lgkmcnt(0)
	v_mul_f32_e32 v20, v12, v17
	v_fmac_f32_e32 v20, v13, v16
	v_add_f32_e32 v3, v3, v20
	v_mul_f32_e32 v20, v14, v19
	v_fmac_f32_e32 v20, v15, v18
	v_add_f32_e32 v3, v3, v20
	ds_read2_b64 v[20:23], v2 offset0:59 offset1:60
	s_waitcnt vmcnt(5) lgkmcnt(0)
	v_mul_f32_e32 v28, v20, v25
	v_fmac_f32_e32 v28, v21, v24
	v_add_f32_e32 v3, v3, v28
	v_mul_f32_e32 v28, v22, v27
	;; [unrolled: 8-line block ×6, first 2 shown]
	v_fmac_f32_e32 v60, v55, v58
	v_add_f32_e32 v85, v3, v60
	ds_read2_b64 v[60:63], v2 offset0:69 offset1:70
	scratch_load_dwordx4 v[68:71], off, off offset:248
	scratch_load_dwordx4 v[72:75], off, off offset:264
	;; [unrolled: 1-line block ×4, first 2 shown]
	v_mul_f32_e32 v3, v5, v9
	v_fma_f32 v3, v4, v8, -v3
	v_mul_f32_e32 v4, v7, v11
	v_add_f32_e32 v3, 0, v3
	v_fma_f32 v4, v6, v10, -v4
	v_add_f32_e32 v3, v3, v4
	v_mul_f32_e32 v4, v13, v17
	v_fma_f32 v4, v12, v16, -v4
	v_add_f32_e32 v3, v3, v4
	v_mul_f32_e32 v4, v15, v19
	;; [unrolled: 3-line block ×12, first 2 shown]
	v_fma_f32 v4, v54, v58, -v4
	v_add_f32_e32 v84, v3, v4
	ds_read2_b64 v[4:7], v2 offset0:71 offset1:72
	ds_read2_b64 v[8:11], v2 offset0:73 offset1:74
	;; [unrolled: 1-line block ×4, first 2 shown]
	s_waitcnt vmcnt(4) lgkmcnt(4)
	v_mul_f32_e32 v87, v60, v65
	v_mul_f32_e32 v3, v61, v65
	v_fmac_f32_e32 v87, v61, v64
	v_mul_f32_e32 v89, v62, v67
	v_fma_f32 v86, v60, v64, -v3
	v_mul_f32_e32 v3, v63, v67
	v_fmac_f32_e32 v89, v63, v66
	v_fma_f32 v88, v62, v66, -v3
	v_pk_add_f32 v[2:3], v[84:85], v[86:87]
	s_waitcnt vmcnt(3) lgkmcnt(3)
	v_pk_mul_f32 v[20:21], v[4:5], v[68:69] op_sel:[1,1] op_sel_hi:[0,1]
	v_pk_fma_f32 v[22:23], v[4:5], v[68:69], v[20:21] neg_lo:[0,0,1] neg_hi:[0,0,1]
	v_pk_fma_f32 v[4:5], v[4:5], v[68:69], v[20:21] op_sel_hi:[1,0,1]
	v_pk_add_f32 v[2:3], v[2:3], v[88:89]
	v_mov_b32_e32 v4, v71
	v_mov_b32_e32 v23, v5
	v_pk_mul_f32 v[4:5], v[6:7], v[4:5] op_sel:[1,0] op_sel_hi:[0,0]
	v_pk_fma_f32 v[20:21], v[6:7], v[70:71], v[4:5] neg_lo:[0,0,1] neg_hi:[0,0,1]
	v_pk_fma_f32 v[4:5], v[6:7], v[70:71], v[4:5] op_sel_hi:[1,0,1]
	v_pk_add_f32 v[2:3], v[2:3], v[22:23]
	v_mov_b32_e32 v21, v5
	s_waitcnt vmcnt(2) lgkmcnt(2)
	v_pk_mul_f32 v[4:5], v[8:9], v[72:73] op_sel:[1,1] op_sel_hi:[0,1]
	v_pk_fma_f32 v[6:7], v[8:9], v[72:73], v[4:5] neg_lo:[0,0,1] neg_hi:[0,0,1]
	v_pk_fma_f32 v[4:5], v[8:9], v[72:73], v[4:5] op_sel_hi:[1,0,1]
	v_pk_add_f32 v[2:3], v[2:3], v[20:21]
	v_mov_b32_e32 v4, v75
	v_mov_b32_e32 v7, v5
	v_pk_mul_f32 v[4:5], v[10:11], v[4:5] op_sel:[1,0] op_sel_hi:[0,0]
	v_pk_add_f32 v[2:3], v[2:3], v[6:7]
	v_pk_fma_f32 v[6:7], v[10:11], v[74:75], v[4:5] neg_lo:[0,0,1] neg_hi:[0,0,1]
	v_pk_fma_f32 v[4:5], v[10:11], v[74:75], v[4:5] op_sel_hi:[1,0,1]
	s_nop 0
	v_mov_b32_e32 v7, v5
	s_waitcnt vmcnt(1) lgkmcnt(1)
	v_pk_mul_f32 v[4:5], v[12:13], v[76:77] op_sel:[1,1] op_sel_hi:[0,1]
	v_pk_add_f32 v[2:3], v[2:3], v[6:7]
	v_pk_fma_f32 v[6:7], v[12:13], v[76:77], v[4:5] neg_lo:[0,0,1] neg_hi:[0,0,1]
	v_pk_fma_f32 v[4:5], v[12:13], v[76:77], v[4:5] op_sel_hi:[1,0,1]
	s_nop 0
	v_mov_b32_e32 v4, v79
	v_mov_b32_e32 v7, v5
	v_pk_mul_f32 v[4:5], v[14:15], v[4:5] op_sel:[1,0] op_sel_hi:[0,0]
	v_pk_add_f32 v[2:3], v[2:3], v[6:7]
	v_pk_fma_f32 v[6:7], v[14:15], v[78:79], v[4:5] neg_lo:[0,0,1] neg_hi:[0,0,1]
	v_pk_fma_f32 v[4:5], v[14:15], v[78:79], v[4:5] op_sel_hi:[1,0,1]
	s_nop 0
	v_mov_b32_e32 v7, v5
	s_waitcnt vmcnt(0) lgkmcnt(0)
	v_pk_mul_f32 v[4:5], v[16:17], v[80:81] op_sel:[1,1] op_sel_hi:[0,1]
	v_pk_add_f32 v[2:3], v[2:3], v[6:7]
	v_pk_fma_f32 v[6:7], v[16:17], v[80:81], v[4:5] neg_lo:[0,0,1] neg_hi:[0,0,1]
	v_pk_fma_f32 v[4:5], v[16:17], v[80:81], v[4:5] op_sel_hi:[1,0,1]
	s_nop 0
	v_mov_b32_e32 v4, v83
	v_mov_b32_e32 v7, v5
	v_pk_mul_f32 v[4:5], v[18:19], v[4:5] op_sel:[1,0] op_sel_hi:[0,0]
	v_pk_add_f32 v[2:3], v[2:3], v[6:7]
	v_pk_fma_f32 v[6:7], v[18:19], v[82:83], v[4:5] neg_lo:[0,0,1] neg_hi:[0,0,1]
	v_pk_fma_f32 v[4:5], v[18:19], v[82:83], v[4:5] op_sel_hi:[1,0,1]
	s_nop 0
	v_mov_b32_e32 v7, v5
	scratch_load_dwordx2 v[4:5], off, off offset:112
	v_pk_add_f32 v[2:3], v[2:3], v[6:7]
	s_waitcnt vmcnt(0)
	v_pk_add_f32 v[2:3], v[4:5], v[2:3] neg_lo:[0,1] neg_hi:[0,1]
	scratch_store_dwordx2 off, v[2:3], off offset:112
	s_and_saveexec_b64 s[0:1], vcc
	s_cbranch_execz .LBB38_221
; %bb.220:
	scratch_load_dwordx2 v[2:3], off, off offset:104
	v_mov_b32_e32 v4, 0
	v_mov_b32_e32 v5, v4
	scratch_store_dwordx2 off, v[4:5], off offset:104
	s_waitcnt vmcnt(1)
	ds_write_b64 v1, v[2:3]
.LBB38_221:
	s_or_b64 exec, exec, s[0:1]
	s_waitcnt lgkmcnt(0)
	; wave barrier
	scratch_load_dwordx4 v[10:13], off, off offset:112
	scratch_load_dwordx4 v[26:29], off, off offset:128
	;; [unrolled: 1-line block ×12, first 2 shown]
	scratch_load_dwordx2 v[50:51], off, off offset:304
	scratch_load_dwordx2 v[56:57], off, off offset:104
	v_mov_b32_e32 v58, 0
	ds_read_b128 v[52:55], v58 offset:432
	ds_read_b128 v[60:63], v58 offset:448
	;; [unrolled: 1-line block ×10, first 2 shown]
	v_cmp_lt_u32_e32 vcc, 12, v0
	s_waitcnt vmcnt(13) lgkmcnt(9)
	v_mul_f32_e32 v59, v52, v11
	v_mul_f32_e32 v96, v54, v13
	v_fmac_f32_e32 v59, v53, v10
	s_waitcnt vmcnt(10) lgkmcnt(6)
	v_mul_f32_e32 v103, v68, v7
	v_mul_f32_e32 v7, v69, v7
	;; [unrolled: 1-line block ×3, first 2 shown]
	v_fmac_f32_e32 v96, v55, v12
	v_fmac_f32_e32 v103, v69, v6
	v_fma_f32 v6, v68, v6, -v7
	v_add_f32_e32 v7, 0, v59
	v_mul_f32_e32 v100, v62, v29
	v_fmac_f32_e32 v98, v61, v26
	v_add_f32_e32 v7, v7, v96
	v_mul_f32_e32 v101, v64, v39
	v_fmac_f32_e32 v100, v63, v28
	v_add_f32_e32 v7, v7, v98
	v_mul_f32_e32 v102, v66, v41
	v_fmac_f32_e32 v101, v65, v38
	v_add_f32_e32 v7, v7, v100
	v_fmac_f32_e32 v102, v67, v40
	v_add_f32_e32 v7, v7, v101
	v_mul_f32_e32 v104, v70, v9
	v_add_f32_e32 v7, v7, v102
	s_waitcnt vmcnt(9) lgkmcnt(5)
	v_mul_f32_e32 v105, v72, v15
	v_fmac_f32_e32 v104, v71, v8
	v_add_f32_e32 v7, v7, v103
	v_mul_f32_e32 v106, v74, v17
	v_mul_f32_e32 v11, v53, v11
	v_fmac_f32_e32 v105, v73, v14
	v_add_f32_e32 v7, v7, v104
	s_waitcnt vmcnt(8) lgkmcnt(4)
	v_mul_f32_e32 v107, v76, v23
	v_mul_f32_e32 v13, v55, v13
	v_fmac_f32_e32 v106, v75, v16
	v_fma_f32 v10, v52, v10, -v11
	v_add_f32_e32 v7, v7, v105
	v_mul_f32_e32 v108, v78, v25
	v_mul_f32_e32 v27, v61, v27
	v_fmac_f32_e32 v107, v77, v22
	v_fma_f32 v11, v54, v12, -v13
	v_add_f32_e32 v10, 0, v10
	v_add_f32_e32 v7, v7, v106
	s_waitcnt vmcnt(7) lgkmcnt(3)
	v_mul_f32_e32 v109, v80, v31
	v_mul_f32_e32 v29, v63, v29
	v_fmac_f32_e32 v108, v79, v24
	v_fma_f32 v12, v60, v26, -v27
	v_add_f32_e32 v10, v10, v11
	v_add_f32_e32 v7, v7, v107
	v_mul_f32_e32 v110, v82, v33
	v_mul_f32_e32 v39, v65, v39
	v_fmac_f32_e32 v109, v81, v30
	v_fma_f32 v13, v62, v28, -v29
	v_add_f32_e32 v10, v10, v12
	v_add_f32_e32 v7, v7, v108
	s_waitcnt vmcnt(6) lgkmcnt(2)
	v_mul_f32_e32 v111, v84, v43
	v_mul_f32_e32 v41, v67, v41
	v_fmac_f32_e32 v110, v83, v32
	v_fma_f32 v26, v64, v38, -v39
	v_add_f32_e32 v10, v10, v13
	v_add_f32_e32 v7, v7, v109
	v_fmac_f32_e32 v111, v85, v42
	v_fma_f32 v27, v66, v40, -v41
	v_add_f32_e32 v10, v10, v26
	v_add_f32_e32 v7, v7, v110
	;; [unrolled: 1-line block ×4, first 2 shown]
	v_mul_f32_e32 v7, v71, v9
	v_add_f32_e32 v6, v10, v6
	v_fma_f32 v7, v70, v8, -v7
	v_add_f32_e32 v6, v6, v7
	v_mul_f32_e32 v7, v73, v15
	v_fma_f32 v7, v72, v14, -v7
	v_add_f32_e32 v6, v6, v7
	v_mul_f32_e32 v7, v75, v17
	v_fma_f32 v7, v74, v16, -v7
	v_add_f32_e32 v6, v6, v7
	v_mul_f32_e32 v7, v77, v23
	v_fma_f32 v7, v76, v22, -v7
	v_add_f32_e32 v6, v6, v7
	v_mul_f32_e32 v7, v79, v25
	v_fma_f32 v7, v78, v24, -v7
	v_add_f32_e32 v6, v6, v7
	v_mul_f32_e32 v7, v81, v31
	v_fma_f32 v7, v80, v30, -v7
	v_add_f32_e32 v6, v6, v7
	v_mul_f32_e32 v7, v83, v33
	v_fma_f32 v7, v82, v32, -v7
	v_add_f32_e32 v6, v6, v7
	v_mul_f32_e32 v7, v85, v43
	v_fma_f32 v7, v84, v42, -v7
	v_mul_f32_e32 v97, v86, v45
	v_add_f32_e32 v26, v6, v7
	v_mul_f32_e32 v6, v87, v45
	s_waitcnt vmcnt(5)
	v_mov_b32_e32 v22, v49
	s_waitcnt lgkmcnt(1)
	v_mul_f32_e32 v99, v88, v47
	v_fmac_f32_e32 v97, v87, v44
	v_fma_f32 v96, v86, v44, -v6
	v_mul_f32_e32 v6, v89, v47
	v_pk_mul_f32 v[22:23], v[90:91], v[22:23] op_sel:[1,0] op_sel_hi:[0,0]
	v_fmac_f32_e32 v99, v89, v46
	v_fma_f32 v98, v88, v46, -v6
	v_pk_add_f32 v[16:17], v[26:27], v[96:97]
	v_pk_fma_f32 v[24:25], v[90:91], v[48:49], v[22:23] neg_lo:[0,0,1] neg_hi:[0,0,1]
	v_pk_fma_f32 v[22:23], v[90:91], v[48:49], v[22:23] op_sel_hi:[1,0,1]
	v_pk_add_f32 v[16:17], v[16:17], v[98:99]
	v_mov_b32_e32 v25, v23
	s_waitcnt vmcnt(4) lgkmcnt(0)
	v_pk_mul_f32 v[22:23], v[92:93], v[34:35] op_sel:[1,1] op_sel_hi:[0,1]
	v_pk_add_f32 v[16:17], v[16:17], v[24:25]
	v_pk_fma_f32 v[24:25], v[92:93], v[34:35], v[22:23] neg_lo:[0,0,1] neg_hi:[0,0,1]
	v_pk_fma_f32 v[22:23], v[92:93], v[34:35], v[22:23] op_sel_hi:[1,0,1]
	ds_read_b128 v[6:9], v58 offset:592
	ds_read_b128 v[10:13], v58 offset:608
	ds_read_b64 v[14:15], v58 offset:624
	v_mov_b32_e32 v22, v37
	v_mov_b32_e32 v25, v23
	v_pk_mul_f32 v[22:23], v[94:95], v[22:23] op_sel:[1,0] op_sel_hi:[0,0]
	v_pk_add_f32 v[16:17], v[16:17], v[24:25]
	v_pk_fma_f32 v[24:25], v[94:95], v[36:37], v[22:23] neg_lo:[0,0,1] neg_hi:[0,0,1]
	v_pk_fma_f32 v[22:23], v[94:95], v[36:37], v[22:23] op_sel_hi:[1,0,1]
	s_nop 0
	v_mov_b32_e32 v25, v23
	s_waitcnt vmcnt(3) lgkmcnt(2)
	v_pk_mul_f32 v[22:23], v[6:7], v[18:19] op_sel:[1,1] op_sel_hi:[0,1]
	v_pk_add_f32 v[16:17], v[16:17], v[24:25]
	v_pk_fma_f32 v[24:25], v[6:7], v[18:19], v[22:23] neg_lo:[0,0,1] neg_hi:[0,0,1]
	v_pk_fma_f32 v[6:7], v[6:7], v[18:19], v[22:23] op_sel_hi:[1,0,1]
	s_nop 0
	v_mov_b32_e32 v25, v7
	v_pk_add_f32 v[6:7], v[16:17], v[24:25]
	v_mov_b32_e32 v16, v21
	v_pk_mul_f32 v[16:17], v[8:9], v[16:17] op_sel:[1,0] op_sel_hi:[0,0]
	v_pk_fma_f32 v[18:19], v[8:9], v[20:21], v[16:17] neg_lo:[0,0,1] neg_hi:[0,0,1]
	v_pk_fma_f32 v[8:9], v[8:9], v[20:21], v[16:17] op_sel_hi:[1,0,1]
	s_nop 0
	v_mov_b32_e32 v19, v9
	s_waitcnt vmcnt(2) lgkmcnt(1)
	v_pk_mul_f32 v[8:9], v[10:11], v[2:3] op_sel:[1,1] op_sel_hi:[0,1]
	v_pk_fma_f32 v[16:17], v[10:11], v[2:3], v[8:9] neg_lo:[0,0,1] neg_hi:[0,0,1]
	v_pk_fma_f32 v[2:3], v[10:11], v[2:3], v[8:9] op_sel_hi:[1,0,1]
	v_pk_add_f32 v[6:7], v[6:7], v[18:19]
	v_mov_b32_e32 v17, v3
	v_pk_add_f32 v[2:3], v[6:7], v[16:17]
	v_mov_b32_e32 v6, v5
	v_pk_mul_f32 v[6:7], v[12:13], v[6:7] op_sel:[1,0] op_sel_hi:[0,0]
	v_pk_fma_f32 v[8:9], v[12:13], v[4:5], v[6:7] neg_lo:[0,0,1] neg_hi:[0,0,1]
	v_pk_fma_f32 v[4:5], v[12:13], v[4:5], v[6:7] op_sel_hi:[1,0,1]
	s_nop 0
	v_mov_b32_e32 v9, v5
	s_waitcnt vmcnt(1) lgkmcnt(0)
	v_pk_mul_f32 v[4:5], v[14:15], v[50:51] op_sel:[1,1] op_sel_hi:[0,1]
	v_pk_fma_f32 v[6:7], v[14:15], v[50:51], v[4:5] neg_lo:[0,0,1] neg_hi:[0,0,1]
	v_pk_fma_f32 v[4:5], v[14:15], v[50:51], v[4:5] op_sel_hi:[1,0,1]
	v_pk_add_f32 v[2:3], v[2:3], v[8:9]
	v_mov_b32_e32 v7, v5
	v_pk_add_f32 v[2:3], v[2:3], v[6:7]
	s_waitcnt vmcnt(0)
	v_pk_add_f32 v[2:3], v[56:57], v[2:3] neg_lo:[0,1] neg_hi:[0,1]
	scratch_store_dwordx2 off, v[2:3], off offset:104
	s_and_saveexec_b64 s[0:1], vcc
	s_cbranch_execz .LBB38_223
; %bb.222:
	scratch_load_dwordx2 v[2:3], off, off offset:96
	v_mov_b32_e32 v59, v58
	scratch_store_dwordx2 off, v[58:59], off offset:96
	s_waitcnt vmcnt(1)
	ds_write_b64 v1, v[2:3]
.LBB38_223:
	s_or_b64 exec, exec, s[0:1]
	s_waitcnt lgkmcnt(0)
	; wave barrier
	scratch_load_dwordx4 v[2:5], off, off offset:104
	scratch_load_dwordx4 v[18:21], off, off offset:120
	;; [unrolled: 1-line block ×9, first 2 shown]
	ds_read2_b64 v[60:63], v58 offset0:53 offset1:54
	ds_read2_b64 v[64:67], v58 offset0:55 offset1:56
	;; [unrolled: 1-line block ×8, first 2 shown]
	scratch_load_dwordx4 v[50:53], off, off offset:248
	scratch_load_dwordx4 v[34:37], off, off offset:264
	;; [unrolled: 1-line block ×4, first 2 shown]
	ds_read2_b64 v[88:91], v58 offset0:69 offset1:70
	ds_read2_b64 v[92:95], v58 offset0:71 offset1:72
	scratch_load_dwordx2 v[96:97], off, off offset:96
	v_cmp_lt_u32_e32 vcc, 11, v0
	s_waitcnt vmcnt(13) lgkmcnt(9)
	v_mul_f32_e32 v59, v60, v3
	v_mul_f32_e32 v98, v62, v5
	;; [unrolled: 1-line block ×3, first 2 shown]
	s_waitcnt vmcnt(10) lgkmcnt(6)
	v_mul_f32_e32 v105, v72, v7
	v_mul_f32_e32 v7, v73, v7
	v_fmac_f32_e32 v59, v61, v2
	v_mul_f32_e32 v100, v64, v19
	v_mul_f32_e32 v5, v63, v5
	v_fmac_f32_e32 v98, v63, v4
	v_fmac_f32_e32 v105, v73, v6
	v_fma_f32 v2, v60, v2, -v3
	v_fma_f32 v6, v72, v6, -v7
	v_add_f32_e32 v7, 0, v59
	v_mul_f32_e32 v102, v66, v21
	v_fmac_f32_e32 v100, v65, v18
	v_fma_f32 v3, v62, v4, -v5
	v_add_f32_e32 v2, 0, v2
	v_add_f32_e32 v7, v7, v98
	v_mul_f32_e32 v103, v68, v39
	v_fmac_f32_e32 v102, v67, v20
	v_add_f32_e32 v2, v2, v3
	v_add_f32_e32 v3, v7, v100
	v_mul_f32_e32 v104, v70, v41
	v_fmac_f32_e32 v103, v69, v38
	v_add_f32_e32 v3, v3, v102
	v_fmac_f32_e32 v104, v71, v40
	v_add_f32_e32 v3, v3, v103
	v_mul_f32_e32 v106, v74, v9
	v_add_f32_e32 v3, v3, v104
	s_waitcnt vmcnt(9) lgkmcnt(5)
	v_mul_f32_e32 v107, v76, v15
	v_fmac_f32_e32 v106, v75, v8
	v_add_f32_e32 v3, v3, v105
	v_mul_f32_e32 v108, v78, v17
	v_fmac_f32_e32 v107, v77, v14
	v_add_f32_e32 v3, v3, v106
	s_waitcnt vmcnt(8) lgkmcnt(4)
	v_mul_f32_e32 v109, v80, v23
	v_fmac_f32_e32 v108, v79, v16
	v_add_f32_e32 v3, v3, v107
	v_mul_f32_e32 v110, v82, v25
	v_fmac_f32_e32 v109, v81, v22
	v_add_f32_e32 v3, v3, v108
	s_waitcnt vmcnt(7) lgkmcnt(3)
	v_mul_f32_e32 v111, v84, v31
	v_mul_f32_e32 v19, v65, v19
	v_fmac_f32_e32 v110, v83, v24
	v_add_f32_e32 v3, v3, v109
	v_mul_f32_e32 v112, v86, v33
	v_mul_f32_e32 v21, v67, v21
	v_fmac_f32_e32 v111, v85, v30
	v_fma_f32 v4, v64, v18, -v19
	v_add_f32_e32 v3, v3, v110
	s_waitcnt vmcnt(6) lgkmcnt(2)
	v_mul_f32_e32 v113, v54, v43
	v_mul_f32_e32 v39, v69, v39
	v_fmac_f32_e32 v112, v87, v32
	v_fma_f32 v5, v66, v20, -v21
	v_add_f32_e32 v2, v2, v4
	v_add_f32_e32 v3, v3, v111
	v_mul_f32_e32 v114, v56, v45
	v_mul_f32_e32 v41, v71, v41
	v_fmac_f32_e32 v113, v55, v42
	v_fma_f32 v18, v68, v38, -v39
	v_add_f32_e32 v2, v2, v5
	v_add_f32_e32 v3, v3, v112
	v_fmac_f32_e32 v114, v57, v44
	v_fma_f32 v19, v70, v40, -v41
	v_add_f32_e32 v2, v2, v18
	v_add_f32_e32 v3, v3, v113
	;; [unrolled: 1-line block ×4, first 2 shown]
	v_mul_f32_e32 v3, v75, v9
	v_add_f32_e32 v2, v2, v6
	v_fma_f32 v3, v74, v8, -v3
	v_add_f32_e32 v2, v2, v3
	v_mul_f32_e32 v3, v77, v15
	v_fma_f32 v3, v76, v14, -v3
	v_add_f32_e32 v2, v2, v3
	v_mul_f32_e32 v3, v79, v17
	;; [unrolled: 3-line block ×8, first 2 shown]
	v_fma_f32 v3, v56, v44, -v3
	s_waitcnt vmcnt(5) lgkmcnt(1)
	v_mul_f32_e32 v99, v88, v47
	v_add_f32_e32 v18, v2, v3
	v_mul_f32_e32 v2, v89, v47
	s_waitcnt vmcnt(4) lgkmcnt(0)
	v_pk_mul_f32 v[20:21], v[92:93], v[50:51] op_sel:[1,1] op_sel_hi:[0,1]
	v_mul_f32_e32 v101, v90, v49
	v_fmac_f32_e32 v99, v89, v46
	v_fma_f32 v98, v88, v46, -v2
	v_mul_f32_e32 v2, v91, v49
	v_pk_fma_f32 v[22:23], v[92:93], v[50:51], v[20:21] neg_lo:[0,0,1] neg_hi:[0,0,1]
	v_pk_fma_f32 v[20:21], v[92:93], v[50:51], v[20:21] op_sel_hi:[1,0,1]
	v_fmac_f32_e32 v101, v91, v48
	v_fma_f32 v100, v90, v48, -v2
	ds_read2_b64 v[2:5], v58 offset0:73 offset1:74
	ds_read2_b64 v[6:9], v58 offset0:75 offset1:76
	;; [unrolled: 1-line block ×3, first 2 shown]
	v_pk_add_f32 v[18:19], v[18:19], v[98:99]
	v_mov_b32_e32 v20, v53
	v_pk_add_f32 v[18:19], v[18:19], v[100:101]
	v_mov_b32_e32 v23, v21
	v_pk_mul_f32 v[20:21], v[94:95], v[20:21] op_sel:[1,0] op_sel_hi:[0,0]
	v_pk_add_f32 v[18:19], v[18:19], v[22:23]
	v_pk_fma_f32 v[22:23], v[94:95], v[52:53], v[20:21] neg_lo:[0,0,1] neg_hi:[0,0,1]
	v_pk_fma_f32 v[20:21], v[94:95], v[52:53], v[20:21] op_sel_hi:[1,0,1]
	s_nop 0
	v_mov_b32_e32 v23, v21
	s_waitcnt vmcnt(3) lgkmcnt(2)
	v_pk_mul_f32 v[20:21], v[2:3], v[34:35] op_sel:[1,1] op_sel_hi:[0,1]
	v_pk_add_f32 v[18:19], v[18:19], v[22:23]
	v_pk_fma_f32 v[22:23], v[2:3], v[34:35], v[20:21] neg_lo:[0,0,1] neg_hi:[0,0,1]
	v_pk_fma_f32 v[2:3], v[2:3], v[34:35], v[20:21] op_sel_hi:[1,0,1]
	s_nop 0
	v_mov_b32_e32 v23, v3
	v_pk_add_f32 v[2:3], v[18:19], v[22:23]
	v_mov_b32_e32 v18, v37
	v_pk_mul_f32 v[18:19], v[4:5], v[18:19] op_sel:[1,0] op_sel_hi:[0,0]
	v_pk_fma_f32 v[20:21], v[4:5], v[36:37], v[18:19] neg_lo:[0,0,1] neg_hi:[0,0,1]
	v_pk_fma_f32 v[4:5], v[4:5], v[36:37], v[18:19] op_sel_hi:[1,0,1]
	s_nop 0
	v_mov_b32_e32 v21, v5
	s_waitcnt vmcnt(2) lgkmcnt(1)
	v_pk_mul_f32 v[4:5], v[6:7], v[26:27] op_sel:[1,1] op_sel_hi:[0,1]
	v_pk_fma_f32 v[18:19], v[6:7], v[26:27], v[4:5] neg_lo:[0,0,1] neg_hi:[0,0,1]
	v_pk_fma_f32 v[4:5], v[6:7], v[26:27], v[4:5] op_sel_hi:[1,0,1]
	v_pk_add_f32 v[2:3], v[2:3], v[20:21]
	v_mov_b32_e32 v4, v29
	v_mov_b32_e32 v19, v5
	v_pk_mul_f32 v[4:5], v[8:9], v[4:5] op_sel:[1,0] op_sel_hi:[0,0]
	v_pk_fma_f32 v[6:7], v[8:9], v[28:29], v[4:5] neg_lo:[0,0,1] neg_hi:[0,0,1]
	v_pk_fma_f32 v[4:5], v[8:9], v[28:29], v[4:5] op_sel_hi:[1,0,1]
	v_pk_add_f32 v[2:3], v[2:3], v[18:19]
	v_mov_b32_e32 v7, v5
	s_waitcnt vmcnt(1) lgkmcnt(0)
	v_pk_mul_f32 v[4:5], v[14:15], v[10:11] op_sel:[1,1] op_sel_hi:[0,1]
	v_pk_add_f32 v[2:3], v[2:3], v[6:7]
	v_pk_fma_f32 v[6:7], v[14:15], v[10:11], v[4:5] neg_lo:[0,0,1] neg_hi:[0,0,1]
	v_pk_fma_f32 v[4:5], v[14:15], v[10:11], v[4:5] op_sel_hi:[1,0,1]
	s_nop 0
	v_mov_b32_e32 v4, v13
	v_mov_b32_e32 v7, v5
	v_pk_mul_f32 v[4:5], v[16:17], v[4:5] op_sel:[1,0] op_sel_hi:[0,0]
	v_pk_add_f32 v[2:3], v[2:3], v[6:7]
	v_pk_fma_f32 v[6:7], v[16:17], v[12:13], v[4:5] neg_lo:[0,0,1] neg_hi:[0,0,1]
	v_pk_fma_f32 v[4:5], v[16:17], v[12:13], v[4:5] op_sel_hi:[1,0,1]
	s_nop 0
	v_mov_b32_e32 v7, v5
	v_pk_add_f32 v[2:3], v[2:3], v[6:7]
	s_waitcnt vmcnt(0)
	v_pk_add_f32 v[2:3], v[96:97], v[2:3] neg_lo:[0,1] neg_hi:[0,1]
	scratch_store_dwordx2 off, v[2:3], off offset:96
	s_and_saveexec_b64 s[0:1], vcc
	s_cbranch_execz .LBB38_225
; %bb.224:
	scratch_load_dwordx2 v[2:3], off, off offset:88
	v_mov_b32_e32 v4, 0
	v_mov_b32_e32 v5, v4
	scratch_store_dwordx2 off, v[4:5], off offset:88
	s_waitcnt vmcnt(1)
	ds_write_b64 v1, v[2:3]
.LBB38_225:
	s_or_b64 exec, exec, s[0:1]
	s_waitcnt lgkmcnt(0)
	; wave barrier
	scratch_load_dwordx4 v[18:21], off, off offset:96
	scratch_load_dwordx4 v[30:33], off, off offset:112
	;; [unrolled: 1-line block ×13, first 2 shown]
	scratch_load_dwordx2 v[54:55], off, off offset:304
	scratch_load_dwordx2 v[80:81], off, off offset:88
	v_mov_b32_e32 v82, 0
	ds_read_b128 v[56:59], v82 offset:416
	ds_read_b128 v[60:63], v82 offset:432
	;; [unrolled: 1-line block ×10, first 2 shown]
	v_cmp_lt_u32_e32 vcc, 10, v0
	s_waitcnt vmcnt(14) lgkmcnt(9)
	v_mul_f32_e32 v83, v56, v19
	v_mul_f32_e32 v100, v58, v21
	s_waitcnt vmcnt(12) lgkmcnt(7)
	v_mul_f32_e32 v105, v64, v3
	v_mul_f32_e32 v3, v65, v3
	v_fmac_f32_e32 v83, v57, v18
	v_mul_f32_e32 v102, v60, v31
	v_fmac_f32_e32 v100, v59, v20
	v_fmac_f32_e32 v105, v65, v2
	v_fma_f32 v2, v64, v2, -v3
	v_add_f32_e32 v3, 0, v83
	v_mul_f32_e32 v104, v62, v33
	v_fmac_f32_e32 v102, v61, v30
	v_add_f32_e32 v3, v3, v100
	v_fmac_f32_e32 v104, v63, v32
	v_add_f32_e32 v3, v3, v102
	v_mul_f32_e32 v106, v66, v5
	v_add_f32_e32 v3, v3, v104
	s_waitcnt vmcnt(11) lgkmcnt(6)
	v_mul_f32_e32 v107, v68, v7
	v_fmac_f32_e32 v106, v67, v4
	v_add_f32_e32 v3, v3, v105
	v_mul_f32_e32 v108, v70, v9
	v_fmac_f32_e32 v107, v69, v6
	v_add_f32_e32 v3, v3, v106
	s_waitcnt vmcnt(10) lgkmcnt(5)
	v_mul_f32_e32 v109, v72, v15
	v_fmac_f32_e32 v108, v71, v8
	v_add_f32_e32 v3, v3, v107
	v_mul_f32_e32 v110, v74, v17
	v_fmac_f32_e32 v109, v73, v14
	;; [unrolled: 7-line block ×3, first 2 shown]
	v_add_f32_e32 v3, v3, v110
	s_waitcnt vmcnt(8) lgkmcnt(3)
	v_mul_f32_e32 v113, v84, v35
	v_mul_f32_e32 v19, v57, v19
	v_fmac_f32_e32 v112, v79, v24
	v_add_f32_e32 v3, v3, v111
	v_mul_f32_e32 v114, v86, v37
	v_mul_f32_e32 v21, v59, v21
	v_fmac_f32_e32 v113, v85, v34
	v_fma_f32 v18, v56, v18, -v19
	v_add_f32_e32 v3, v3, v112
	s_waitcnt vmcnt(7) lgkmcnt(2)
	v_mul_f32_e32 v115, v88, v39
	v_mul_f32_e32 v31, v61, v31
	v_fmac_f32_e32 v114, v87, v36
	v_fma_f32 v19, v58, v20, -v21
	v_add_f32_e32 v18, 0, v18
	v_add_f32_e32 v3, v3, v113
	v_mul_f32_e32 v194, v90, v41
	v_mul_f32_e32 v33, v63, v33
	v_fmac_f32_e32 v115, v89, v38
	v_fma_f32 v20, v60, v30, -v31
	v_add_f32_e32 v18, v18, v19
	v_add_f32_e32 v3, v3, v114
	s_waitcnt vmcnt(6) lgkmcnt(1)
	v_mul_f32_e32 v195, v92, v51
	v_fmac_f32_e32 v194, v91, v40
	v_fma_f32 v21, v62, v32, -v33
	v_add_f32_e32 v18, v18, v20
	v_add_f32_e32 v3, v3, v115
	v_mul_f32_e32 v5, v67, v5
	v_fmac_f32_e32 v195, v93, v50
	v_add_f32_e32 v18, v18, v21
	v_add_f32_e32 v3, v3, v194
	;; [unrolled: 1-line block ×4, first 2 shown]
	v_fma_f32 v3, v66, v4, -v5
	v_add_f32_e32 v2, v2, v3
	v_mul_f32_e32 v3, v69, v7
	v_fma_f32 v3, v68, v6, -v3
	v_add_f32_e32 v2, v2, v3
	v_mul_f32_e32 v3, v71, v9
	;; [unrolled: 3-line block ×12, first 2 shown]
	v_mul_f32_e32 v101, v94, v53
	v_fma_f32 v100, v94, v52, -v2
	s_waitcnt vmcnt(5) lgkmcnt(0)
	v_mul_f32_e32 v2, v97, v47
	v_mov_b32_e32 v22, v49
	v_mul_f32_e32 v103, v96, v47
	v_fmac_f32_e32 v101, v95, v52
	v_fma_f32 v102, v96, v46, -v2
	ds_read_b128 v[2:5], v82 offset:576
	ds_read_b128 v[6:9], v82 offset:592
	;; [unrolled: 1-line block ×3, first 2 shown]
	ds_read_b64 v[20:21], v82 offset:624
	v_pk_mul_f32 v[22:23], v[98:99], v[22:23] op_sel:[1,0] op_sel_hi:[0,0]
	v_fmac_f32_e32 v103, v97, v46
	v_pk_add_f32 v[18:19], v[18:19], v[100:101]
	v_pk_fma_f32 v[24:25], v[98:99], v[48:49], v[22:23] neg_lo:[0,0,1] neg_hi:[0,0,1]
	v_pk_fma_f32 v[22:23], v[98:99], v[48:49], v[22:23] op_sel_hi:[1,0,1]
	v_pk_add_f32 v[18:19], v[18:19], v[102:103]
	v_mov_b32_e32 v25, v23
	s_waitcnt vmcnt(4) lgkmcnt(3)
	v_pk_mul_f32 v[22:23], v[2:3], v[42:43] op_sel:[1,1] op_sel_hi:[0,1]
	v_pk_add_f32 v[18:19], v[18:19], v[24:25]
	v_pk_fma_f32 v[24:25], v[2:3], v[42:43], v[22:23] neg_lo:[0,0,1] neg_hi:[0,0,1]
	v_pk_fma_f32 v[2:3], v[2:3], v[42:43], v[22:23] op_sel_hi:[1,0,1]
	s_nop 0
	v_mov_b32_e32 v25, v3
	v_pk_add_f32 v[2:3], v[18:19], v[24:25]
	v_mov_b32_e32 v18, v45
	v_pk_mul_f32 v[18:19], v[4:5], v[18:19] op_sel:[1,0] op_sel_hi:[0,0]
	v_pk_fma_f32 v[22:23], v[4:5], v[44:45], v[18:19] neg_lo:[0,0,1] neg_hi:[0,0,1]
	v_pk_fma_f32 v[4:5], v[4:5], v[44:45], v[18:19] op_sel_hi:[1,0,1]
	s_nop 0
	v_mov_b32_e32 v23, v5
	s_waitcnt vmcnt(3) lgkmcnt(2)
	v_pk_mul_f32 v[4:5], v[6:7], v[26:27] op_sel:[1,1] op_sel_hi:[0,1]
	v_pk_fma_f32 v[18:19], v[6:7], v[26:27], v[4:5] neg_lo:[0,0,1] neg_hi:[0,0,1]
	v_pk_fma_f32 v[4:5], v[6:7], v[26:27], v[4:5] op_sel_hi:[1,0,1]
	v_pk_add_f32 v[2:3], v[2:3], v[22:23]
	v_mov_b32_e32 v4, v29
	v_mov_b32_e32 v19, v5
	v_pk_mul_f32 v[4:5], v[8:9], v[4:5] op_sel:[1,0] op_sel_hi:[0,0]
	v_pk_fma_f32 v[6:7], v[8:9], v[28:29], v[4:5] neg_lo:[0,0,1] neg_hi:[0,0,1]
	v_pk_fma_f32 v[4:5], v[8:9], v[28:29], v[4:5] op_sel_hi:[1,0,1]
	v_pk_add_f32 v[2:3], v[2:3], v[18:19]
	v_mov_b32_e32 v7, v5
	s_waitcnt vmcnt(2) lgkmcnt(1)
	v_pk_mul_f32 v[4:5], v[14:15], v[10:11] op_sel:[1,1] op_sel_hi:[0,1]
	v_pk_add_f32 v[2:3], v[2:3], v[6:7]
	v_pk_fma_f32 v[6:7], v[14:15], v[10:11], v[4:5] neg_lo:[0,0,1] neg_hi:[0,0,1]
	v_pk_fma_f32 v[4:5], v[14:15], v[10:11], v[4:5] op_sel_hi:[1,0,1]
	s_nop 0
	v_mov_b32_e32 v4, v13
	v_mov_b32_e32 v7, v5
	v_pk_mul_f32 v[4:5], v[16:17], v[4:5] op_sel:[1,0] op_sel_hi:[0,0]
	v_pk_add_f32 v[2:3], v[2:3], v[6:7]
	v_pk_fma_f32 v[6:7], v[16:17], v[12:13], v[4:5] neg_lo:[0,0,1] neg_hi:[0,0,1]
	v_pk_fma_f32 v[4:5], v[16:17], v[12:13], v[4:5] op_sel_hi:[1,0,1]
	s_nop 0
	v_mov_b32_e32 v7, v5
	s_waitcnt vmcnt(1) lgkmcnt(0)
	v_pk_mul_f32 v[4:5], v[20:21], v[54:55] op_sel:[1,1] op_sel_hi:[0,1]
	v_pk_add_f32 v[2:3], v[2:3], v[6:7]
	v_pk_fma_f32 v[6:7], v[20:21], v[54:55], v[4:5] neg_lo:[0,0,1] neg_hi:[0,0,1]
	v_pk_fma_f32 v[4:5], v[20:21], v[54:55], v[4:5] op_sel_hi:[1,0,1]
	s_nop 0
	v_mov_b32_e32 v7, v5
	v_pk_add_f32 v[2:3], v[2:3], v[6:7]
	s_waitcnt vmcnt(0)
	v_pk_add_f32 v[2:3], v[80:81], v[2:3] neg_lo:[0,1] neg_hi:[0,1]
	scratch_store_dwordx2 off, v[2:3], off offset:88
	s_and_saveexec_b64 s[0:1], vcc
	s_cbranch_execz .LBB38_227
; %bb.226:
	scratch_load_dwordx2 v[2:3], off, off offset:80
	v_mov_b32_e32 v83, v82
	scratch_store_dwordx2 off, v[82:83], off offset:80
	s_waitcnt vmcnt(1)
	ds_write_b64 v1, v[2:3]
.LBB38_227:
	s_or_b64 exec, exec, s[0:1]
	s_waitcnt lgkmcnt(0)
	; wave barrier
	scratch_load_dwordx4 v[10:13], off, off offset:88
	scratch_load_dwordx4 v[26:29], off, off offset:104
	;; [unrolled: 1-line block ×10, first 2 shown]
	ds_read2_b64 v[84:87], v82 offset0:51 offset1:52
	ds_read2_b64 v[88:91], v82 offset0:53 offset1:54
	;; [unrolled: 1-line block ×10, first 2 shown]
	scratch_load_dwordx4 v[54:57], off, off offset:248
	scratch_load_dwordx4 v[46:49], off, off offset:264
	;; [unrolled: 1-line block ×4, first 2 shown]
	scratch_load_dwordx2 v[100:101], off, off offset:80
	v_cmp_lt_u32_e32 vcc, 9, v0
	s_waitcnt vmcnt(14) lgkmcnt(9)
	v_mul_f32_e32 v83, v84, v11
	v_mul_f32_e32 v102, v86, v13
	s_waitcnt vmcnt(12) lgkmcnt(7)
	v_mul_f32_e32 v107, v92, v3
	v_mul_f32_e32 v3, v93, v3
	v_fmac_f32_e32 v83, v85, v10
	v_mul_f32_e32 v104, v88, v27
	v_fmac_f32_e32 v102, v87, v12
	v_fmac_f32_e32 v107, v93, v2
	v_fma_f32 v2, v92, v2, -v3
	v_add_f32_e32 v3, 0, v83
	v_mul_f32_e32 v106, v90, v29
	v_fmac_f32_e32 v104, v89, v26
	v_add_f32_e32 v3, v3, v102
	v_fmac_f32_e32 v106, v91, v28
	v_add_f32_e32 v3, v3, v104
	v_mul_f32_e32 v108, v94, v5
	v_add_f32_e32 v3, v3, v106
	s_waitcnt vmcnt(11) lgkmcnt(6)
	v_mul_f32_e32 v109, v96, v7
	v_fmac_f32_e32 v108, v95, v4
	v_add_f32_e32 v3, v3, v107
	v_mul_f32_e32 v110, v98, v9
	v_fmac_f32_e32 v109, v97, v6
	v_add_f32_e32 v3, v3, v108
	s_waitcnt vmcnt(10) lgkmcnt(5)
	v_mul_f32_e32 v111, v78, v15
	v_fmac_f32_e32 v110, v99, v8
	v_add_f32_e32 v3, v3, v109
	v_mul_f32_e32 v112, v80, v17
	v_fmac_f32_e32 v111, v79, v14
	;; [unrolled: 7-line block ×4, first 2 shown]
	v_add_f32_e32 v3, v3, v114
	s_waitcnt vmcnt(7) lgkmcnt(2)
	v_mul_f32_e32 v195, v66, v39
	v_mul_f32_e32 v11, v85, v11
	v_fmac_f32_e32 v194, v73, v32
	v_add_f32_e32 v3, v3, v115
	v_mul_f32_e32 v196, v68, v41
	v_mul_f32_e32 v13, v87, v13
	v_fmac_f32_e32 v195, v67, v38
	v_fma_f32 v10, v84, v10, -v11
	v_add_f32_e32 v3, v3, v194
	s_waitcnt vmcnt(6) lgkmcnt(1)
	v_mul_f32_e32 v197, v62, v43
	v_mul_f32_e32 v27, v89, v27
	v_fmac_f32_e32 v196, v69, v40
	v_fma_f32 v11, v86, v12, -v13
	v_add_f32_e32 v10, 0, v10
	v_add_f32_e32 v3, v3, v195
	v_mul_f32_e32 v198, v64, v45
	v_mul_f32_e32 v29, v91, v29
	v_fmac_f32_e32 v197, v63, v42
	v_fma_f32 v12, v88, v26, -v27
	v_add_f32_e32 v10, v10, v11
	v_add_f32_e32 v3, v3, v196
	v_fmac_f32_e32 v198, v65, v44
	v_fma_f32 v13, v90, v28, -v29
	v_add_f32_e32 v10, v10, v12
	v_add_f32_e32 v3, v3, v197
	;; [unrolled: 1-line block ×4, first 2 shown]
	v_mul_f32_e32 v3, v95, v5
	v_add_f32_e32 v2, v10, v2
	v_fma_f32 v3, v94, v4, -v3
	v_add_f32_e32 v2, v2, v3
	v_mul_f32_e32 v3, v97, v7
	v_fma_f32 v3, v96, v6, -v3
	v_add_f32_e32 v2, v2, v3
	v_mul_f32_e32 v3, v99, v9
	;; [unrolled: 3-line block ×12, first 2 shown]
	v_fma_f32 v3, v64, v44, -v3
	v_add_f32_e32 v26, v2, v3
	s_waitcnt vmcnt(5) lgkmcnt(0)
	v_mul_f32_e32 v2, v59, v51
	v_fma_f32 v102, v58, v50, -v2
	v_mul_f32_e32 v2, v61, v53
	v_fma_f32 v104, v60, v52, -v2
	ds_read2_b64 v[2:5], v82 offset0:71 offset1:72
	ds_read2_b64 v[6:9], v82 offset0:73 offset1:74
	;; [unrolled: 1-line block ×4, first 2 shown]
	v_mul_f32_e32 v103, v58, v51
	v_mul_f32_e32 v105, v60, v53
	v_fmac_f32_e32 v103, v59, v50
	s_waitcnt vmcnt(4) lgkmcnt(3)
	v_pk_mul_f32 v[24:25], v[2:3], v[54:55] op_sel:[1,1] op_sel_hi:[0,1]
	v_fmac_f32_e32 v105, v61, v52
	v_pk_add_f32 v[22:23], v[26:27], v[102:103]
	v_pk_fma_f32 v[26:27], v[2:3], v[54:55], v[24:25] neg_lo:[0,0,1] neg_hi:[0,0,1]
	v_pk_fma_f32 v[2:3], v[2:3], v[54:55], v[24:25] op_sel_hi:[1,0,1]
	v_pk_add_f32 v[22:23], v[22:23], v[104:105]
	v_mov_b32_e32 v27, v3
	v_pk_add_f32 v[2:3], v[22:23], v[26:27]
	v_mov_b32_e32 v22, v57
	v_pk_mul_f32 v[22:23], v[4:5], v[22:23] op_sel:[1,0] op_sel_hi:[0,0]
	v_pk_fma_f32 v[24:25], v[4:5], v[56:57], v[22:23] neg_lo:[0,0,1] neg_hi:[0,0,1]
	v_pk_fma_f32 v[4:5], v[4:5], v[56:57], v[22:23] op_sel_hi:[1,0,1]
	s_nop 0
	v_mov_b32_e32 v25, v5
	s_waitcnt vmcnt(3) lgkmcnt(2)
	v_pk_mul_f32 v[4:5], v[6:7], v[46:47] op_sel:[1,1] op_sel_hi:[0,1]
	v_pk_fma_f32 v[22:23], v[6:7], v[46:47], v[4:5] neg_lo:[0,0,1] neg_hi:[0,0,1]
	v_pk_fma_f32 v[4:5], v[6:7], v[46:47], v[4:5] op_sel_hi:[1,0,1]
	v_pk_add_f32 v[2:3], v[2:3], v[24:25]
	v_mov_b32_e32 v4, v49
	v_mov_b32_e32 v23, v5
	v_pk_mul_f32 v[4:5], v[8:9], v[4:5] op_sel:[1,0] op_sel_hi:[0,0]
	v_pk_fma_f32 v[6:7], v[8:9], v[48:49], v[4:5] neg_lo:[0,0,1] neg_hi:[0,0,1]
	v_pk_fma_f32 v[4:5], v[8:9], v[48:49], v[4:5] op_sel_hi:[1,0,1]
	v_pk_add_f32 v[2:3], v[2:3], v[22:23]
	v_mov_b32_e32 v7, v5
	s_waitcnt vmcnt(2) lgkmcnt(1)
	v_pk_mul_f32 v[4:5], v[10:11], v[34:35] op_sel:[1,1] op_sel_hi:[0,1]
	v_pk_add_f32 v[2:3], v[2:3], v[6:7]
	v_pk_fma_f32 v[6:7], v[10:11], v[34:35], v[4:5] neg_lo:[0,0,1] neg_hi:[0,0,1]
	v_pk_fma_f32 v[4:5], v[10:11], v[34:35], v[4:5] op_sel_hi:[1,0,1]
	s_nop 0
	v_mov_b32_e32 v4, v37
	v_mov_b32_e32 v7, v5
	v_pk_mul_f32 v[4:5], v[12:13], v[4:5] op_sel:[1,0] op_sel_hi:[0,0]
	v_pk_add_f32 v[2:3], v[2:3], v[6:7]
	v_pk_fma_f32 v[6:7], v[12:13], v[36:37], v[4:5] neg_lo:[0,0,1] neg_hi:[0,0,1]
	v_pk_fma_f32 v[4:5], v[12:13], v[36:37], v[4:5] op_sel_hi:[1,0,1]
	s_nop 0
	v_mov_b32_e32 v7, v5
	s_waitcnt vmcnt(1) lgkmcnt(0)
	v_pk_mul_f32 v[4:5], v[14:15], v[18:19] op_sel:[1,1] op_sel_hi:[0,1]
	v_pk_add_f32 v[2:3], v[2:3], v[6:7]
	v_pk_fma_f32 v[6:7], v[14:15], v[18:19], v[4:5] neg_lo:[0,0,1] neg_hi:[0,0,1]
	v_pk_fma_f32 v[4:5], v[14:15], v[18:19], v[4:5] op_sel_hi:[1,0,1]
	s_nop 0
	v_mov_b32_e32 v4, v21
	v_mov_b32_e32 v7, v5
	v_pk_mul_f32 v[4:5], v[16:17], v[4:5] op_sel:[1,0] op_sel_hi:[0,0]
	v_pk_add_f32 v[2:3], v[2:3], v[6:7]
	v_pk_fma_f32 v[6:7], v[16:17], v[20:21], v[4:5] neg_lo:[0,0,1] neg_hi:[0,0,1]
	v_pk_fma_f32 v[4:5], v[16:17], v[20:21], v[4:5] op_sel_hi:[1,0,1]
	s_nop 0
	v_mov_b32_e32 v7, v5
	v_pk_add_f32 v[2:3], v[2:3], v[6:7]
	s_waitcnt vmcnt(0)
	v_pk_add_f32 v[2:3], v[100:101], v[2:3] neg_lo:[0,1] neg_hi:[0,1]
	scratch_store_dwordx2 off, v[2:3], off offset:80
	s_and_saveexec_b64 s[0:1], vcc
	s_cbranch_execz .LBB38_229
; %bb.228:
	scratch_load_dwordx2 v[2:3], off, off offset:72
	v_mov_b32_e32 v4, 0
	v_mov_b32_e32 v5, v4
	scratch_store_dwordx2 off, v[4:5], off offset:72
	s_waitcnt vmcnt(1)
	ds_write_b64 v1, v[2:3]
.LBB38_229:
	s_or_b64 exec, exec, s[0:1]
	s_waitcnt lgkmcnt(0)
	; wave barrier
	scratch_load_dwordx4 v[26:29], off, off offset:80
	scratch_load_dwordx4 v[2:5], off, off offset:96
	;; [unrolled: 1-line block ×14, first 2 shown]
	scratch_load_dwordx2 v[58:59], off, off offset:304
	scratch_load_dwordx2 v[100:101], off, off offset:72
	v_mov_b32_e32 v102, 0
	ds_read_b128 v[60:63], v102 offset:400
	ds_read_b128 v[64:67], v102 offset:416
	;; [unrolled: 1-line block ×12, first 2 shown]
	v_cmp_lt_u32_e32 vcc, 8, v0
	s_waitcnt vmcnt(15) lgkmcnt(11)
	v_mul_f32_e32 v103, v60, v27
	v_mul_f32_e32 v112, v62, v29
	s_waitcnt vmcnt(14) lgkmcnt(10)
	v_mul_f32_e32 v114, v64, v3
	v_mul_f32_e32 v3, v65, v3
	v_fmac_f32_e32 v103, v61, v26
	v_fmac_f32_e32 v112, v63, v28
	;; [unrolled: 1-line block ×3, first 2 shown]
	v_fma_f32 v2, v64, v2, -v3
	v_add_f32_e32 v3, 0, v103
	v_mul_f32_e32 v194, v66, v5
	v_add_f32_e32 v3, v3, v112
	s_waitcnt vmcnt(13) lgkmcnt(9)
	v_mul_f32_e32 v195, v68, v7
	v_fmac_f32_e32 v194, v67, v4
	v_add_f32_e32 v3, v3, v114
	v_mul_f32_e32 v196, v70, v9
	v_fmac_f32_e32 v195, v69, v6
	v_add_f32_e32 v3, v3, v194
	s_waitcnt vmcnt(12) lgkmcnt(8)
	v_mul_f32_e32 v197, v72, v11
	v_fmac_f32_e32 v196, v71, v8
	v_add_f32_e32 v3, v3, v195
	v_mul_f32_e32 v198, v74, v13
	v_fmac_f32_e32 v197, v73, v10
	v_add_f32_e32 v3, v3, v196
	s_waitcnt vmcnt(11) lgkmcnt(7)
	v_mul_f32_e32 v199, v76, v15
	v_fmac_f32_e32 v198, v75, v12
	v_add_f32_e32 v3, v3, v197
	v_mul_f32_e32 v200, v78, v17
	v_fmac_f32_e32 v199, v77, v14
	v_add_f32_e32 v3, v3, v198
	s_waitcnt vmcnt(10) lgkmcnt(6)
	v_mul_f32_e32 v201, v80, v23
	v_fmac_f32_e32 v200, v79, v16
	v_add_f32_e32 v3, v3, v199
	v_mul_f32_e32 v202, v82, v25
	v_fmac_f32_e32 v201, v81, v22
	v_add_f32_e32 v3, v3, v200
	s_waitcnt vmcnt(9) lgkmcnt(5)
	v_mul_f32_e32 v203, v84, v31
	v_fmac_f32_e32 v202, v83, v24
	v_add_f32_e32 v3, v3, v201
	v_mul_f32_e32 v204, v86, v33
	v_fmac_f32_e32 v203, v85, v30
	v_add_f32_e32 v3, v3, v202
	s_waitcnt vmcnt(8) lgkmcnt(4)
	v_mul_f32_e32 v205, v88, v39
	v_fmac_f32_e32 v204, v87, v32
	v_add_f32_e32 v3, v3, v203
	v_mul_f32_e32 v206, v90, v41
	v_fmac_f32_e32 v205, v89, v38
	v_add_f32_e32 v3, v3, v204
	s_waitcnt vmcnt(7) lgkmcnt(3)
	v_mul_f32_e32 v207, v92, v43
	v_fmac_f32_e32 v206, v91, v40
	v_add_f32_e32 v3, v3, v205
	v_mul_f32_e32 v208, v94, v45
	v_mul_f32_e32 v27, v61, v27
	v_fmac_f32_e32 v207, v93, v42
	v_add_f32_e32 v3, v3, v206
	s_waitcnt vmcnt(6) lgkmcnt(2)
	v_mul_f32_e32 v209, v96, v51
	v_mul_f32_e32 v29, v63, v29
	v_fmac_f32_e32 v208, v95, v44
	v_fma_f32 v26, v60, v26, -v27
	v_add_f32_e32 v3, v3, v207
	v_fmac_f32_e32 v209, v97, v50
	v_fma_f32 v27, v62, v28, -v29
	v_add_f32_e32 v26, 0, v26
	v_add_f32_e32 v3, v3, v208
	;; [unrolled: 1-line block ×4, first 2 shown]
	v_mul_f32_e32 v3, v67, v5
	v_add_f32_e32 v2, v26, v2
	v_fma_f32 v3, v66, v4, -v3
	v_add_f32_e32 v2, v2, v3
	v_mul_f32_e32 v3, v69, v7
	v_fma_f32 v3, v68, v6, -v3
	v_add_f32_e32 v2, v2, v3
	v_mul_f32_e32 v3, v71, v9
	;; [unrolled: 3-line block ×15, first 2 shown]
	v_fma_f32 v3, v96, v50, -v3
	v_mul_f32_e32 v113, v98, v53
	v_add_f32_e32 v26, v2, v3
	v_mul_f32_e32 v2, v99, v53
	s_waitcnt vmcnt(5)
	v_mov_b32_e32 v14, v57
	s_waitcnt lgkmcnt(1)
	v_mul_f32_e32 v115, v104, v55
	v_fmac_f32_e32 v113, v99, v52
	v_fma_f32 v112, v98, v52, -v2
	v_mul_f32_e32 v2, v105, v55
	v_pk_mul_f32 v[14:15], v[106:107], v[14:15] op_sel:[1,0] op_sel_hi:[0,0]
	v_fmac_f32_e32 v115, v105, v54
	v_fma_f32 v114, v104, v54, -v2
	v_pk_add_f32 v[12:13], v[26:27], v[112:113]
	v_pk_fma_f32 v[16:17], v[106:107], v[56:57], v[14:15] neg_lo:[0,0,1] neg_hi:[0,0,1]
	v_pk_fma_f32 v[14:15], v[106:107], v[56:57], v[14:15] op_sel_hi:[1,0,1]
	v_pk_add_f32 v[12:13], v[12:13], v[114:115]
	v_mov_b32_e32 v17, v15
	s_waitcnt vmcnt(4) lgkmcnt(0)
	v_pk_mul_f32 v[14:15], v[108:109], v[46:47] op_sel:[1,1] op_sel_hi:[0,1]
	v_pk_add_f32 v[12:13], v[12:13], v[16:17]
	v_pk_fma_f32 v[16:17], v[108:109], v[46:47], v[14:15] neg_lo:[0,0,1] neg_hi:[0,0,1]
	v_pk_fma_f32 v[14:15], v[108:109], v[46:47], v[14:15] op_sel_hi:[1,0,1]
	ds_read_b128 v[2:5], v102 offset:592
	ds_read_b128 v[6:9], v102 offset:608
	ds_read_b64 v[10:11], v102 offset:624
	v_mov_b32_e32 v14, v49
	v_mov_b32_e32 v17, v15
	v_pk_mul_f32 v[14:15], v[110:111], v[14:15] op_sel:[1,0] op_sel_hi:[0,0]
	v_pk_add_f32 v[12:13], v[12:13], v[16:17]
	v_pk_fma_f32 v[16:17], v[110:111], v[48:49], v[14:15] neg_lo:[0,0,1] neg_hi:[0,0,1]
	v_pk_fma_f32 v[14:15], v[110:111], v[48:49], v[14:15] op_sel_hi:[1,0,1]
	s_nop 0
	v_mov_b32_e32 v17, v15
	s_waitcnt vmcnt(3) lgkmcnt(2)
	v_pk_mul_f32 v[14:15], v[2:3], v[34:35] op_sel:[1,1] op_sel_hi:[0,1]
	v_pk_add_f32 v[12:13], v[12:13], v[16:17]
	v_pk_fma_f32 v[16:17], v[2:3], v[34:35], v[14:15] neg_lo:[0,0,1] neg_hi:[0,0,1]
	v_pk_fma_f32 v[2:3], v[2:3], v[34:35], v[14:15] op_sel_hi:[1,0,1]
	s_nop 0
	v_mov_b32_e32 v17, v3
	v_pk_add_f32 v[2:3], v[12:13], v[16:17]
	v_mov_b32_e32 v12, v37
	v_pk_mul_f32 v[12:13], v[4:5], v[12:13] op_sel:[1,0] op_sel_hi:[0,0]
	v_pk_fma_f32 v[14:15], v[4:5], v[36:37], v[12:13] neg_lo:[0,0,1] neg_hi:[0,0,1]
	v_pk_fma_f32 v[4:5], v[4:5], v[36:37], v[12:13] op_sel_hi:[1,0,1]
	s_nop 0
	v_mov_b32_e32 v15, v5
	s_waitcnt vmcnt(2) lgkmcnt(1)
	v_pk_mul_f32 v[4:5], v[6:7], v[18:19] op_sel:[1,1] op_sel_hi:[0,1]
	v_pk_fma_f32 v[12:13], v[6:7], v[18:19], v[4:5] neg_lo:[0,0,1] neg_hi:[0,0,1]
	v_pk_fma_f32 v[4:5], v[6:7], v[18:19], v[4:5] op_sel_hi:[1,0,1]
	v_pk_add_f32 v[2:3], v[2:3], v[14:15]
	v_mov_b32_e32 v4, v21
	v_mov_b32_e32 v13, v5
	v_pk_mul_f32 v[4:5], v[8:9], v[4:5] op_sel:[1,0] op_sel_hi:[0,0]
	v_pk_fma_f32 v[6:7], v[8:9], v[20:21], v[4:5] neg_lo:[0,0,1] neg_hi:[0,0,1]
	v_pk_fma_f32 v[4:5], v[8:9], v[20:21], v[4:5] op_sel_hi:[1,0,1]
	v_pk_add_f32 v[2:3], v[2:3], v[12:13]
	v_mov_b32_e32 v7, v5
	s_waitcnt vmcnt(1) lgkmcnt(0)
	v_pk_mul_f32 v[4:5], v[10:11], v[58:59] op_sel:[1,1] op_sel_hi:[0,1]
	v_pk_add_f32 v[2:3], v[2:3], v[6:7]
	v_pk_fma_f32 v[6:7], v[10:11], v[58:59], v[4:5] neg_lo:[0,0,1] neg_hi:[0,0,1]
	v_pk_fma_f32 v[4:5], v[10:11], v[58:59], v[4:5] op_sel_hi:[1,0,1]
	s_nop 0
	v_mov_b32_e32 v7, v5
	v_pk_add_f32 v[2:3], v[2:3], v[6:7]
	s_waitcnt vmcnt(0)
	v_pk_add_f32 v[2:3], v[100:101], v[2:3] neg_lo:[0,1] neg_hi:[0,1]
	scratch_store_dwordx2 off, v[2:3], off offset:72
	s_and_saveexec_b64 s[0:1], vcc
	s_cbranch_execz .LBB38_231
; %bb.230:
	scratch_load_dwordx2 v[2:3], off, off offset:64
	v_mov_b32_e32 v103, v102
	scratch_store_dwordx2 off, v[102:103], off offset:64
	s_waitcnt vmcnt(1)
	ds_write_b64 v1, v[2:3]
.LBB38_231:
	s_or_b64 exec, exec, s[0:1]
	s_waitcnt lgkmcnt(0)
	; wave barrier
	scratch_load_dwordx4 v[18:21], off, off offset:72
	scratch_load_dwordx4 v[2:5], off, off offset:88
	;; [unrolled: 1-line block ×11, first 2 shown]
	ds_read2_b64 v[104:107], v102 offset0:49 offset1:50
	ds_read2_b64 v[98:101], v102 offset0:51 offset1:52
	;; [unrolled: 1-line block ×10, first 2 shown]
	scratch_load_dwordx4 v[58:61], off, off offset:248
	scratch_load_dwordx4 v[50:53], off, off offset:264
	;; [unrolled: 1-line block ×4, first 2 shown]
	ds_read2_b64 v[78:81], v102 offset0:69 offset1:70
	ds_read2_b64 v[108:111], v102 offset0:71 offset1:72
	scratch_load_dwordx2 v[112:113], off, off offset:64
	v_cmp_lt_u32_e32 vcc, 7, v0
	s_waitcnt vmcnt(15) lgkmcnt(11)
	v_mul_f32_e32 v103, v104, v19
	v_mul_f32_e32 v114, v106, v21
	s_waitcnt vmcnt(14) lgkmcnt(10)
	v_mul_f32_e32 v194, v98, v3
	v_mul_f32_e32 v3, v99, v3
	v_fmac_f32_e32 v103, v105, v18
	v_fmac_f32_e32 v114, v107, v20
	;; [unrolled: 1-line block ×3, first 2 shown]
	v_fma_f32 v2, v98, v2, -v3
	v_add_f32_e32 v3, 0, v103
	v_mul_f32_e32 v196, v100, v5
	v_add_f32_e32 v3, v3, v114
	s_waitcnt vmcnt(13) lgkmcnt(9)
	v_mul_f32_e32 v197, v94, v7
	v_fmac_f32_e32 v196, v101, v4
	v_add_f32_e32 v3, v3, v194
	v_mul_f32_e32 v198, v96, v9
	v_fmac_f32_e32 v197, v95, v6
	v_add_f32_e32 v3, v3, v196
	s_waitcnt vmcnt(12) lgkmcnt(8)
	v_mul_f32_e32 v199, v90, v11
	v_fmac_f32_e32 v198, v97, v8
	v_add_f32_e32 v3, v3, v197
	v_mul_f32_e32 v200, v92, v13
	v_fmac_f32_e32 v199, v91, v10
	;; [unrolled: 7-line block ×7, first 2 shown]
	v_add_f32_e32 v3, v3, v208
	s_waitcnt vmcnt(6) lgkmcnt(2)
	v_mul_f32_e32 v211, v62, v47
	v_mul_f32_e32 v19, v105, v19
	v_fmac_f32_e32 v210, v69, v44
	v_add_f32_e32 v3, v3, v209
	v_mul_f32_e32 v212, v64, v49
	v_mul_f32_e32 v21, v107, v21
	v_fmac_f32_e32 v211, v63, v46
	v_fma_f32 v18, v104, v18, -v19
	v_add_f32_e32 v3, v3, v210
	v_fmac_f32_e32 v212, v65, v48
	v_fma_f32 v19, v106, v20, -v21
	v_add_f32_e32 v18, 0, v18
	v_add_f32_e32 v3, v3, v211
	;; [unrolled: 1-line block ×4, first 2 shown]
	v_mul_f32_e32 v3, v101, v5
	v_add_f32_e32 v2, v18, v2
	v_fma_f32 v3, v100, v4, -v3
	v_add_f32_e32 v2, v2, v3
	v_mul_f32_e32 v3, v95, v7
	v_fma_f32 v3, v94, v6, -v3
	v_add_f32_e32 v2, v2, v3
	v_mul_f32_e32 v3, v97, v9
	;; [unrolled: 3-line block ×16, first 2 shown]
	v_fma_f32 v3, v64, v48, -v3
	s_waitcnt vmcnt(5) lgkmcnt(1)
	v_mul_f32_e32 v115, v78, v55
	v_add_f32_e32 v18, v2, v3
	v_mul_f32_e32 v2, v79, v55
	v_fmac_f32_e32 v115, v79, v54
	v_fma_f32 v114, v78, v54, -v2
	s_waitcnt vmcnt(4) lgkmcnt(0)
	v_pk_mul_f32 v[16:17], v[108:109], v[58:59] op_sel:[1,1] op_sel_hi:[0,1]
	v_mul_f32_e32 v195, v80, v57
	v_mul_f32_e32 v2, v81, v57
	v_pk_add_f32 v[14:15], v[18:19], v[114:115]
	v_pk_fma_f32 v[18:19], v[108:109], v[58:59], v[16:17] neg_lo:[0,0,1] neg_hi:[0,0,1]
	v_pk_fma_f32 v[16:17], v[108:109], v[58:59], v[16:17] op_sel_hi:[1,0,1]
	v_fmac_f32_e32 v195, v81, v56
	v_fma_f32 v194, v80, v56, -v2
	ds_read2_b64 v[2:5], v102 offset0:73 offset1:74
	ds_read2_b64 v[6:9], v102 offset0:75 offset1:76
	;; [unrolled: 1-line block ×3, first 2 shown]
	v_mov_b32_e32 v16, v61
	v_pk_add_f32 v[14:15], v[14:15], v[194:195]
	v_mov_b32_e32 v19, v17
	v_pk_mul_f32 v[16:17], v[110:111], v[16:17] op_sel:[1,0] op_sel_hi:[0,0]
	v_pk_add_f32 v[14:15], v[14:15], v[18:19]
	v_pk_fma_f32 v[18:19], v[110:111], v[60:61], v[16:17] neg_lo:[0,0,1] neg_hi:[0,0,1]
	v_pk_fma_f32 v[16:17], v[110:111], v[60:61], v[16:17] op_sel_hi:[1,0,1]
	s_nop 0
	v_mov_b32_e32 v19, v17
	s_waitcnt vmcnt(3) lgkmcnt(2)
	v_pk_mul_f32 v[16:17], v[2:3], v[50:51] op_sel:[1,1] op_sel_hi:[0,1]
	v_pk_add_f32 v[14:15], v[14:15], v[18:19]
	v_pk_fma_f32 v[18:19], v[2:3], v[50:51], v[16:17] neg_lo:[0,0,1] neg_hi:[0,0,1]
	v_pk_fma_f32 v[2:3], v[2:3], v[50:51], v[16:17] op_sel_hi:[1,0,1]
	s_nop 0
	v_mov_b32_e32 v19, v3
	v_pk_add_f32 v[2:3], v[14:15], v[18:19]
	v_mov_b32_e32 v14, v53
	v_pk_mul_f32 v[14:15], v[4:5], v[14:15] op_sel:[1,0] op_sel_hi:[0,0]
	v_pk_fma_f32 v[16:17], v[4:5], v[52:53], v[14:15] neg_lo:[0,0,1] neg_hi:[0,0,1]
	v_pk_fma_f32 v[4:5], v[4:5], v[52:53], v[14:15] op_sel_hi:[1,0,1]
	s_nop 0
	v_mov_b32_e32 v17, v5
	s_waitcnt vmcnt(2) lgkmcnt(1)
	v_pk_mul_f32 v[4:5], v[6:7], v[38:39] op_sel:[1,1] op_sel_hi:[0,1]
	v_pk_fma_f32 v[14:15], v[6:7], v[38:39], v[4:5] neg_lo:[0,0,1] neg_hi:[0,0,1]
	v_pk_fma_f32 v[4:5], v[6:7], v[38:39], v[4:5] op_sel_hi:[1,0,1]
	v_pk_add_f32 v[2:3], v[2:3], v[16:17]
	v_mov_b32_e32 v4, v41
	v_mov_b32_e32 v15, v5
	v_pk_mul_f32 v[4:5], v[8:9], v[4:5] op_sel:[1,0] op_sel_hi:[0,0]
	v_pk_fma_f32 v[6:7], v[8:9], v[40:41], v[4:5] neg_lo:[0,0,1] neg_hi:[0,0,1]
	v_pk_fma_f32 v[4:5], v[8:9], v[40:41], v[4:5] op_sel_hi:[1,0,1]
	v_pk_add_f32 v[2:3], v[2:3], v[14:15]
	v_mov_b32_e32 v7, v5
	s_waitcnt vmcnt(1) lgkmcnt(0)
	v_pk_mul_f32 v[4:5], v[10:11], v[26:27] op_sel:[1,1] op_sel_hi:[0,1]
	v_pk_add_f32 v[2:3], v[2:3], v[6:7]
	v_pk_fma_f32 v[6:7], v[10:11], v[26:27], v[4:5] neg_lo:[0,0,1] neg_hi:[0,0,1]
	v_pk_fma_f32 v[4:5], v[10:11], v[26:27], v[4:5] op_sel_hi:[1,0,1]
	s_nop 0
	v_mov_b32_e32 v4, v29
	v_mov_b32_e32 v7, v5
	v_pk_mul_f32 v[4:5], v[12:13], v[4:5] op_sel:[1,0] op_sel_hi:[0,0]
	v_pk_add_f32 v[2:3], v[2:3], v[6:7]
	v_pk_fma_f32 v[6:7], v[12:13], v[28:29], v[4:5] neg_lo:[0,0,1] neg_hi:[0,0,1]
	v_pk_fma_f32 v[4:5], v[12:13], v[28:29], v[4:5] op_sel_hi:[1,0,1]
	s_nop 0
	v_mov_b32_e32 v7, v5
	v_pk_add_f32 v[2:3], v[2:3], v[6:7]
	s_waitcnt vmcnt(0)
	v_pk_add_f32 v[2:3], v[112:113], v[2:3] neg_lo:[0,1] neg_hi:[0,1]
	scratch_store_dwordx2 off, v[2:3], off offset:64
	s_and_saveexec_b64 s[0:1], vcc
	s_cbranch_execz .LBB38_233
; %bb.232:
	scratch_load_dwordx2 v[2:3], off, off offset:56
	v_mov_b32_e32 v4, 0
	v_mov_b32_e32 v5, v4
	scratch_store_dwordx2 off, v[4:5], off offset:56
	s_waitcnt vmcnt(1)
	ds_write_b64 v1, v[2:3]
.LBB38_233:
	s_or_b64 exec, exec, s[0:1]
	s_waitcnt lgkmcnt(0)
	; wave barrier
	scratch_load_dwordx4 v[2:5], off, off offset:64
	scratch_load_dwordx4 v[6:9], off, off offset:80
	;; [unrolled: 1-line block ×15, first 2 shown]
	scratch_load_dwordx2 v[62:63], off, off offset:304
	scratch_load_dwordx2 v[112:113], off, off offset:56
	v_mov_b32_e32 v114, 0
	ds_read_b128 v[64:67], v114 offset:384
	ds_read_b128 v[68:71], v114 offset:400
	;; [unrolled: 1-line block ×12, first 2 shown]
	v_cmp_lt_u32_e32 vcc, 6, v0
	s_waitcnt vmcnt(16) lgkmcnt(11)
	v_mul_f32_e32 v115, v64, v3
	v_mul_f32_e32 v194, v66, v5
	;; [unrolled: 1-line block ×3, first 2 shown]
	v_fmac_f32_e32 v115, v65, v2
	s_waitcnt vmcnt(15) lgkmcnt(10)
	v_mul_f32_e32 v196, v68, v7
	v_fmac_f32_e32 v194, v67, v4
	v_fma_f32 v2, v64, v2, -v3
	v_add_f32_e32 v3, 0, v115
	v_mul_f32_e32 v198, v70, v9
	v_fmac_f32_e32 v196, v69, v6
	v_add_f32_e32 v3, v3, v194
	s_waitcnt vmcnt(14) lgkmcnt(9)
	v_mul_f32_e32 v199, v72, v11
	v_fmac_f32_e32 v198, v71, v8
	v_add_f32_e32 v3, v3, v196
	v_mul_f32_e32 v200, v74, v13
	v_fmac_f32_e32 v199, v73, v10
	v_add_f32_e32 v3, v3, v198
	s_waitcnt vmcnt(13) lgkmcnt(8)
	v_mul_f32_e32 v201, v76, v15
	v_fmac_f32_e32 v200, v75, v12
	;; [unrolled: 7-line block ×9, first 2 shown]
	v_add_f32_e32 v3, v3, v213
	v_mul_f32_e32 v5, v67, v5
	v_fmac_f32_e32 v215, v105, v58
	v_add_f32_e32 v3, v3, v214
	v_add_f32_e32 v2, 0, v2
	;; [unrolled: 1-line block ×3, first 2 shown]
	v_fma_f32 v3, v66, v4, -v5
	v_add_f32_e32 v2, v2, v3
	v_mul_f32_e32 v3, v69, v7
	v_fma_f32 v3, v68, v6, -v3
	v_add_f32_e32 v2, v2, v3
	v_mul_f32_e32 v3, v71, v9
	v_fma_f32 v3, v70, v8, -v3
	v_add_f32_e32 v2, v2, v3
	v_mul_f32_e32 v3, v73, v11
	v_fma_f32 v3, v72, v10, -v3
	v_add_f32_e32 v2, v2, v3
	v_mul_f32_e32 v3, v75, v13
	v_fma_f32 v3, v74, v12, -v3
	v_add_f32_e32 v2, v2, v3
	v_mul_f32_e32 v3, v77, v15
	v_fma_f32 v3, v76, v14, -v3
	v_add_f32_e32 v2, v2, v3
	v_mul_f32_e32 v3, v79, v17
	v_fma_f32 v3, v78, v16, -v3
	v_add_f32_e32 v2, v2, v3
	v_mul_f32_e32 v3, v81, v19
	v_fma_f32 v3, v80, v18, -v3
	v_add_f32_e32 v2, v2, v3
	v_mul_f32_e32 v3, v83, v21
	v_fma_f32 v3, v82, v20, -v3
	v_add_f32_e32 v2, v2, v3
	v_mul_f32_e32 v3, v85, v23
	v_fma_f32 v3, v84, v22, -v3
	v_add_f32_e32 v2, v2, v3
	v_mul_f32_e32 v3, v87, v25
	v_fma_f32 v3, v86, v24, -v3
	v_add_f32_e32 v2, v2, v3
	v_mul_f32_e32 v3, v89, v31
	v_fma_f32 v3, v88, v30, -v3
	v_add_f32_e32 v2, v2, v3
	v_mul_f32_e32 v3, v91, v33
	v_fma_f32 v3, v90, v32, -v3
	v_add_f32_e32 v2, v2, v3
	v_mul_f32_e32 v3, v93, v35
	v_fma_f32 v3, v92, v34, -v3
	v_add_f32_e32 v2, v2, v3
	v_mul_f32_e32 v3, v95, v37
	v_fma_f32 v3, v94, v36, -v3
	v_add_f32_e32 v2, v2, v3
	v_mul_f32_e32 v3, v97, v43
	v_fma_f32 v3, v96, v42, -v3
	v_add_f32_e32 v2, v2, v3
	v_mul_f32_e32 v3, v99, v45
	v_fma_f32 v3, v98, v44, -v3
	v_add_f32_e32 v2, v2, v3
	v_mul_f32_e32 v3, v101, v47
	v_fma_f32 v3, v100, v46, -v3
	v_add_f32_e32 v2, v2, v3
	v_mul_f32_e32 v3, v103, v49
	v_fma_f32 v3, v102, v48, -v3
	v_add_f32_e32 v2, v2, v3
	v_mul_f32_e32 v3, v105, v59
	v_fma_f32 v3, v104, v58, -v3
	v_add_f32_e32 v64, v2, v3
	v_mul_f32_e32 v2, v107, v61
	v_mul_f32_e32 v195, v106, v61
	v_fma_f32 v194, v106, v60, -v2
	s_waitcnt vmcnt(5) lgkmcnt(0)
	v_mul_f32_e32 v2, v109, v55
	v_mov_b32_e32 v18, v57
	v_mul_f32_e32 v197, v108, v55
	v_fmac_f32_e32 v195, v107, v60
	v_fma_f32 v196, v108, v54, -v2
	ds_read_b128 v[2:5], v114 offset:576
	ds_read_b128 v[6:9], v114 offset:592
	;; [unrolled: 1-line block ×3, first 2 shown]
	ds_read_b64 v[14:15], v114 offset:624
	v_pk_mul_f32 v[18:19], v[110:111], v[18:19] op_sel:[1,0] op_sel_hi:[0,0]
	v_fmac_f32_e32 v197, v109, v54
	v_pk_add_f32 v[16:17], v[64:65], v[194:195]
	v_pk_fma_f32 v[20:21], v[110:111], v[56:57], v[18:19] neg_lo:[0,0,1] neg_hi:[0,0,1]
	v_pk_fma_f32 v[18:19], v[110:111], v[56:57], v[18:19] op_sel_hi:[1,0,1]
	v_pk_add_f32 v[16:17], v[16:17], v[196:197]
	v_mov_b32_e32 v21, v19
	s_waitcnt vmcnt(4) lgkmcnt(3)
	v_pk_mul_f32 v[18:19], v[2:3], v[50:51] op_sel:[1,1] op_sel_hi:[0,1]
	v_pk_add_f32 v[16:17], v[16:17], v[20:21]
	v_pk_fma_f32 v[20:21], v[2:3], v[50:51], v[18:19] neg_lo:[0,0,1] neg_hi:[0,0,1]
	v_pk_fma_f32 v[2:3], v[2:3], v[50:51], v[18:19] op_sel_hi:[1,0,1]
	s_nop 0
	v_mov_b32_e32 v21, v3
	v_pk_add_f32 v[2:3], v[16:17], v[20:21]
	v_mov_b32_e32 v16, v53
	v_pk_mul_f32 v[16:17], v[4:5], v[16:17] op_sel:[1,0] op_sel_hi:[0,0]
	v_pk_fma_f32 v[18:19], v[4:5], v[52:53], v[16:17] neg_lo:[0,0,1] neg_hi:[0,0,1]
	v_pk_fma_f32 v[4:5], v[4:5], v[52:53], v[16:17] op_sel_hi:[1,0,1]
	s_nop 0
	v_mov_b32_e32 v19, v5
	s_waitcnt vmcnt(3) lgkmcnt(2)
	v_pk_mul_f32 v[4:5], v[6:7], v[38:39] op_sel:[1,1] op_sel_hi:[0,1]
	v_pk_fma_f32 v[16:17], v[6:7], v[38:39], v[4:5] neg_lo:[0,0,1] neg_hi:[0,0,1]
	v_pk_fma_f32 v[4:5], v[6:7], v[38:39], v[4:5] op_sel_hi:[1,0,1]
	v_pk_add_f32 v[2:3], v[2:3], v[18:19]
	v_mov_b32_e32 v4, v41
	v_mov_b32_e32 v17, v5
	v_pk_mul_f32 v[4:5], v[8:9], v[4:5] op_sel:[1,0] op_sel_hi:[0,0]
	v_pk_fma_f32 v[6:7], v[8:9], v[40:41], v[4:5] neg_lo:[0,0,1] neg_hi:[0,0,1]
	v_pk_fma_f32 v[4:5], v[8:9], v[40:41], v[4:5] op_sel_hi:[1,0,1]
	v_pk_add_f32 v[2:3], v[2:3], v[16:17]
	v_mov_b32_e32 v7, v5
	s_waitcnt vmcnt(2) lgkmcnt(1)
	v_pk_mul_f32 v[4:5], v[10:11], v[26:27] op_sel:[1,1] op_sel_hi:[0,1]
	v_pk_add_f32 v[2:3], v[2:3], v[6:7]
	v_pk_fma_f32 v[6:7], v[10:11], v[26:27], v[4:5] neg_lo:[0,0,1] neg_hi:[0,0,1]
	v_pk_fma_f32 v[4:5], v[10:11], v[26:27], v[4:5] op_sel_hi:[1,0,1]
	s_nop 0
	v_mov_b32_e32 v4, v29
	v_mov_b32_e32 v7, v5
	v_pk_mul_f32 v[4:5], v[12:13], v[4:5] op_sel:[1,0] op_sel_hi:[0,0]
	v_pk_add_f32 v[2:3], v[2:3], v[6:7]
	v_pk_fma_f32 v[6:7], v[12:13], v[28:29], v[4:5] neg_lo:[0,0,1] neg_hi:[0,0,1]
	v_pk_fma_f32 v[4:5], v[12:13], v[28:29], v[4:5] op_sel_hi:[1,0,1]
	s_nop 0
	v_mov_b32_e32 v7, v5
	s_waitcnt vmcnt(1) lgkmcnt(0)
	v_pk_mul_f32 v[4:5], v[14:15], v[62:63] op_sel:[1,1] op_sel_hi:[0,1]
	v_pk_add_f32 v[2:3], v[2:3], v[6:7]
	v_pk_fma_f32 v[6:7], v[14:15], v[62:63], v[4:5] neg_lo:[0,0,1] neg_hi:[0,0,1]
	v_pk_fma_f32 v[4:5], v[14:15], v[62:63], v[4:5] op_sel_hi:[1,0,1]
	s_nop 0
	v_mov_b32_e32 v7, v5
	v_pk_add_f32 v[2:3], v[2:3], v[6:7]
	s_waitcnt vmcnt(0)
	v_pk_add_f32 v[2:3], v[112:113], v[2:3] neg_lo:[0,1] neg_hi:[0,1]
	scratch_store_dwordx2 off, v[2:3], off offset:56
	s_and_saveexec_b64 s[0:1], vcc
	s_cbranch_execz .LBB38_235
; %bb.234:
	scratch_load_dwordx2 v[2:3], off, off offset:48
	v_mov_b32_e32 v115, v114
	scratch_store_dwordx2 off, v[114:115], off offset:48
	s_waitcnt vmcnt(1)
	ds_write_b64 v1, v[2:3]
.LBB38_235:
	s_or_b64 exec, exec, s[0:1]
	s_waitcnt lgkmcnt(0)
	; wave barrier
	scratch_load_dwordx4 v[2:5], off, off offset:56
	scratch_load_dwordx4 v[6:9], off, off offset:72
	;; [unrolled: 1-line block ×12, first 2 shown]
	ds_read2_b64 v[110:113], v114 offset0:47 offset1:48
	ds_read2_b64 v[106:109], v114 offset0:49 offset1:50
	;; [unrolled: 1-line block ×12, first 2 shown]
	scratch_load_dwordx4 v[62:65], off, off offset:248
	scratch_load_dwordx4 v[54:57], off, off offset:264
	scratch_load_dwordx4 v[42:45], off, off offset:280
	scratch_load_dwordx4 v[34:37], off, off offset:296
	scratch_load_dwordx2 v[194:195], off, off offset:48
	v_cmp_lt_u32_e32 vcc, 5, v0
	s_waitcnt vmcnt(16) lgkmcnt(11)
	v_mul_f32_e32 v115, v110, v3
	v_mul_f32_e32 v196, v112, v5
	;; [unrolled: 1-line block ×3, first 2 shown]
	v_fmac_f32_e32 v115, v111, v2
	s_waitcnt vmcnt(15) lgkmcnt(10)
	v_mul_f32_e32 v198, v106, v7
	v_fmac_f32_e32 v196, v113, v4
	v_fma_f32 v2, v110, v2, -v3
	v_add_f32_e32 v3, 0, v115
	v_mul_f32_e32 v200, v108, v9
	v_fmac_f32_e32 v198, v107, v6
	v_add_f32_e32 v3, v3, v196
	s_waitcnt vmcnt(14) lgkmcnt(9)
	v_mul_f32_e32 v201, v102, v11
	v_fmac_f32_e32 v200, v109, v8
	v_add_f32_e32 v3, v3, v198
	v_mul_f32_e32 v202, v104, v13
	v_fmac_f32_e32 v201, v103, v10
	v_add_f32_e32 v3, v3, v200
	s_waitcnt vmcnt(13) lgkmcnt(8)
	v_mul_f32_e32 v203, v98, v15
	v_fmac_f32_e32 v202, v105, v12
	;; [unrolled: 7-line block ×9, first 2 shown]
	v_add_f32_e32 v3, v3, v215
	v_mul_f32_e32 v218, v72, v53
	v_fmac_f32_e32 v217, v71, v50
	v_add_f32_e32 v3, v3, v216
	v_fmac_f32_e32 v218, v73, v52
	v_add_f32_e32 v3, v3, v217
	v_add_f32_e32 v111, v3, v218
	v_mul_f32_e32 v3, v113, v5
	v_add_f32_e32 v2, 0, v2
	v_fma_f32 v3, v112, v4, -v3
	v_add_f32_e32 v2, v2, v3
	v_mul_f32_e32 v3, v107, v7
	v_fma_f32 v3, v106, v6, -v3
	v_add_f32_e32 v2, v2, v3
	v_mul_f32_e32 v3, v109, v9
	;; [unrolled: 3-line block ×20, first 2 shown]
	v_fma_f32 v3, v72, v52, -v3
	v_add_f32_e32 v110, v2, v3
	s_waitcnt vmcnt(5) lgkmcnt(0)
	v_mul_f32_e32 v2, v67, v59
	v_fma_f32 v196, v66, v58, -v2
	v_mul_f32_e32 v2, v69, v61
	v_fma_f32 v198, v68, v60, -v2
	ds_read2_b64 v[2:5], v114 offset0:71 offset1:72
	ds_read2_b64 v[6:9], v114 offset0:73 offset1:74
	;; [unrolled: 1-line block ×4, first 2 shown]
	v_mul_f32_e32 v197, v66, v59
	v_mul_f32_e32 v199, v68, v61
	v_fmac_f32_e32 v197, v67, v58
	s_waitcnt vmcnt(4) lgkmcnt(3)
	v_pk_mul_f32 v[20:21], v[2:3], v[62:63] op_sel:[1,1] op_sel_hi:[0,1]
	v_fmac_f32_e32 v199, v69, v60
	v_pk_add_f32 v[18:19], v[110:111], v[196:197]
	v_pk_fma_f32 v[22:23], v[2:3], v[62:63], v[20:21] neg_lo:[0,0,1] neg_hi:[0,0,1]
	v_pk_fma_f32 v[2:3], v[2:3], v[62:63], v[20:21] op_sel_hi:[1,0,1]
	v_pk_add_f32 v[18:19], v[18:19], v[198:199]
	v_mov_b32_e32 v23, v3
	v_pk_add_f32 v[2:3], v[18:19], v[22:23]
	v_mov_b32_e32 v18, v65
	v_pk_mul_f32 v[18:19], v[4:5], v[18:19] op_sel:[1,0] op_sel_hi:[0,0]
	v_pk_fma_f32 v[20:21], v[4:5], v[64:65], v[18:19] neg_lo:[0,0,1] neg_hi:[0,0,1]
	v_pk_fma_f32 v[4:5], v[4:5], v[64:65], v[18:19] op_sel_hi:[1,0,1]
	s_nop 0
	v_mov_b32_e32 v21, v5
	s_waitcnt vmcnt(3) lgkmcnt(2)
	v_pk_mul_f32 v[4:5], v[6:7], v[54:55] op_sel:[1,1] op_sel_hi:[0,1]
	v_pk_fma_f32 v[18:19], v[6:7], v[54:55], v[4:5] neg_lo:[0,0,1] neg_hi:[0,0,1]
	v_pk_fma_f32 v[4:5], v[6:7], v[54:55], v[4:5] op_sel_hi:[1,0,1]
	v_pk_add_f32 v[2:3], v[2:3], v[20:21]
	v_mov_b32_e32 v4, v57
	v_mov_b32_e32 v19, v5
	v_pk_mul_f32 v[4:5], v[8:9], v[4:5] op_sel:[1,0] op_sel_hi:[0,0]
	v_pk_fma_f32 v[6:7], v[8:9], v[56:57], v[4:5] neg_lo:[0,0,1] neg_hi:[0,0,1]
	v_pk_fma_f32 v[4:5], v[8:9], v[56:57], v[4:5] op_sel_hi:[1,0,1]
	v_pk_add_f32 v[2:3], v[2:3], v[18:19]
	v_mov_b32_e32 v7, v5
	s_waitcnt vmcnt(2) lgkmcnt(1)
	v_pk_mul_f32 v[4:5], v[10:11], v[42:43] op_sel:[1,1] op_sel_hi:[0,1]
	v_pk_add_f32 v[2:3], v[2:3], v[6:7]
	v_pk_fma_f32 v[6:7], v[10:11], v[42:43], v[4:5] neg_lo:[0,0,1] neg_hi:[0,0,1]
	v_pk_fma_f32 v[4:5], v[10:11], v[42:43], v[4:5] op_sel_hi:[1,0,1]
	s_nop 0
	v_mov_b32_e32 v4, v45
	v_mov_b32_e32 v7, v5
	v_pk_mul_f32 v[4:5], v[12:13], v[4:5] op_sel:[1,0] op_sel_hi:[0,0]
	v_pk_add_f32 v[2:3], v[2:3], v[6:7]
	v_pk_fma_f32 v[6:7], v[12:13], v[44:45], v[4:5] neg_lo:[0,0,1] neg_hi:[0,0,1]
	v_pk_fma_f32 v[4:5], v[12:13], v[44:45], v[4:5] op_sel_hi:[1,0,1]
	s_nop 0
	v_mov_b32_e32 v7, v5
	s_waitcnt vmcnt(1) lgkmcnt(0)
	v_pk_mul_f32 v[4:5], v[14:15], v[34:35] op_sel:[1,1] op_sel_hi:[0,1]
	v_pk_add_f32 v[2:3], v[2:3], v[6:7]
	v_pk_fma_f32 v[6:7], v[14:15], v[34:35], v[4:5] neg_lo:[0,0,1] neg_hi:[0,0,1]
	v_pk_fma_f32 v[4:5], v[14:15], v[34:35], v[4:5] op_sel_hi:[1,0,1]
	s_nop 0
	v_mov_b32_e32 v4, v37
	v_mov_b32_e32 v7, v5
	v_pk_mul_f32 v[4:5], v[16:17], v[4:5] op_sel:[1,0] op_sel_hi:[0,0]
	v_pk_add_f32 v[2:3], v[2:3], v[6:7]
	v_pk_fma_f32 v[6:7], v[16:17], v[36:37], v[4:5] neg_lo:[0,0,1] neg_hi:[0,0,1]
	v_pk_fma_f32 v[4:5], v[16:17], v[36:37], v[4:5] op_sel_hi:[1,0,1]
	s_nop 0
	v_mov_b32_e32 v7, v5
	v_pk_add_f32 v[2:3], v[2:3], v[6:7]
	s_waitcnt vmcnt(0)
	v_pk_add_f32 v[2:3], v[194:195], v[2:3] neg_lo:[0,1] neg_hi:[0,1]
	scratch_store_dwordx2 off, v[2:3], off offset:48
	s_and_saveexec_b64 s[0:1], vcc
	s_cbranch_execz .LBB38_237
; %bb.236:
	scratch_load_dwordx2 v[2:3], off, off offset:40
	v_mov_b32_e32 v4, 0
	v_mov_b32_e32 v5, v4
	scratch_store_dwordx2 off, v[4:5], off offset:40
	s_waitcnt vmcnt(1)
	ds_write_b64 v1, v[2:3]
.LBB38_237:
	s_or_b64 exec, exec, s[0:1]
	s_waitcnt lgkmcnt(0)
	; wave barrier
	scratch_load_dwordx4 v[2:5], off, off offset:48
	scratch_load_dwordx4 v[6:9], off, off offset:64
	;; [unrolled: 1-line block ×13, first 2 shown]
	v_mov_b32_e32 v106, 0
	scratch_load_dwordx2 v[202:203], off, off offset:40
	ds_read_b128 v[54:57], v106 offset:368
	ds_read_b128 v[58:61], v106 offset:384
	;; [unrolled: 1-line block ×14, first 2 shown]
	v_cmp_lt_u32_e32 vcc, 4, v0
	s_waitcnt vmcnt(13) lgkmcnt(13)
	v_mul_f32_e32 v107, v54, v3
	v_mul_f32_e32 v112, v56, v5
	v_fmac_f32_e32 v107, v55, v2
	s_waitcnt vmcnt(12) lgkmcnt(12)
	v_mul_f32_e32 v113, v58, v7
	v_fmac_f32_e32 v112, v57, v4
	v_add_f32_e32 v107, 0, v107
	v_mul_f32_e32 v114, v60, v9
	v_fmac_f32_e32 v113, v59, v6
	v_add_f32_e32 v107, v107, v112
	s_waitcnt vmcnt(11) lgkmcnt(11)
	v_mul_f32_e32 v115, v62, v11
	v_fmac_f32_e32 v114, v61, v8
	v_add_f32_e32 v107, v107, v113
	v_mul_f32_e32 v194, v64, v13
	v_fmac_f32_e32 v115, v63, v10
	v_add_f32_e32 v107, v107, v114
	;; [unrolled: 7-line block ×8, first 2 shown]
	s_waitcnt vmcnt(4) lgkmcnt(4)
	v_mul_f32_e32 v211, v90, v39
	v_fmac_f32_e32 v210, v89, v36
	v_add_f32_e32 v107, v107, v209
	v_fmac_f32_e32 v211, v91, v38
	v_add_f32_e32 v107, v107, v210
	v_add_f32_e32 v107, v107, v211
	scratch_load_dwordx4 v[112:115], off, off offset:256
	scratch_load_dwordx4 v[194:197], off, off offset:272
	;; [unrolled: 1-line block ×3, first 2 shown]
	scratch_load_dwordx2 v[210:211], off, off offset:304
	v_mul_f32_e32 v3, v55, v3
	v_fma_f32 v2, v54, v2, -v3
	v_mul_f32_e32 v3, v57, v5
	v_add_f32_e32 v2, 0, v2
	v_fma_f32 v3, v56, v4, -v3
	v_add_f32_e32 v2, v2, v3
	v_mul_f32_e32 v3, v59, v7
	v_fma_f32 v3, v58, v6, -v3
	v_add_f32_e32 v2, v2, v3
	v_mul_f32_e32 v3, v61, v9
	;; [unrolled: 3-line block ×18, first 2 shown]
	v_fma_f32 v3, v92, v40, -v3
	v_add_f32_e32 v2, v2, v3
	s_waitcnt vmcnt(7) lgkmcnt(3)
	v_mul_f32_e32 v3, v95, v43
	v_fma_f32 v3, v94, v42, -v3
	v_mul_f32_e32 v212, v92, v41
	v_add_f32_e32 v2, v2, v3
	v_mul_f32_e32 v3, v97, v45
	v_mul_f32_e32 v213, v94, v43
	v_fmac_f32_e32 v212, v93, v40
	v_fma_f32 v3, v96, v44, -v3
	v_mul_f32_e32 v214, v96, v45
	v_fmac_f32_e32 v213, v95, v42
	v_add_f32_e32 v107, v107, v212
	v_add_f32_e32 v2, v2, v3
	s_waitcnt vmcnt(6) lgkmcnt(2)
	v_mul_f32_e32 v3, v99, v47
	v_mul_f32_e32 v215, v98, v47
	v_fmac_f32_e32 v214, v97, v44
	v_add_f32_e32 v107, v107, v213
	v_fma_f32 v3, v98, v46, -v3
	v_mul_f32_e32 v205, v100, v49
	v_fmac_f32_e32 v215, v99, v46
	v_add_f32_e32 v107, v107, v214
	v_add_f32_e32 v208, v2, v3
	v_mul_f32_e32 v2, v101, v49
	s_waitcnt vmcnt(5)
	v_mov_b32_e32 v14, v53
	s_waitcnt lgkmcnt(1)
	v_mul_f32_e32 v207, v102, v51
	v_fmac_f32_e32 v205, v101, v48
	v_add_f32_e32 v209, v107, v215
	v_fma_f32 v204, v100, v48, -v2
	v_mul_f32_e32 v2, v103, v51
	v_pk_mul_f32 v[14:15], v[104:105], v[14:15] op_sel:[1,0] op_sel_hi:[0,0]
	v_fmac_f32_e32 v207, v103, v50
	v_fma_f32 v206, v102, v50, -v2
	v_pk_add_f32 v[12:13], v[208:209], v[204:205]
	v_pk_fma_f32 v[16:17], v[104:105], v[52:53], v[14:15] neg_lo:[0,0,1] neg_hi:[0,0,1]
	v_pk_fma_f32 v[14:15], v[104:105], v[52:53], v[14:15] op_sel_hi:[1,0,1]
	v_pk_add_f32 v[12:13], v[12:13], v[206:207]
	v_mov_b32_e32 v17, v15
	s_waitcnt vmcnt(3) lgkmcnt(0)
	v_pk_mul_f32 v[14:15], v[108:109], v[112:113] op_sel:[1,1] op_sel_hi:[0,1]
	v_pk_add_f32 v[12:13], v[12:13], v[16:17]
	v_pk_fma_f32 v[16:17], v[108:109], v[112:113], v[14:15] neg_lo:[0,0,1] neg_hi:[0,0,1]
	v_pk_fma_f32 v[14:15], v[108:109], v[112:113], v[14:15] op_sel_hi:[1,0,1]
	ds_read_b128 v[2:5], v106 offset:592
	ds_read_b128 v[6:9], v106 offset:608
	ds_read_b64 v[10:11], v106 offset:624
	v_mov_b32_e32 v14, v115
	v_mov_b32_e32 v17, v15
	v_pk_mul_f32 v[14:15], v[110:111], v[14:15] op_sel:[1,0] op_sel_hi:[0,0]
	v_pk_add_f32 v[12:13], v[12:13], v[16:17]
	v_pk_fma_f32 v[16:17], v[110:111], v[114:115], v[14:15] neg_lo:[0,0,1] neg_hi:[0,0,1]
	v_pk_fma_f32 v[14:15], v[110:111], v[114:115], v[14:15] op_sel_hi:[1,0,1]
	s_nop 0
	v_mov_b32_e32 v17, v15
	s_waitcnt vmcnt(2) lgkmcnt(2)
	v_pk_mul_f32 v[14:15], v[2:3], v[194:195] op_sel:[1,1] op_sel_hi:[0,1]
	v_pk_add_f32 v[12:13], v[12:13], v[16:17]
	v_pk_fma_f32 v[16:17], v[2:3], v[194:195], v[14:15] neg_lo:[0,0,1] neg_hi:[0,0,1]
	v_pk_fma_f32 v[2:3], v[2:3], v[194:195], v[14:15] op_sel_hi:[1,0,1]
	s_nop 0
	v_mov_b32_e32 v17, v3
	v_pk_add_f32 v[2:3], v[12:13], v[16:17]
	v_mov_b32_e32 v12, v197
	v_pk_mul_f32 v[12:13], v[4:5], v[12:13] op_sel:[1,0] op_sel_hi:[0,0]
	v_pk_fma_f32 v[14:15], v[4:5], v[196:197], v[12:13] neg_lo:[0,0,1] neg_hi:[0,0,1]
	v_pk_fma_f32 v[4:5], v[4:5], v[196:197], v[12:13] op_sel_hi:[1,0,1]
	s_nop 0
	v_mov_b32_e32 v15, v5
	s_waitcnt vmcnt(1) lgkmcnt(1)
	v_pk_mul_f32 v[4:5], v[6:7], v[198:199] op_sel:[1,1] op_sel_hi:[0,1]
	v_pk_fma_f32 v[12:13], v[6:7], v[198:199], v[4:5] neg_lo:[0,0,1] neg_hi:[0,0,1]
	v_pk_fma_f32 v[4:5], v[6:7], v[198:199], v[4:5] op_sel_hi:[1,0,1]
	v_pk_add_f32 v[2:3], v[2:3], v[14:15]
	v_mov_b32_e32 v4, v201
	v_mov_b32_e32 v13, v5
	v_pk_mul_f32 v[4:5], v[8:9], v[4:5] op_sel:[1,0] op_sel_hi:[0,0]
	v_pk_fma_f32 v[6:7], v[8:9], v[200:201], v[4:5] neg_lo:[0,0,1] neg_hi:[0,0,1]
	v_pk_fma_f32 v[4:5], v[8:9], v[200:201], v[4:5] op_sel_hi:[1,0,1]
	v_pk_add_f32 v[2:3], v[2:3], v[12:13]
	v_mov_b32_e32 v7, v5
	s_waitcnt vmcnt(0) lgkmcnt(0)
	v_pk_mul_f32 v[4:5], v[10:11], v[210:211] op_sel:[1,1] op_sel_hi:[0,1]
	v_pk_add_f32 v[2:3], v[2:3], v[6:7]
	v_pk_fma_f32 v[6:7], v[10:11], v[210:211], v[4:5] neg_lo:[0,0,1] neg_hi:[0,0,1]
	v_pk_fma_f32 v[4:5], v[10:11], v[210:211], v[4:5] op_sel_hi:[1,0,1]
	s_nop 0
	v_mov_b32_e32 v7, v5
	v_pk_add_f32 v[2:3], v[2:3], v[6:7]
	s_nop 0
	v_pk_add_f32 v[2:3], v[202:203], v[2:3] neg_lo:[0,1] neg_hi:[0,1]
	scratch_store_dwordx2 off, v[2:3], off offset:40
	s_and_saveexec_b64 s[0:1], vcc
	s_cbranch_execz .LBB38_239
; %bb.238:
	scratch_load_dwordx2 v[2:3], off, off offset:32
	v_mov_b32_e32 v107, v106
	scratch_store_dwordx2 off, v[106:107], off offset:32
	s_waitcnt vmcnt(1)
	ds_write_b64 v1, v[2:3]
.LBB38_239:
	s_or_b64 exec, exec, s[0:1]
	s_waitcnt lgkmcnt(0)
	; wave barrier
	scratch_load_dwordx4 v[2:5], off, off offset:40
	scratch_load_dwordx4 v[6:9], off, off offset:56
	;; [unrolled: 1-line block ×13, first 2 shown]
	ds_read2_b64 v[102:105], v106 offset0:45 offset1:46
	ds_read2_b64 v[98:101], v106 offset0:47 offset1:48
	;; [unrolled: 1-line block ×14, first 2 shown]
	scratch_load_dwordx2 v[206:207], off, off offset:32
	v_cmp_lt_u32_e32 vcc, 3, v0
	s_waitcnt vmcnt(13) lgkmcnt(13)
	v_mul_f32_e32 v107, v102, v3
	v_mul_f32_e32 v112, v104, v5
	v_fmac_f32_e32 v107, v103, v2
	s_waitcnt vmcnt(12) lgkmcnt(12)
	v_mul_f32_e32 v113, v98, v7
	v_fmac_f32_e32 v112, v105, v4
	v_add_f32_e32 v107, 0, v107
	v_mul_f32_e32 v114, v100, v9
	v_fmac_f32_e32 v113, v99, v6
	v_add_f32_e32 v107, v107, v112
	s_waitcnt vmcnt(11) lgkmcnt(11)
	v_mul_f32_e32 v115, v94, v11
	v_fmac_f32_e32 v114, v101, v8
	v_add_f32_e32 v107, v107, v113
	v_mul_f32_e32 v194, v96, v13
	v_fmac_f32_e32 v115, v95, v10
	v_add_f32_e32 v107, v107, v114
	;; [unrolled: 7-line block ×7, first 2 shown]
	s_waitcnt vmcnt(5) lgkmcnt(5)
	v_mul_f32_e32 v205, v70, v35
	v_fmac_f32_e32 v204, v77, v32
	v_add_f32_e32 v107, v107, v203
	v_fmac_f32_e32 v205, v71, v34
	v_add_f32_e32 v107, v107, v204
	v_add_f32_e32 v107, v107, v205
	scratch_load_dwordx4 v[112:115], off, off offset:248
	scratch_load_dwordx4 v[194:197], off, off offset:264
	;; [unrolled: 1-line block ×4, first 2 shown]
	v_mul_f32_e32 v3, v103, v3
	v_fma_f32 v2, v102, v2, -v3
	v_mul_f32_e32 v3, v105, v5
	v_add_f32_e32 v2, 0, v2
	v_fma_f32 v3, v104, v4, -v3
	v_add_f32_e32 v2, v2, v3
	v_mul_f32_e32 v3, v99, v7
	v_fma_f32 v3, v98, v6, -v3
	v_add_f32_e32 v2, v2, v3
	v_mul_f32_e32 v3, v101, v9
	;; [unrolled: 3-line block ×16, first 2 shown]
	v_fma_f32 v3, v72, v36, -v3
	v_add_f32_e32 v2, v2, v3
	s_waitcnt vmcnt(8) lgkmcnt(4)
	v_mul_f32_e32 v3, v67, v39
	v_fma_f32 v3, v66, v38, -v3
	v_add_f32_e32 v2, v2, v3
	v_mul_f32_e32 v3, v69, v41
	v_fma_f32 v3, v68, v40, -v3
	v_add_f32_e32 v2, v2, v3
	s_waitcnt vmcnt(7) lgkmcnt(3)
	v_mul_f32_e32 v3, v63, v43
	v_mul_f32_e32 v208, v72, v37
	v_fma_f32 v3, v62, v42, -v3
	v_mul_f32_e32 v210, v66, v39
	v_fmac_f32_e32 v208, v73, v36
	v_add_f32_e32 v2, v2, v3
	v_mul_f32_e32 v3, v65, v45
	v_mul_f32_e32 v212, v68, v41
	v_fmac_f32_e32 v210, v67, v38
	v_add_f32_e32 v107, v107, v208
	v_fma_f32 v3, v64, v44, -v3
	v_mul_f32_e32 v213, v62, v43
	v_fmac_f32_e32 v212, v69, v40
	v_add_f32_e32 v107, v107, v210
	v_add_f32_e32 v2, v2, v3
	s_waitcnt vmcnt(6) lgkmcnt(2)
	v_mul_f32_e32 v3, v59, v47
	v_mul_f32_e32 v214, v64, v45
	v_fmac_f32_e32 v213, v63, v42
	v_add_f32_e32 v107, v107, v212
	v_fma_f32 v3, v58, v46, -v3
	v_mul_f32_e32 v215, v58, v47
	v_fmac_f32_e32 v214, v65, v44
	v_add_f32_e32 v107, v107, v213
	v_add_f32_e32 v2, v2, v3
	v_mul_f32_e32 v3, v61, v49
	v_mul_f32_e32 v216, v60, v49
	v_fmac_f32_e32 v215, v59, v46
	v_add_f32_e32 v107, v107, v214
	v_fma_f32 v3, v60, v48, -v3
	s_waitcnt vmcnt(5) lgkmcnt(1)
	v_mul_f32_e32 v209, v54, v51
	v_fmac_f32_e32 v216, v61, v48
	v_add_f32_e32 v107, v107, v215
	v_add_f32_e32 v212, v2, v3
	v_mul_f32_e32 v2, v55, v51
	s_waitcnt vmcnt(3) lgkmcnt(0)
	v_pk_mul_f32 v[16:17], v[108:109], v[112:113] op_sel:[1,1] op_sel_hi:[0,1]
	v_mul_f32_e32 v211, v56, v53
	v_fmac_f32_e32 v209, v55, v50
	v_add_f32_e32 v213, v107, v216
	v_fma_f32 v208, v54, v50, -v2
	v_mul_f32_e32 v2, v57, v53
	v_pk_fma_f32 v[18:19], v[108:109], v[112:113], v[16:17] neg_lo:[0,0,1] neg_hi:[0,0,1]
	v_pk_fma_f32 v[16:17], v[108:109], v[112:113], v[16:17] op_sel_hi:[1,0,1]
	v_fmac_f32_e32 v211, v57, v52
	v_fma_f32 v210, v56, v52, -v2
	ds_read2_b64 v[2:5], v106 offset0:73 offset1:74
	ds_read2_b64 v[6:9], v106 offset0:75 offset1:76
	ds_read2_b64 v[10:13], v106 offset0:77 offset1:78
	v_pk_add_f32 v[14:15], v[212:213], v[208:209]
	v_mov_b32_e32 v16, v115
	v_pk_add_f32 v[14:15], v[14:15], v[210:211]
	v_mov_b32_e32 v19, v17
	v_pk_mul_f32 v[16:17], v[110:111], v[16:17] op_sel:[1,0] op_sel_hi:[0,0]
	v_pk_add_f32 v[14:15], v[14:15], v[18:19]
	v_pk_fma_f32 v[18:19], v[110:111], v[114:115], v[16:17] neg_lo:[0,0,1] neg_hi:[0,0,1]
	v_pk_fma_f32 v[16:17], v[110:111], v[114:115], v[16:17] op_sel_hi:[1,0,1]
	s_nop 0
	v_mov_b32_e32 v19, v17
	s_waitcnt vmcnt(2) lgkmcnt(2)
	v_pk_mul_f32 v[16:17], v[2:3], v[194:195] op_sel:[1,1] op_sel_hi:[0,1]
	v_pk_add_f32 v[14:15], v[14:15], v[18:19]
	v_pk_fma_f32 v[18:19], v[2:3], v[194:195], v[16:17] neg_lo:[0,0,1] neg_hi:[0,0,1]
	v_pk_fma_f32 v[2:3], v[2:3], v[194:195], v[16:17] op_sel_hi:[1,0,1]
	s_nop 0
	v_mov_b32_e32 v19, v3
	v_pk_add_f32 v[2:3], v[14:15], v[18:19]
	v_mov_b32_e32 v14, v197
	v_pk_mul_f32 v[14:15], v[4:5], v[14:15] op_sel:[1,0] op_sel_hi:[0,0]
	v_pk_fma_f32 v[16:17], v[4:5], v[196:197], v[14:15] neg_lo:[0,0,1] neg_hi:[0,0,1]
	v_pk_fma_f32 v[4:5], v[4:5], v[196:197], v[14:15] op_sel_hi:[1,0,1]
	s_nop 0
	v_mov_b32_e32 v17, v5
	s_waitcnt vmcnt(1) lgkmcnt(1)
	v_pk_mul_f32 v[4:5], v[6:7], v[198:199] op_sel:[1,1] op_sel_hi:[0,1]
	v_pk_fma_f32 v[14:15], v[6:7], v[198:199], v[4:5] neg_lo:[0,0,1] neg_hi:[0,0,1]
	v_pk_fma_f32 v[4:5], v[6:7], v[198:199], v[4:5] op_sel_hi:[1,0,1]
	v_pk_add_f32 v[2:3], v[2:3], v[16:17]
	v_mov_b32_e32 v4, v201
	v_mov_b32_e32 v15, v5
	v_pk_mul_f32 v[4:5], v[8:9], v[4:5] op_sel:[1,0] op_sel_hi:[0,0]
	v_pk_fma_f32 v[6:7], v[8:9], v[200:201], v[4:5] neg_lo:[0,0,1] neg_hi:[0,0,1]
	v_pk_fma_f32 v[4:5], v[8:9], v[200:201], v[4:5] op_sel_hi:[1,0,1]
	v_pk_add_f32 v[2:3], v[2:3], v[14:15]
	v_mov_b32_e32 v7, v5
	s_waitcnt vmcnt(0) lgkmcnt(0)
	v_pk_mul_f32 v[4:5], v[10:11], v[202:203] op_sel:[1,1] op_sel_hi:[0,1]
	v_pk_add_f32 v[2:3], v[2:3], v[6:7]
	v_pk_fma_f32 v[6:7], v[10:11], v[202:203], v[4:5] neg_lo:[0,0,1] neg_hi:[0,0,1]
	v_pk_fma_f32 v[4:5], v[10:11], v[202:203], v[4:5] op_sel_hi:[1,0,1]
	s_nop 0
	v_mov_b32_e32 v4, v205
	v_mov_b32_e32 v7, v5
	v_pk_mul_f32 v[4:5], v[12:13], v[4:5] op_sel:[1,0] op_sel_hi:[0,0]
	v_pk_add_f32 v[2:3], v[2:3], v[6:7]
	v_pk_fma_f32 v[6:7], v[12:13], v[204:205], v[4:5] neg_lo:[0,0,1] neg_hi:[0,0,1]
	v_pk_fma_f32 v[4:5], v[12:13], v[204:205], v[4:5] op_sel_hi:[1,0,1]
	s_nop 0
	v_mov_b32_e32 v7, v5
	v_pk_add_f32 v[2:3], v[2:3], v[6:7]
	s_nop 0
	v_pk_add_f32 v[2:3], v[206:207], v[2:3] neg_lo:[0,1] neg_hi:[0,1]
	scratch_store_dwordx2 off, v[2:3], off offset:32
	s_and_saveexec_b64 s[0:1], vcc
	s_cbranch_execz .LBB38_241
; %bb.240:
	scratch_load_dwordx2 v[2:3], off, off offset:24
	v_mov_b32_e32 v4, 0
	v_mov_b32_e32 v5, v4
	scratch_store_dwordx2 off, v[4:5], off offset:24
	s_waitcnt vmcnt(1)
	ds_write_b64 v1, v[2:3]
.LBB38_241:
	s_or_b64 exec, exec, s[0:1]
	s_waitcnt lgkmcnt(0)
	; wave barrier
	scratch_load_dwordx4 v[2:5], off, off offset:32
	scratch_load_dwordx4 v[6:9], off, off offset:48
	scratch_load_dwordx4 v[10:13], off, off offset:64
	scratch_load_dwordx4 v[14:17], off, off offset:80
	scratch_load_dwordx4 v[18:21], off, off offset:96
	scratch_load_dwordx4 v[22:25], off, off offset:112
	scratch_load_dwordx4 v[26:29], off, off offset:128
	scratch_load_dwordx4 v[30:33], off, off offset:144
	scratch_load_dwordx4 v[34:37], off, off offset:160
	scratch_load_dwordx4 v[38:41], off, off offset:176
	scratch_load_dwordx4 v[42:45], off, off offset:192
	scratch_load_dwordx4 v[46:49], off, off offset:208
	scratch_load_dwordx4 v[50:53], off, off offset:224
	v_mov_b32_e32 v114, 0
	scratch_load_dwordx4 v[54:57], off, off offset:240
	scratch_load_dwordx2 v[206:207], off, off offset:24
	ds_read_b128 v[58:61], v114 offset:352
	ds_read_b128 v[62:65], v114 offset:368
	;; [unrolled: 1-line block ×14, first 2 shown]
	v_cmp_lt_u32_e32 vcc, 2, v0
	s_waitcnt vmcnt(14) lgkmcnt(13)
	v_mul_f32_e32 v115, v58, v3
	v_mul_f32_e32 v194, v60, v5
	v_fmac_f32_e32 v115, v59, v2
	s_waitcnt vmcnt(13) lgkmcnt(12)
	v_mul_f32_e32 v195, v62, v7
	v_fmac_f32_e32 v194, v61, v4
	v_add_f32_e32 v115, 0, v115
	v_mul_f32_e32 v196, v64, v9
	v_fmac_f32_e32 v195, v63, v6
	v_add_f32_e32 v115, v115, v194
	s_waitcnt vmcnt(12) lgkmcnt(11)
	v_mul_f32_e32 v197, v66, v11
	v_fmac_f32_e32 v196, v65, v8
	v_add_f32_e32 v115, v115, v195
	v_mul_f32_e32 v198, v68, v13
	v_fmac_f32_e32 v197, v67, v10
	v_add_f32_e32 v115, v115, v196
	;; [unrolled: 7-line block ×6, first 2 shown]
	s_waitcnt vmcnt(7) lgkmcnt(6)
	v_mul_f32_e32 v209, v86, v31
	v_fmac_f32_e32 v208, v85, v28
	v_add_f32_e32 v115, v115, v205
	scratch_load_dwordx4 v[194:197], off, off offset:256
	v_mul_f32_e32 v210, v88, v33
	v_fmac_f32_e32 v209, v87, v30
	v_add_f32_e32 v115, v115, v208
	s_waitcnt vmcnt(7) lgkmcnt(5)
	v_mul_f32_e32 v211, v90, v35
	v_fmac_f32_e32 v210, v89, v32
	v_add_f32_e32 v115, v115, v209
	v_mul_f32_e32 v212, v92, v37
	v_fmac_f32_e32 v211, v91, v34
	v_add_f32_e32 v115, v115, v210
	s_waitcnt vmcnt(6) lgkmcnt(4)
	v_mul_f32_e32 v213, v94, v39
	v_fmac_f32_e32 v212, v93, v36
	v_add_f32_e32 v115, v115, v211
	v_mul_f32_e32 v214, v96, v41
	v_fmac_f32_e32 v213, v95, v38
	v_add_f32_e32 v115, v115, v212
	s_waitcnt vmcnt(5) lgkmcnt(3)
	v_mul_f32_e32 v215, v98, v43
	v_fmac_f32_e32 v214, v97, v40
	v_add_f32_e32 v115, v115, v213
	v_fmac_f32_e32 v215, v99, v42
	v_add_f32_e32 v115, v115, v214
	v_add_f32_e32 v115, v115, v215
	scratch_load_dwordx4 v[198:201], off, off offset:272
	scratch_load_dwordx4 v[202:205], off, off offset:288
	scratch_load_dwordx2 v[214:215], off, off offset:304
	v_mul_f32_e32 v3, v59, v3
	v_fma_f32 v2, v58, v2, -v3
	v_mul_f32_e32 v3, v61, v5
	v_add_f32_e32 v2, 0, v2
	v_fma_f32 v3, v60, v4, -v3
	v_add_f32_e32 v2, v2, v3
	v_mul_f32_e32 v3, v63, v7
	v_fma_f32 v3, v62, v6, -v3
	v_add_f32_e32 v2, v2, v3
	v_mul_f32_e32 v3, v65, v9
	;; [unrolled: 3-line block ×20, first 2 shown]
	v_fma_f32 v3, v100, v44, -v3
	v_add_f32_e32 v2, v2, v3
	s_waitcnt vmcnt(7) lgkmcnt(2)
	v_mul_f32_e32 v3, v103, v47
	v_fma_f32 v3, v102, v46, -v3
	v_add_f32_e32 v2, v2, v3
	v_mul_f32_e32 v3, v105, v49
	v_mul_f32_e32 v216, v100, v45
	v_fma_f32 v3, v104, v48, -v3
	v_mul_f32_e32 v217, v102, v47
	v_fmac_f32_e32 v216, v101, v44
	v_add_f32_e32 v2, v2, v3
	s_waitcnt vmcnt(6) lgkmcnt(1)
	v_mul_f32_e32 v3, v107, v51
	v_mul_f32_e32 v218, v104, v49
	v_fmac_f32_e32 v217, v103, v46
	v_add_f32_e32 v115, v115, v216
	v_fma_f32 v3, v106, v50, -v3
	v_mul_f32_e32 v219, v106, v51
	v_fmac_f32_e32 v218, v105, v48
	v_add_f32_e32 v115, v115, v217
	v_add_f32_e32 v208, v2, v3
	v_mul_f32_e32 v2, v109, v53
	v_fmac_f32_e32 v219, v107, v50
	v_add_f32_e32 v115, v115, v218
	v_mul_f32_e32 v211, v108, v53
	v_fma_f32 v210, v108, v52, -v2
	s_waitcnt vmcnt(5) lgkmcnt(0)
	v_mul_f32_e32 v2, v111, v55
	v_mov_b32_e32 v18, v57
	v_add_f32_e32 v209, v115, v219
	v_fmac_f32_e32 v211, v109, v52
	v_mul_f32_e32 v213, v110, v55
	v_fma_f32 v212, v110, v54, -v2
	ds_read_b128 v[2:5], v114 offset:576
	ds_read_b128 v[6:9], v114 offset:592
	ds_read_b128 v[10:13], v114 offset:608
	ds_read_b64 v[14:15], v114 offset:624
	v_pk_mul_f32 v[18:19], v[112:113], v[18:19] op_sel:[1,0] op_sel_hi:[0,0]
	v_fmac_f32_e32 v213, v111, v54
	v_pk_add_f32 v[16:17], v[208:209], v[210:211]
	v_pk_fma_f32 v[20:21], v[112:113], v[56:57], v[18:19] neg_lo:[0,0,1] neg_hi:[0,0,1]
	v_pk_fma_f32 v[18:19], v[112:113], v[56:57], v[18:19] op_sel_hi:[1,0,1]
	v_pk_add_f32 v[16:17], v[16:17], v[212:213]
	v_mov_b32_e32 v21, v19
	s_waitcnt vmcnt(3) lgkmcnt(3)
	v_pk_mul_f32 v[18:19], v[2:3], v[194:195] op_sel:[1,1] op_sel_hi:[0,1]
	v_pk_add_f32 v[16:17], v[16:17], v[20:21]
	v_pk_fma_f32 v[20:21], v[2:3], v[194:195], v[18:19] neg_lo:[0,0,1] neg_hi:[0,0,1]
	v_pk_fma_f32 v[2:3], v[2:3], v[194:195], v[18:19] op_sel_hi:[1,0,1]
	s_nop 0
	v_mov_b32_e32 v21, v3
	v_pk_add_f32 v[2:3], v[16:17], v[20:21]
	v_mov_b32_e32 v16, v197
	v_pk_mul_f32 v[16:17], v[4:5], v[16:17] op_sel:[1,0] op_sel_hi:[0,0]
	v_pk_fma_f32 v[18:19], v[4:5], v[196:197], v[16:17] neg_lo:[0,0,1] neg_hi:[0,0,1]
	v_pk_fma_f32 v[4:5], v[4:5], v[196:197], v[16:17] op_sel_hi:[1,0,1]
	s_nop 0
	v_mov_b32_e32 v19, v5
	s_waitcnt vmcnt(2) lgkmcnt(2)
	v_pk_mul_f32 v[4:5], v[6:7], v[198:199] op_sel:[1,1] op_sel_hi:[0,1]
	v_pk_fma_f32 v[16:17], v[6:7], v[198:199], v[4:5] neg_lo:[0,0,1] neg_hi:[0,0,1]
	v_pk_fma_f32 v[4:5], v[6:7], v[198:199], v[4:5] op_sel_hi:[1,0,1]
	v_pk_add_f32 v[2:3], v[2:3], v[18:19]
	v_mov_b32_e32 v4, v201
	v_mov_b32_e32 v17, v5
	v_pk_mul_f32 v[4:5], v[8:9], v[4:5] op_sel:[1,0] op_sel_hi:[0,0]
	v_pk_fma_f32 v[6:7], v[8:9], v[200:201], v[4:5] neg_lo:[0,0,1] neg_hi:[0,0,1]
	v_pk_fma_f32 v[4:5], v[8:9], v[200:201], v[4:5] op_sel_hi:[1,0,1]
	v_pk_add_f32 v[2:3], v[2:3], v[16:17]
	v_mov_b32_e32 v7, v5
	s_waitcnt vmcnt(1) lgkmcnt(1)
	v_pk_mul_f32 v[4:5], v[10:11], v[202:203] op_sel:[1,1] op_sel_hi:[0,1]
	v_pk_add_f32 v[2:3], v[2:3], v[6:7]
	v_pk_fma_f32 v[6:7], v[10:11], v[202:203], v[4:5] neg_lo:[0,0,1] neg_hi:[0,0,1]
	v_pk_fma_f32 v[4:5], v[10:11], v[202:203], v[4:5] op_sel_hi:[1,0,1]
	s_nop 0
	v_mov_b32_e32 v4, v205
	v_mov_b32_e32 v7, v5
	v_pk_mul_f32 v[4:5], v[12:13], v[4:5] op_sel:[1,0] op_sel_hi:[0,0]
	v_pk_add_f32 v[2:3], v[2:3], v[6:7]
	v_pk_fma_f32 v[6:7], v[12:13], v[204:205], v[4:5] neg_lo:[0,0,1] neg_hi:[0,0,1]
	v_pk_fma_f32 v[4:5], v[12:13], v[204:205], v[4:5] op_sel_hi:[1,0,1]
	s_nop 0
	v_mov_b32_e32 v7, v5
	s_waitcnt vmcnt(0) lgkmcnt(0)
	v_pk_mul_f32 v[4:5], v[14:15], v[214:215] op_sel:[1,1] op_sel_hi:[0,1]
	v_pk_add_f32 v[2:3], v[2:3], v[6:7]
	v_pk_fma_f32 v[6:7], v[14:15], v[214:215], v[4:5] neg_lo:[0,0,1] neg_hi:[0,0,1]
	v_pk_fma_f32 v[4:5], v[14:15], v[214:215], v[4:5] op_sel_hi:[1,0,1]
	s_nop 0
	v_mov_b32_e32 v7, v5
	v_pk_add_f32 v[2:3], v[2:3], v[6:7]
	s_nop 0
	v_pk_add_f32 v[2:3], v[206:207], v[2:3] neg_lo:[0,1] neg_hi:[0,1]
	scratch_store_dwordx2 off, v[2:3], off offset:24
	s_and_saveexec_b64 s[0:1], vcc
	s_cbranch_execz .LBB38_243
; %bb.242:
	scratch_load_dwordx2 v[2:3], off, off offset:16
	v_mov_b32_e32 v115, v114
	scratch_store_dwordx2 off, v[114:115], off offset:16
	s_waitcnt vmcnt(1)
	ds_write_b64 v1, v[2:3]
.LBB38_243:
	s_or_b64 exec, exec, s[0:1]
	s_waitcnt lgkmcnt(0)
	; wave barrier
	scratch_load_dwordx4 v[2:5], off, off offset:24
	scratch_load_dwordx4 v[6:9], off, off offset:40
	;; [unrolled: 1-line block ×13, first 2 shown]
	ds_read2_b64 v[110:113], v114 offset0:43 offset1:44
	ds_read2_b64 v[106:109], v114 offset0:45 offset1:46
	;; [unrolled: 1-line block ×14, first 2 shown]
	scratch_load_dwordx4 v[66:69], off, off offset:232
	scratch_load_dwordx2 v[210:211], off, off offset:16
	v_cmp_lt_u32_e32 vcc, 1, v0
	s_waitcnt vmcnt(14) lgkmcnt(13)
	v_mul_f32_e32 v115, v110, v3
	v_mul_f32_e32 v194, v112, v5
	v_fmac_f32_e32 v115, v111, v2
	s_waitcnt vmcnt(13) lgkmcnt(12)
	v_mul_f32_e32 v195, v106, v7
	v_fmac_f32_e32 v194, v113, v4
	v_add_f32_e32 v115, 0, v115
	v_mul_f32_e32 v196, v108, v9
	v_fmac_f32_e32 v195, v107, v6
	v_add_f32_e32 v115, v115, v194
	s_waitcnt vmcnt(12) lgkmcnt(11)
	v_mul_f32_e32 v197, v102, v11
	v_fmac_f32_e32 v196, v109, v8
	v_add_f32_e32 v115, v115, v195
	v_mul_f32_e32 v198, v104, v13
	v_fmac_f32_e32 v197, v103, v10
	v_add_f32_e32 v115, v115, v196
	;; [unrolled: 7-line block ×4, first 2 shown]
	s_waitcnt vmcnt(9) lgkmcnt(8)
	v_mul_f32_e32 v203, v90, v23
	v_fmac_f32_e32 v202, v97, v20
	v_add_f32_e32 v115, v115, v201
	scratch_load_dwordx4 v[194:197], off, off offset:248
	v_mul_f32_e32 v204, v92, v25
	v_fmac_f32_e32 v203, v91, v22
	v_add_f32_e32 v115, v115, v202
	s_waitcnt vmcnt(9) lgkmcnt(7)
	v_mul_f32_e32 v205, v86, v27
	v_fmac_f32_e32 v204, v93, v24
	v_add_f32_e32 v115, v115, v203
	v_mul_f32_e32 v206, v88, v29
	v_fmac_f32_e32 v205, v87, v26
	v_add_f32_e32 v115, v115, v204
	s_waitcnt vmcnt(8) lgkmcnt(6)
	v_mul_f32_e32 v207, v82, v31
	v_fmac_f32_e32 v206, v89, v28
	v_add_f32_e32 v115, v115, v205
	;; [unrolled: 7-line block ×3, first 2 shown]
	v_fmac_f32_e32 v209, v79, v34
	v_add_f32_e32 v115, v115, v208
	v_add_f32_e32 v115, v115, v209
	scratch_load_dwordx4 v[198:201], off, off offset:264
	scratch_load_dwordx4 v[202:205], off, off offset:280
	;; [unrolled: 1-line block ×3, first 2 shown]
	v_mul_f32_e32 v3, v111, v3
	v_fma_f32 v2, v110, v2, -v3
	v_mul_f32_e32 v3, v113, v5
	v_add_f32_e32 v2, 0, v2
	v_fma_f32 v3, v112, v4, -v3
	v_add_f32_e32 v2, v2, v3
	v_mul_f32_e32 v3, v107, v7
	v_fma_f32 v3, v106, v6, -v3
	v_add_f32_e32 v2, v2, v3
	v_mul_f32_e32 v3, v109, v9
	;; [unrolled: 3-line block ×16, first 2 shown]
	v_fma_f32 v3, v80, v36, -v3
	v_add_f32_e32 v2, v2, v3
	s_waitcnt vmcnt(9) lgkmcnt(4)
	v_mul_f32_e32 v3, v75, v39
	v_fma_f32 v3, v74, v38, -v3
	v_add_f32_e32 v2, v2, v3
	v_mul_f32_e32 v3, v77, v41
	v_fma_f32 v3, v76, v40, -v3
	v_add_f32_e32 v2, v2, v3
	s_waitcnt vmcnt(8) lgkmcnt(3)
	v_mul_f32_e32 v3, v71, v43
	v_fma_f32 v3, v70, v42, -v3
	v_add_f32_e32 v2, v2, v3
	v_mul_f32_e32 v3, v73, v45
	v_fma_f32 v3, v72, v44, -v3
	v_add_f32_e32 v2, v2, v3
	s_waitcnt vmcnt(7) lgkmcnt(2)
	v_mul_f32_e32 v3, v63, v47
	v_fma_f32 v3, v62, v46, -v3
	v_mul_f32_e32 v212, v80, v37
	v_add_f32_e32 v2, v2, v3
	v_mul_f32_e32 v3, v65, v49
	v_mul_f32_e32 v213, v74, v39
	v_fmac_f32_e32 v212, v81, v36
	v_fma_f32 v3, v64, v48, -v3
	v_mul_f32_e32 v214, v76, v41
	v_fmac_f32_e32 v213, v75, v38
	v_add_f32_e32 v115, v115, v212
	v_add_f32_e32 v2, v2, v3
	s_waitcnt vmcnt(6) lgkmcnt(1)
	v_mul_f32_e32 v3, v55, v51
	v_mul_f32_e32 v215, v70, v43
	v_fmac_f32_e32 v214, v77, v40
	v_add_f32_e32 v115, v115, v213
	v_fma_f32 v3, v54, v50, -v3
	v_mul_f32_e32 v216, v72, v45
	v_fmac_f32_e32 v215, v71, v42
	v_add_f32_e32 v115, v115, v214
	v_add_f32_e32 v2, v2, v3
	v_mul_f32_e32 v3, v57, v53
	v_mul_f32_e32 v217, v62, v47
	v_fmac_f32_e32 v216, v73, v44
	v_add_f32_e32 v115, v115, v215
	v_fma_f32 v3, v56, v52, -v3
	v_mul_f32_e32 v218, v64, v49
	v_fmac_f32_e32 v217, v63, v46
	v_add_f32_e32 v115, v115, v216
	v_add_f32_e32 v212, v2, v3
	s_waitcnt vmcnt(5) lgkmcnt(0)
	v_mul_f32_e32 v2, v59, v67
	v_mul_f32_e32 v219, v54, v51
	v_fmac_f32_e32 v218, v65, v48
	v_add_f32_e32 v115, v115, v217
	v_fma_f32 v214, v58, v66, -v2
	v_mul_f32_e32 v2, v61, v69
	v_mul_f32_e32 v220, v56, v53
	v_fmac_f32_e32 v219, v55, v50
	v_add_f32_e32 v115, v115, v218
	v_fma_f32 v216, v60, v68, -v2
	ds_read2_b64 v[2:5], v114 offset0:71 offset1:72
	ds_read2_b64 v[6:9], v114 offset0:73 offset1:74
	;; [unrolled: 1-line block ×4, first 2 shown]
	v_add_f32_e32 v115, v115, v219
	v_fmac_f32_e32 v220, v57, v52
	v_mul_f32_e32 v215, v58, v67
	v_add_f32_e32 v213, v115, v220
	v_fmac_f32_e32 v215, v59, v66
	v_mul_f32_e32 v217, v60, v69
	s_waitcnt vmcnt(3) lgkmcnt(3)
	v_pk_mul_f32 v[20:21], v[2:3], v[194:195] op_sel:[1,1] op_sel_hi:[0,1]
	v_fmac_f32_e32 v217, v61, v68
	v_pk_add_f32 v[18:19], v[212:213], v[214:215]
	v_pk_fma_f32 v[22:23], v[2:3], v[194:195], v[20:21] neg_lo:[0,0,1] neg_hi:[0,0,1]
	v_pk_fma_f32 v[2:3], v[2:3], v[194:195], v[20:21] op_sel_hi:[1,0,1]
	v_pk_add_f32 v[18:19], v[18:19], v[216:217]
	v_mov_b32_e32 v23, v3
	v_pk_add_f32 v[2:3], v[18:19], v[22:23]
	v_mov_b32_e32 v18, v197
	v_pk_mul_f32 v[18:19], v[4:5], v[18:19] op_sel:[1,0] op_sel_hi:[0,0]
	v_pk_fma_f32 v[20:21], v[4:5], v[196:197], v[18:19] neg_lo:[0,0,1] neg_hi:[0,0,1]
	v_pk_fma_f32 v[4:5], v[4:5], v[196:197], v[18:19] op_sel_hi:[1,0,1]
	s_nop 0
	v_mov_b32_e32 v21, v5
	s_waitcnt vmcnt(2) lgkmcnt(2)
	v_pk_mul_f32 v[4:5], v[6:7], v[198:199] op_sel:[1,1] op_sel_hi:[0,1]
	v_pk_fma_f32 v[18:19], v[6:7], v[198:199], v[4:5] neg_lo:[0,0,1] neg_hi:[0,0,1]
	v_pk_fma_f32 v[4:5], v[6:7], v[198:199], v[4:5] op_sel_hi:[1,0,1]
	v_pk_add_f32 v[2:3], v[2:3], v[20:21]
	v_mov_b32_e32 v4, v201
	v_mov_b32_e32 v19, v5
	v_pk_mul_f32 v[4:5], v[8:9], v[4:5] op_sel:[1,0] op_sel_hi:[0,0]
	v_pk_fma_f32 v[6:7], v[8:9], v[200:201], v[4:5] neg_lo:[0,0,1] neg_hi:[0,0,1]
	v_pk_fma_f32 v[4:5], v[8:9], v[200:201], v[4:5] op_sel_hi:[1,0,1]
	v_pk_add_f32 v[2:3], v[2:3], v[18:19]
	v_mov_b32_e32 v7, v5
	s_waitcnt vmcnt(1) lgkmcnt(1)
	v_pk_mul_f32 v[4:5], v[10:11], v[202:203] op_sel:[1,1] op_sel_hi:[0,1]
	v_pk_add_f32 v[2:3], v[2:3], v[6:7]
	v_pk_fma_f32 v[6:7], v[10:11], v[202:203], v[4:5] neg_lo:[0,0,1] neg_hi:[0,0,1]
	v_pk_fma_f32 v[4:5], v[10:11], v[202:203], v[4:5] op_sel_hi:[1,0,1]
	s_nop 0
	v_mov_b32_e32 v4, v205
	v_mov_b32_e32 v7, v5
	v_pk_mul_f32 v[4:5], v[12:13], v[4:5] op_sel:[1,0] op_sel_hi:[0,0]
	v_pk_add_f32 v[2:3], v[2:3], v[6:7]
	v_pk_fma_f32 v[6:7], v[12:13], v[204:205], v[4:5] neg_lo:[0,0,1] neg_hi:[0,0,1]
	v_pk_fma_f32 v[4:5], v[12:13], v[204:205], v[4:5] op_sel_hi:[1,0,1]
	s_nop 0
	v_mov_b32_e32 v7, v5
	s_waitcnt vmcnt(0) lgkmcnt(0)
	v_pk_mul_f32 v[4:5], v[14:15], v[206:207] op_sel:[1,1] op_sel_hi:[0,1]
	v_pk_add_f32 v[2:3], v[2:3], v[6:7]
	v_pk_fma_f32 v[6:7], v[14:15], v[206:207], v[4:5] neg_lo:[0,0,1] neg_hi:[0,0,1]
	v_pk_fma_f32 v[4:5], v[14:15], v[206:207], v[4:5] op_sel_hi:[1,0,1]
	s_nop 0
	v_mov_b32_e32 v4, v209
	v_mov_b32_e32 v7, v5
	v_pk_mul_f32 v[4:5], v[16:17], v[4:5] op_sel:[1,0] op_sel_hi:[0,0]
	v_pk_add_f32 v[2:3], v[2:3], v[6:7]
	v_pk_fma_f32 v[6:7], v[16:17], v[208:209], v[4:5] neg_lo:[0,0,1] neg_hi:[0,0,1]
	v_pk_fma_f32 v[4:5], v[16:17], v[208:209], v[4:5] op_sel_hi:[1,0,1]
	s_nop 0
	v_mov_b32_e32 v7, v5
	v_pk_add_f32 v[2:3], v[2:3], v[6:7]
	s_nop 0
	v_pk_add_f32 v[2:3], v[210:211], v[2:3] neg_lo:[0,1] neg_hi:[0,1]
	scratch_store_dwordx2 off, v[2:3], off offset:16
	s_and_saveexec_b64 s[0:1], vcc
	s_cbranch_execz .LBB38_245
; %bb.244:
	scratch_load_dwordx2 v[2:3], off, off offset:8
	v_mov_b32_e32 v4, 0
	v_mov_b32_e32 v5, v4
	scratch_store_dwordx2 off, v[4:5], off offset:8
	s_waitcnt vmcnt(1)
	ds_write_b64 v1, v[2:3]
.LBB38_245:
	s_or_b64 exec, exec, s[0:1]
	s_waitcnt lgkmcnt(0)
	; wave barrier
	scratch_load_dwordx4 v[2:5], off, off offset:16
	scratch_load_dwordx4 v[6:9], off, off offset:32
	;; [unrolled: 1-line block ×15, first 2 shown]
	scratch_load_dwordx2 v[114:115], off, off offset:8
	v_mov_b32_e32 v194, 0
	ds_read_b128 v[62:65], v194 offset:336
	ds_read_b128 v[66:69], v194 offset:352
	;; [unrolled: 1-line block ×14, first 2 shown]
	v_cmp_ne_u32_e32 vcc, 0, v0
	s_waitcnt vmcnt(15) lgkmcnt(13)
	v_mul_f32_e32 v195, v62, v3
	v_mul_f32_e32 v200, v64, v5
	v_fmac_f32_e32 v195, v63, v2
	s_waitcnt vmcnt(14) lgkmcnt(12)
	v_mul_f32_e32 v201, v66, v7
	v_fmac_f32_e32 v200, v65, v4
	v_add_f32_e32 v195, 0, v195
	v_mul_f32_e32 v202, v68, v9
	v_fmac_f32_e32 v201, v67, v6
	v_add_f32_e32 v195, v195, v200
	s_waitcnt vmcnt(13) lgkmcnt(11)
	v_mul_f32_e32 v203, v70, v11
	v_fmac_f32_e32 v202, v69, v8
	v_add_f32_e32 v195, v195, v201
	v_mul_f32_e32 v204, v72, v13
	v_fmac_f32_e32 v203, v71, v10
	v_add_f32_e32 v195, v195, v202
	;; [unrolled: 7-line block ×11, first 2 shown]
	s_waitcnt vmcnt(3) lgkmcnt(1)
	v_mul_f32_e32 v223, v110, v51
	v_fmac_f32_e32 v222, v109, v48
	v_add_f32_e32 v195, v195, v221
	v_add_f32_e32 v195, v195, v222
	v_fmac_f32_e32 v223, v111, v50
	v_mul_f32_e32 v200, v112, v53
	v_add_f32_e32 v195, v195, v223
	v_fmac_f32_e32 v200, v113, v52
	s_waitcnt vmcnt(2) lgkmcnt(0)
	v_mul_f32_e32 v204, v196, v55
	v_add_f32_e32 v195, v195, v200
	v_fmac_f32_e32 v204, v197, v54
	ds_read_b128 v[200:203], v194 offset:560
	v_add_f32_e32 v221, v195, v204
	ds_read_b128 v[204:207], v194 offset:576
	scratch_load_dwordx4 v[208:211], off, off offset:256
	scratch_load_dwordx4 v[212:215], off, off offset:272
	;; [unrolled: 1-line block ×3, first 2 shown]
	scratch_load_dwordx2 v[226:227], off, off offset:304
	v_mul_f32_e32 v3, v63, v3
	v_fma_f32 v2, v62, v2, -v3
	v_mul_f32_e32 v3, v65, v5
	v_add_f32_e32 v2, 0, v2
	v_fma_f32 v3, v64, v4, -v3
	v_add_f32_e32 v2, v2, v3
	v_mul_f32_e32 v3, v67, v7
	v_fma_f32 v3, v66, v6, -v3
	v_add_f32_e32 v2, v2, v3
	v_mul_f32_e32 v3, v69, v9
	;; [unrolled: 3-line block ×25, first 2 shown]
	v_fma_f32 v3, v196, v54, -v3
	v_mul_f32_e32 v223, v198, v57
	v_add_f32_e32 v220, v2, v3
	v_mul_f32_e32 v2, v199, v57
	s_waitcnt vmcnt(5)
	v_mov_b32_e32 v14, v61
	v_fmac_f32_e32 v223, v199, v56
	s_waitcnt lgkmcnt(1)
	v_mul_f32_e32 v225, v200, v59
	v_fma_f32 v222, v198, v56, -v2
	v_mul_f32_e32 v2, v201, v59
	v_pk_mul_f32 v[14:15], v[202:203], v[14:15] op_sel:[1,0] op_sel_hi:[0,0]
	v_fmac_f32_e32 v225, v201, v58
	v_fma_f32 v224, v200, v58, -v2
	v_pk_add_f32 v[12:13], v[220:221], v[222:223]
	v_pk_fma_f32 v[16:17], v[202:203], v[60:61], v[14:15] neg_lo:[0,0,1] neg_hi:[0,0,1]
	v_pk_fma_f32 v[14:15], v[202:203], v[60:61], v[14:15] op_sel_hi:[1,0,1]
	v_pk_add_f32 v[12:13], v[12:13], v[224:225]
	v_mov_b32_e32 v17, v15
	s_waitcnt vmcnt(3) lgkmcnt(0)
	v_pk_mul_f32 v[14:15], v[204:205], v[208:209] op_sel:[1,1] op_sel_hi:[0,1]
	v_pk_add_f32 v[12:13], v[12:13], v[16:17]
	v_pk_fma_f32 v[16:17], v[204:205], v[208:209], v[14:15] neg_lo:[0,0,1] neg_hi:[0,0,1]
	v_pk_fma_f32 v[14:15], v[204:205], v[208:209], v[14:15] op_sel_hi:[1,0,1]
	ds_read_b128 v[2:5], v194 offset:592
	ds_read_b128 v[6:9], v194 offset:608
	ds_read_b64 v[10:11], v194 offset:624
	v_mov_b32_e32 v14, v211
	v_mov_b32_e32 v17, v15
	v_pk_mul_f32 v[14:15], v[206:207], v[14:15] op_sel:[1,0] op_sel_hi:[0,0]
	v_pk_add_f32 v[12:13], v[12:13], v[16:17]
	v_pk_fma_f32 v[16:17], v[206:207], v[210:211], v[14:15] neg_lo:[0,0,1] neg_hi:[0,0,1]
	v_pk_fma_f32 v[14:15], v[206:207], v[210:211], v[14:15] op_sel_hi:[1,0,1]
	s_nop 0
	v_mov_b32_e32 v17, v15
	s_waitcnt vmcnt(2) lgkmcnt(2)
	v_pk_mul_f32 v[14:15], v[2:3], v[212:213] op_sel:[1,1] op_sel_hi:[0,1]
	v_pk_add_f32 v[12:13], v[12:13], v[16:17]
	v_pk_fma_f32 v[16:17], v[2:3], v[212:213], v[14:15] neg_lo:[0,0,1] neg_hi:[0,0,1]
	v_pk_fma_f32 v[2:3], v[2:3], v[212:213], v[14:15] op_sel_hi:[1,0,1]
	s_nop 0
	v_mov_b32_e32 v17, v3
	v_pk_add_f32 v[2:3], v[12:13], v[16:17]
	v_mov_b32_e32 v12, v215
	v_pk_mul_f32 v[12:13], v[4:5], v[12:13] op_sel:[1,0] op_sel_hi:[0,0]
	v_pk_fma_f32 v[14:15], v[4:5], v[214:215], v[12:13] neg_lo:[0,0,1] neg_hi:[0,0,1]
	v_pk_fma_f32 v[4:5], v[4:5], v[214:215], v[12:13] op_sel_hi:[1,0,1]
	s_nop 0
	v_mov_b32_e32 v15, v5
	s_waitcnt vmcnt(1) lgkmcnt(1)
	v_pk_mul_f32 v[4:5], v[6:7], v[216:217] op_sel:[1,1] op_sel_hi:[0,1]
	v_pk_fma_f32 v[12:13], v[6:7], v[216:217], v[4:5] neg_lo:[0,0,1] neg_hi:[0,0,1]
	v_pk_fma_f32 v[4:5], v[6:7], v[216:217], v[4:5] op_sel_hi:[1,0,1]
	v_pk_add_f32 v[2:3], v[2:3], v[14:15]
	v_mov_b32_e32 v4, v219
	v_mov_b32_e32 v13, v5
	v_pk_mul_f32 v[4:5], v[8:9], v[4:5] op_sel:[1,0] op_sel_hi:[0,0]
	v_pk_fma_f32 v[6:7], v[8:9], v[218:219], v[4:5] neg_lo:[0,0,1] neg_hi:[0,0,1]
	v_pk_fma_f32 v[4:5], v[8:9], v[218:219], v[4:5] op_sel_hi:[1,0,1]
	v_pk_add_f32 v[2:3], v[2:3], v[12:13]
	v_mov_b32_e32 v7, v5
	s_waitcnt vmcnt(0) lgkmcnt(0)
	v_pk_mul_f32 v[4:5], v[10:11], v[226:227] op_sel:[1,1] op_sel_hi:[0,1]
	v_pk_add_f32 v[2:3], v[2:3], v[6:7]
	v_pk_fma_f32 v[6:7], v[10:11], v[226:227], v[4:5] neg_lo:[0,0,1] neg_hi:[0,0,1]
	v_pk_fma_f32 v[4:5], v[10:11], v[226:227], v[4:5] op_sel_hi:[1,0,1]
	s_nop 0
	v_mov_b32_e32 v7, v5
	v_pk_add_f32 v[2:3], v[2:3], v[6:7]
	s_nop 0
	v_pk_add_f32 v[2:3], v[114:115], v[2:3] neg_lo:[0,1] neg_hi:[0,1]
	scratch_store_dwordx2 off, v[2:3], off offset:8
	s_and_saveexec_b64 s[0:1], vcc
	s_cbranch_execz .LBB38_247
; %bb.246:
	scratch_load_dwordx2 v[2:3], off, off
	v_mov_b32_e32 v195, v194
	scratch_store_dwordx2 off, v[194:195], off
	s_waitcnt vmcnt(1)
	ds_write_b64 v1, v[2:3]
.LBB38_247:
	s_or_b64 exec, exec, s[0:1]
	s_waitcnt lgkmcnt(0)
	; wave barrier
	scratch_load_dwordx4 v[0:3], off, off offset:8
	scratch_load_dwordx4 v[4:7], off, off offset:24
	;; [unrolled: 1-line block ×13, first 2 shown]
	ds_read2_b64 v[112:115], v194 offset0:41 offset1:42
	ds_read2_b64 v[108:111], v194 offset0:43 offset1:44
	;; [unrolled: 1-line block ×14, first 2 shown]
	scratch_load_dwordx4 v[60:63], off, off offset:216
	scratch_load_dwordx4 v[68:71], off, off offset:232
	scratch_load_dwordx2 v[220:221], off, off
	s_and_b64 vcc, exec, s[18:19]
	s_waitcnt vmcnt(15) lgkmcnt(13)
	v_mul_f32_e32 v195, v112, v1
	v_mul_f32_e32 v196, v114, v3
	v_fmac_f32_e32 v195, v113, v0
	s_waitcnt vmcnt(14) lgkmcnt(12)
	v_mul_f32_e32 v197, v108, v5
	v_fmac_f32_e32 v196, v115, v2
	v_add_f32_e32 v195, 0, v195
	v_mul_f32_e32 v198, v110, v7
	v_fmac_f32_e32 v197, v109, v4
	v_add_f32_e32 v195, v195, v196
	s_waitcnt vmcnt(13) lgkmcnt(11)
	v_mul_f32_e32 v199, v104, v9
	v_fmac_f32_e32 v198, v111, v6
	v_add_f32_e32 v195, v195, v197
	v_mul_f32_e32 v200, v106, v11
	v_fmac_f32_e32 v199, v105, v8
	v_add_f32_e32 v195, v195, v198
	;; [unrolled: 7-line block ×11, first 2 shown]
	s_waitcnt vmcnt(3) lgkmcnt(1)
	v_mul_f32_e32 v219, v52, v49
	v_fmac_f32_e32 v218, v67, v46
	v_add_f32_e32 v195, v195, v217
	v_fmac_f32_e32 v219, v53, v48
	v_add_f32_e32 v195, v195, v218
	v_mul_f32_e32 v196, v54, v51
	v_add_f32_e32 v195, v195, v219
	v_fmac_f32_e32 v196, v55, v50
	v_add_f32_e32 v195, v195, v196
	s_waitcnt vmcnt(2) lgkmcnt(0)
	v_mul_f32_e32 v196, v56, v61
	v_fmac_f32_e32 v196, v57, v60
	v_mul_f32_e32 v200, v58, v63
	v_add_f32_e32 v195, v195, v196
	v_fmac_f32_e32 v200, v59, v62
	ds_read2_b64 v[196:199], v194 offset0:69 offset1:70
	v_add_f32_e32 v223, v195, v200
	ds_read2_b64 v[200:203], v194 offset0:71 offset1:72
	scratch_load_dwordx4 v[204:207], off, off offset:248
	scratch_load_dwordx4 v[208:211], off, off offset:264
	scratch_load_dwordx4 v[212:215], off, off offset:280
	scratch_load_dwordx4 v[216:219], off, off offset:296
	v_mul_f32_e32 v1, v113, v1
	v_fma_f32 v0, v112, v0, -v1
	v_mul_f32_e32 v1, v115, v3
	v_add_f32_e32 v0, 0, v0
	v_fma_f32 v1, v114, v2, -v1
	v_add_f32_e32 v0, v0, v1
	v_mul_f32_e32 v1, v109, v5
	v_fma_f32 v1, v108, v4, -v1
	v_add_f32_e32 v0, v0, v1
	v_mul_f32_e32 v1, v111, v7
	;; [unrolled: 3-line block ×26, first 2 shown]
	v_fma_f32 v1, v58, v62, -v1
	s_waitcnt vmcnt(5) lgkmcnt(1)
	v_mul_f32_e32 v225, v196, v69
	v_add_f32_e32 v222, v0, v1
	v_mul_f32_e32 v0, v197, v69
	s_waitcnt vmcnt(3) lgkmcnt(0)
	v_pk_mul_f32 v[14:15], v[200:201], v[204:205] op_sel:[1,1] op_sel_hi:[0,1]
	v_fmac_f32_e32 v225, v197, v68
	v_mul_f32_e32 v227, v198, v71
	v_fma_f32 v224, v196, v68, -v0
	v_mul_f32_e32 v0, v199, v71
	v_pk_fma_f32 v[16:17], v[200:201], v[204:205], v[14:15] neg_lo:[0,0,1] neg_hi:[0,0,1]
	v_pk_fma_f32 v[14:15], v[200:201], v[204:205], v[14:15] op_sel_hi:[1,0,1]
	v_fmac_f32_e32 v227, v199, v70
	v_fma_f32 v226, v198, v70, -v0
	ds_read2_b64 v[0:3], v194 offset0:73 offset1:74
	ds_read2_b64 v[4:7], v194 offset0:75 offset1:76
	;; [unrolled: 1-line block ×3, first 2 shown]
	v_pk_add_f32 v[12:13], v[222:223], v[224:225]
	v_mov_b32_e32 v14, v207
	v_pk_add_f32 v[12:13], v[12:13], v[226:227]
	v_mov_b32_e32 v17, v15
	v_pk_mul_f32 v[14:15], v[202:203], v[14:15] op_sel:[1,0] op_sel_hi:[0,0]
	v_pk_add_f32 v[12:13], v[12:13], v[16:17]
	v_pk_fma_f32 v[16:17], v[202:203], v[206:207], v[14:15] neg_lo:[0,0,1] neg_hi:[0,0,1]
	v_pk_fma_f32 v[14:15], v[202:203], v[206:207], v[14:15] op_sel_hi:[1,0,1]
	s_nop 0
	v_mov_b32_e32 v17, v15
	s_waitcnt vmcnt(2) lgkmcnt(2)
	v_pk_mul_f32 v[14:15], v[0:1], v[208:209] op_sel:[1,1] op_sel_hi:[0,1]
	v_pk_add_f32 v[12:13], v[12:13], v[16:17]
	v_pk_fma_f32 v[16:17], v[0:1], v[208:209], v[14:15] neg_lo:[0,0,1] neg_hi:[0,0,1]
	v_pk_fma_f32 v[0:1], v[0:1], v[208:209], v[14:15] op_sel_hi:[1,0,1]
	s_nop 0
	v_mov_b32_e32 v17, v1
	v_pk_add_f32 v[0:1], v[12:13], v[16:17]
	v_mov_b32_e32 v12, v211
	v_pk_mul_f32 v[12:13], v[2:3], v[12:13] op_sel:[1,0] op_sel_hi:[0,0]
	v_pk_fma_f32 v[14:15], v[2:3], v[210:211], v[12:13] neg_lo:[0,0,1] neg_hi:[0,0,1]
	v_pk_fma_f32 v[2:3], v[2:3], v[210:211], v[12:13] op_sel_hi:[1,0,1]
	s_nop 0
	v_mov_b32_e32 v15, v3
	s_waitcnt vmcnt(1) lgkmcnt(1)
	v_pk_mul_f32 v[2:3], v[4:5], v[212:213] op_sel:[1,1] op_sel_hi:[0,1]
	v_pk_fma_f32 v[12:13], v[4:5], v[212:213], v[2:3] neg_lo:[0,0,1] neg_hi:[0,0,1]
	v_pk_fma_f32 v[2:3], v[4:5], v[212:213], v[2:3] op_sel_hi:[1,0,1]
	v_pk_add_f32 v[0:1], v[0:1], v[14:15]
	v_mov_b32_e32 v2, v215
	v_mov_b32_e32 v13, v3
	v_pk_mul_f32 v[2:3], v[6:7], v[2:3] op_sel:[1,0] op_sel_hi:[0,0]
	v_pk_fma_f32 v[4:5], v[6:7], v[214:215], v[2:3] neg_lo:[0,0,1] neg_hi:[0,0,1]
	v_pk_fma_f32 v[2:3], v[6:7], v[214:215], v[2:3] op_sel_hi:[1,0,1]
	v_pk_add_f32 v[0:1], v[0:1], v[12:13]
	v_mov_b32_e32 v5, v3
	s_waitcnt vmcnt(0) lgkmcnt(0)
	v_pk_mul_f32 v[2:3], v[8:9], v[216:217] op_sel:[1,1] op_sel_hi:[0,1]
	v_pk_add_f32 v[0:1], v[0:1], v[4:5]
	v_pk_fma_f32 v[4:5], v[8:9], v[216:217], v[2:3] neg_lo:[0,0,1] neg_hi:[0,0,1]
	v_pk_fma_f32 v[2:3], v[8:9], v[216:217], v[2:3] op_sel_hi:[1,0,1]
	s_nop 0
	v_mov_b32_e32 v2, v219
	v_mov_b32_e32 v5, v3
	v_pk_mul_f32 v[2:3], v[10:11], v[2:3] op_sel:[1,0] op_sel_hi:[0,0]
	v_pk_add_f32 v[0:1], v[0:1], v[4:5]
	v_pk_fma_f32 v[4:5], v[10:11], v[218:219], v[2:3] neg_lo:[0,0,1] neg_hi:[0,0,1]
	v_pk_fma_f32 v[2:3], v[10:11], v[218:219], v[2:3] op_sel_hi:[1,0,1]
	s_nop 0
	v_mov_b32_e32 v5, v3
	v_pk_add_f32 v[0:1], v[0:1], v[4:5]
	s_nop 0
	v_pk_add_f32 v[0:1], v[220:221], v[0:1] neg_lo:[0,1] neg_hi:[0,1]
	scratch_store_dwordx2 off, v[0:1], off
	s_cbranch_vccz .LBB38_324
; %bb.248:
	v_mov_b32_e32 v0, 0
	global_load_dword v1, v0, s[16:17] offset:148
	s_waitcnt vmcnt(0)
	v_readfirstlane_b32 s0, v1
	s_add_i32 s0, s0, -1
	s_cmp_lg_u32 s0, 37
	s_cbranch_scc0 .LBB38_250
; %bb.249:
	s_lshl_b32 s0, s0, 3
	s_nop 0
	scratch_load_dwordx2 v[2:3], off, s0
	scratch_load_dwordx2 v[4:5], off, off offset:296
	s_waitcnt vmcnt(1)
	scratch_store_dwordx2 off, v[2:3], off offset:296
	s_waitcnt vmcnt(1)
	scratch_store_dwordx2 off, v[4:5], s0
.LBB38_250:
	global_load_dword v0, v0, s[16:17] offset:144
	s_waitcnt vmcnt(0)
	v_readfirstlane_b32 s0, v0
	s_add_i32 s0, s0, -1
	s_cmp_eq_u32 s0, 36
	s_cbranch_scc1 .LBB38_252
; %bb.251:
	s_lshl_b32 s0, s0, 3
	s_nop 0
	scratch_load_dwordx2 v[0:1], off, s0
	scratch_load_dwordx2 v[2:3], off, off offset:288
	s_waitcnt vmcnt(1)
	scratch_store_dwordx2 off, v[0:1], off offset:288
	s_waitcnt vmcnt(1)
	scratch_store_dwordx2 off, v[2:3], s0
.LBB38_252:
	v_mov_b32_e32 v0, 0
	global_load_dword v1, v0, s[16:17] offset:140
	s_waitcnt vmcnt(0)
	v_readfirstlane_b32 s0, v1
	s_add_i32 s0, s0, -1
	s_cmp_eq_u32 s0, 35
	s_cbranch_scc1 .LBB38_254
; %bb.253:
	s_lshl_b32 s0, s0, 3
	s_nop 0
	scratch_load_dwordx2 v[2:3], off, s0
	scratch_load_dwordx2 v[4:5], off, off offset:280
	s_waitcnt vmcnt(1)
	scratch_store_dwordx2 off, v[2:3], off offset:280
	s_waitcnt vmcnt(1)
	scratch_store_dwordx2 off, v[4:5], s0
.LBB38_254:
	global_load_dword v0, v0, s[16:17] offset:136
	s_waitcnt vmcnt(0)
	v_readfirstlane_b32 s0, v0
	s_add_i32 s0, s0, -1
	s_cmp_eq_u32 s0, 34
	s_cbranch_scc1 .LBB38_256
; %bb.255:
	s_lshl_b32 s0, s0, 3
	s_nop 0
	scratch_load_dwordx2 v[0:1], off, s0
	scratch_load_dwordx2 v[2:3], off, off offset:272
	s_waitcnt vmcnt(1)
	scratch_store_dwordx2 off, v[0:1], off offset:272
	s_waitcnt vmcnt(1)
	scratch_store_dwordx2 off, v[2:3], s0
.LBB38_256:
	v_mov_b32_e32 v0, 0
	global_load_dword v1, v0, s[16:17] offset:132
	s_waitcnt vmcnt(0)
	v_readfirstlane_b32 s0, v1
	s_add_i32 s0, s0, -1
	s_cmp_eq_u32 s0, 33
	s_cbranch_scc1 .LBB38_258
; %bb.257:
	s_lshl_b32 s0, s0, 3
	s_nop 0
	scratch_load_dwordx2 v[2:3], off, s0
	scratch_load_dwordx2 v[4:5], off, off offset:264
	s_waitcnt vmcnt(1)
	scratch_store_dwordx2 off, v[2:3], off offset:264
	s_waitcnt vmcnt(1)
	scratch_store_dwordx2 off, v[4:5], s0
.LBB38_258:
	;; [unrolled: 33-line block ×18, first 2 shown]
	global_load_dword v2, v0, s[16:17]
	s_nop 0
	scratch_load_dwordx2 v[0:1], off, off
	s_waitcnt vmcnt(1)
	v_readfirstlane_b32 s0, v2
	s_add_i32 s0, s0, -1
	s_cmp_eq_u32 s0, 0
	s_cbranch_scc1 .LBB38_324
; %bb.323:
	s_lshl_b32 s0, s0, 3
	s_nop 0
	scratch_load_dwordx2 v[2:3], off, s0
	s_waitcnt vmcnt(0)
	scratch_store_dwordx2 off, v[2:3], off
	scratch_store_dwordx2 off, v[0:1], s0
	scratch_load_dwordx2 v[0:1], off, off
.LBB38_324:
	s_nop 0
	scratch_load_dwordx4 v[2:5], off, off offset:8
	scratch_load_dwordx4 v[6:9], off, off offset:24
	;; [unrolled: 1-line block ×19, first 2 shown]
	s_waitcnt vmcnt(19)
	global_store_dwordx2 v[116:117], v[0:1], off
	s_waitcnt vmcnt(19)
	global_store_dwordx2 v[118:119], v[2:3], off
	global_store_dwordx2 v[120:121], v[4:5], off
	s_waitcnt vmcnt(20)
	global_store_dwordx2 v[122:123], v[6:7], off
	;; [unrolled: 3-line block ×19, first 2 shown]
	global_store_dwordx2 v[192:193], v[76:77], off
	s_endpgm
	.section	.rodata,"a",@progbits
	.p2align	6, 0x0
	.amdhsa_kernel _ZN9rocsolver6v33100L18getri_kernel_smallILi39E19rocblas_complex_numIfEPS3_EEvT1_iilPiilS6_bb
		.amdhsa_group_segment_fixed_size 632
		.amdhsa_private_segment_fixed_size 320
		.amdhsa_kernarg_size 60
		.amdhsa_user_sgpr_count 2
		.amdhsa_user_sgpr_dispatch_ptr 0
		.amdhsa_user_sgpr_queue_ptr 0
		.amdhsa_user_sgpr_kernarg_segment_ptr 1
		.amdhsa_user_sgpr_dispatch_id 0
		.amdhsa_user_sgpr_kernarg_preload_length 0
		.amdhsa_user_sgpr_kernarg_preload_offset 0
		.amdhsa_user_sgpr_private_segment_size 0
		.amdhsa_uses_dynamic_stack 0
		.amdhsa_enable_private_segment 1
		.amdhsa_system_sgpr_workgroup_id_x 1
		.amdhsa_system_sgpr_workgroup_id_y 0
		.amdhsa_system_sgpr_workgroup_id_z 0
		.amdhsa_system_sgpr_workgroup_info 0
		.amdhsa_system_vgpr_workitem_id 0
		.amdhsa_next_free_vgpr 228
		.amdhsa_next_free_sgpr 20
		.amdhsa_accum_offset 228
		.amdhsa_reserve_vcc 1
		.amdhsa_float_round_mode_32 0
		.amdhsa_float_round_mode_16_64 0
		.amdhsa_float_denorm_mode_32 3
		.amdhsa_float_denorm_mode_16_64 3
		.amdhsa_dx10_clamp 1
		.amdhsa_ieee_mode 1
		.amdhsa_fp16_overflow 0
		.amdhsa_tg_split 0
		.amdhsa_exception_fp_ieee_invalid_op 0
		.amdhsa_exception_fp_denorm_src 0
		.amdhsa_exception_fp_ieee_div_zero 0
		.amdhsa_exception_fp_ieee_overflow 0
		.amdhsa_exception_fp_ieee_underflow 0
		.amdhsa_exception_fp_ieee_inexact 0
		.amdhsa_exception_int_div_zero 0
	.end_amdhsa_kernel
	.section	.text._ZN9rocsolver6v33100L18getri_kernel_smallILi39E19rocblas_complex_numIfEPS3_EEvT1_iilPiilS6_bb,"axG",@progbits,_ZN9rocsolver6v33100L18getri_kernel_smallILi39E19rocblas_complex_numIfEPS3_EEvT1_iilPiilS6_bb,comdat
.Lfunc_end38:
	.size	_ZN9rocsolver6v33100L18getri_kernel_smallILi39E19rocblas_complex_numIfEPS3_EEvT1_iilPiilS6_bb, .Lfunc_end38-_ZN9rocsolver6v33100L18getri_kernel_smallILi39E19rocblas_complex_numIfEPS3_EEvT1_iilPiilS6_bb
                                        ; -- End function
	.set _ZN9rocsolver6v33100L18getri_kernel_smallILi39E19rocblas_complex_numIfEPS3_EEvT1_iilPiilS6_bb.num_vgpr, 228
	.set _ZN9rocsolver6v33100L18getri_kernel_smallILi39E19rocblas_complex_numIfEPS3_EEvT1_iilPiilS6_bb.num_agpr, 0
	.set _ZN9rocsolver6v33100L18getri_kernel_smallILi39E19rocblas_complex_numIfEPS3_EEvT1_iilPiilS6_bb.numbered_sgpr, 20
	.set _ZN9rocsolver6v33100L18getri_kernel_smallILi39E19rocblas_complex_numIfEPS3_EEvT1_iilPiilS6_bb.num_named_barrier, 0
	.set _ZN9rocsolver6v33100L18getri_kernel_smallILi39E19rocblas_complex_numIfEPS3_EEvT1_iilPiilS6_bb.private_seg_size, 320
	.set _ZN9rocsolver6v33100L18getri_kernel_smallILi39E19rocblas_complex_numIfEPS3_EEvT1_iilPiilS6_bb.uses_vcc, 1
	.set _ZN9rocsolver6v33100L18getri_kernel_smallILi39E19rocblas_complex_numIfEPS3_EEvT1_iilPiilS6_bb.uses_flat_scratch, 0
	.set _ZN9rocsolver6v33100L18getri_kernel_smallILi39E19rocblas_complex_numIfEPS3_EEvT1_iilPiilS6_bb.has_dyn_sized_stack, 0
	.set _ZN9rocsolver6v33100L18getri_kernel_smallILi39E19rocblas_complex_numIfEPS3_EEvT1_iilPiilS6_bb.has_recursion, 0
	.set _ZN9rocsolver6v33100L18getri_kernel_smallILi39E19rocblas_complex_numIfEPS3_EEvT1_iilPiilS6_bb.has_indirect_call, 0
	.section	.AMDGPU.csdata,"",@progbits
; Kernel info:
; codeLenInByte = 48652
; TotalNumSgprs: 26
; NumVgprs: 228
; NumAgprs: 0
; TotalNumVgprs: 228
; ScratchSize: 320
; MemoryBound: 0
; FloatMode: 240
; IeeeMode: 1
; LDSByteSize: 632 bytes/workgroup (compile time only)
; SGPRBlocks: 3
; VGPRBlocks: 28
; NumSGPRsForWavesPerEU: 26
; NumVGPRsForWavesPerEU: 228
; AccumOffset: 228
; Occupancy: 2
; WaveLimiterHint : 1
; COMPUTE_PGM_RSRC2:SCRATCH_EN: 1
; COMPUTE_PGM_RSRC2:USER_SGPR: 2
; COMPUTE_PGM_RSRC2:TRAP_HANDLER: 0
; COMPUTE_PGM_RSRC2:TGID_X_EN: 1
; COMPUTE_PGM_RSRC2:TGID_Y_EN: 0
; COMPUTE_PGM_RSRC2:TGID_Z_EN: 0
; COMPUTE_PGM_RSRC2:TIDIG_COMP_CNT: 0
; COMPUTE_PGM_RSRC3_GFX90A:ACCUM_OFFSET: 56
; COMPUTE_PGM_RSRC3_GFX90A:TG_SPLIT: 0
	.section	.text._ZN9rocsolver6v33100L18getri_kernel_smallILi40E19rocblas_complex_numIfEPS3_EEvT1_iilPiilS6_bb,"axG",@progbits,_ZN9rocsolver6v33100L18getri_kernel_smallILi40E19rocblas_complex_numIfEPS3_EEvT1_iilPiilS6_bb,comdat
	.globl	_ZN9rocsolver6v33100L18getri_kernel_smallILi40E19rocblas_complex_numIfEPS3_EEvT1_iilPiilS6_bb ; -- Begin function _ZN9rocsolver6v33100L18getri_kernel_smallILi40E19rocblas_complex_numIfEPS3_EEvT1_iilPiilS6_bb
	.p2align	8
	.type	_ZN9rocsolver6v33100L18getri_kernel_smallILi40E19rocblas_complex_numIfEPS3_EEvT1_iilPiilS6_bb,@function
_ZN9rocsolver6v33100L18getri_kernel_smallILi40E19rocblas_complex_numIfEPS3_EEvT1_iilPiilS6_bb: ; @_ZN9rocsolver6v33100L18getri_kernel_smallILi40E19rocblas_complex_numIfEPS3_EEvT1_iilPiilS6_bb
; %bb.0:
	v_cmp_gt_u32_e32 vcc, 40, v0
	s_and_saveexec_b64 s[4:5], vcc
	s_cbranch_execz .LBB39_174
; %bb.1:
	s_load_dword s8, s[0:1], 0x38
	s_load_dwordx4 s[12:15], s[0:1], 0x10
	s_load_dwordx4 s[4:7], s[0:1], 0x28
                                        ; implicit-def: $sgpr16_sgpr17
	s_waitcnt lgkmcnt(0)
	s_bitcmp1_b32 s8, 8
	s_cselect_b64 s[18:19], -1, 0
	s_ashr_i32 s3, s2, 31
	s_bfe_u32 s8, s8, 0x10008
	s_cmp_eq_u32 s8, 0
	s_cbranch_scc1 .LBB39_3
; %bb.2:
	s_load_dword s8, s[0:1], 0x20
	s_mul_i32 s9, s4, s3
	s_mul_hi_u32 s10, s4, s2
	s_mul_i32 s5, s5, s2
	s_add_i32 s10, s10, s9
	s_add_i32 s5, s10, s5
	s_mul_i32 s4, s4, s2
	s_waitcnt lgkmcnt(0)
	s_ashr_i32 s9, s8, 31
	s_lshl_b64 s[4:5], s[4:5], 2
	s_add_u32 s10, s14, s4
	s_addc_u32 s11, s15, s5
	s_lshl_b64 s[4:5], s[8:9], 2
	s_add_u32 s16, s10, s4
	s_addc_u32 s17, s11, s5
.LBB39_3:
	s_load_dwordx4 s[8:11], s[0:1], 0x0
	s_load_dword s4, s[0:1], 0x38
	s_mul_i32 s5, s12, s3
	s_mul_hi_u32 s14, s12, s2
	s_add_i32 s5, s14, s5
	s_waitcnt lgkmcnt(0)
	s_ashr_i32 s1, s10, 31
	s_mov_b32 s0, s10
	s_mul_i32 s10, s13, s2
	s_add_i32 s13, s5, s10
	s_mul_i32 s12, s12, s2
	s_lshl_b64 s[12:13], s[12:13], 3
	s_add_u32 s5, s8, s12
	s_addc_u32 s8, s9, s13
	s_lshl_b64 s[0:1], s[0:1], 3
	s_add_u32 s0, s5, s0
	s_addc_u32 s1, s8, s1
	s_add_i32 s5, s11, s11
	v_add_u32_e32 v4, s5, v0
	v_ashrrev_i32_e32 v5, 31, v4
	v_lshl_add_u64 v[122:123], v[4:5], 3, s[0:1]
	v_add_u32_e32 v4, s11, v4
	v_ashrrev_i32_e32 v5, 31, v4
	v_lshl_add_u64 v[124:125], v[4:5], 3, s[0:1]
	;; [unrolled: 3-line block ×36, first 2 shown]
	v_add_u32_e32 v4, s11, v4
	v_lshlrev_b32_e32 v2, 3, v0
	v_mov_b32_e32 v3, 0
	v_ashrrev_i32_e32 v5, 31, v4
	v_lshl_add_u64 v[118:119], s[0:1], 0, v[2:3]
	s_ashr_i32 s9, s11, 31
	s_mov_b32 s8, s11
	v_lshl_add_u64 v[194:195], v[4:5], 3, s[0:1]
	v_add_u32_e32 v4, s11, v4
	v_lshl_add_u64 v[120:121], s[8:9], 3, v[118:119]
	v_ashrrev_i32_e32 v5, 31, v4
	global_load_dwordx2 v[6:7], v2, s[0:1]
	global_load_dwordx2 v[8:9], v[120:121], off
	global_load_dwordx2 v[10:11], v[122:123], off
	;; [unrolled: 1-line block ×36, first 2 shown]
	v_lshl_add_u64 v[196:197], v[4:5], 3, s[0:1]
	global_load_dwordx2 v[80:81], v[192:193], off
	global_load_dwordx2 v[82:83], v[194:195], off
	;; [unrolled: 1-line block ×3, first 2 shown]
	s_bitcmp0_b32 s4, 0
	s_mov_b64 s[4:5], -1
	s_waitcnt vmcnt(38)
	scratch_store_dwordx4 off, v[6:9], off
	s_waitcnt vmcnt(37)
	scratch_store_dwordx4 off, v[10:13], off offset:16
	s_waitcnt vmcnt(36)
	scratch_store_dwordx4 off, v[14:17], off offset:32
	;; [unrolled: 2-line block ×19, first 2 shown]
	s_cbranch_scc1 .LBB39_172
; %bb.4:
	v_cmp_eq_u32_e64 s[0:1], 0, v0
	s_and_saveexec_b64 s[4:5], s[0:1]
; %bb.5:
	v_mov_b32_e32 v1, 0
	ds_write_b32 v1, v1 offset:640
; %bb.6:
	s_or_b64 exec, exec, s[4:5]
	s_waitcnt lgkmcnt(0)
	; wave barrier
	scratch_load_dwordx2 v[4:5], v2, off
	s_waitcnt vmcnt(0)
	v_cmp_eq_f32_e32 vcc, 0, v4
	v_cmp_eq_f32_e64 s[4:5], 0, v5
	s_and_b64 s[4:5], vcc, s[4:5]
	s_and_saveexec_b64 s[8:9], s[4:5]
	s_cbranch_execz .LBB39_10
; %bb.7:
	v_mov_b32_e32 v1, 0
	ds_read_b32 v4, v1 offset:640
	v_add_u32_e32 v3, 1, v0
	s_waitcnt lgkmcnt(0)
	v_readfirstlane_b32 s4, v4
	s_cmp_eq_u32 s4, 0
	s_cselect_b64 s[10:11], -1, 0
	v_cmp_gt_i32_e32 vcc, s4, v3
	s_or_b64 s[10:11], s[10:11], vcc
	s_and_b64 exec, exec, s[10:11]
	s_cbranch_execz .LBB39_10
; %bb.8:
	s_mov_b64 s[10:11], 0
	v_mov_b32_e32 v4, s4
.LBB39_9:                               ; =>This Inner Loop Header: Depth=1
	ds_cmpst_rtn_b32 v4, v1, v4, v3 offset:640
	s_waitcnt lgkmcnt(0)
	v_cmp_ne_u32_e32 vcc, 0, v4
	v_cmp_le_i32_e64 s[4:5], v4, v3
	s_and_b64 s[4:5], vcc, s[4:5]
	s_and_b64 s[4:5], exec, s[4:5]
	s_or_b64 s[10:11], s[4:5], s[10:11]
	s_andn2_b64 exec, exec, s[10:11]
	s_cbranch_execnz .LBB39_9
.LBB39_10:
	s_or_b64 exec, exec, s[8:9]
	v_mov_b32_e32 v3, 0
	; wave barrier
	ds_read_b32 v1, v3 offset:640
	s_and_saveexec_b64 s[4:5], s[0:1]
	s_cbranch_execz .LBB39_12
; %bb.11:
	s_lshl_b64 s[8:9], s[2:3], 2
	s_add_u32 s8, s6, s8
	s_addc_u32 s9, s7, s9
	s_waitcnt lgkmcnt(0)
	global_store_dword v3, v1, s[8:9]
.LBB39_12:
	s_or_b64 exec, exec, s[4:5]
	s_waitcnt lgkmcnt(0)
	v_cmp_ne_u32_e32 vcc, 0, v1
	s_mov_b64 s[4:5], 0
	s_cbranch_vccnz .LBB39_172
; %bb.13:
	v_mov_b32_e32 v3, v2
	scratch_load_dwordx2 v[4:5], v3, off
                                        ; implicit-def: $vgpr7
                                        ; implicit-def: $vgpr8
	s_waitcnt vmcnt(0)
	v_cmp_ngt_f32_e64 s[4:5], |v4|, |v5|
	s_and_saveexec_b64 s[8:9], s[4:5]
	s_xor_b64 s[4:5], exec, s[8:9]
	s_cbranch_execz .LBB39_15
; %bb.14:
	v_div_scale_f32 v1, s[8:9], v5, v5, v4
	v_rcp_f32_e32 v6, v1
	v_div_scale_f32 v7, vcc, v4, v5, v4
	v_fma_f32 v8, -v1, v6, 1.0
	v_fmac_f32_e32 v6, v8, v6
	v_mul_f32_e32 v8, v7, v6
	v_fma_f32 v9, -v1, v8, v7
	v_fmac_f32_e32 v8, v9, v6
	v_fma_f32 v1, -v1, v8, v7
	v_div_fmas_f32 v1, v1, v6, v8
	v_div_fixup_f32 v1, v1, v5, v4
	v_fmac_f32_e32 v5, v4, v1
	v_div_scale_f32 v4, s[8:9], v5, v5, -1.0
	v_rcp_f32_e32 v6, v4
	s_nop 0
	v_fma_f32 v7, -v4, v6, 1.0
	v_fmac_f32_e32 v6, v7, v6
	v_div_scale_f32 v7, vcc, -1.0, v5, -1.0
	v_mul_f32_e32 v8, v7, v6
	v_fma_f32 v9, -v4, v8, v7
	v_fmac_f32_e32 v8, v9, v6
	v_fma_f32 v4, -v4, v8, v7
	v_div_fmas_f32 v4, v4, v6, v8
	v_div_fixup_f32 v7, v4, v5, -1.0
	v_mul_f32_e32 v8, v1, v7
	v_xor_b32_e32 v6, 0x80000000, v8
                                        ; implicit-def: $vgpr4_vgpr5
.LBB39_15:
	s_andn2_saveexec_b64 s[4:5], s[4:5]
	s_cbranch_execz .LBB39_17
; %bb.16:
	v_div_scale_f32 v1, s[8:9], v4, v4, v5
	v_rcp_f32_e32 v6, v1
	v_div_scale_f32 v7, vcc, v5, v4, v5
	v_fma_f32 v8, -v1, v6, 1.0
	v_fmac_f32_e32 v6, v8, v6
	v_mul_f32_e32 v8, v7, v6
	v_fma_f32 v9, -v1, v8, v7
	v_fmac_f32_e32 v8, v9, v6
	v_fma_f32 v1, -v1, v8, v7
	v_div_fmas_f32 v1, v1, v6, v8
	v_div_fixup_f32 v1, v1, v4, v5
	v_fmac_f32_e32 v4, v5, v1
	v_div_scale_f32 v5, s[8:9], v4, v4, 1.0
	v_rcp_f32_e32 v6, v5
	s_nop 0
	v_fma_f32 v7, -v5, v6, 1.0
	v_fmac_f32_e32 v6, v7, v6
	v_div_scale_f32 v7, vcc, 1.0, v4, 1.0
	v_mul_f32_e32 v8, v7, v6
	v_fma_f32 v9, -v5, v8, v7
	v_fmac_f32_e32 v8, v9, v6
	v_fma_f32 v5, -v5, v8, v7
	v_div_fmas_f32 v5, v5, v6, v8
	v_div_fixup_f32 v6, v5, v4, 1.0
	v_xor_b32_e32 v8, 0x80000000, v6
	v_mul_f32_e64 v7, v1, -v6
.LBB39_17:
	s_or_b64 exec, exec, s[4:5]
	scratch_store_dwordx2 v3, v[6:7], off
	scratch_load_dwordx2 v[4:5], off, off offset:8
	v_xor_b32_e32 v9, 0x80000000, v7
	v_add_u32_e32 v1, 0x140, v2
	s_waitcnt vmcnt(0)
	ds_write2_b64 v2, v[8:9], v[4:5] offset1:40
	s_waitcnt lgkmcnt(0)
	; wave barrier
	s_and_saveexec_b64 s[4:5], s[0:1]
	s_cbranch_execz .LBB39_19
; %bb.18:
	scratch_load_dwordx2 v[4:5], v3, off
	ds_read_b64 v[6:7], v1
	v_mov_b32_e32 v8, 0
	ds_read_b64 v[8:9], v8 offset:8
	s_waitcnt vmcnt(0) lgkmcnt(1)
	v_pk_mul_f32 v[10:11], v[6:7], v[4:5] op_sel:[1,1] op_sel_hi:[0,1]
	v_pk_fma_f32 v[12:13], v[6:7], v[4:5], v[10:11] neg_lo:[0,0,1] neg_hi:[0,0,1]
	v_pk_fma_f32 v[4:5], v[6:7], v[4:5], v[10:11] op_sel_hi:[1,0,1]
	s_nop 0
	v_mov_b32_e32 v13, v5
	v_pk_add_f32 v[4:5], v[12:13], 0 op_sel_hi:[1,0]
	s_waitcnt lgkmcnt(0)
	v_pk_mul_f32 v[6:7], v[4:5], v[8:9] op_sel:[1,1] op_sel_hi:[0,1]
	v_pk_fma_f32 v[10:11], v[4:5], v[8:9], v[6:7] neg_lo:[0,0,1] neg_hi:[0,0,1]
	v_pk_fma_f32 v[4:5], v[4:5], v[8:9], v[6:7] op_sel_hi:[1,0,1]
	s_nop 0
	v_mov_b32_e32 v11, v5
	scratch_store_dwordx2 off, v[10:11], off offset:8
.LBB39_19:
	s_or_b64 exec, exec, s[4:5]
	; wave barrier
	scratch_load_dwordx2 v[4:5], off, off offset:16
	v_cmp_gt_u32_e32 vcc, 2, v0
	s_waitcnt vmcnt(0)
	ds_write_b64 v1, v[4:5]
	s_waitcnt lgkmcnt(0)
	; wave barrier
	s_and_saveexec_b64 s[4:5], vcc
	s_cbranch_execz .LBB39_23
; %bb.20:
	scratch_load_dwordx2 v[4:5], v3, off
	ds_read_b64 v[6:7], v1
	s_waitcnt vmcnt(0) lgkmcnt(0)
	v_pk_mul_f32 v[8:9], v[6:7], v[4:5] op_sel:[1,1] op_sel_hi:[0,1]
	v_pk_fma_f32 v[10:11], v[6:7], v[4:5], v[8:9] neg_lo:[0,0,1] neg_hi:[0,0,1]
	v_pk_fma_f32 v[4:5], v[6:7], v[4:5], v[8:9] op_sel_hi:[1,0,1]
	s_nop 0
	v_mov_b32_e32 v11, v5
	v_pk_add_f32 v[4:5], v[10:11], 0 op_sel_hi:[1,0]
	s_and_saveexec_b64 s[8:9], s[0:1]
	s_cbranch_execz .LBB39_22
; %bb.21:
	scratch_load_dwordx2 v[6:7], off, off offset:8
	v_mov_b32_e32 v3, 0
	ds_read_b64 v[8:9], v3 offset:328
	s_waitcnt vmcnt(0) lgkmcnt(0)
	v_pk_mul_f32 v[10:11], v[8:9], v[6:7] op_sel:[1,1] op_sel_hi:[0,1]
	v_pk_fma_f32 v[12:13], v[8:9], v[6:7], v[10:11] neg_lo:[0,0,1] neg_hi:[0,0,1]
	v_pk_fma_f32 v[6:7], v[8:9], v[6:7], v[10:11] op_sel_hi:[1,0,1]
	s_nop 0
	v_mov_b32_e32 v13, v7
	v_pk_add_f32 v[4:5], v[4:5], v[12:13]
.LBB39_22:
	s_or_b64 exec, exec, s[8:9]
	v_mov_b32_e32 v3, 0
	ds_read_b64 v[6:7], v3 offset:16
	s_waitcnt lgkmcnt(0)
	v_pk_mul_f32 v[8:9], v[4:5], v[6:7] op_sel:[1,1] op_sel_hi:[0,1]
	v_pk_fma_f32 v[10:11], v[4:5], v[6:7], v[8:9] neg_lo:[0,0,1] neg_hi:[0,0,1]
	v_pk_fma_f32 v[4:5], v[4:5], v[6:7], v[8:9] op_sel_hi:[1,0,1]
	s_nop 0
	v_mov_b32_e32 v11, v5
	scratch_store_dwordx2 off, v[10:11], off offset:16
.LBB39_23:
	s_or_b64 exec, exec, s[4:5]
	; wave barrier
	scratch_load_dwordx2 v[4:5], off, off offset:24
	v_cmp_gt_u32_e32 vcc, 3, v0
	v_add_u32_e32 v6, -1, v0
	s_waitcnt vmcnt(0)
	ds_write_b64 v1, v[4:5]
	s_waitcnt lgkmcnt(0)
	; wave barrier
	s_and_saveexec_b64 s[0:1], vcc
	s_cbranch_execz .LBB39_27
; %bb.24:
	v_mov_b32_e32 v4, 0
	v_add_u32_e32 v3, -1, v0
	v_add_u32_e32 v7, 0x140, v2
	v_mov_b32_e32 v8, v2
	s_mov_b64 s[4:5], 0
	v_mov_b32_e32 v5, v4
.LBB39_25:                              ; =>This Inner Loop Header: Depth=1
	scratch_load_dwordx2 v[10:11], v8, off
	ds_read_b64 v[12:13], v7
	v_add_u32_e32 v3, 1, v3
	v_cmp_lt_u32_e32 vcc, 1, v3
	v_add_u32_e32 v7, 8, v7
	v_add_u32_e32 v8, 8, v8
	s_or_b64 s[4:5], vcc, s[4:5]
	s_waitcnt vmcnt(0) lgkmcnt(0)
	v_pk_mul_f32 v[14:15], v[12:13], v[10:11] op_sel:[1,1] op_sel_hi:[0,1]
	v_pk_fma_f32 v[16:17], v[12:13], v[10:11], v[14:15] neg_lo:[0,0,1] neg_hi:[0,0,1]
	v_pk_fma_f32 v[10:11], v[12:13], v[10:11], v[14:15] op_sel_hi:[1,0,1]
	s_nop 0
	v_mov_b32_e32 v17, v11
	v_pk_add_f32 v[4:5], v[4:5], v[16:17]
	s_andn2_b64 exec, exec, s[4:5]
	s_cbranch_execnz .LBB39_25
; %bb.26:
	s_or_b64 exec, exec, s[4:5]
	v_mov_b32_e32 v3, 0
	ds_read_b64 v[8:9], v3 offset:24
	s_waitcnt lgkmcnt(0)
	v_pk_mul_f32 v[10:11], v[4:5], v[8:9] op_sel:[1,1] op_sel_hi:[0,1]
	v_pk_fma_f32 v[12:13], v[4:5], v[8:9], v[10:11] neg_lo:[0,0,1] neg_hi:[0,0,1]
	v_pk_fma_f32 v[4:5], v[4:5], v[8:9], v[10:11] op_sel_hi:[1,0,1]
	s_nop 0
	v_mov_b32_e32 v13, v5
	scratch_store_dwordx2 off, v[12:13], off offset:24
.LBB39_27:
	s_or_b64 exec, exec, s[0:1]
	; wave barrier
	scratch_load_dwordx2 v[4:5], off, off offset:32
	v_cmp_gt_u32_e32 vcc, 4, v0
	s_waitcnt vmcnt(0)
	ds_write_b64 v1, v[4:5]
	s_waitcnt lgkmcnt(0)
	; wave barrier
	s_and_saveexec_b64 s[0:1], vcc
	s_cbranch_execz .LBB39_31
; %bb.28:
	v_mov_b32_e32 v4, 0
	v_add_u32_e32 v3, -1, v0
	v_add_u32_e32 v7, 0x140, v2
	v_mov_b32_e32 v8, v2
	s_mov_b64 s[4:5], 0
	v_mov_b32_e32 v5, v4
.LBB39_29:                              ; =>This Inner Loop Header: Depth=1
	scratch_load_dwordx2 v[10:11], v8, off
	ds_read_b64 v[12:13], v7
	v_add_u32_e32 v3, 1, v3
	v_cmp_lt_u32_e32 vcc, 2, v3
	v_add_u32_e32 v7, 8, v7
	v_add_u32_e32 v8, 8, v8
	s_or_b64 s[4:5], vcc, s[4:5]
	s_waitcnt vmcnt(0) lgkmcnt(0)
	v_pk_mul_f32 v[14:15], v[12:13], v[10:11] op_sel:[1,1] op_sel_hi:[0,1]
	v_pk_fma_f32 v[16:17], v[12:13], v[10:11], v[14:15] neg_lo:[0,0,1] neg_hi:[0,0,1]
	v_pk_fma_f32 v[10:11], v[12:13], v[10:11], v[14:15] op_sel_hi:[1,0,1]
	s_nop 0
	v_mov_b32_e32 v17, v11
	v_pk_add_f32 v[4:5], v[4:5], v[16:17]
	s_andn2_b64 exec, exec, s[4:5]
	s_cbranch_execnz .LBB39_29
; %bb.30:
	s_or_b64 exec, exec, s[4:5]
	v_mov_b32_e32 v3, 0
	ds_read_b64 v[8:9], v3 offset:32
	s_waitcnt lgkmcnt(0)
	v_pk_mul_f32 v[10:11], v[4:5], v[8:9] op_sel:[1,1] op_sel_hi:[0,1]
	v_pk_fma_f32 v[12:13], v[4:5], v[8:9], v[10:11] neg_lo:[0,0,1] neg_hi:[0,0,1]
	v_pk_fma_f32 v[4:5], v[4:5], v[8:9], v[10:11] op_sel_hi:[1,0,1]
	s_nop 0
	v_mov_b32_e32 v13, v5
	scratch_store_dwordx2 off, v[12:13], off offset:32
.LBB39_31:
	s_or_b64 exec, exec, s[0:1]
	; wave barrier
	scratch_load_dwordx2 v[4:5], off, off offset:40
	v_cmp_gt_u32_e32 vcc, 5, v0
	;; [unrolled: 46-line block ×19, first 2 shown]
	s_waitcnt vmcnt(0)
	ds_write_b64 v1, v[4:5]
	s_waitcnt lgkmcnt(0)
	; wave barrier
	s_and_saveexec_b64 s[0:1], vcc
	s_cbranch_execz .LBB39_103
; %bb.100:
	v_mov_b32_e32 v4, 0
	v_add_u32_e32 v3, -1, v0
	v_add_u32_e32 v7, 0x140, v2
	v_mov_b32_e32 v8, v2
	s_mov_b64 s[4:5], 0
	v_mov_b32_e32 v5, v4
.LBB39_101:                             ; =>This Inner Loop Header: Depth=1
	scratch_load_dwordx2 v[10:11], v8, off
	ds_read_b64 v[12:13], v7
	v_add_u32_e32 v3, 1, v3
	v_cmp_lt_u32_e32 vcc, 20, v3
	v_add_u32_e32 v7, 8, v7
	v_add_u32_e32 v8, 8, v8
	s_or_b64 s[4:5], vcc, s[4:5]
	s_waitcnt vmcnt(0) lgkmcnt(0)
	v_pk_mul_f32 v[14:15], v[12:13], v[10:11] op_sel:[1,1] op_sel_hi:[0,1]
	v_pk_fma_f32 v[16:17], v[12:13], v[10:11], v[14:15] neg_lo:[0,0,1] neg_hi:[0,0,1]
	v_pk_fma_f32 v[10:11], v[12:13], v[10:11], v[14:15] op_sel_hi:[1,0,1]
	s_nop 0
	v_mov_b32_e32 v17, v11
	v_pk_add_f32 v[4:5], v[4:5], v[16:17]
	s_andn2_b64 exec, exec, s[4:5]
	s_cbranch_execnz .LBB39_101
; %bb.102:
	s_or_b64 exec, exec, s[4:5]
	v_mov_b32_e32 v3, 0
	ds_read_b64 v[8:9], v3 offset:176
	s_waitcnt lgkmcnt(0)
	v_pk_mul_f32 v[10:11], v[4:5], v[8:9] op_sel:[1,1] op_sel_hi:[0,1]
	v_pk_fma_f32 v[12:13], v[4:5], v[8:9], v[10:11] neg_lo:[0,0,1] neg_hi:[0,0,1]
	v_pk_fma_f32 v[4:5], v[4:5], v[8:9], v[10:11] op_sel_hi:[1,0,1]
	s_nop 0
	v_mov_b32_e32 v13, v5
	scratch_store_dwordx2 off, v[12:13], off offset:176
.LBB39_103:
	s_or_b64 exec, exec, s[0:1]
	; wave barrier
	scratch_load_dwordx2 v[4:5], off, off offset:184
	v_cmp_gt_u32_e32 vcc, 23, v0
	s_waitcnt vmcnt(0)
	ds_write_b64 v1, v[4:5]
	s_waitcnt lgkmcnt(0)
	; wave barrier
	s_and_saveexec_b64 s[0:1], vcc
	s_cbranch_execz .LBB39_107
; %bb.104:
	v_mov_b32_e32 v4, 0
	v_add_u32_e32 v3, -1, v0
	v_add_u32_e32 v7, 0x140, v2
	v_mov_b32_e32 v8, v2
	s_mov_b64 s[4:5], 0
	v_mov_b32_e32 v5, v4
.LBB39_105:                             ; =>This Inner Loop Header: Depth=1
	scratch_load_dwordx2 v[10:11], v8, off
	ds_read_b64 v[12:13], v7
	v_add_u32_e32 v3, 1, v3
	v_cmp_lt_u32_e32 vcc, 21, v3
	v_add_u32_e32 v7, 8, v7
	v_add_u32_e32 v8, 8, v8
	s_or_b64 s[4:5], vcc, s[4:5]
	s_waitcnt vmcnt(0) lgkmcnt(0)
	v_pk_mul_f32 v[14:15], v[12:13], v[10:11] op_sel:[1,1] op_sel_hi:[0,1]
	v_pk_fma_f32 v[16:17], v[12:13], v[10:11], v[14:15] neg_lo:[0,0,1] neg_hi:[0,0,1]
	v_pk_fma_f32 v[10:11], v[12:13], v[10:11], v[14:15] op_sel_hi:[1,0,1]
	s_nop 0
	v_mov_b32_e32 v17, v11
	v_pk_add_f32 v[4:5], v[4:5], v[16:17]
	s_andn2_b64 exec, exec, s[4:5]
	s_cbranch_execnz .LBB39_105
; %bb.106:
	s_or_b64 exec, exec, s[4:5]
	v_mov_b32_e32 v3, 0
	ds_read_b64 v[8:9], v3 offset:184
	s_waitcnt lgkmcnt(0)
	v_pk_mul_f32 v[10:11], v[4:5], v[8:9] op_sel:[1,1] op_sel_hi:[0,1]
	v_pk_fma_f32 v[12:13], v[4:5], v[8:9], v[10:11] neg_lo:[0,0,1] neg_hi:[0,0,1]
	v_pk_fma_f32 v[4:5], v[4:5], v[8:9], v[10:11] op_sel_hi:[1,0,1]
	s_nop 0
	v_mov_b32_e32 v13, v5
	scratch_store_dwordx2 off, v[12:13], off offset:184
.LBB39_107:
	s_or_b64 exec, exec, s[0:1]
	; wave barrier
	scratch_load_dwordx2 v[4:5], off, off offset:192
	v_cmp_gt_u32_e32 vcc, 24, v0
	;; [unrolled: 46-line block ×16, first 2 shown]
	s_waitcnt vmcnt(0)
	ds_write_b64 v1, v[4:5]
	s_waitcnt lgkmcnt(0)
	; wave barrier
	s_and_saveexec_b64 s[0:1], vcc
	s_cbranch_execz .LBB39_167
; %bb.164:
	v_mov_b32_e32 v4, 0
	v_add_u32_e32 v3, -1, v0
	v_add_u32_e32 v7, 0x140, v2
	v_mov_b32_e32 v8, v2
	s_mov_b64 s[4:5], 0
	v_mov_b32_e32 v5, v4
.LBB39_165:                             ; =>This Inner Loop Header: Depth=1
	scratch_load_dwordx2 v[10:11], v8, off
	ds_read_b64 v[12:13], v7
	v_add_u32_e32 v3, 1, v3
	v_cmp_lt_u32_e32 vcc, 36, v3
	v_add_u32_e32 v7, 8, v7
	v_add_u32_e32 v8, 8, v8
	s_or_b64 s[4:5], vcc, s[4:5]
	s_waitcnt vmcnt(0) lgkmcnt(0)
	v_pk_mul_f32 v[14:15], v[12:13], v[10:11] op_sel:[1,1] op_sel_hi:[0,1]
	v_pk_fma_f32 v[16:17], v[12:13], v[10:11], v[14:15] neg_lo:[0,0,1] neg_hi:[0,0,1]
	v_pk_fma_f32 v[10:11], v[12:13], v[10:11], v[14:15] op_sel_hi:[1,0,1]
	s_nop 0
	v_mov_b32_e32 v17, v11
	v_pk_add_f32 v[4:5], v[4:5], v[16:17]
	s_andn2_b64 exec, exec, s[4:5]
	s_cbranch_execnz .LBB39_165
; %bb.166:
	s_or_b64 exec, exec, s[4:5]
	v_mov_b32_e32 v3, 0
	ds_read_b64 v[8:9], v3 offset:304
	s_waitcnt lgkmcnt(0)
	v_pk_mul_f32 v[10:11], v[4:5], v[8:9] op_sel:[1,1] op_sel_hi:[0,1]
	v_pk_fma_f32 v[12:13], v[4:5], v[8:9], v[10:11] neg_lo:[0,0,1] neg_hi:[0,0,1]
	v_pk_fma_f32 v[4:5], v[4:5], v[8:9], v[10:11] op_sel_hi:[1,0,1]
	s_nop 0
	v_mov_b32_e32 v13, v5
	scratch_store_dwordx2 off, v[12:13], off offset:304
.LBB39_167:
	s_or_b64 exec, exec, s[0:1]
	; wave barrier
	scratch_load_dwordx2 v[4:5], off, off offset:312
	v_cmp_ne_u32_e32 vcc, 39, v0
	s_waitcnt vmcnt(0)
	ds_write_b64 v1, v[4:5]
	s_waitcnt lgkmcnt(0)
	; wave barrier
	s_and_saveexec_b64 s[0:1], vcc
	s_cbranch_execz .LBB39_171
; %bb.168:
	v_add_u32_e32 v1, 0x140, v2
	v_mov_b32_e32 v4, v2
	v_mov_b32_e32 v2, 0
	s_mov_b64 s[4:5], 0
	v_mov_b32_e32 v3, v2
.LBB39_169:                             ; =>This Inner Loop Header: Depth=1
	scratch_load_dwordx2 v[8:9], v4, off
	ds_read_b64 v[10:11], v1
	v_add_u32_e32 v6, 1, v6
	v_cmp_lt_u32_e32 vcc, 37, v6
	v_add_u32_e32 v1, 8, v1
	v_add_u32_e32 v4, 8, v4
	s_or_b64 s[4:5], vcc, s[4:5]
	s_waitcnt vmcnt(0) lgkmcnt(0)
	v_pk_mul_f32 v[12:13], v[10:11], v[8:9] op_sel:[1,1] op_sel_hi:[0,1]
	v_pk_fma_f32 v[14:15], v[10:11], v[8:9], v[12:13] neg_lo:[0,0,1] neg_hi:[0,0,1]
	v_pk_fma_f32 v[8:9], v[10:11], v[8:9], v[12:13] op_sel_hi:[1,0,1]
	s_nop 0
	v_mov_b32_e32 v15, v9
	v_pk_add_f32 v[2:3], v[2:3], v[14:15]
	s_andn2_b64 exec, exec, s[4:5]
	s_cbranch_execnz .LBB39_169
; %bb.170:
	s_or_b64 exec, exec, s[4:5]
	v_mov_b32_e32 v1, 0
	ds_read_b64 v[4:5], v1 offset:312
	s_waitcnt lgkmcnt(0)
	v_pk_mul_f32 v[6:7], v[2:3], v[4:5] op_sel:[1,1] op_sel_hi:[0,1]
	v_pk_fma_f32 v[8:9], v[2:3], v[4:5], v[6:7] neg_lo:[0,0,1] neg_hi:[0,0,1]
	v_pk_fma_f32 v[2:3], v[2:3], v[4:5], v[6:7] op_sel_hi:[1,0,1]
	s_nop 0
	v_mov_b32_e32 v9, v3
	scratch_store_dwordx2 off, v[8:9], off offset:312
.LBB39_171:
	s_or_b64 exec, exec, s[0:1]
	s_mov_b64 s[4:5], -1
	; wave barrier
.LBB39_172:
	s_and_b64 vcc, exec, s[4:5]
	s_cbranch_vccz .LBB39_174
; %bb.173:
	s_lshl_b64 s[0:1], s[2:3], 2
	s_add_u32 s0, s6, s0
	s_addc_u32 s1, s7, s1
	v_mov_b32_e32 v1, 0
	global_load_dword v1, v1, s[0:1]
	s_waitcnt vmcnt(0)
	v_cmp_ne_u32_e32 vcc, 0, v1
	s_cbranch_vccz .LBB39_175
.LBB39_174:
	s_endpgm
.LBB39_175:
	v_mov_b32_e32 v1, 0x140
	v_lshl_add_u32 v1, v0, 3, v1
	v_cmp_eq_u32_e32 vcc, 39, v0
	s_and_saveexec_b64 s[0:1], vcc
	s_cbranch_execz .LBB39_177
; %bb.176:
	scratch_load_dwordx2 v[2:3], off, off offset:304
	v_mov_b32_e32 v4, 0
	v_mov_b32_e32 v5, v4
	scratch_store_dwordx2 off, v[4:5], off offset:304
	s_waitcnt vmcnt(1)
	ds_write_b64 v1, v[2:3]
.LBB39_177:
	s_or_b64 exec, exec, s[0:1]
	s_waitcnt lgkmcnt(0)
	; wave barrier
	scratch_load_dwordx2 v[4:5], off, off offset:312
	scratch_load_dwordx2 v[6:7], off, off offset:304
	v_mov_b32_e32 v2, 0
	ds_read_b64 v[8:9], v2 offset:632
	v_cmp_lt_u32_e32 vcc, 37, v0
	s_waitcnt vmcnt(1) lgkmcnt(0)
	v_pk_mul_f32 v[10:11], v[8:9], v[4:5] op_sel:[1,1] op_sel_hi:[0,1]
	v_pk_fma_f32 v[12:13], v[8:9], v[4:5], v[10:11] neg_lo:[0,0,1] neg_hi:[0,0,1]
	v_pk_fma_f32 v[4:5], v[8:9], v[4:5], v[10:11] op_sel_hi:[1,0,1]
	s_nop 0
	v_mov_b32_e32 v13, v5
	v_pk_add_f32 v[4:5], v[12:13], 0 op_sel_hi:[1,0]
	s_waitcnt vmcnt(0)
	v_pk_add_f32 v[4:5], v[6:7], v[4:5] neg_lo:[0,1] neg_hi:[0,1]
	scratch_store_dwordx2 off, v[4:5], off offset:304
	s_and_saveexec_b64 s[0:1], vcc
	s_cbranch_execz .LBB39_179
; %bb.178:
	scratch_load_dwordx2 v[4:5], off, off offset:296
	v_mov_b32_e32 v3, v2
	scratch_store_dwordx2 off, v[2:3], off offset:296
	s_waitcnt vmcnt(1)
	ds_write_b64 v1, v[4:5]
.LBB39_179:
	s_or_b64 exec, exec, s[0:1]
	s_waitcnt lgkmcnt(0)
	; wave barrier
	scratch_load_dwordx4 v[4:7], off, off offset:304
	scratch_load_dwordx2 v[12:13], off, off offset:296
	ds_read_b128 v[8:11], v2 offset:624
	v_cmp_lt_u32_e32 vcc, 36, v0
	s_waitcnt vmcnt(1) lgkmcnt(0)
	v_pk_mul_f32 v[2:3], v[8:9], v[4:5] op_sel:[1,1] op_sel_hi:[0,1]
	v_mov_b32_e32 v14, v7
	v_pk_fma_f32 v[16:17], v[8:9], v[4:5], v[2:3] neg_lo:[0,0,1] neg_hi:[0,0,1]
	v_pk_fma_f32 v[2:3], v[8:9], v[4:5], v[2:3] op_sel_hi:[1,0,1]
	v_pk_mul_f32 v[4:5], v[10:11], v[14:15] op_sel:[1,0] op_sel_hi:[0,0]
	v_mov_b32_e32 v17, v3
	v_pk_fma_f32 v[2:3], v[10:11], v[6:7], v[4:5] neg_lo:[0,0,1] neg_hi:[0,0,1]
	v_pk_fma_f32 v[4:5], v[10:11], v[6:7], v[4:5] op_sel_hi:[1,0,1]
	v_pk_add_f32 v[6:7], v[16:17], 0 op_sel_hi:[1,0]
	v_mov_b32_e32 v3, v5
	v_pk_add_f32 v[2:3], v[6:7], v[2:3]
	s_waitcnt vmcnt(0)
	v_pk_add_f32 v[2:3], v[12:13], v[2:3] neg_lo:[0,1] neg_hi:[0,1]
	scratch_store_dwordx2 off, v[2:3], off offset:296
	s_and_saveexec_b64 s[0:1], vcc
	s_cbranch_execz .LBB39_181
; %bb.180:
	scratch_load_dwordx2 v[2:3], off, off offset:288
	v_mov_b32_e32 v4, 0
	v_mov_b32_e32 v5, v4
	scratch_store_dwordx2 off, v[4:5], off offset:288
	s_waitcnt vmcnt(1)
	ds_write_b64 v1, v[2:3]
.LBB39_181:
	s_or_b64 exec, exec, s[0:1]
	s_waitcnt lgkmcnt(0)
	; wave barrier
	scratch_load_dwordx4 v[4:7], off, off offset:296
	scratch_load_dwordx2 v[12:13], off, off offset:312
	scratch_load_dwordx2 v[14:15], off, off offset:288
	v_mov_b32_e32 v2, 0
	ds_read2_b64 v[8:11], v2 offset0:77 offset1:78
	ds_read_b64 v[16:17], v2 offset:632
	v_cmp_lt_u32_e32 vcc, 35, v0
	s_waitcnt vmcnt(2) lgkmcnt(1)
	v_pk_mul_f32 v[18:19], v[8:9], v[4:5] op_sel:[1,1] op_sel_hi:[0,1]
	v_mov_b32_e32 v20, v7
	v_pk_fma_f32 v[24:25], v[8:9], v[4:5], v[18:19] neg_lo:[0,0,1] neg_hi:[0,0,1]
	v_pk_fma_f32 v[4:5], v[8:9], v[4:5], v[18:19] op_sel_hi:[1,0,1]
	v_pk_mul_f32 v[8:9], v[10:11], v[20:21] op_sel:[1,0] op_sel_hi:[0,0]
	s_waitcnt vmcnt(1) lgkmcnt(0)
	v_pk_mul_f32 v[22:23], v[16:17], v[12:13] op_sel:[1,1] op_sel_hi:[0,1]
	v_mov_b32_e32 v25, v5
	v_pk_fma_f32 v[4:5], v[10:11], v[6:7], v[8:9] neg_lo:[0,0,1] neg_hi:[0,0,1]
	v_pk_fma_f32 v[6:7], v[10:11], v[6:7], v[8:9] op_sel_hi:[1,0,1]
	v_pk_fma_f32 v[18:19], v[16:17], v[12:13], v[22:23] neg_lo:[0,0,1] neg_hi:[0,0,1]
	v_pk_fma_f32 v[12:13], v[16:17], v[12:13], v[22:23] op_sel_hi:[1,0,1]
	v_pk_add_f32 v[8:9], v[24:25], 0 op_sel_hi:[1,0]
	v_mov_b32_e32 v5, v7
	v_mov_b32_e32 v19, v13
	v_pk_add_f32 v[4:5], v[8:9], v[4:5]
	s_nop 0
	v_pk_add_f32 v[4:5], v[4:5], v[18:19]
	s_waitcnt vmcnt(0)
	v_pk_add_f32 v[4:5], v[14:15], v[4:5] neg_lo:[0,1] neg_hi:[0,1]
	scratch_store_dwordx2 off, v[4:5], off offset:288
	s_and_saveexec_b64 s[0:1], vcc
	s_cbranch_execz .LBB39_183
; %bb.182:
	scratch_load_dwordx2 v[4:5], off, off offset:280
	v_mov_b32_e32 v3, v2
	scratch_store_dwordx2 off, v[2:3], off offset:280
	s_waitcnt vmcnt(1)
	ds_write_b64 v1, v[4:5]
.LBB39_183:
	s_or_b64 exec, exec, s[0:1]
	s_waitcnt lgkmcnt(0)
	; wave barrier
	scratch_load_dwordx4 v[4:7], off, off offset:288
	scratch_load_dwordx4 v[8:11], off, off offset:304
	scratch_load_dwordx2 v[20:21], off, off offset:280
	ds_read_b128 v[12:15], v2 offset:608
	ds_read_b128 v[16:19], v2 offset:624
	v_cmp_lt_u32_e32 vcc, 34, v0
	s_waitcnt vmcnt(2) lgkmcnt(1)
	v_pk_mul_f32 v[2:3], v[12:13], v[4:5] op_sel:[1,1] op_sel_hi:[0,1]
	v_mov_b32_e32 v22, v7
	s_waitcnt vmcnt(1) lgkmcnt(0)
	v_pk_mul_f32 v[24:25], v[16:17], v[8:9] op_sel:[1,1] op_sel_hi:[0,1]
	v_mov_b32_e32 v26, v11
	v_pk_fma_f32 v[28:29], v[12:13], v[4:5], v[2:3] neg_lo:[0,0,1] neg_hi:[0,0,1]
	v_pk_fma_f32 v[2:3], v[12:13], v[4:5], v[2:3] op_sel_hi:[1,0,1]
	v_pk_mul_f32 v[4:5], v[14:15], v[22:23] op_sel:[1,0] op_sel_hi:[0,0]
	v_pk_fma_f32 v[12:13], v[16:17], v[8:9], v[24:25] neg_lo:[0,0,1] neg_hi:[0,0,1]
	v_pk_fma_f32 v[8:9], v[16:17], v[8:9], v[24:25] op_sel_hi:[1,0,1]
	v_pk_mul_f32 v[16:17], v[18:19], v[26:27] op_sel:[1,0] op_sel_hi:[0,0]
	v_mov_b32_e32 v29, v3
	v_pk_fma_f32 v[2:3], v[14:15], v[6:7], v[4:5] neg_lo:[0,0,1] neg_hi:[0,0,1]
	v_pk_fma_f32 v[4:5], v[14:15], v[6:7], v[4:5] op_sel_hi:[1,0,1]
	v_mov_b32_e32 v13, v9
	v_pk_fma_f32 v[6:7], v[18:19], v[10:11], v[16:17] neg_lo:[0,0,1] neg_hi:[0,0,1]
	v_pk_fma_f32 v[8:9], v[18:19], v[10:11], v[16:17] op_sel_hi:[1,0,1]
	v_pk_add_f32 v[10:11], v[28:29], 0 op_sel_hi:[1,0]
	v_mov_b32_e32 v3, v5
	v_pk_add_f32 v[2:3], v[10:11], v[2:3]
	v_mov_b32_e32 v7, v9
	v_pk_add_f32 v[2:3], v[2:3], v[12:13]
	s_nop 0
	v_pk_add_f32 v[2:3], v[2:3], v[6:7]
	s_waitcnt vmcnt(0)
	v_pk_add_f32 v[2:3], v[20:21], v[2:3] neg_lo:[0,1] neg_hi:[0,1]
	scratch_store_dwordx2 off, v[2:3], off offset:280
	s_and_saveexec_b64 s[0:1], vcc
	s_cbranch_execz .LBB39_185
; %bb.184:
	scratch_load_dwordx2 v[2:3], off, off offset:272
	v_mov_b32_e32 v4, 0
	v_mov_b32_e32 v5, v4
	scratch_store_dwordx2 off, v[4:5], off offset:272
	s_waitcnt vmcnt(1)
	ds_write_b64 v1, v[2:3]
.LBB39_185:
	s_or_b64 exec, exec, s[0:1]
	s_waitcnt lgkmcnt(0)
	; wave barrier
	scratch_load_dwordx4 v[4:7], off, off offset:280
	scratch_load_dwordx4 v[8:11], off, off offset:296
	scratch_load_dwordx2 v[20:21], off, off offset:312
	scratch_load_dwordx2 v[22:23], off, off offset:272
	v_mov_b32_e32 v2, 0
	ds_read2_b64 v[12:15], v2 offset0:75 offset1:76
	ds_read2_b64 v[16:19], v2 offset0:77 offset1:78
	ds_read_b64 v[24:25], v2 offset:632
	v_cmp_lt_u32_e32 vcc, 33, v0
	s_waitcnt vmcnt(3) lgkmcnt(2)
	v_pk_mul_f32 v[26:27], v[12:13], v[4:5] op_sel:[1,1] op_sel_hi:[0,1]
	v_mov_b32_e32 v28, v7
	v_pk_fma_f32 v[36:37], v[12:13], v[4:5], v[26:27] neg_lo:[0,0,1] neg_hi:[0,0,1]
	v_pk_fma_f32 v[4:5], v[12:13], v[4:5], v[26:27] op_sel_hi:[1,0,1]
	v_pk_mul_f32 v[12:13], v[14:15], v[28:29] op_sel:[1,0] op_sel_hi:[0,0]
	s_waitcnt vmcnt(2) lgkmcnt(1)
	v_pk_mul_f32 v[30:31], v[16:17], v[8:9] op_sel:[1,1] op_sel_hi:[0,1]
	v_mov_b32_e32 v32, v11
	v_mov_b32_e32 v37, v5
	v_pk_fma_f32 v[4:5], v[14:15], v[6:7], v[12:13] neg_lo:[0,0,1] neg_hi:[0,0,1]
	v_pk_fma_f32 v[6:7], v[14:15], v[6:7], v[12:13] op_sel_hi:[1,0,1]
	v_pk_fma_f32 v[26:27], v[16:17], v[8:9], v[30:31] neg_lo:[0,0,1] neg_hi:[0,0,1]
	v_pk_fma_f32 v[8:9], v[16:17], v[8:9], v[30:31] op_sel_hi:[1,0,1]
	v_pk_mul_f32 v[16:17], v[18:19], v[32:33] op_sel:[1,0] op_sel_hi:[0,0]
	v_pk_add_f32 v[12:13], v[36:37], 0 op_sel_hi:[1,0]
	v_mov_b32_e32 v5, v7
	s_waitcnt vmcnt(1) lgkmcnt(0)
	v_pk_mul_f32 v[34:35], v[24:25], v[20:21] op_sel:[1,1] op_sel_hi:[0,1]
	v_mov_b32_e32 v27, v9
	v_pk_fma_f32 v[8:9], v[18:19], v[10:11], v[16:17] neg_lo:[0,0,1] neg_hi:[0,0,1]
	v_pk_fma_f32 v[10:11], v[18:19], v[10:11], v[16:17] op_sel_hi:[1,0,1]
	v_pk_add_f32 v[4:5], v[12:13], v[4:5]
	v_pk_fma_f32 v[28:29], v[24:25], v[20:21], v[34:35] neg_lo:[0,0,1] neg_hi:[0,0,1]
	v_pk_fma_f32 v[20:21], v[24:25], v[20:21], v[34:35] op_sel_hi:[1,0,1]
	v_mov_b32_e32 v9, v11
	v_pk_add_f32 v[4:5], v[4:5], v[26:27]
	v_mov_b32_e32 v29, v21
	v_pk_add_f32 v[4:5], v[4:5], v[8:9]
	s_nop 0
	v_pk_add_f32 v[4:5], v[4:5], v[28:29]
	s_waitcnt vmcnt(0)
	v_pk_add_f32 v[4:5], v[22:23], v[4:5] neg_lo:[0,1] neg_hi:[0,1]
	scratch_store_dwordx2 off, v[4:5], off offset:272
	s_and_saveexec_b64 s[0:1], vcc
	s_cbranch_execz .LBB39_187
; %bb.186:
	scratch_load_dwordx2 v[4:5], off, off offset:264
	v_mov_b32_e32 v3, v2
	scratch_store_dwordx2 off, v[2:3], off offset:264
	s_waitcnt vmcnt(1)
	ds_write_b64 v1, v[4:5]
.LBB39_187:
	s_or_b64 exec, exec, s[0:1]
	s_waitcnt lgkmcnt(0)
	; wave barrier
	scratch_load_dwordx4 v[4:7], off, off offset:272
	scratch_load_dwordx4 v[8:11], off, off offset:288
	;; [unrolled: 1-line block ×3, first 2 shown]
	scratch_load_dwordx2 v[28:29], off, off offset:264
	ds_read_b128 v[16:19], v2 offset:592
	ds_read_b128 v[20:23], v2 offset:608
	;; [unrolled: 1-line block ×3, first 2 shown]
	v_cmp_lt_u32_e32 vcc, 32, v0
	s_waitcnt vmcnt(3) lgkmcnt(2)
	v_pk_mul_f32 v[2:3], v[16:17], v[4:5] op_sel:[1,1] op_sel_hi:[0,1]
	v_mov_b32_e32 v30, v7
	s_waitcnt vmcnt(2) lgkmcnt(1)
	v_pk_mul_f32 v[32:33], v[20:21], v[8:9] op_sel:[1,1] op_sel_hi:[0,1]
	v_mov_b32_e32 v34, v11
	s_waitcnt vmcnt(1) lgkmcnt(0)
	v_pk_mul_f32 v[36:37], v[24:25], v[12:13] op_sel:[1,1] op_sel_hi:[0,1]
	v_mov_b32_e32 v38, v15
	v_pk_fma_f32 v[40:41], v[16:17], v[4:5], v[2:3] neg_lo:[0,0,1] neg_hi:[0,0,1]
	v_pk_fma_f32 v[2:3], v[16:17], v[4:5], v[2:3] op_sel_hi:[1,0,1]
	v_pk_mul_f32 v[4:5], v[18:19], v[30:31] op_sel:[1,0] op_sel_hi:[0,0]
	v_pk_fma_f32 v[16:17], v[20:21], v[8:9], v[32:33] neg_lo:[0,0,1] neg_hi:[0,0,1]
	v_pk_fma_f32 v[8:9], v[20:21], v[8:9], v[32:33] op_sel_hi:[1,0,1]
	v_pk_mul_f32 v[20:21], v[22:23], v[34:35] op_sel:[1,0] op_sel_hi:[0,0]
	;; [unrolled: 3-line block ×3, first 2 shown]
	v_mov_b32_e32 v41, v3
	v_pk_fma_f32 v[2:3], v[18:19], v[6:7], v[4:5] neg_lo:[0,0,1] neg_hi:[0,0,1]
	v_pk_fma_f32 v[4:5], v[18:19], v[6:7], v[4:5] op_sel_hi:[1,0,1]
	v_mov_b32_e32 v17, v9
	v_pk_fma_f32 v[6:7], v[22:23], v[10:11], v[20:21] neg_lo:[0,0,1] neg_hi:[0,0,1]
	v_pk_fma_f32 v[8:9], v[22:23], v[10:11], v[20:21] op_sel_hi:[1,0,1]
	;; [unrolled: 3-line block ×3, first 2 shown]
	v_pk_add_f32 v[14:15], v[40:41], 0 op_sel_hi:[1,0]
	v_mov_b32_e32 v3, v5
	v_pk_add_f32 v[2:3], v[14:15], v[2:3]
	v_mov_b32_e32 v7, v9
	v_pk_add_f32 v[2:3], v[2:3], v[16:17]
	;; [unrolled: 2-line block ×3, first 2 shown]
	s_nop 0
	v_pk_add_f32 v[2:3], v[2:3], v[30:31]
	s_nop 0
	v_pk_add_f32 v[2:3], v[2:3], v[10:11]
	s_waitcnt vmcnt(0)
	v_pk_add_f32 v[2:3], v[28:29], v[2:3] neg_lo:[0,1] neg_hi:[0,1]
	scratch_store_dwordx2 off, v[2:3], off offset:264
	s_and_saveexec_b64 s[0:1], vcc
	s_cbranch_execz .LBB39_189
; %bb.188:
	scratch_load_dwordx2 v[2:3], off, off offset:256
	v_mov_b32_e32 v4, 0
	v_mov_b32_e32 v5, v4
	scratch_store_dwordx2 off, v[4:5], off offset:256
	s_waitcnt vmcnt(1)
	ds_write_b64 v1, v[2:3]
.LBB39_189:
	s_or_b64 exec, exec, s[0:1]
	s_waitcnt lgkmcnt(0)
	; wave barrier
	scratch_load_dwordx4 v[4:7], off, off offset:264
	scratch_load_dwordx4 v[8:11], off, off offset:280
	;; [unrolled: 1-line block ×3, first 2 shown]
	scratch_load_dwordx2 v[28:29], off, off offset:312
	scratch_load_dwordx2 v[30:31], off, off offset:256
	v_mov_b32_e32 v2, 0
	ds_read2_b64 v[16:19], v2 offset0:73 offset1:74
	ds_read2_b64 v[20:23], v2 offset0:75 offset1:76
	;; [unrolled: 1-line block ×3, first 2 shown]
	ds_read_b64 v[32:33], v2 offset:632
	v_cmp_lt_u32_e32 vcc, 31, v0
	s_waitcnt vmcnt(4) lgkmcnt(3)
	v_pk_mul_f32 v[34:35], v[16:17], v[4:5] op_sel:[1,1] op_sel_hi:[0,1]
	v_mov_b32_e32 v36, v7
	v_pk_fma_f32 v[48:49], v[16:17], v[4:5], v[34:35] neg_lo:[0,0,1] neg_hi:[0,0,1]
	v_pk_fma_f32 v[4:5], v[16:17], v[4:5], v[34:35] op_sel_hi:[1,0,1]
	v_pk_mul_f32 v[16:17], v[18:19], v[36:37] op_sel:[1,0] op_sel_hi:[0,0]
	s_waitcnt vmcnt(3) lgkmcnt(2)
	v_pk_mul_f32 v[38:39], v[20:21], v[8:9] op_sel:[1,1] op_sel_hi:[0,1]
	v_mov_b32_e32 v40, v11
	v_mov_b32_e32 v49, v5
	v_pk_fma_f32 v[4:5], v[18:19], v[6:7], v[16:17] neg_lo:[0,0,1] neg_hi:[0,0,1]
	v_pk_fma_f32 v[6:7], v[18:19], v[6:7], v[16:17] op_sel_hi:[1,0,1]
	v_pk_fma_f32 v[34:35], v[20:21], v[8:9], v[38:39] neg_lo:[0,0,1] neg_hi:[0,0,1]
	v_pk_fma_f32 v[8:9], v[20:21], v[8:9], v[38:39] op_sel_hi:[1,0,1]
	v_pk_mul_f32 v[20:21], v[22:23], v[40:41] op_sel:[1,0] op_sel_hi:[0,0]
	v_pk_add_f32 v[16:17], v[48:49], 0 op_sel_hi:[1,0]
	v_mov_b32_e32 v5, v7
	s_waitcnt vmcnt(2) lgkmcnt(1)
	v_pk_mul_f32 v[42:43], v[24:25], v[12:13] op_sel:[1,1] op_sel_hi:[0,1]
	v_mov_b32_e32 v44, v15
	v_mov_b32_e32 v35, v9
	v_pk_fma_f32 v[8:9], v[22:23], v[10:11], v[20:21] neg_lo:[0,0,1] neg_hi:[0,0,1]
	v_pk_fma_f32 v[10:11], v[22:23], v[10:11], v[20:21] op_sel_hi:[1,0,1]
	v_pk_add_f32 v[4:5], v[16:17], v[4:5]
	v_pk_fma_f32 v[36:37], v[24:25], v[12:13], v[42:43] neg_lo:[0,0,1] neg_hi:[0,0,1]
	v_pk_fma_f32 v[12:13], v[24:25], v[12:13], v[42:43] op_sel_hi:[1,0,1]
	v_pk_mul_f32 v[24:25], v[26:27], v[44:45] op_sel:[1,0] op_sel_hi:[0,0]
	v_mov_b32_e32 v9, v11
	v_pk_add_f32 v[4:5], v[4:5], v[34:35]
	s_waitcnt vmcnt(1) lgkmcnt(0)
	v_pk_mul_f32 v[46:47], v[32:33], v[28:29] op_sel:[1,1] op_sel_hi:[0,1]
	v_mov_b32_e32 v37, v13
	v_pk_fma_f32 v[12:13], v[26:27], v[14:15], v[24:25] neg_lo:[0,0,1] neg_hi:[0,0,1]
	v_pk_fma_f32 v[14:15], v[26:27], v[14:15], v[24:25] op_sel_hi:[1,0,1]
	v_pk_add_f32 v[4:5], v[4:5], v[8:9]
	v_pk_fma_f32 v[38:39], v[32:33], v[28:29], v[46:47] neg_lo:[0,0,1] neg_hi:[0,0,1]
	v_pk_fma_f32 v[28:29], v[32:33], v[28:29], v[46:47] op_sel_hi:[1,0,1]
	v_mov_b32_e32 v13, v15
	v_pk_add_f32 v[4:5], v[4:5], v[36:37]
	v_mov_b32_e32 v39, v29
	v_pk_add_f32 v[4:5], v[4:5], v[12:13]
	s_nop 0
	v_pk_add_f32 v[4:5], v[4:5], v[38:39]
	s_waitcnt vmcnt(0)
	v_pk_add_f32 v[4:5], v[30:31], v[4:5] neg_lo:[0,1] neg_hi:[0,1]
	scratch_store_dwordx2 off, v[4:5], off offset:256
	s_and_saveexec_b64 s[0:1], vcc
	s_cbranch_execz .LBB39_191
; %bb.190:
	scratch_load_dwordx2 v[4:5], off, off offset:248
	v_mov_b32_e32 v3, v2
	scratch_store_dwordx2 off, v[2:3], off offset:248
	s_waitcnt vmcnt(1)
	ds_write_b64 v1, v[4:5]
.LBB39_191:
	s_or_b64 exec, exec, s[0:1]
	s_waitcnt lgkmcnt(0)
	; wave barrier
	scratch_load_dwordx4 v[4:7], off, off offset:256
	scratch_load_dwordx4 v[8:11], off, off offset:272
	;; [unrolled: 1-line block ×4, first 2 shown]
	ds_read_b128 v[20:23], v2 offset:576
	ds_read_b128 v[24:27], v2 offset:592
	;; [unrolled: 1-line block ×4, first 2 shown]
	v_cmp_lt_u32_e32 vcc, 30, v0
	s_waitcnt vmcnt(3) lgkmcnt(3)
	v_pk_mul_f32 v[2:3], v[20:21], v[4:5] op_sel:[1,1] op_sel_hi:[0,1]
	v_pk_fma_f32 v[36:37], v[20:21], v[4:5], v[2:3] neg_lo:[0,0,1] neg_hi:[0,0,1]
	v_pk_fma_f32 v[2:3], v[20:21], v[4:5], v[2:3] op_sel_hi:[1,0,1]
	v_mov_b32_e32 v4, v7
	v_pk_mul_f32 v[4:5], v[22:23], v[4:5] op_sel:[1,0] op_sel_hi:[0,0]
	v_pk_fma_f32 v[20:21], v[22:23], v[6:7], v[4:5] neg_lo:[0,0,1] neg_hi:[0,0,1]
	v_pk_fma_f32 v[4:5], v[22:23], v[6:7], v[4:5] op_sel_hi:[1,0,1]
	v_mov_b32_e32 v37, v3
	v_mov_b32_e32 v21, v5
	s_waitcnt vmcnt(2) lgkmcnt(2)
	v_pk_mul_f32 v[4:5], v[24:25], v[8:9] op_sel:[1,1] op_sel_hi:[0,1]
	v_pk_fma_f32 v[6:7], v[24:25], v[8:9], v[4:5] neg_lo:[0,0,1] neg_hi:[0,0,1]
	v_pk_fma_f32 v[4:5], v[24:25], v[8:9], v[4:5] op_sel_hi:[1,0,1]
	v_pk_add_f32 v[2:3], v[36:37], 0 op_sel_hi:[1,0]
	v_mov_b32_e32 v4, v11
	v_pk_add_f32 v[2:3], v[2:3], v[20:21]
	v_mov_b32_e32 v7, v5
	v_pk_mul_f32 v[4:5], v[26:27], v[4:5] op_sel:[1,0] op_sel_hi:[0,0]
	v_pk_add_f32 v[2:3], v[2:3], v[6:7]
	v_pk_fma_f32 v[6:7], v[26:27], v[10:11], v[4:5] neg_lo:[0,0,1] neg_hi:[0,0,1]
	v_pk_fma_f32 v[4:5], v[26:27], v[10:11], v[4:5] op_sel_hi:[1,0,1]
	s_nop 0
	v_mov_b32_e32 v7, v5
	s_waitcnt vmcnt(1) lgkmcnt(1)
	v_pk_mul_f32 v[4:5], v[28:29], v[12:13] op_sel:[1,1] op_sel_hi:[0,1]
	v_pk_add_f32 v[2:3], v[2:3], v[6:7]
	v_pk_fma_f32 v[6:7], v[28:29], v[12:13], v[4:5] neg_lo:[0,0,1] neg_hi:[0,0,1]
	v_pk_fma_f32 v[4:5], v[28:29], v[12:13], v[4:5] op_sel_hi:[1,0,1]
	s_nop 0
	v_mov_b32_e32 v4, v15
	v_mov_b32_e32 v7, v5
	v_pk_mul_f32 v[4:5], v[30:31], v[4:5] op_sel:[1,0] op_sel_hi:[0,0]
	v_pk_add_f32 v[2:3], v[2:3], v[6:7]
	v_pk_fma_f32 v[6:7], v[30:31], v[14:15], v[4:5] neg_lo:[0,0,1] neg_hi:[0,0,1]
	v_pk_fma_f32 v[4:5], v[30:31], v[14:15], v[4:5] op_sel_hi:[1,0,1]
	s_nop 0
	v_mov_b32_e32 v7, v5
	s_waitcnt vmcnt(0) lgkmcnt(0)
	v_pk_mul_f32 v[4:5], v[32:33], v[16:17] op_sel:[1,1] op_sel_hi:[0,1]
	v_pk_add_f32 v[2:3], v[2:3], v[6:7]
	v_pk_fma_f32 v[6:7], v[32:33], v[16:17], v[4:5] neg_lo:[0,0,1] neg_hi:[0,0,1]
	v_pk_fma_f32 v[4:5], v[32:33], v[16:17], v[4:5] op_sel_hi:[1,0,1]
	s_nop 0
	v_mov_b32_e32 v4, v19
	v_mov_b32_e32 v7, v5
	v_pk_mul_f32 v[4:5], v[34:35], v[4:5] op_sel:[1,0] op_sel_hi:[0,0]
	v_pk_add_f32 v[2:3], v[2:3], v[6:7]
	v_pk_fma_f32 v[6:7], v[34:35], v[18:19], v[4:5] neg_lo:[0,0,1] neg_hi:[0,0,1]
	v_pk_fma_f32 v[4:5], v[34:35], v[18:19], v[4:5] op_sel_hi:[1,0,1]
	s_nop 0
	v_mov_b32_e32 v7, v5
	scratch_load_dwordx2 v[4:5], off, off offset:248
	v_pk_add_f32 v[2:3], v[2:3], v[6:7]
	s_waitcnt vmcnt(0)
	v_pk_add_f32 v[2:3], v[4:5], v[2:3] neg_lo:[0,1] neg_hi:[0,1]
	scratch_store_dwordx2 off, v[2:3], off offset:248
	s_and_saveexec_b64 s[0:1], vcc
	s_cbranch_execz .LBB39_193
; %bb.192:
	scratch_load_dwordx2 v[2:3], off, off offset:240
	v_mov_b32_e32 v4, 0
	v_mov_b32_e32 v5, v4
	scratch_store_dwordx2 off, v[4:5], off offset:240
	s_waitcnt vmcnt(1)
	ds_write_b64 v1, v[2:3]
.LBB39_193:
	s_or_b64 exec, exec, s[0:1]
	s_waitcnt lgkmcnt(0)
	; wave barrier
	scratch_load_dwordx4 v[8:11], off, off offset:248
	v_mov_b32_e32 v2, 0
	ds_read2_b64 v[4:7], v2 offset0:71 offset1:72
	scratch_load_dwordx4 v[12:15], off, off offset:264
	scratch_load_dwordx4 v[16:19], off, off offset:280
	;; [unrolled: 1-line block ×3, first 2 shown]
	scratch_load_dwordx2 v[38:39], off, off offset:312
	v_cmp_lt_u32_e32 vcc, 29, v0
	s_waitcnt vmcnt(4) lgkmcnt(0)
	v_mul_f32_e32 v37, v4, v9
	v_mul_f32_e32 v3, v5, v9
	v_fmac_f32_e32 v37, v5, v8
	v_fma_f32 v36, v4, v8, -v3
	v_pk_add_f32 v[8:9], v[36:37], 0 op_sel_hi:[1,0]
	v_mov_b32_e32 v36, v11
	v_pk_mul_f32 v[36:37], v[6:7], v[36:37] op_sel:[1,0] op_sel_hi:[0,0]
	ds_read2_b64 v[24:27], v2 offset0:73 offset1:74
	ds_read2_b64 v[28:31], v2 offset0:75 offset1:76
	;; [unrolled: 1-line block ×3, first 2 shown]
	ds_read_b64 v[4:5], v2 offset:632
	v_pk_fma_f32 v[40:41], v[6:7], v[10:11], v[36:37] neg_lo:[0,0,1] neg_hi:[0,0,1]
	v_pk_fma_f32 v[6:7], v[6:7], v[10:11], v[36:37] op_sel_hi:[1,0,1]
	s_nop 0
	v_mov_b32_e32 v41, v7
	v_pk_add_f32 v[6:7], v[8:9], v[40:41]
	s_waitcnt vmcnt(3) lgkmcnt(3)
	v_pk_mul_f32 v[8:9], v[24:25], v[12:13] op_sel:[1,1] op_sel_hi:[0,1]
	v_pk_fma_f32 v[10:11], v[24:25], v[12:13], v[8:9] neg_lo:[0,0,1] neg_hi:[0,0,1]
	v_pk_fma_f32 v[8:9], v[24:25], v[12:13], v[8:9] op_sel_hi:[1,0,1]
	s_nop 0
	v_mov_b32_e32 v8, v15
	v_mov_b32_e32 v11, v9
	v_pk_mul_f32 v[8:9], v[26:27], v[8:9] op_sel:[1,0] op_sel_hi:[0,0]
	v_pk_add_f32 v[6:7], v[6:7], v[10:11]
	v_pk_fma_f32 v[10:11], v[26:27], v[14:15], v[8:9] neg_lo:[0,0,1] neg_hi:[0,0,1]
	v_pk_fma_f32 v[8:9], v[26:27], v[14:15], v[8:9] op_sel_hi:[1,0,1]
	s_nop 0
	v_mov_b32_e32 v11, v9
	s_waitcnt vmcnt(2) lgkmcnt(2)
	v_pk_mul_f32 v[8:9], v[28:29], v[16:17] op_sel:[1,1] op_sel_hi:[0,1]
	v_pk_add_f32 v[6:7], v[6:7], v[10:11]
	v_pk_fma_f32 v[10:11], v[28:29], v[16:17], v[8:9] neg_lo:[0,0,1] neg_hi:[0,0,1]
	v_pk_fma_f32 v[8:9], v[28:29], v[16:17], v[8:9] op_sel_hi:[1,0,1]
	s_nop 0
	v_mov_b32_e32 v8, v19
	v_mov_b32_e32 v11, v9
	v_pk_mul_f32 v[8:9], v[30:31], v[8:9] op_sel:[1,0] op_sel_hi:[0,0]
	v_pk_add_f32 v[6:7], v[6:7], v[10:11]
	v_pk_fma_f32 v[10:11], v[30:31], v[18:19], v[8:9] neg_lo:[0,0,1] neg_hi:[0,0,1]
	v_pk_fma_f32 v[8:9], v[30:31], v[18:19], v[8:9] op_sel_hi:[1,0,1]
	s_nop 0
	v_mov_b32_e32 v11, v9
	s_waitcnt vmcnt(1) lgkmcnt(1)
	v_pk_mul_f32 v[8:9], v[32:33], v[20:21] op_sel:[1,1] op_sel_hi:[0,1]
	v_pk_add_f32 v[6:7], v[6:7], v[10:11]
	;; [unrolled: 14-line block ×3, first 2 shown]
	v_pk_fma_f32 v[10:11], v[4:5], v[38:39], v[8:9] neg_lo:[0,0,1] neg_hi:[0,0,1]
	v_pk_fma_f32 v[4:5], v[4:5], v[38:39], v[8:9] op_sel_hi:[1,0,1]
	s_nop 0
	v_mov_b32_e32 v11, v5
	v_pk_add_f32 v[4:5], v[6:7], v[10:11]
	scratch_load_dwordx2 v[6:7], off, off offset:240
	s_waitcnt vmcnt(0)
	v_pk_add_f32 v[4:5], v[6:7], v[4:5] neg_lo:[0,1] neg_hi:[0,1]
	scratch_store_dwordx2 off, v[4:5], off offset:240
	s_and_saveexec_b64 s[0:1], vcc
	s_cbranch_execz .LBB39_195
; %bb.194:
	scratch_load_dwordx2 v[4:5], off, off offset:232
	v_mov_b32_e32 v3, v2
	scratch_store_dwordx2 off, v[2:3], off offset:232
	s_waitcnt vmcnt(1)
	ds_write_b64 v1, v[4:5]
.LBB39_195:
	s_or_b64 exec, exec, s[0:1]
	s_waitcnt lgkmcnt(0)
	; wave barrier
	ds_read_b128 v[4:7], v2 offset:560
	ds_read_b128 v[8:11], v2 offset:576
	;; [unrolled: 1-line block ×4, first 2 shown]
	scratch_load_dwordx4 v[20:23], off, off offset:240
	scratch_load_dwordx4 v[24:27], off, off offset:256
	;; [unrolled: 1-line block ×5, first 2 shown]
	v_cmp_lt_u32_e32 vcc, 28, v0
	s_waitcnt vmcnt(4) lgkmcnt(3)
	v_mul_f32_e32 v41, v4, v21
	v_mul_f32_e32 v3, v5, v21
	v_fmac_f32_e32 v41, v5, v20
	v_mul_f32_e32 v43, v6, v23
	v_fma_f32 v40, v4, v20, -v3
	v_mul_f32_e32 v3, v7, v23
	s_waitcnt vmcnt(3) lgkmcnt(2)
	v_pk_mul_f32 v[20:21], v[8:9], v[24:25] op_sel:[1,1] op_sel_hi:[0,1]
	v_fmac_f32_e32 v43, v7, v22
	v_fma_f32 v42, v6, v22, -v3
	v_pk_fma_f32 v[22:23], v[8:9], v[24:25], v[20:21] neg_lo:[0,0,1] neg_hi:[0,0,1]
	v_pk_fma_f32 v[8:9], v[8:9], v[24:25], v[20:21] op_sel_hi:[1,0,1]
	v_pk_add_f32 v[6:7], v[40:41], 0 op_sel_hi:[1,0]
	v_mov_b32_e32 v8, v27
	v_mov_b32_e32 v23, v9
	v_pk_mul_f32 v[8:9], v[10:11], v[8:9] op_sel:[1,0] op_sel_hi:[0,0]
	v_pk_fma_f32 v[20:21], v[10:11], v[26:27], v[8:9] neg_lo:[0,0,1] neg_hi:[0,0,1]
	v_pk_fma_f32 v[8:9], v[10:11], v[26:27], v[8:9] op_sel_hi:[1,0,1]
	v_pk_add_f32 v[6:7], v[6:7], v[42:43]
	v_mov_b32_e32 v21, v9
	s_waitcnt vmcnt(2) lgkmcnt(1)
	v_pk_mul_f32 v[8:9], v[12:13], v[28:29] op_sel:[1,1] op_sel_hi:[0,1]
	v_pk_fma_f32 v[10:11], v[12:13], v[28:29], v[8:9] neg_lo:[0,0,1] neg_hi:[0,0,1]
	v_pk_fma_f32 v[8:9], v[12:13], v[28:29], v[8:9] op_sel_hi:[1,0,1]
	v_pk_add_f32 v[6:7], v[6:7], v[22:23]
	v_mov_b32_e32 v8, v31
	v_pk_add_f32 v[6:7], v[6:7], v[20:21]
	v_mov_b32_e32 v11, v9
	v_pk_mul_f32 v[8:9], v[14:15], v[8:9] op_sel:[1,0] op_sel_hi:[0,0]
	v_pk_add_f32 v[6:7], v[6:7], v[10:11]
	v_pk_fma_f32 v[10:11], v[14:15], v[30:31], v[8:9] neg_lo:[0,0,1] neg_hi:[0,0,1]
	v_pk_fma_f32 v[8:9], v[14:15], v[30:31], v[8:9] op_sel_hi:[1,0,1]
	ds_read_b128 v[2:5], v2 offset:624
	v_mov_b32_e32 v11, v9
	s_waitcnt vmcnt(1) lgkmcnt(1)
	v_pk_mul_f32 v[8:9], v[16:17], v[32:33] op_sel:[1,1] op_sel_hi:[0,1]
	v_pk_add_f32 v[6:7], v[6:7], v[10:11]
	v_pk_fma_f32 v[10:11], v[16:17], v[32:33], v[8:9] neg_lo:[0,0,1] neg_hi:[0,0,1]
	v_pk_fma_f32 v[8:9], v[16:17], v[32:33], v[8:9] op_sel_hi:[1,0,1]
	s_nop 0
	v_mov_b32_e32 v8, v35
	v_mov_b32_e32 v11, v9
	v_pk_mul_f32 v[8:9], v[18:19], v[8:9] op_sel:[1,0] op_sel_hi:[0,0]
	v_pk_add_f32 v[6:7], v[6:7], v[10:11]
	v_pk_fma_f32 v[10:11], v[18:19], v[34:35], v[8:9] neg_lo:[0,0,1] neg_hi:[0,0,1]
	v_pk_fma_f32 v[8:9], v[18:19], v[34:35], v[8:9] op_sel_hi:[1,0,1]
	s_nop 0
	v_mov_b32_e32 v11, v9
	s_waitcnt vmcnt(0) lgkmcnt(0)
	v_pk_mul_f32 v[8:9], v[2:3], v[36:37] op_sel:[1,1] op_sel_hi:[0,1]
	v_pk_add_f32 v[6:7], v[6:7], v[10:11]
	v_pk_fma_f32 v[10:11], v[2:3], v[36:37], v[8:9] neg_lo:[0,0,1] neg_hi:[0,0,1]
	v_pk_fma_f32 v[2:3], v[2:3], v[36:37], v[8:9] op_sel_hi:[1,0,1]
	s_nop 0
	v_mov_b32_e32 v11, v3
	v_pk_add_f32 v[2:3], v[6:7], v[10:11]
	v_mov_b32_e32 v6, v39
	v_pk_mul_f32 v[6:7], v[4:5], v[6:7] op_sel:[1,0] op_sel_hi:[0,0]
	v_pk_fma_f32 v[8:9], v[4:5], v[38:39], v[6:7] neg_lo:[0,0,1] neg_hi:[0,0,1]
	v_pk_fma_f32 v[4:5], v[4:5], v[38:39], v[6:7] op_sel_hi:[1,0,1]
	s_nop 0
	v_mov_b32_e32 v9, v5
	scratch_load_dwordx2 v[4:5], off, off offset:232
	v_pk_add_f32 v[2:3], v[2:3], v[8:9]
	s_waitcnt vmcnt(0)
	v_pk_add_f32 v[2:3], v[4:5], v[2:3] neg_lo:[0,1] neg_hi:[0,1]
	scratch_store_dwordx2 off, v[2:3], off offset:232
	s_and_saveexec_b64 s[0:1], vcc
	s_cbranch_execz .LBB39_197
; %bb.196:
	scratch_load_dwordx2 v[2:3], off, off offset:224
	v_mov_b32_e32 v4, 0
	v_mov_b32_e32 v5, v4
	scratch_store_dwordx2 off, v[4:5], off offset:224
	s_waitcnt vmcnt(1)
	ds_write_b64 v1, v[2:3]
.LBB39_197:
	s_or_b64 exec, exec, s[0:1]
	s_waitcnt lgkmcnt(0)
	; wave barrier
	scratch_load_dwordx4 v[8:11], off, off offset:232
	scratch_load_dwordx4 v[16:19], off, off offset:248
	v_mov_b32_e32 v2, 0
	ds_read2_b64 v[4:7], v2 offset0:69 offset1:70
	ds_read2_b64 v[12:15], v2 offset0:71 offset1:72
	scratch_load_dwordx4 v[20:23], off, off offset:264
	scratch_load_dwordx4 v[24:27], off, off offset:280
	;; [unrolled: 1-line block ×3, first 2 shown]
	scratch_load_dwordx2 v[42:43], off, off offset:312
	v_cmp_lt_u32_e32 vcc, 27, v0
	s_waitcnt vmcnt(5) lgkmcnt(1)
	v_mul_f32_e32 v3, v4, v9
	v_fmac_f32_e32 v3, v5, v8
	v_add_f32_e32 v37, 0, v3
	v_mul_f32_e32 v3, v5, v9
	v_fma_f32 v3, v4, v8, -v3
	v_mul_f32_e32 v39, v6, v11
	v_add_f32_e32 v36, 0, v3
	v_mul_f32_e32 v3, v7, v11
	v_fmac_f32_e32 v39, v7, v10
	s_waitcnt vmcnt(4) lgkmcnt(0)
	v_mul_f32_e32 v41, v12, v17
	v_fma_f32 v38, v6, v10, -v3
	v_mul_f32_e32 v3, v13, v17
	v_fmac_f32_e32 v41, v13, v16
	v_fma_f32 v40, v12, v16, -v3
	v_pk_add_f32 v[16:17], v[36:37], v[38:39]
	v_mov_b32_e32 v36, v19
	v_pk_mul_f32 v[36:37], v[14:15], v[36:37] op_sel:[1,0] op_sel_hi:[0,0]
	ds_read2_b64 v[4:7], v2 offset0:73 offset1:74
	ds_read2_b64 v[8:11], v2 offset0:75 offset1:76
	;; [unrolled: 1-line block ×3, first 2 shown]
	ds_read_b64 v[12:13], v2 offset:632
	v_pk_fma_f32 v[38:39], v[14:15], v[18:19], v[36:37] neg_lo:[0,0,1] neg_hi:[0,0,1]
	v_pk_fma_f32 v[14:15], v[14:15], v[18:19], v[36:37] op_sel_hi:[1,0,1]
	v_pk_add_f32 v[16:17], v[16:17], v[40:41]
	v_mov_b32_e32 v39, v15
	v_pk_add_f32 v[14:15], v[16:17], v[38:39]
	s_waitcnt vmcnt(3) lgkmcnt(3)
	v_pk_mul_f32 v[16:17], v[4:5], v[20:21] op_sel:[1,1] op_sel_hi:[0,1]
	v_pk_fma_f32 v[18:19], v[4:5], v[20:21], v[16:17] neg_lo:[0,0,1] neg_hi:[0,0,1]
	v_pk_fma_f32 v[4:5], v[4:5], v[20:21], v[16:17] op_sel_hi:[1,0,1]
	s_nop 0
	v_mov_b32_e32 v19, v5
	v_pk_add_f32 v[4:5], v[14:15], v[18:19]
	v_mov_b32_e32 v14, v23
	v_pk_mul_f32 v[14:15], v[6:7], v[14:15] op_sel:[1,0] op_sel_hi:[0,0]
	v_pk_fma_f32 v[16:17], v[6:7], v[22:23], v[14:15] neg_lo:[0,0,1] neg_hi:[0,0,1]
	v_pk_fma_f32 v[6:7], v[6:7], v[22:23], v[14:15] op_sel_hi:[1,0,1]
	s_nop 0
	v_mov_b32_e32 v17, v7
	s_waitcnt vmcnt(2) lgkmcnt(2)
	v_pk_mul_f32 v[6:7], v[8:9], v[24:25] op_sel:[1,1] op_sel_hi:[0,1]
	v_pk_fma_f32 v[14:15], v[8:9], v[24:25], v[6:7] neg_lo:[0,0,1] neg_hi:[0,0,1]
	v_pk_fma_f32 v[6:7], v[8:9], v[24:25], v[6:7] op_sel_hi:[1,0,1]
	v_pk_add_f32 v[4:5], v[4:5], v[16:17]
	v_mov_b32_e32 v6, v27
	v_mov_b32_e32 v15, v7
	v_pk_mul_f32 v[6:7], v[10:11], v[6:7] op_sel:[1,0] op_sel_hi:[0,0]
	v_pk_fma_f32 v[8:9], v[10:11], v[26:27], v[6:7] neg_lo:[0,0,1] neg_hi:[0,0,1]
	v_pk_fma_f32 v[6:7], v[10:11], v[26:27], v[6:7] op_sel_hi:[1,0,1]
	v_pk_add_f32 v[4:5], v[4:5], v[14:15]
	v_mov_b32_e32 v9, v7
	s_waitcnt vmcnt(1) lgkmcnt(1)
	v_pk_mul_f32 v[6:7], v[32:33], v[28:29] op_sel:[1,1] op_sel_hi:[0,1]
	v_pk_add_f32 v[4:5], v[4:5], v[8:9]
	v_pk_fma_f32 v[8:9], v[32:33], v[28:29], v[6:7] neg_lo:[0,0,1] neg_hi:[0,0,1]
	v_pk_fma_f32 v[6:7], v[32:33], v[28:29], v[6:7] op_sel_hi:[1,0,1]
	s_nop 0
	v_mov_b32_e32 v6, v31
	v_mov_b32_e32 v9, v7
	v_pk_mul_f32 v[6:7], v[34:35], v[6:7] op_sel:[1,0] op_sel_hi:[0,0]
	v_pk_add_f32 v[4:5], v[4:5], v[8:9]
	v_pk_fma_f32 v[8:9], v[34:35], v[30:31], v[6:7] neg_lo:[0,0,1] neg_hi:[0,0,1]
	v_pk_fma_f32 v[6:7], v[34:35], v[30:31], v[6:7] op_sel_hi:[1,0,1]
	s_nop 0
	v_mov_b32_e32 v9, v7
	s_waitcnt vmcnt(0) lgkmcnt(0)
	v_pk_mul_f32 v[6:7], v[12:13], v[42:43] op_sel:[1,1] op_sel_hi:[0,1]
	v_pk_add_f32 v[4:5], v[4:5], v[8:9]
	v_pk_fma_f32 v[8:9], v[12:13], v[42:43], v[6:7] neg_lo:[0,0,1] neg_hi:[0,0,1]
	v_pk_fma_f32 v[6:7], v[12:13], v[42:43], v[6:7] op_sel_hi:[1,0,1]
	s_nop 0
	v_mov_b32_e32 v9, v7
	scratch_load_dwordx2 v[6:7], off, off offset:224
	v_pk_add_f32 v[4:5], v[4:5], v[8:9]
	s_waitcnt vmcnt(0)
	v_pk_add_f32 v[4:5], v[6:7], v[4:5] neg_lo:[0,1] neg_hi:[0,1]
	scratch_store_dwordx2 off, v[4:5], off offset:224
	s_and_saveexec_b64 s[0:1], vcc
	s_cbranch_execz .LBB39_199
; %bb.198:
	scratch_load_dwordx2 v[4:5], off, off offset:216
	v_mov_b32_e32 v3, v2
	scratch_store_dwordx2 off, v[2:3], off offset:216
	s_waitcnt vmcnt(1)
	ds_write_b64 v1, v[4:5]
.LBB39_199:
	s_or_b64 exec, exec, s[0:1]
	s_waitcnt lgkmcnt(0)
	; wave barrier
	ds_read_b128 v[4:7], v2 offset:544
	ds_read_b128 v[8:11], v2 offset:560
	;; [unrolled: 1-line block ×4, first 2 shown]
	scratch_load_dwordx4 v[20:23], off, off offset:224
	v_cmp_lt_u32_e32 vcc, 26, v0
	s_waitcnt vmcnt(0) lgkmcnt(3)
	v_mul_f32_e32 v3, v4, v21
	v_fmac_f32_e32 v3, v5, v20
	v_mul_f32_e32 v24, v6, v23
	v_add_f32_e32 v3, 0, v3
	v_fmac_f32_e32 v24, v7, v22
	v_add_f32_e32 v45, v3, v24
	scratch_load_dwordx4 v[24:27], off, off offset:240
	scratch_load_dwordx4 v[28:31], off, off offset:256
	;; [unrolled: 1-line block ×5, first 2 shown]
	v_mul_f32_e32 v3, v5, v21
	v_fma_f32 v3, v4, v20, -v3
	v_mul_f32_e32 v4, v7, v23
	v_fma_f32 v4, v6, v22, -v4
	v_add_f32_e32 v3, 0, v3
	v_add_f32_e32 v44, v3, v4
	s_waitcnt vmcnt(3) lgkmcnt(1)
	v_pk_mul_f32 v[20:21], v[12:13], v[28:29] op_sel:[1,1] op_sel_hi:[0,1]
	v_pk_fma_f32 v[22:23], v[12:13], v[28:29], v[20:21] neg_lo:[0,0,1] neg_hi:[0,0,1]
	v_pk_fma_f32 v[12:13], v[12:13], v[28:29], v[20:21] op_sel_hi:[1,0,1]
	v_mul_f32_e32 v47, v8, v25
	v_mov_b32_e32 v12, v31
	v_mul_f32_e32 v3, v9, v25
	v_mov_b32_e32 v23, v13
	v_pk_mul_f32 v[12:13], v[14:15], v[12:13] op_sel:[1,0] op_sel_hi:[0,0]
	v_fmac_f32_e32 v47, v9, v24
	v_mul_f32_e32 v49, v10, v27
	v_fma_f32 v46, v8, v24, -v3
	v_mul_f32_e32 v3, v11, v27
	v_pk_fma_f32 v[20:21], v[14:15], v[30:31], v[12:13] neg_lo:[0,0,1] neg_hi:[0,0,1]
	v_pk_fma_f32 v[12:13], v[14:15], v[30:31], v[12:13] op_sel_hi:[1,0,1]
	v_fmac_f32_e32 v49, v11, v26
	v_fma_f32 v48, v10, v26, -v3
	ds_read_b128 v[4:7], v2 offset:608
	ds_read_b128 v[8:11], v2 offset:624
	v_pk_add_f32 v[2:3], v[44:45], v[46:47]
	v_mov_b32_e32 v21, v13
	s_waitcnt vmcnt(2) lgkmcnt(2)
	v_pk_mul_f32 v[12:13], v[16:17], v[32:33] op_sel:[1,1] op_sel_hi:[0,1]
	v_pk_add_f32 v[2:3], v[2:3], v[48:49]
	v_pk_fma_f32 v[14:15], v[16:17], v[32:33], v[12:13] neg_lo:[0,0,1] neg_hi:[0,0,1]
	v_pk_fma_f32 v[12:13], v[16:17], v[32:33], v[12:13] op_sel_hi:[1,0,1]
	v_pk_add_f32 v[2:3], v[2:3], v[22:23]
	v_mov_b32_e32 v12, v35
	v_pk_add_f32 v[2:3], v[2:3], v[20:21]
	v_mov_b32_e32 v15, v13
	v_pk_mul_f32 v[12:13], v[18:19], v[12:13] op_sel:[1,0] op_sel_hi:[0,0]
	v_pk_add_f32 v[2:3], v[2:3], v[14:15]
	v_pk_fma_f32 v[14:15], v[18:19], v[34:35], v[12:13] neg_lo:[0,0,1] neg_hi:[0,0,1]
	v_pk_fma_f32 v[12:13], v[18:19], v[34:35], v[12:13] op_sel_hi:[1,0,1]
	s_nop 0
	v_mov_b32_e32 v15, v13
	s_waitcnt vmcnt(1) lgkmcnt(1)
	v_pk_mul_f32 v[12:13], v[4:5], v[36:37] op_sel:[1,1] op_sel_hi:[0,1]
	v_pk_add_f32 v[2:3], v[2:3], v[14:15]
	v_pk_fma_f32 v[14:15], v[4:5], v[36:37], v[12:13] neg_lo:[0,0,1] neg_hi:[0,0,1]
	v_pk_fma_f32 v[4:5], v[4:5], v[36:37], v[12:13] op_sel_hi:[1,0,1]
	s_nop 0
	v_mov_b32_e32 v4, v39
	v_mov_b32_e32 v15, v5
	v_pk_mul_f32 v[4:5], v[6:7], v[4:5] op_sel:[1,0] op_sel_hi:[0,0]
	v_pk_fma_f32 v[12:13], v[6:7], v[38:39], v[4:5] neg_lo:[0,0,1] neg_hi:[0,0,1]
	v_pk_fma_f32 v[4:5], v[6:7], v[38:39], v[4:5] op_sel_hi:[1,0,1]
	v_pk_add_f32 v[2:3], v[2:3], v[14:15]
	v_mov_b32_e32 v13, v5
	s_waitcnt vmcnt(0) lgkmcnt(0)
	v_pk_mul_f32 v[4:5], v[8:9], v[40:41] op_sel:[1,1] op_sel_hi:[0,1]
	v_pk_fma_f32 v[6:7], v[8:9], v[40:41], v[4:5] neg_lo:[0,0,1] neg_hi:[0,0,1]
	v_pk_fma_f32 v[4:5], v[8:9], v[40:41], v[4:5] op_sel_hi:[1,0,1]
	v_pk_add_f32 v[2:3], v[2:3], v[12:13]
	v_mov_b32_e32 v4, v43
	v_mov_b32_e32 v7, v5
	v_pk_mul_f32 v[4:5], v[10:11], v[4:5] op_sel:[1,0] op_sel_hi:[0,0]
	v_pk_add_f32 v[2:3], v[2:3], v[6:7]
	v_pk_fma_f32 v[6:7], v[10:11], v[42:43], v[4:5] neg_lo:[0,0,1] neg_hi:[0,0,1]
	v_pk_fma_f32 v[4:5], v[10:11], v[42:43], v[4:5] op_sel_hi:[1,0,1]
	s_nop 0
	v_mov_b32_e32 v7, v5
	scratch_load_dwordx2 v[4:5], off, off offset:216
	v_pk_add_f32 v[2:3], v[2:3], v[6:7]
	s_waitcnt vmcnt(0)
	v_pk_add_f32 v[2:3], v[4:5], v[2:3] neg_lo:[0,1] neg_hi:[0,1]
	scratch_store_dwordx2 off, v[2:3], off offset:216
	s_and_saveexec_b64 s[0:1], vcc
	s_cbranch_execz .LBB39_201
; %bb.200:
	scratch_load_dwordx2 v[2:3], off, off offset:208
	v_mov_b32_e32 v4, 0
	v_mov_b32_e32 v5, v4
	scratch_store_dwordx2 off, v[4:5], off offset:208
	s_waitcnt vmcnt(1)
	ds_write_b64 v1, v[2:3]
.LBB39_201:
	s_or_b64 exec, exec, s[0:1]
	s_waitcnt lgkmcnt(0)
	; wave barrier
	scratch_load_dwordx4 v[8:11], off, off offset:216
	scratch_load_dwordx4 v[16:19], off, off offset:232
	v_mov_b32_e32 v2, 0
	ds_read2_b64 v[4:7], v2 offset0:67 offset1:68
	scratch_load_dwordx4 v[24:27], off, off offset:248
	v_cmp_lt_u32_e32 vcc, 25, v0
	s_waitcnt vmcnt(2) lgkmcnt(0)
	v_mul_f32_e32 v3, v4, v9
	v_fmac_f32_e32 v3, v5, v8
	v_mul_f32_e32 v12, v6, v11
	v_add_f32_e32 v3, 0, v3
	v_fmac_f32_e32 v12, v7, v10
	v_add_f32_e32 v3, v3, v12
	ds_read2_b64 v[12:15], v2 offset0:69 offset1:70
	s_waitcnt vmcnt(1) lgkmcnt(0)
	v_mul_f32_e32 v20, v12, v17
	v_fmac_f32_e32 v20, v13, v16
	v_add_f32_e32 v41, v3, v20
	ds_read2_b64 v[20:23], v2 offset0:71 offset1:72
	scratch_load_dwordx4 v[28:31], off, off offset:264
	scratch_load_dwordx4 v[32:35], off, off offset:280
	scratch_load_dwordx4 v[36:39], off, off offset:296
	scratch_load_dwordx2 v[46:47], off, off offset:312
	v_mul_f32_e32 v3, v5, v9
	v_fma_f32 v3, v4, v8, -v3
	v_mul_f32_e32 v4, v7, v11
	v_add_f32_e32 v3, 0, v3
	v_fma_f32 v4, v6, v10, -v4
	v_add_f32_e32 v3, v3, v4
	v_mul_f32_e32 v4, v13, v17
	v_fma_f32 v4, v12, v16, -v4
	v_add_f32_e32 v40, v3, v4
	v_mul_f32_e32 v3, v15, v19
	v_fma_f32 v42, v14, v18, -v3
	s_waitcnt vmcnt(4) lgkmcnt(0)
	v_mul_f32_e32 v3, v21, v25
	v_mul_f32_e32 v43, v14, v19
	;; [unrolled: 1-line block ×3, first 2 shown]
	v_fma_f32 v44, v20, v24, -v3
	v_mov_b32_e32 v20, v27
	v_fmac_f32_e32 v43, v15, v18
	v_fmac_f32_e32 v45, v21, v24
	ds_read2_b64 v[4:7], v2 offset0:73 offset1:74
	ds_read2_b64 v[8:11], v2 offset0:75 offset1:76
	;; [unrolled: 1-line block ×3, first 2 shown]
	ds_read_b64 v[16:17], v2 offset:632
	v_pk_mul_f32 v[20:21], v[22:23], v[20:21] op_sel:[1,0] op_sel_hi:[0,0]
	v_pk_fma_f32 v[24:25], v[22:23], v[26:27], v[20:21] neg_lo:[0,0,1] neg_hi:[0,0,1]
	v_pk_fma_f32 v[20:21], v[22:23], v[26:27], v[20:21] op_sel_hi:[1,0,1]
	v_pk_add_f32 v[18:19], v[40:41], v[42:43]
	v_mov_b32_e32 v25, v21
	v_pk_add_f32 v[18:19], v[18:19], v[44:45]
	s_waitcnt vmcnt(3) lgkmcnt(3)
	v_pk_mul_f32 v[20:21], v[4:5], v[28:29] op_sel:[1,1] op_sel_hi:[0,1]
	v_pk_fma_f32 v[22:23], v[4:5], v[28:29], v[20:21] neg_lo:[0,0,1] neg_hi:[0,0,1]
	v_pk_fma_f32 v[4:5], v[4:5], v[28:29], v[20:21] op_sel_hi:[1,0,1]
	v_pk_add_f32 v[18:19], v[18:19], v[24:25]
	v_mov_b32_e32 v23, v5
	v_pk_add_f32 v[4:5], v[18:19], v[22:23]
	v_mov_b32_e32 v18, v31
	v_pk_mul_f32 v[18:19], v[6:7], v[18:19] op_sel:[1,0] op_sel_hi:[0,0]
	v_pk_fma_f32 v[20:21], v[6:7], v[30:31], v[18:19] neg_lo:[0,0,1] neg_hi:[0,0,1]
	v_pk_fma_f32 v[6:7], v[6:7], v[30:31], v[18:19] op_sel_hi:[1,0,1]
	s_nop 0
	v_mov_b32_e32 v21, v7
	s_waitcnt vmcnt(2) lgkmcnt(2)
	v_pk_mul_f32 v[6:7], v[8:9], v[32:33] op_sel:[1,1] op_sel_hi:[0,1]
	v_pk_fma_f32 v[18:19], v[8:9], v[32:33], v[6:7] neg_lo:[0,0,1] neg_hi:[0,0,1]
	v_pk_fma_f32 v[6:7], v[8:9], v[32:33], v[6:7] op_sel_hi:[1,0,1]
	v_pk_add_f32 v[4:5], v[4:5], v[20:21]
	v_mov_b32_e32 v6, v35
	v_mov_b32_e32 v19, v7
	v_pk_mul_f32 v[6:7], v[10:11], v[6:7] op_sel:[1,0] op_sel_hi:[0,0]
	v_pk_fma_f32 v[8:9], v[10:11], v[34:35], v[6:7] neg_lo:[0,0,1] neg_hi:[0,0,1]
	v_pk_fma_f32 v[6:7], v[10:11], v[34:35], v[6:7] op_sel_hi:[1,0,1]
	v_pk_add_f32 v[4:5], v[4:5], v[18:19]
	v_mov_b32_e32 v9, v7
	s_waitcnt vmcnt(1) lgkmcnt(1)
	v_pk_mul_f32 v[6:7], v[12:13], v[36:37] op_sel:[1,1] op_sel_hi:[0,1]
	v_pk_add_f32 v[4:5], v[4:5], v[8:9]
	v_pk_fma_f32 v[8:9], v[12:13], v[36:37], v[6:7] neg_lo:[0,0,1] neg_hi:[0,0,1]
	v_pk_fma_f32 v[6:7], v[12:13], v[36:37], v[6:7] op_sel_hi:[1,0,1]
	s_nop 0
	v_mov_b32_e32 v6, v39
	v_mov_b32_e32 v9, v7
	v_pk_mul_f32 v[6:7], v[14:15], v[6:7] op_sel:[1,0] op_sel_hi:[0,0]
	v_pk_add_f32 v[4:5], v[4:5], v[8:9]
	v_pk_fma_f32 v[8:9], v[14:15], v[38:39], v[6:7] neg_lo:[0,0,1] neg_hi:[0,0,1]
	v_pk_fma_f32 v[6:7], v[14:15], v[38:39], v[6:7] op_sel_hi:[1,0,1]
	s_nop 0
	v_mov_b32_e32 v9, v7
	s_waitcnt vmcnt(0) lgkmcnt(0)
	v_pk_mul_f32 v[6:7], v[16:17], v[46:47] op_sel:[1,1] op_sel_hi:[0,1]
	v_pk_add_f32 v[4:5], v[4:5], v[8:9]
	v_pk_fma_f32 v[8:9], v[16:17], v[46:47], v[6:7] neg_lo:[0,0,1] neg_hi:[0,0,1]
	v_pk_fma_f32 v[6:7], v[16:17], v[46:47], v[6:7] op_sel_hi:[1,0,1]
	s_nop 0
	v_mov_b32_e32 v9, v7
	scratch_load_dwordx2 v[6:7], off, off offset:208
	v_pk_add_f32 v[4:5], v[4:5], v[8:9]
	s_waitcnt vmcnt(0)
	v_pk_add_f32 v[4:5], v[6:7], v[4:5] neg_lo:[0,1] neg_hi:[0,1]
	scratch_store_dwordx2 off, v[4:5], off offset:208
	s_and_saveexec_b64 s[0:1], vcc
	s_cbranch_execz .LBB39_203
; %bb.202:
	scratch_load_dwordx2 v[4:5], off, off offset:200
	v_mov_b32_e32 v3, v2
	scratch_store_dwordx2 off, v[2:3], off offset:200
	s_waitcnt vmcnt(1)
	ds_write_b64 v1, v[4:5]
.LBB39_203:
	s_or_b64 exec, exec, s[0:1]
	s_waitcnt lgkmcnt(0)
	; wave barrier
	scratch_load_dwordx4 v[4:7], off, off offset:208
	scratch_load_dwordx4 v[8:11], off, off offset:224
	;; [unrolled: 1-line block ×7, first 2 shown]
	ds_read_b128 v[32:35], v2 offset:528
	ds_read_b128 v[36:39], v2 offset:544
	;; [unrolled: 1-line block ×6, first 2 shown]
	scratch_load_dwordx2 v[60:61], off, off offset:200
	ds_read_b128 v[56:59], v2 offset:624
	v_cmp_lt_u32_e32 vcc, 24, v0
	s_waitcnt vmcnt(7) lgkmcnt(6)
	v_mul_f32_e32 v67, v32, v5
	v_mul_f32_e32 v71, v34, v7
	s_waitcnt vmcnt(6) lgkmcnt(5)
	v_mul_f32_e32 v75, v36, v9
	v_mul_f32_e32 v79, v38, v11
	;; [unrolled: 3-line block ×3, first 2 shown]
	v_mul_f32_e32 v2, v33, v5
	v_mul_f32_e32 v5, v35, v7
	;; [unrolled: 1-line block ×6, first 2 shown]
	s_waitcnt vmcnt(4) lgkmcnt(3)
	v_pk_mul_f32 v[64:65], v[44:45], v[16:17] op_sel:[1,1] op_sel_hi:[0,1]
	v_mov_b32_e32 v66, v19
	s_waitcnt vmcnt(3) lgkmcnt(2)
	v_pk_mul_f32 v[68:69], v[48:49], v[20:21] op_sel:[1,1] op_sel_hi:[0,1]
	v_mov_b32_e32 v70, v23
	s_waitcnt vmcnt(1) lgkmcnt(0)
	v_pk_mul_f32 v[76:77], v[56:57], v[28:29] op_sel:[1,1] op_sel_hi:[0,1]
	v_fmac_f32_e32 v67, v33, v4
	v_fmac_f32_e32 v71, v35, v6
	;; [unrolled: 1-line block ×6, first 2 shown]
	v_fma_f32 v37, v32, v4, -v2
	v_fma_f32 v39, v34, v6, -v5
	;; [unrolled: 1-line block ×6, first 2 shown]
	v_pk_fma_f32 v[4:5], v[44:45], v[16:17], v[64:65] neg_lo:[0,0,1] neg_hi:[0,0,1]
	v_pk_fma_f32 v[6:7], v[44:45], v[16:17], v[64:65] op_sel_hi:[1,0,1]
	v_pk_mul_f32 v[8:9], v[46:47], v[66:67] op_sel:[1,0] op_sel_hi:[0,0]
	v_pk_fma_f32 v[10:11], v[48:49], v[20:21], v[68:69] neg_lo:[0,0,1] neg_hi:[0,0,1]
	v_pk_fma_f32 v[12:13], v[48:49], v[20:21], v[68:69] op_sel_hi:[1,0,1]
	v_pk_mul_f32 v[14:15], v[50:51], v[70:71] op_sel:[1,0] op_sel_hi:[0,0]
	v_pk_fma_f32 v[32:33], v[56:57], v[28:29], v[76:77] neg_lo:[0,0,1] neg_hi:[0,0,1]
	v_pk_fma_f32 v[28:29], v[56:57], v[28:29], v[76:77] op_sel_hi:[1,0,1]
	v_add_f32_e32 v37, 0, v37
	v_add_f32_e32 v28, 0, v67
	v_mov_b32_e32 v5, v7
	v_pk_fma_f32 v[6:7], v[46:47], v[18:19], v[8:9] neg_lo:[0,0,1] neg_hi:[0,0,1]
	v_pk_fma_f32 v[8:9], v[46:47], v[18:19], v[8:9] op_sel_hi:[1,0,1]
	v_mov_b32_e32 v11, v13
	v_pk_fma_f32 v[12:13], v[50:51], v[22:23], v[14:15] neg_lo:[0,0,1] neg_hi:[0,0,1]
	v_pk_fma_f32 v[14:15], v[50:51], v[22:23], v[14:15] op_sel_hi:[1,0,1]
	v_add_f32_e32 v8, v28, v71
	v_add_f32_e32 v14, v37, v39
	;; [unrolled: 1-line block ×4, first 2 shown]
	v_mov_b32_e32 v7, v9
	v_add_f32_e32 v9, v8, v79
	v_add_f32_e32 v8, v14, v38
	v_pk_add_f32 v[2:3], v[8:9], v[2:3]
	v_pk_mul_f32 v[72:73], v[52:53], v[24:25] op_sel:[1,1] op_sel_hi:[0,1]
	v_pk_add_f32 v[2:3], v[2:3], v[62:63]
	v_mov_b32_e32 v74, v27
	v_pk_add_f32 v[2:3], v[2:3], v[4:5]
	v_pk_fma_f32 v[16:17], v[52:53], v[24:25], v[72:73] neg_lo:[0,0,1] neg_hi:[0,0,1]
	v_pk_add_f32 v[2:3], v[2:3], v[6:7]
	v_pk_fma_f32 v[20:21], v[52:53], v[24:25], v[72:73] op_sel_hi:[1,0,1]
	v_pk_mul_f32 v[24:25], v[54:55], v[74:75] op_sel:[1,0] op_sel_hi:[0,0]
	v_mov_b32_e32 v13, v15
	v_pk_add_f32 v[2:3], v[2:3], v[10:11]
	v_mov_b32_e32 v78, v31
	v_mov_b32_e32 v17, v21
	v_pk_fma_f32 v[18:19], v[54:55], v[26:27], v[24:25] neg_lo:[0,0,1] neg_hi:[0,0,1]
	v_pk_fma_f32 v[20:21], v[54:55], v[26:27], v[24:25] op_sel_hi:[1,0,1]
	v_pk_add_f32 v[2:3], v[2:3], v[12:13]
	v_pk_mul_f32 v[34:35], v[58:59], v[78:79] op_sel:[1,0] op_sel_hi:[0,0]
	v_mov_b32_e32 v19, v21
	v_pk_add_f32 v[2:3], v[2:3], v[16:17]
	v_mov_b32_e32 v33, v29
	v_pk_fma_f32 v[22:23], v[58:59], v[30:31], v[34:35] neg_lo:[0,0,1] neg_hi:[0,0,1]
	v_pk_fma_f32 v[24:25], v[58:59], v[30:31], v[34:35] op_sel_hi:[1,0,1]
	v_pk_add_f32 v[2:3], v[2:3], v[18:19]
	v_mov_b32_e32 v23, v25
	v_pk_add_f32 v[2:3], v[2:3], v[32:33]
	s_nop 0
	v_pk_add_f32 v[2:3], v[2:3], v[22:23]
	s_waitcnt vmcnt(0)
	v_pk_add_f32 v[2:3], v[60:61], v[2:3] neg_lo:[0,1] neg_hi:[0,1]
	scratch_store_dwordx2 off, v[2:3], off offset:200
	s_and_saveexec_b64 s[0:1], vcc
	s_cbranch_execz .LBB39_205
; %bb.204:
	scratch_load_dwordx2 v[2:3], off, off offset:192
	v_mov_b32_e32 v4, 0
	v_mov_b32_e32 v5, v4
	scratch_store_dwordx2 off, v[4:5], off offset:192
	s_waitcnt vmcnt(1)
	ds_write_b64 v1, v[2:3]
.LBB39_205:
	s_or_b64 exec, exec, s[0:1]
	s_waitcnt lgkmcnt(0)
	; wave barrier
	scratch_load_dwordx4 v[4:7], off, off offset:200
	scratch_load_dwordx4 v[8:11], off, off offset:216
	;; [unrolled: 1-line block ×7, first 2 shown]
	scratch_load_dwordx2 v[60:61], off, off offset:312
	scratch_load_dwordx2 v[62:63], off, off offset:192
	v_mov_b32_e32 v2, 0
	ds_read2_b64 v[32:35], v2 offset0:65 offset1:66
	ds_read2_b64 v[36:39], v2 offset0:67 offset1:68
	;; [unrolled: 1-line block ×7, first 2 shown]
	ds_read_b64 v[64:65], v2 offset:632
	v_cmp_lt_u32_e32 vcc, 23, v0
	s_waitcnt vmcnt(8) lgkmcnt(7)
	v_mul_f32_e32 v71, v34, v7
	v_mul_f32_e32 v3, v32, v5
	s_waitcnt vmcnt(7) lgkmcnt(6)
	v_mul_f32_e32 v75, v36, v9
	s_waitcnt vmcnt(6) lgkmcnt(5)
	v_mul_f32_e32 v83, v40, v13
	v_mul_f32_e32 v67, v42, v15
	;; [unrolled: 1-line block ×5, first 2 shown]
	s_waitcnt vmcnt(5)
	v_mov_b32_e32 v70, v19
	s_waitcnt vmcnt(3) lgkmcnt(2)
	v_pk_mul_f32 v[76:77], v[52:53], v[24:25] op_sel:[1,1] op_sel_hi:[0,1]
	s_waitcnt vmcnt(2) lgkmcnt(1)
	v_pk_mul_f32 v[80:81], v[56:57], v[28:29] op_sel:[1,1] op_sel_hi:[0,1]
	v_fmac_f32_e32 v71, v35, v6
	v_mul_f32_e32 v7, v35, v7
	v_mul_f32_e32 v9, v37, v9
	v_fmac_f32_e32 v3, v33, v4
	v_fmac_f32_e32 v75, v37, v8
	;; [unrolled: 1-line block ×4, first 2 shown]
	v_fma_f32 v32, v32, v4, -v5
	v_fma_f32 v37, v40, v12, -v13
	;; [unrolled: 1-line block ×3, first 2 shown]
	v_pk_mul_f32 v[4:5], v[46:47], v[70:71] op_sel:[1,0] op_sel_hi:[0,0]
	v_pk_fma_f32 v[12:13], v[52:53], v[24:25], v[76:77] neg_lo:[0,0,1] neg_hi:[0,0,1]
	v_pk_fma_f32 v[14:15], v[52:53], v[24:25], v[76:77] op_sel_hi:[1,0,1]
	v_pk_fma_f32 v[24:25], v[56:57], v[28:29], v[80:81] op_sel_hi:[1,0,1]
	v_fma_f32 v34, v34, v6, -v7
	v_add_f32_e32 v3, 0, v3
	v_add_f32_e32 v24, 0, v32
	v_pk_fma_f32 v[32:33], v[46:47], v[18:19], v[4:5] neg_lo:[0,0,1] neg_hi:[0,0,1]
	v_pk_fma_f32 v[4:5], v[46:47], v[18:19], v[4:5] op_sel_hi:[1,0,1]
	v_mul_f32_e32 v79, v38, v11
	v_mul_f32_e32 v11, v39, v11
	v_fma_f32 v35, v36, v8, -v9
	v_add_f32_e32 v3, v3, v71
	v_add_f32_e32 v4, v24, v34
	v_fmac_f32_e32 v79, v39, v10
	v_fma_f32 v36, v38, v10, -v11
	v_add_f32_e32 v3, v3, v75
	v_add_f32_e32 v4, v4, v35
	;; [unrolled: 1-line block ×4, first 2 shown]
	v_mul_f32_e32 v69, v44, v17
	v_mul_f32_e32 v17, v45, v17
	v_mov_b32_e32 v33, v5
	v_add_f32_e32 v5, v3, v83
	v_add_f32_e32 v4, v4, v37
	v_pk_mul_f32 v[72:73], v[48:49], v[20:21] op_sel:[1,1] op_sel_hi:[0,1]
	v_mov_b32_e32 v74, v23
	v_fmac_f32_e32 v69, v45, v16
	v_fma_f32 v68, v44, v16, -v17
	v_pk_add_f32 v[4:5], v[4:5], v[66:67]
	v_pk_fma_f32 v[6:7], v[48:49], v[20:21], v[72:73] neg_lo:[0,0,1] neg_hi:[0,0,1]
	v_pk_fma_f32 v[8:9], v[48:49], v[20:21], v[72:73] op_sel_hi:[1,0,1]
	v_pk_mul_f32 v[10:11], v[50:51], v[74:75] op_sel:[1,0] op_sel_hi:[0,0]
	v_pk_add_f32 v[4:5], v[4:5], v[68:69]
	v_mov_b32_e32 v78, v27
	v_mov_b32_e32 v7, v9
	v_pk_fma_f32 v[8:9], v[50:51], v[22:23], v[10:11] neg_lo:[0,0,1] neg_hi:[0,0,1]
	v_pk_fma_f32 v[10:11], v[50:51], v[22:23], v[10:11] op_sel_hi:[1,0,1]
	v_pk_add_f32 v[4:5], v[4:5], v[32:33]
	v_pk_mul_f32 v[16:17], v[54:55], v[78:79] op_sel:[1,0] op_sel_hi:[0,0]
	v_mov_b32_e32 v9, v11
	v_pk_add_f32 v[4:5], v[4:5], v[6:7]
	v_mov_b32_e32 v82, v31
	v_mov_b32_e32 v13, v15
	v_pk_fma_f32 v[14:15], v[54:55], v[26:27], v[16:17] neg_lo:[0,0,1] neg_hi:[0,0,1]
	v_pk_fma_f32 v[16:17], v[54:55], v[26:27], v[16:17] op_sel_hi:[1,0,1]
	v_pk_add_f32 v[4:5], v[4:5], v[8:9]
	v_pk_fma_f32 v[20:21], v[56:57], v[28:29], v[80:81] neg_lo:[0,0,1] neg_hi:[0,0,1]
	v_pk_mul_f32 v[28:29], v[58:59], v[82:83] op_sel:[1,0] op_sel_hi:[0,0]
	v_mov_b32_e32 v15, v17
	v_pk_add_f32 v[4:5], v[4:5], v[12:13]
	v_mov_b32_e32 v21, v25
	v_pk_add_f32 v[4:5], v[4:5], v[14:15]
	v_pk_fma_f32 v[6:7], v[58:59], v[30:31], v[28:29] neg_lo:[0,0,1] neg_hi:[0,0,1]
	v_pk_fma_f32 v[8:9], v[58:59], v[30:31], v[28:29] op_sel_hi:[1,0,1]
	v_pk_add_f32 v[4:5], v[4:5], v[20:21]
	v_mov_b32_e32 v7, v9
	v_pk_add_f32 v[4:5], v[4:5], v[6:7]
	s_waitcnt vmcnt(1) lgkmcnt(0)
	v_pk_mul_f32 v[6:7], v[64:65], v[60:61] op_sel:[1,1] op_sel_hi:[0,1]
	v_pk_fma_f32 v[8:9], v[64:65], v[60:61], v[6:7] neg_lo:[0,0,1] neg_hi:[0,0,1]
	v_pk_fma_f32 v[6:7], v[64:65], v[60:61], v[6:7] op_sel_hi:[1,0,1]
	s_nop 0
	v_mov_b32_e32 v9, v7
	v_pk_add_f32 v[4:5], v[4:5], v[8:9]
	s_waitcnt vmcnt(0)
	v_pk_add_f32 v[4:5], v[62:63], v[4:5] neg_lo:[0,1] neg_hi:[0,1]
	scratch_store_dwordx2 off, v[4:5], off offset:192
	s_and_saveexec_b64 s[0:1], vcc
	s_cbranch_execz .LBB39_207
; %bb.206:
	scratch_load_dwordx2 v[4:5], off, off offset:184
	v_mov_b32_e32 v3, v2
	scratch_store_dwordx2 off, v[2:3], off offset:184
	s_waitcnt vmcnt(1)
	ds_write_b64 v1, v[4:5]
.LBB39_207:
	s_or_b64 exec, exec, s[0:1]
	s_waitcnt lgkmcnt(0)
	; wave barrier
	scratch_load_dwordx4 v[4:7], off, off offset:192
	scratch_load_dwordx4 v[8:11], off, off offset:208
	;; [unrolled: 1-line block ×7, first 2 shown]
	ds_read_b128 v[32:35], v2 offset:512
	ds_read_b128 v[36:39], v2 offset:528
	;; [unrolled: 1-line block ×4, first 2 shown]
	scratch_load_dwordx4 v[48:51], off, off offset:304
	ds_read_b128 v[52:55], v2 offset:576
	ds_read_b128 v[56:59], v2 offset:592
	;; [unrolled: 1-line block ×4, first 2 shown]
	scratch_load_dwordx2 v[2:3], off, off offset:184
	v_cmp_lt_u32_e32 vcc, 22, v0
	s_waitcnt vmcnt(8) lgkmcnt(7)
	v_mul_f32_e32 v75, v32, v5
	v_mul_f32_e32 v79, v34, v7
	s_waitcnt vmcnt(7) lgkmcnt(6)
	v_mul_f32_e32 v83, v36, v9
	v_mul_f32_e32 v84, v38, v11
	;; [unrolled: 3-line block ×3, first 2 shown]
	v_mul_f32_e32 v5, v33, v5
	v_mul_f32_e32 v7, v35, v7
	;; [unrolled: 1-line block ×6, first 2 shown]
	s_waitcnt vmcnt(4) lgkmcnt(3)
	v_pk_mul_f32 v[72:73], v[52:53], v[20:21] op_sel:[1,1] op_sel_hi:[0,1]
	v_mov_b32_e32 v74, v23
	s_waitcnt vmcnt(3) lgkmcnt(2)
	v_pk_mul_f32 v[76:77], v[56:57], v[24:25] op_sel:[1,1] op_sel_hi:[0,1]
	v_mov_b32_e32 v78, v27
	v_fmac_f32_e32 v75, v33, v4
	v_fmac_f32_e32 v79, v35, v6
	;; [unrolled: 1-line block ×6, first 2 shown]
	v_fma_f32 v32, v32, v4, -v5
	v_fma_f32 v33, v34, v6, -v7
	;; [unrolled: 1-line block ×6, first 2 shown]
	v_pk_fma_f32 v[4:5], v[52:53], v[20:21], v[72:73] neg_lo:[0,0,1] neg_hi:[0,0,1]
	v_pk_fma_f32 v[6:7], v[52:53], v[20:21], v[72:73] op_sel_hi:[1,0,1]
	v_pk_mul_f32 v[8:9], v[54:55], v[74:75] op_sel:[1,0] op_sel_hi:[0,0]
	v_pk_fma_f32 v[10:11], v[56:57], v[24:25], v[76:77] neg_lo:[0,0,1] neg_hi:[0,0,1]
	v_pk_fma_f32 v[12:13], v[56:57], v[24:25], v[76:77] op_sel_hi:[1,0,1]
	v_pk_mul_f32 v[14:15], v[58:59], v[78:79] op_sel:[1,0] op_sel_hi:[0,0]
	v_add_f32_e32 v24, 0, v75
	v_add_f32_e32 v25, 0, v32
	v_mov_b32_e32 v5, v7
	v_pk_fma_f32 v[6:7], v[54:55], v[22:23], v[8:9] neg_lo:[0,0,1] neg_hi:[0,0,1]
	v_pk_fma_f32 v[8:9], v[54:55], v[22:23], v[8:9] op_sel_hi:[1,0,1]
	v_mov_b32_e32 v11, v13
	v_pk_fma_f32 v[12:13], v[58:59], v[26:27], v[14:15] neg_lo:[0,0,1] neg_hi:[0,0,1]
	v_pk_fma_f32 v[14:15], v[58:59], v[26:27], v[14:15] op_sel_hi:[1,0,1]
	v_add_f32_e32 v8, v24, v79
	v_add_f32_e32 v14, v25, v33
	v_mov_b32_e32 v7, v9
	v_add_f32_e32 v8, v8, v83
	v_add_f32_e32 v9, v14, v34
	;; [unrolled: 1-line block ×4, first 2 shown]
	v_mul_f32_e32 v69, v44, v17
	v_mul_f32_e32 v17, v45, v17
	v_add_f32_e32 v8, v8, v85
	v_add_f32_e32 v14, v9, v36
	v_mul_f32_e32 v71, v46, v19
	v_mul_f32_e32 v19, v47, v19
	v_fmac_f32_e32 v69, v45, v16
	v_fma_f32 v68, v44, v16, -v17
	v_add_f32_e32 v9, v8, v86
	v_add_f32_e32 v8, v14, v37
	v_fmac_f32_e32 v71, v47, v18
	v_fma_f32 v70, v46, v18, -v19
	v_pk_add_f32 v[8:9], v[8:9], v[68:69]
	s_waitcnt vmcnt(2) lgkmcnt(1)
	v_pk_mul_f32 v[80:81], v[60:61], v[28:29] op_sel:[1,1] op_sel_hi:[0,1]
	v_mov_b32_e32 v82, v31
	v_pk_add_f32 v[8:9], v[8:9], v[70:71]
	v_pk_fma_f32 v[16:17], v[60:61], v[28:29], v[80:81] neg_lo:[0,0,1] neg_hi:[0,0,1]
	v_pk_fma_f32 v[18:19], v[60:61], v[28:29], v[80:81] op_sel_hi:[1,0,1]
	v_pk_mul_f32 v[20:21], v[62:63], v[82:83] op_sel:[1,0] op_sel_hi:[0,0]
	v_pk_add_f32 v[4:5], v[8:9], v[4:5]
	v_mov_b32_e32 v17, v19
	v_pk_fma_f32 v[18:19], v[62:63], v[30:31], v[20:21] neg_lo:[0,0,1] neg_hi:[0,0,1]
	v_pk_add_f32 v[4:5], v[4:5], v[6:7]
	v_pk_fma_f32 v[6:7], v[62:63], v[30:31], v[20:21] op_sel_hi:[1,0,1]
	v_mov_b32_e32 v13, v15
	v_pk_add_f32 v[4:5], v[4:5], v[10:11]
	v_mov_b32_e32 v19, v7
	s_waitcnt vmcnt(1) lgkmcnt(0)
	v_pk_mul_f32 v[6:7], v[64:65], v[48:49] op_sel:[1,1] op_sel_hi:[0,1]
	v_pk_add_f32 v[4:5], v[4:5], v[12:13]
	v_pk_fma_f32 v[8:9], v[64:65], v[48:49], v[6:7] neg_lo:[0,0,1] neg_hi:[0,0,1]
	v_pk_fma_f32 v[6:7], v[64:65], v[48:49], v[6:7] op_sel_hi:[1,0,1]
	v_pk_add_f32 v[4:5], v[4:5], v[16:17]
	v_mov_b32_e32 v6, v51
	v_pk_add_f32 v[4:5], v[4:5], v[18:19]
	v_mov_b32_e32 v9, v7
	v_pk_mul_f32 v[6:7], v[66:67], v[6:7] op_sel:[1,0] op_sel_hi:[0,0]
	v_pk_add_f32 v[4:5], v[4:5], v[8:9]
	v_pk_fma_f32 v[8:9], v[66:67], v[50:51], v[6:7] neg_lo:[0,0,1] neg_hi:[0,0,1]
	v_pk_fma_f32 v[6:7], v[66:67], v[50:51], v[6:7] op_sel_hi:[1,0,1]
	s_nop 0
	v_mov_b32_e32 v9, v7
	v_pk_add_f32 v[4:5], v[4:5], v[8:9]
	s_waitcnt vmcnt(0)
	v_pk_add_f32 v[2:3], v[2:3], v[4:5] neg_lo:[0,1] neg_hi:[0,1]
	scratch_store_dwordx2 off, v[2:3], off offset:184
	s_and_saveexec_b64 s[0:1], vcc
	s_cbranch_execz .LBB39_209
; %bb.208:
	scratch_load_dwordx2 v[2:3], off, off offset:176
	v_mov_b32_e32 v4, 0
	v_mov_b32_e32 v5, v4
	scratch_store_dwordx2 off, v[4:5], off offset:176
	s_waitcnt vmcnt(1)
	ds_write_b64 v1, v[2:3]
.LBB39_209:
	s_or_b64 exec, exec, s[0:1]
	s_waitcnt lgkmcnt(0)
	; wave barrier
	scratch_load_dwordx4 v[4:7], off, off offset:184
	scratch_load_dwordx4 v[8:11], off, off offset:200
	;; [unrolled: 1-line block ×8, first 2 shown]
	scratch_load_dwordx2 v[68:69], off, off offset:312
	scratch_load_dwordx2 v[70:71], off, off offset:176
	v_mov_b32_e32 v2, 0
	ds_read2_b64 v[36:39], v2 offset0:63 offset1:64
	ds_read2_b64 v[40:43], v2 offset0:65 offset1:66
	;; [unrolled: 1-line block ×8, first 2 shown]
	ds_read_b64 v[72:73], v2 offset:632
	v_cmp_lt_u32_e32 vcc, 21, v0
	s_waitcnt vmcnt(9) lgkmcnt(8)
	v_mul_f32_e32 v79, v38, v7
	v_mul_f32_e32 v3, v36, v5
	s_waitcnt vmcnt(8) lgkmcnt(7)
	v_mul_f32_e32 v83, v40, v9
	s_waitcnt vmcnt(7) lgkmcnt(6)
	v_mul_f32_e32 v87, v44, v13
	v_mul_f32_e32 v5, v37, v5
	;; [unrolled: 1-line block ×5, first 2 shown]
	s_waitcnt vmcnt(5)
	v_mov_b32_e32 v78, v23
	s_waitcnt vmcnt(3) lgkmcnt(2)
	v_pk_mul_f32 v[84:85], v[60:61], v[28:29] op_sel:[1,1] op_sel_hi:[0,1]
	v_fmac_f32_e32 v79, v39, v6
	v_mul_f32_e32 v86, v42, v11
	v_mul_f32_e32 v89, v48, v17
	;; [unrolled: 1-line block ×4, first 2 shown]
	v_fmac_f32_e32 v3, v37, v4
	v_fmac_f32_e32 v87, v45, v12
	v_fma_f32 v36, v36, v4, -v5
	v_fma_f32 v37, v38, v6, -v7
	v_fma_f32 v38, v40, v8, -v9
	v_fma_f32 v40, v44, v12, -v13
	v_pk_mul_f32 v[4:5], v[54:55], v[78:79] op_sel:[1,0] op_sel_hi:[0,0]
	v_pk_fma_f32 v[12:13], v[60:61], v[28:29], v[84:85] neg_lo:[0,0,1] neg_hi:[0,0,1]
	v_fmac_f32_e32 v89, v49, v16
	v_fma_f32 v39, v42, v10, -v11
	v_fma_f32 v42, v48, v16, -v17
	v_add_f32_e32 v3, 0, v3
	v_add_f32_e32 v13, 0, v36
	v_pk_fma_f32 v[16:17], v[54:55], v[22:23], v[4:5] neg_lo:[0,0,1] neg_hi:[0,0,1]
	v_pk_fma_f32 v[4:5], v[54:55], v[22:23], v[4:5] op_sel_hi:[1,0,1]
	v_fmac_f32_e32 v83, v41, v8
	v_add_f32_e32 v3, v3, v79
	v_add_f32_e32 v4, v13, v37
	v_fmac_f32_e32 v86, v43, v10
	v_add_f32_e32 v3, v3, v83
	v_add_f32_e32 v4, v4, v38
	v_mul_f32_e32 v88, v46, v15
	v_mul_f32_e32 v15, v47, v15
	v_add_f32_e32 v3, v3, v86
	v_add_f32_e32 v4, v4, v39
	v_fmac_f32_e32 v88, v47, v14
	v_fma_f32 v41, v46, v14, -v15
	v_add_f32_e32 v3, v3, v87
	v_add_f32_e32 v4, v4, v40
	v_mul_f32_e32 v75, v50, v19
	v_mul_f32_e32 v19, v51, v19
	v_add_f32_e32 v3, v3, v88
	v_add_f32_e32 v4, v4, v41
	v_mul_f32_e32 v77, v52, v21
	v_mul_f32_e32 v21, v53, v21
	v_fmac_f32_e32 v75, v51, v18
	v_fma_f32 v74, v50, v18, -v19
	v_mov_b32_e32 v17, v5
	v_add_f32_e32 v5, v3, v89
	v_add_f32_e32 v4, v4, v42
	v_pk_mul_f32 v[80:81], v[56:57], v[24:25] op_sel:[1,1] op_sel_hi:[0,1]
	v_fmac_f32_e32 v77, v53, v20
	v_fma_f32 v76, v52, v20, -v21
	v_pk_add_f32 v[4:5], v[4:5], v[74:75]
	v_mov_b32_e32 v82, v27
	v_pk_fma_f32 v[6:7], v[56:57], v[24:25], v[80:81] neg_lo:[0,0,1] neg_hi:[0,0,1]
	v_pk_fma_f32 v[8:9], v[56:57], v[24:25], v[80:81] op_sel_hi:[1,0,1]
	v_pk_add_f32 v[4:5], v[4:5], v[76:77]
	v_pk_mul_f32 v[10:11], v[58:59], v[82:83] op_sel:[1,0] op_sel_hi:[0,0]
	v_mov_b32_e32 v7, v9
	v_pk_add_f32 v[4:5], v[4:5], v[16:17]
	v_pk_fma_f32 v[8:9], v[58:59], v[26:27], v[10:11] neg_lo:[0,0,1] neg_hi:[0,0,1]
	v_pk_fma_f32 v[10:11], v[58:59], v[26:27], v[10:11] op_sel_hi:[1,0,1]
	v_pk_add_f32 v[4:5], v[4:5], v[6:7]
	v_mov_b32_e32 v6, v31
	v_pk_fma_f32 v[14:15], v[60:61], v[28:29], v[84:85] op_sel_hi:[1,0,1]
	v_mov_b32_e32 v9, v11
	v_pk_mul_f32 v[6:7], v[62:63], v[6:7] op_sel:[1,0] op_sel_hi:[0,0]
	v_pk_add_f32 v[4:5], v[4:5], v[8:9]
	v_mov_b32_e32 v13, v15
	v_pk_fma_f32 v[8:9], v[62:63], v[30:31], v[6:7] neg_lo:[0,0,1] neg_hi:[0,0,1]
	v_pk_fma_f32 v[6:7], v[62:63], v[30:31], v[6:7] op_sel_hi:[1,0,1]
	v_pk_add_f32 v[4:5], v[4:5], v[12:13]
	v_mov_b32_e32 v9, v7
	s_waitcnt vmcnt(2) lgkmcnt(1)
	v_pk_mul_f32 v[6:7], v[64:65], v[32:33] op_sel:[1,1] op_sel_hi:[0,1]
	v_pk_add_f32 v[4:5], v[4:5], v[8:9]
	v_pk_fma_f32 v[8:9], v[64:65], v[32:33], v[6:7] neg_lo:[0,0,1] neg_hi:[0,0,1]
	v_pk_fma_f32 v[6:7], v[64:65], v[32:33], v[6:7] op_sel_hi:[1,0,1]
	s_nop 0
	v_mov_b32_e32 v6, v35
	v_mov_b32_e32 v9, v7
	v_pk_mul_f32 v[6:7], v[66:67], v[6:7] op_sel:[1,0] op_sel_hi:[0,0]
	v_pk_add_f32 v[4:5], v[4:5], v[8:9]
	v_pk_fma_f32 v[8:9], v[66:67], v[34:35], v[6:7] neg_lo:[0,0,1] neg_hi:[0,0,1]
	v_pk_fma_f32 v[6:7], v[66:67], v[34:35], v[6:7] op_sel_hi:[1,0,1]
	s_nop 0
	v_mov_b32_e32 v9, v7
	s_waitcnt vmcnt(1) lgkmcnt(0)
	v_pk_mul_f32 v[6:7], v[72:73], v[68:69] op_sel:[1,1] op_sel_hi:[0,1]
	v_pk_add_f32 v[4:5], v[4:5], v[8:9]
	v_pk_fma_f32 v[8:9], v[72:73], v[68:69], v[6:7] neg_lo:[0,0,1] neg_hi:[0,0,1]
	v_pk_fma_f32 v[6:7], v[72:73], v[68:69], v[6:7] op_sel_hi:[1,0,1]
	s_nop 0
	v_mov_b32_e32 v9, v7
	v_pk_add_f32 v[4:5], v[4:5], v[8:9]
	s_waitcnt vmcnt(0)
	v_pk_add_f32 v[4:5], v[70:71], v[4:5] neg_lo:[0,1] neg_hi:[0,1]
	scratch_store_dwordx2 off, v[4:5], off offset:176
	s_and_saveexec_b64 s[0:1], vcc
	s_cbranch_execz .LBB39_211
; %bb.210:
	scratch_load_dwordx2 v[4:5], off, off offset:168
	v_mov_b32_e32 v3, v2
	scratch_store_dwordx2 off, v[2:3], off offset:168
	s_waitcnt vmcnt(1)
	ds_write_b64 v1, v[4:5]
.LBB39_211:
	s_or_b64 exec, exec, s[0:1]
	s_waitcnt lgkmcnt(0)
	; wave barrier
	ds_read_b128 v[4:7], v2 offset:496
	ds_read_b128 v[8:11], v2 offset:512
	;; [unrolled: 1-line block ×4, first 2 shown]
	scratch_load_dwordx4 v[20:23], off, off offset:176
	scratch_load_dwordx4 v[40:43], off, off offset:240
	v_cmp_lt_u32_e32 vcc, 20, v0
	s_waitcnt vmcnt(1) lgkmcnt(3)
	v_mul_f32_e32 v3, v4, v21
	v_fmac_f32_e32 v3, v5, v20
	v_mul_f32_e32 v24, v6, v23
	v_add_f32_e32 v3, 0, v3
	v_fmac_f32_e32 v24, v7, v22
	v_add_f32_e32 v3, v3, v24
	scratch_load_dwordx4 v[24:27], off, off offset:192
	s_waitcnt vmcnt(0) lgkmcnt(2)
	v_mul_f32_e32 v28, v8, v25
	v_fmac_f32_e32 v28, v9, v24
	v_add_f32_e32 v3, v3, v28
	v_mul_f32_e32 v28, v10, v27
	v_fmac_f32_e32 v28, v11, v26
	v_add_f32_e32 v3, v3, v28
	scratch_load_dwordx4 v[28:31], off, off offset:208
	s_waitcnt vmcnt(0) lgkmcnt(1)
	v_mul_f32_e32 v32, v12, v29
	v_fmac_f32_e32 v32, v13, v28
	v_add_f32_e32 v3, v3, v32
	v_mul_f32_e32 v32, v14, v31
	;; [unrolled: 8-line block ×3, first 2 shown]
	v_fmac_f32_e32 v36, v19, v34
	v_add_f32_e32 v61, v3, v36
	ds_read_b128 v[36:39], v2 offset:560
	scratch_load_dwordx4 v[44:47], off, off offset:256
	scratch_load_dwordx4 v[48:51], off, off offset:272
	;; [unrolled: 1-line block ×4, first 2 shown]
	v_mul_f32_e32 v3, v5, v21
	v_fma_f32 v3, v4, v20, -v3
	v_mul_f32_e32 v4, v7, v23
	v_add_f32_e32 v3, 0, v3
	v_fma_f32 v4, v6, v22, -v4
	v_add_f32_e32 v3, v3, v4
	v_mul_f32_e32 v4, v9, v25
	v_fma_f32 v4, v8, v24, -v4
	v_add_f32_e32 v3, v3, v4
	v_mul_f32_e32 v4, v11, v27
	;; [unrolled: 3-line block ×6, first 2 shown]
	v_fma_f32 v4, v18, v34, -v4
	v_add_f32_e32 v60, v3, v4
	ds_read_b128 v[4:7], v2 offset:576
	ds_read_b128 v[8:11], v2 offset:592
	;; [unrolled: 1-line block ×4, first 2 shown]
	s_waitcnt lgkmcnt(4)
	v_mul_f32_e32 v63, v36, v41
	v_mul_f32_e32 v3, v37, v41
	v_fmac_f32_e32 v63, v37, v40
	v_mul_f32_e32 v65, v38, v43
	v_fma_f32 v62, v36, v40, -v3
	v_mul_f32_e32 v3, v39, v43
	v_fmac_f32_e32 v65, v39, v42
	v_fma_f32 v64, v38, v42, -v3
	v_pk_add_f32 v[2:3], v[60:61], v[62:63]
	s_waitcnt vmcnt(3) lgkmcnt(3)
	v_pk_mul_f32 v[20:21], v[4:5], v[44:45] op_sel:[1,1] op_sel_hi:[0,1]
	v_pk_fma_f32 v[22:23], v[4:5], v[44:45], v[20:21] neg_lo:[0,0,1] neg_hi:[0,0,1]
	v_pk_fma_f32 v[4:5], v[4:5], v[44:45], v[20:21] op_sel_hi:[1,0,1]
	v_pk_add_f32 v[2:3], v[2:3], v[64:65]
	v_mov_b32_e32 v4, v47
	v_mov_b32_e32 v23, v5
	v_pk_mul_f32 v[4:5], v[6:7], v[4:5] op_sel:[1,0] op_sel_hi:[0,0]
	v_pk_fma_f32 v[20:21], v[6:7], v[46:47], v[4:5] neg_lo:[0,0,1] neg_hi:[0,0,1]
	v_pk_fma_f32 v[4:5], v[6:7], v[46:47], v[4:5] op_sel_hi:[1,0,1]
	v_pk_add_f32 v[2:3], v[2:3], v[22:23]
	v_mov_b32_e32 v21, v5
	s_waitcnt vmcnt(2) lgkmcnt(2)
	v_pk_mul_f32 v[4:5], v[8:9], v[48:49] op_sel:[1,1] op_sel_hi:[0,1]
	v_pk_fma_f32 v[6:7], v[8:9], v[48:49], v[4:5] neg_lo:[0,0,1] neg_hi:[0,0,1]
	v_pk_fma_f32 v[4:5], v[8:9], v[48:49], v[4:5] op_sel_hi:[1,0,1]
	v_pk_add_f32 v[2:3], v[2:3], v[20:21]
	v_mov_b32_e32 v4, v51
	v_mov_b32_e32 v7, v5
	v_pk_mul_f32 v[4:5], v[10:11], v[4:5] op_sel:[1,0] op_sel_hi:[0,0]
	v_pk_add_f32 v[2:3], v[2:3], v[6:7]
	v_pk_fma_f32 v[6:7], v[10:11], v[50:51], v[4:5] neg_lo:[0,0,1] neg_hi:[0,0,1]
	v_pk_fma_f32 v[4:5], v[10:11], v[50:51], v[4:5] op_sel_hi:[1,0,1]
	s_nop 0
	v_mov_b32_e32 v7, v5
	s_waitcnt vmcnt(1) lgkmcnt(1)
	v_pk_mul_f32 v[4:5], v[12:13], v[52:53] op_sel:[1,1] op_sel_hi:[0,1]
	v_pk_add_f32 v[2:3], v[2:3], v[6:7]
	v_pk_fma_f32 v[6:7], v[12:13], v[52:53], v[4:5] neg_lo:[0,0,1] neg_hi:[0,0,1]
	v_pk_fma_f32 v[4:5], v[12:13], v[52:53], v[4:5] op_sel_hi:[1,0,1]
	s_nop 0
	v_mov_b32_e32 v4, v55
	v_mov_b32_e32 v7, v5
	v_pk_mul_f32 v[4:5], v[14:15], v[4:5] op_sel:[1,0] op_sel_hi:[0,0]
	v_pk_add_f32 v[2:3], v[2:3], v[6:7]
	v_pk_fma_f32 v[6:7], v[14:15], v[54:55], v[4:5] neg_lo:[0,0,1] neg_hi:[0,0,1]
	v_pk_fma_f32 v[4:5], v[14:15], v[54:55], v[4:5] op_sel_hi:[1,0,1]
	s_nop 0
	v_mov_b32_e32 v7, v5
	s_waitcnt vmcnt(0) lgkmcnt(0)
	v_pk_mul_f32 v[4:5], v[16:17], v[56:57] op_sel:[1,1] op_sel_hi:[0,1]
	v_pk_add_f32 v[2:3], v[2:3], v[6:7]
	v_pk_fma_f32 v[6:7], v[16:17], v[56:57], v[4:5] neg_lo:[0,0,1] neg_hi:[0,0,1]
	v_pk_fma_f32 v[4:5], v[16:17], v[56:57], v[4:5] op_sel_hi:[1,0,1]
	s_nop 0
	v_mov_b32_e32 v4, v59
	v_mov_b32_e32 v7, v5
	v_pk_mul_f32 v[4:5], v[18:19], v[4:5] op_sel:[1,0] op_sel_hi:[0,0]
	v_pk_add_f32 v[2:3], v[2:3], v[6:7]
	v_pk_fma_f32 v[6:7], v[18:19], v[58:59], v[4:5] neg_lo:[0,0,1] neg_hi:[0,0,1]
	v_pk_fma_f32 v[4:5], v[18:19], v[58:59], v[4:5] op_sel_hi:[1,0,1]
	s_nop 0
	v_mov_b32_e32 v7, v5
	scratch_load_dwordx2 v[4:5], off, off offset:168
	v_pk_add_f32 v[2:3], v[2:3], v[6:7]
	s_waitcnt vmcnt(0)
	v_pk_add_f32 v[2:3], v[4:5], v[2:3] neg_lo:[0,1] neg_hi:[0,1]
	scratch_store_dwordx2 off, v[2:3], off offset:168
	s_and_saveexec_b64 s[0:1], vcc
	s_cbranch_execz .LBB39_213
; %bb.212:
	scratch_load_dwordx2 v[2:3], off, off offset:160
	v_mov_b32_e32 v4, 0
	v_mov_b32_e32 v5, v4
	scratch_store_dwordx2 off, v[4:5], off offset:160
	s_waitcnt vmcnt(1)
	ds_write_b64 v1, v[2:3]
.LBB39_213:
	s_or_b64 exec, exec, s[0:1]
	s_waitcnt lgkmcnt(0)
	; wave barrier
	scratch_load_dwordx4 v[8:11], off, off offset:168
	scratch_load_dwordx4 v[16:19], off, off offset:184
	;; [unrolled: 1-line block ×6, first 2 shown]
	v_mov_b32_e32 v2, 0
	ds_read2_b64 v[4:7], v2 offset0:61 offset1:62
	v_cmp_lt_u32_e32 vcc, 19, v0
	s_waitcnt vmcnt(5) lgkmcnt(0)
	v_mul_f32_e32 v3, v4, v9
	v_fmac_f32_e32 v3, v5, v8
	v_mul_f32_e32 v12, v6, v11
	v_add_f32_e32 v3, 0, v3
	v_fmac_f32_e32 v12, v7, v10
	v_add_f32_e32 v3, v3, v12
	ds_read2_b64 v[12:15], v2 offset0:63 offset1:64
	s_waitcnt vmcnt(4) lgkmcnt(0)
	v_mul_f32_e32 v20, v12, v17
	v_fmac_f32_e32 v20, v13, v16
	v_add_f32_e32 v3, v3, v20
	v_mul_f32_e32 v20, v14, v19
	v_fmac_f32_e32 v20, v15, v18
	v_add_f32_e32 v3, v3, v20
	ds_read2_b64 v[20:23], v2 offset0:65 offset1:66
	s_waitcnt vmcnt(3) lgkmcnt(0)
	v_mul_f32_e32 v28, v20, v25
	v_fmac_f32_e32 v28, v21, v24
	v_add_f32_e32 v3, v3, v28
	v_mul_f32_e32 v28, v22, v27
	;; [unrolled: 8-line block ×3, first 2 shown]
	v_fmac_f32_e32 v36, v31, v34
	v_add_f32_e32 v3, v3, v36
	ds_read2_b64 v[36:39], v2 offset0:69 offset1:70
	s_waitcnt vmcnt(1) lgkmcnt(0)
	v_mul_f32_e32 v44, v36, v41
	v_fmac_f32_e32 v44, v37, v40
	v_add_f32_e32 v65, v3, v44
	ds_read2_b64 v[44:47], v2 offset0:71 offset1:72
	scratch_load_dwordx4 v[52:55], off, off offset:264
	scratch_load_dwordx4 v[56:59], off, off offset:280
	;; [unrolled: 1-line block ×3, first 2 shown]
	scratch_load_dwordx2 v[70:71], off, off offset:312
	v_mul_f32_e32 v3, v5, v9
	v_fma_f32 v3, v4, v8, -v3
	v_mul_f32_e32 v4, v7, v11
	v_add_f32_e32 v3, 0, v3
	v_fma_f32 v4, v6, v10, -v4
	v_add_f32_e32 v3, v3, v4
	v_mul_f32_e32 v4, v13, v17
	v_fma_f32 v4, v12, v16, -v4
	v_add_f32_e32 v3, v3, v4
	v_mul_f32_e32 v4, v15, v19
	;; [unrolled: 3-line block ×7, first 2 shown]
	v_fma_f32 v4, v36, v40, -v4
	v_mul_f32_e32 v67, v38, v43
	v_add_f32_e32 v64, v3, v4
	v_mul_f32_e32 v3, v39, v43
	s_waitcnt vmcnt(4)
	v_mov_b32_e32 v20, v51
	v_fmac_f32_e32 v67, v39, v42
	s_waitcnt lgkmcnt(0)
	v_mul_f32_e32 v69, v44, v49
	v_fma_f32 v66, v38, v42, -v3
	v_mul_f32_e32 v3, v45, v49
	ds_read2_b64 v[4:7], v2 offset0:73 offset1:74
	ds_read2_b64 v[8:11], v2 offset0:75 offset1:76
	;; [unrolled: 1-line block ×3, first 2 shown]
	ds_read_b64 v[16:17], v2 offset:632
	v_pk_mul_f32 v[20:21], v[46:47], v[20:21] op_sel:[1,0] op_sel_hi:[0,0]
	v_fmac_f32_e32 v69, v45, v48
	v_fma_f32 v68, v44, v48, -v3
	v_pk_add_f32 v[18:19], v[64:65], v[66:67]
	v_pk_fma_f32 v[22:23], v[46:47], v[50:51], v[20:21] neg_lo:[0,0,1] neg_hi:[0,0,1]
	v_pk_fma_f32 v[20:21], v[46:47], v[50:51], v[20:21] op_sel_hi:[1,0,1]
	v_pk_add_f32 v[18:19], v[18:19], v[68:69]
	v_mov_b32_e32 v23, v21
	v_pk_add_f32 v[18:19], v[18:19], v[22:23]
	s_waitcnt vmcnt(3) lgkmcnt(3)
	v_pk_mul_f32 v[20:21], v[4:5], v[52:53] op_sel:[1,1] op_sel_hi:[0,1]
	v_pk_fma_f32 v[22:23], v[4:5], v[52:53], v[20:21] neg_lo:[0,0,1] neg_hi:[0,0,1]
	v_pk_fma_f32 v[4:5], v[4:5], v[52:53], v[20:21] op_sel_hi:[1,0,1]
	s_nop 0
	v_mov_b32_e32 v23, v5
	v_pk_add_f32 v[4:5], v[18:19], v[22:23]
	v_mov_b32_e32 v18, v55
	v_pk_mul_f32 v[18:19], v[6:7], v[18:19] op_sel:[1,0] op_sel_hi:[0,0]
	v_pk_fma_f32 v[20:21], v[6:7], v[54:55], v[18:19] neg_lo:[0,0,1] neg_hi:[0,0,1]
	v_pk_fma_f32 v[6:7], v[6:7], v[54:55], v[18:19] op_sel_hi:[1,0,1]
	s_nop 0
	v_mov_b32_e32 v21, v7
	s_waitcnt vmcnt(2) lgkmcnt(2)
	v_pk_mul_f32 v[6:7], v[8:9], v[56:57] op_sel:[1,1] op_sel_hi:[0,1]
	v_pk_fma_f32 v[18:19], v[8:9], v[56:57], v[6:7] neg_lo:[0,0,1] neg_hi:[0,0,1]
	v_pk_fma_f32 v[6:7], v[8:9], v[56:57], v[6:7] op_sel_hi:[1,0,1]
	v_pk_add_f32 v[4:5], v[4:5], v[20:21]
	v_mov_b32_e32 v6, v59
	v_mov_b32_e32 v19, v7
	v_pk_mul_f32 v[6:7], v[10:11], v[6:7] op_sel:[1,0] op_sel_hi:[0,0]
	v_pk_fma_f32 v[8:9], v[10:11], v[58:59], v[6:7] neg_lo:[0,0,1] neg_hi:[0,0,1]
	v_pk_fma_f32 v[6:7], v[10:11], v[58:59], v[6:7] op_sel_hi:[1,0,1]
	v_pk_add_f32 v[4:5], v[4:5], v[18:19]
	v_mov_b32_e32 v9, v7
	s_waitcnt vmcnt(1) lgkmcnt(1)
	v_pk_mul_f32 v[6:7], v[12:13], v[60:61] op_sel:[1,1] op_sel_hi:[0,1]
	v_pk_add_f32 v[4:5], v[4:5], v[8:9]
	v_pk_fma_f32 v[8:9], v[12:13], v[60:61], v[6:7] neg_lo:[0,0,1] neg_hi:[0,0,1]
	v_pk_fma_f32 v[6:7], v[12:13], v[60:61], v[6:7] op_sel_hi:[1,0,1]
	s_nop 0
	v_mov_b32_e32 v6, v63
	v_mov_b32_e32 v9, v7
	v_pk_mul_f32 v[6:7], v[14:15], v[6:7] op_sel:[1,0] op_sel_hi:[0,0]
	v_pk_add_f32 v[4:5], v[4:5], v[8:9]
	v_pk_fma_f32 v[8:9], v[14:15], v[62:63], v[6:7] neg_lo:[0,0,1] neg_hi:[0,0,1]
	v_pk_fma_f32 v[6:7], v[14:15], v[62:63], v[6:7] op_sel_hi:[1,0,1]
	s_nop 0
	v_mov_b32_e32 v9, v7
	s_waitcnt vmcnt(0) lgkmcnt(0)
	v_pk_mul_f32 v[6:7], v[16:17], v[70:71] op_sel:[1,1] op_sel_hi:[0,1]
	v_pk_add_f32 v[4:5], v[4:5], v[8:9]
	v_pk_fma_f32 v[8:9], v[16:17], v[70:71], v[6:7] neg_lo:[0,0,1] neg_hi:[0,0,1]
	v_pk_fma_f32 v[6:7], v[16:17], v[70:71], v[6:7] op_sel_hi:[1,0,1]
	s_nop 0
	v_mov_b32_e32 v9, v7
	scratch_load_dwordx2 v[6:7], off, off offset:160
	v_pk_add_f32 v[4:5], v[4:5], v[8:9]
	s_waitcnt vmcnt(0)
	v_pk_add_f32 v[4:5], v[6:7], v[4:5] neg_lo:[0,1] neg_hi:[0,1]
	scratch_store_dwordx2 off, v[4:5], off offset:160
	s_and_saveexec_b64 s[0:1], vcc
	s_cbranch_execz .LBB39_215
; %bb.214:
	scratch_load_dwordx2 v[4:5], off, off offset:152
	v_mov_b32_e32 v3, v2
	scratch_store_dwordx2 off, v[2:3], off offset:152
	s_waitcnt vmcnt(1)
	ds_write_b64 v1, v[4:5]
.LBB39_215:
	s_or_b64 exec, exec, s[0:1]
	s_waitcnt lgkmcnt(0)
	; wave barrier
	ds_read_b128 v[4:7], v2 offset:480
	ds_read_b128 v[8:11], v2 offset:496
	;; [unrolled: 1-line block ×4, first 2 shown]
	scratch_load_dwordx4 v[20:23], off, off offset:160
	scratch_load_dwordx4 v[40:43], off, off offset:224
	v_cmp_lt_u32_e32 vcc, 18, v0
	scratch_load_dwordx4 v[48:51], off, off offset:240
	s_waitcnt vmcnt(2) lgkmcnt(3)
	v_mul_f32_e32 v3, v4, v21
	v_fmac_f32_e32 v3, v5, v20
	v_mul_f32_e32 v24, v6, v23
	v_add_f32_e32 v3, 0, v3
	v_fmac_f32_e32 v24, v7, v22
	v_add_f32_e32 v3, v3, v24
	scratch_load_dwordx4 v[24:27], off, off offset:176
	s_waitcnt vmcnt(0) lgkmcnt(2)
	v_mul_f32_e32 v28, v8, v25
	v_fmac_f32_e32 v28, v9, v24
	v_add_f32_e32 v3, v3, v28
	v_mul_f32_e32 v28, v10, v27
	v_fmac_f32_e32 v28, v11, v26
	v_add_f32_e32 v3, v3, v28
	scratch_load_dwordx4 v[28:31], off, off offset:192
	s_waitcnt vmcnt(0) lgkmcnt(1)
	v_mul_f32_e32 v32, v12, v29
	v_fmac_f32_e32 v32, v13, v28
	v_add_f32_e32 v3, v3, v32
	v_mul_f32_e32 v32, v14, v31
	;; [unrolled: 8-line block ×3, first 2 shown]
	v_fmac_f32_e32 v36, v19, v34
	v_add_f32_e32 v3, v3, v36
	ds_read_b128 v[36:39], v2 offset:544
	s_waitcnt lgkmcnt(0)
	v_mul_f32_e32 v44, v36, v41
	v_fmac_f32_e32 v44, v37, v40
	v_add_f32_e32 v3, v3, v44
	v_mul_f32_e32 v44, v38, v43
	v_fmac_f32_e32 v44, v39, v42
	v_add_f32_e32 v69, v3, v44
	ds_read_b128 v[44:47], v2 offset:560
	scratch_load_dwordx4 v[52:55], off, off offset:256
	scratch_load_dwordx4 v[56:59], off, off offset:272
	;; [unrolled: 1-line block ×4, first 2 shown]
	v_mul_f32_e32 v3, v5, v21
	v_fma_f32 v3, v4, v20, -v3
	v_mul_f32_e32 v4, v7, v23
	v_add_f32_e32 v3, 0, v3
	v_fma_f32 v4, v6, v22, -v4
	v_add_f32_e32 v3, v3, v4
	v_mul_f32_e32 v4, v9, v25
	v_fma_f32 v4, v8, v24, -v4
	v_add_f32_e32 v3, v3, v4
	v_mul_f32_e32 v4, v11, v27
	;; [unrolled: 3-line block ×8, first 2 shown]
	v_fma_f32 v4, v38, v42, -v4
	v_add_f32_e32 v68, v3, v4
	ds_read_b128 v[4:7], v2 offset:576
	ds_read_b128 v[8:11], v2 offset:592
	;; [unrolled: 1-line block ×4, first 2 shown]
	s_waitcnt lgkmcnt(4)
	v_mul_f32_e32 v71, v44, v49
	v_mul_f32_e32 v3, v45, v49
	v_fmac_f32_e32 v71, v45, v48
	v_mul_f32_e32 v73, v46, v51
	v_fma_f32 v70, v44, v48, -v3
	v_mul_f32_e32 v3, v47, v51
	v_fmac_f32_e32 v73, v47, v50
	v_fma_f32 v72, v46, v50, -v3
	v_pk_add_f32 v[2:3], v[68:69], v[70:71]
	s_waitcnt vmcnt(3) lgkmcnt(3)
	v_pk_mul_f32 v[20:21], v[4:5], v[52:53] op_sel:[1,1] op_sel_hi:[0,1]
	v_pk_fma_f32 v[22:23], v[4:5], v[52:53], v[20:21] neg_lo:[0,0,1] neg_hi:[0,0,1]
	v_pk_fma_f32 v[4:5], v[4:5], v[52:53], v[20:21] op_sel_hi:[1,0,1]
	v_pk_add_f32 v[2:3], v[2:3], v[72:73]
	v_mov_b32_e32 v4, v55
	v_mov_b32_e32 v23, v5
	v_pk_mul_f32 v[4:5], v[6:7], v[4:5] op_sel:[1,0] op_sel_hi:[0,0]
	v_pk_fma_f32 v[20:21], v[6:7], v[54:55], v[4:5] neg_lo:[0,0,1] neg_hi:[0,0,1]
	v_pk_fma_f32 v[4:5], v[6:7], v[54:55], v[4:5] op_sel_hi:[1,0,1]
	v_pk_add_f32 v[2:3], v[2:3], v[22:23]
	v_mov_b32_e32 v21, v5
	s_waitcnt vmcnt(2) lgkmcnt(2)
	v_pk_mul_f32 v[4:5], v[8:9], v[56:57] op_sel:[1,1] op_sel_hi:[0,1]
	v_pk_fma_f32 v[6:7], v[8:9], v[56:57], v[4:5] neg_lo:[0,0,1] neg_hi:[0,0,1]
	v_pk_fma_f32 v[4:5], v[8:9], v[56:57], v[4:5] op_sel_hi:[1,0,1]
	v_pk_add_f32 v[2:3], v[2:3], v[20:21]
	v_mov_b32_e32 v4, v59
	v_mov_b32_e32 v7, v5
	v_pk_mul_f32 v[4:5], v[10:11], v[4:5] op_sel:[1,0] op_sel_hi:[0,0]
	v_pk_add_f32 v[2:3], v[2:3], v[6:7]
	v_pk_fma_f32 v[6:7], v[10:11], v[58:59], v[4:5] neg_lo:[0,0,1] neg_hi:[0,0,1]
	v_pk_fma_f32 v[4:5], v[10:11], v[58:59], v[4:5] op_sel_hi:[1,0,1]
	s_nop 0
	v_mov_b32_e32 v7, v5
	s_waitcnt vmcnt(1) lgkmcnt(1)
	v_pk_mul_f32 v[4:5], v[12:13], v[60:61] op_sel:[1,1] op_sel_hi:[0,1]
	v_pk_add_f32 v[2:3], v[2:3], v[6:7]
	v_pk_fma_f32 v[6:7], v[12:13], v[60:61], v[4:5] neg_lo:[0,0,1] neg_hi:[0,0,1]
	v_pk_fma_f32 v[4:5], v[12:13], v[60:61], v[4:5] op_sel_hi:[1,0,1]
	s_nop 0
	v_mov_b32_e32 v4, v63
	v_mov_b32_e32 v7, v5
	v_pk_mul_f32 v[4:5], v[14:15], v[4:5] op_sel:[1,0] op_sel_hi:[0,0]
	v_pk_add_f32 v[2:3], v[2:3], v[6:7]
	v_pk_fma_f32 v[6:7], v[14:15], v[62:63], v[4:5] neg_lo:[0,0,1] neg_hi:[0,0,1]
	v_pk_fma_f32 v[4:5], v[14:15], v[62:63], v[4:5] op_sel_hi:[1,0,1]
	s_nop 0
	v_mov_b32_e32 v7, v5
	s_waitcnt vmcnt(0) lgkmcnt(0)
	v_pk_mul_f32 v[4:5], v[16:17], v[64:65] op_sel:[1,1] op_sel_hi:[0,1]
	v_pk_add_f32 v[2:3], v[2:3], v[6:7]
	v_pk_fma_f32 v[6:7], v[16:17], v[64:65], v[4:5] neg_lo:[0,0,1] neg_hi:[0,0,1]
	v_pk_fma_f32 v[4:5], v[16:17], v[64:65], v[4:5] op_sel_hi:[1,0,1]
	s_nop 0
	v_mov_b32_e32 v4, v67
	v_mov_b32_e32 v7, v5
	v_pk_mul_f32 v[4:5], v[18:19], v[4:5] op_sel:[1,0] op_sel_hi:[0,0]
	v_pk_add_f32 v[2:3], v[2:3], v[6:7]
	v_pk_fma_f32 v[6:7], v[18:19], v[66:67], v[4:5] neg_lo:[0,0,1] neg_hi:[0,0,1]
	v_pk_fma_f32 v[4:5], v[18:19], v[66:67], v[4:5] op_sel_hi:[1,0,1]
	s_nop 0
	v_mov_b32_e32 v7, v5
	scratch_load_dwordx2 v[4:5], off, off offset:152
	v_pk_add_f32 v[2:3], v[2:3], v[6:7]
	s_waitcnt vmcnt(0)
	v_pk_add_f32 v[2:3], v[4:5], v[2:3] neg_lo:[0,1] neg_hi:[0,1]
	scratch_store_dwordx2 off, v[2:3], off offset:152
	s_and_saveexec_b64 s[0:1], vcc
	s_cbranch_execz .LBB39_217
; %bb.216:
	scratch_load_dwordx2 v[2:3], off, off offset:144
	v_mov_b32_e32 v4, 0
	v_mov_b32_e32 v5, v4
	scratch_store_dwordx2 off, v[4:5], off offset:144
	s_waitcnt vmcnt(1)
	ds_write_b64 v1, v[2:3]
.LBB39_217:
	s_or_b64 exec, exec, s[0:1]
	s_waitcnt lgkmcnt(0)
	; wave barrier
	scratch_load_dwordx4 v[8:11], off, off offset:152
	scratch_load_dwordx4 v[16:19], off, off offset:168
	;; [unrolled: 1-line block ×6, first 2 shown]
	v_mov_b32_e32 v2, 0
	ds_read2_b64 v[4:7], v2 offset0:59 offset1:60
	scratch_load_dwordx4 v[56:59], off, off offset:248
	v_cmp_lt_u32_e32 vcc, 17, v0
	s_waitcnt vmcnt(6) lgkmcnt(0)
	v_mul_f32_e32 v3, v4, v9
	v_fmac_f32_e32 v3, v5, v8
	v_mul_f32_e32 v12, v6, v11
	v_add_f32_e32 v3, 0, v3
	v_fmac_f32_e32 v12, v7, v10
	v_add_f32_e32 v3, v3, v12
	ds_read2_b64 v[12:15], v2 offset0:61 offset1:62
	s_waitcnt vmcnt(5) lgkmcnt(0)
	v_mul_f32_e32 v20, v12, v17
	v_fmac_f32_e32 v20, v13, v16
	v_add_f32_e32 v3, v3, v20
	v_mul_f32_e32 v20, v14, v19
	v_fmac_f32_e32 v20, v15, v18
	v_add_f32_e32 v3, v3, v20
	ds_read2_b64 v[20:23], v2 offset0:63 offset1:64
	s_waitcnt vmcnt(4) lgkmcnt(0)
	v_mul_f32_e32 v28, v20, v25
	v_fmac_f32_e32 v28, v21, v24
	v_add_f32_e32 v3, v3, v28
	v_mul_f32_e32 v28, v22, v27
	;; [unrolled: 8-line block ×4, first 2 shown]
	v_fmac_f32_e32 v44, v39, v42
	v_add_f32_e32 v3, v3, v44
	ds_read2_b64 v[44:47], v2 offset0:69 offset1:70
	s_waitcnt vmcnt(1) lgkmcnt(0)
	v_mul_f32_e32 v52, v44, v49
	v_fmac_f32_e32 v52, v45, v48
	v_add_f32_e32 v73, v3, v52
	ds_read2_b64 v[52:55], v2 offset0:71 offset1:72
	scratch_load_dwordx4 v[60:63], off, off offset:264
	scratch_load_dwordx4 v[64:67], off, off offset:280
	;; [unrolled: 1-line block ×3, first 2 shown]
	scratch_load_dwordx2 v[78:79], off, off offset:312
	v_mul_f32_e32 v3, v5, v9
	v_fma_f32 v3, v4, v8, -v3
	v_mul_f32_e32 v4, v7, v11
	v_add_f32_e32 v3, 0, v3
	v_fma_f32 v4, v6, v10, -v4
	v_add_f32_e32 v3, v3, v4
	v_mul_f32_e32 v4, v13, v17
	v_fma_f32 v4, v12, v16, -v4
	v_add_f32_e32 v3, v3, v4
	v_mul_f32_e32 v4, v15, v19
	;; [unrolled: 3-line block ×9, first 2 shown]
	v_fma_f32 v4, v44, v48, -v4
	v_mul_f32_e32 v75, v46, v51
	v_add_f32_e32 v72, v3, v4
	v_mul_f32_e32 v3, v47, v51
	s_waitcnt vmcnt(4)
	v_mov_b32_e32 v20, v59
	v_fmac_f32_e32 v75, v47, v50
	s_waitcnt lgkmcnt(0)
	v_mul_f32_e32 v77, v52, v57
	v_fma_f32 v74, v46, v50, -v3
	v_mul_f32_e32 v3, v53, v57
	ds_read2_b64 v[4:7], v2 offset0:73 offset1:74
	ds_read2_b64 v[8:11], v2 offset0:75 offset1:76
	;; [unrolled: 1-line block ×3, first 2 shown]
	ds_read_b64 v[16:17], v2 offset:632
	v_pk_mul_f32 v[20:21], v[54:55], v[20:21] op_sel:[1,0] op_sel_hi:[0,0]
	v_fmac_f32_e32 v77, v53, v56
	v_fma_f32 v76, v52, v56, -v3
	v_pk_add_f32 v[18:19], v[72:73], v[74:75]
	v_pk_fma_f32 v[22:23], v[54:55], v[58:59], v[20:21] neg_lo:[0,0,1] neg_hi:[0,0,1]
	v_pk_fma_f32 v[20:21], v[54:55], v[58:59], v[20:21] op_sel_hi:[1,0,1]
	v_pk_add_f32 v[18:19], v[18:19], v[76:77]
	v_mov_b32_e32 v23, v21
	v_pk_add_f32 v[18:19], v[18:19], v[22:23]
	s_waitcnt vmcnt(3) lgkmcnt(3)
	v_pk_mul_f32 v[20:21], v[4:5], v[60:61] op_sel:[1,1] op_sel_hi:[0,1]
	v_pk_fma_f32 v[22:23], v[4:5], v[60:61], v[20:21] neg_lo:[0,0,1] neg_hi:[0,0,1]
	v_pk_fma_f32 v[4:5], v[4:5], v[60:61], v[20:21] op_sel_hi:[1,0,1]
	s_nop 0
	v_mov_b32_e32 v23, v5
	v_pk_add_f32 v[4:5], v[18:19], v[22:23]
	v_mov_b32_e32 v18, v63
	v_pk_mul_f32 v[18:19], v[6:7], v[18:19] op_sel:[1,0] op_sel_hi:[0,0]
	v_pk_fma_f32 v[20:21], v[6:7], v[62:63], v[18:19] neg_lo:[0,0,1] neg_hi:[0,0,1]
	v_pk_fma_f32 v[6:7], v[6:7], v[62:63], v[18:19] op_sel_hi:[1,0,1]
	s_nop 0
	v_mov_b32_e32 v21, v7
	s_waitcnt vmcnt(2) lgkmcnt(2)
	v_pk_mul_f32 v[6:7], v[8:9], v[64:65] op_sel:[1,1] op_sel_hi:[0,1]
	v_pk_fma_f32 v[18:19], v[8:9], v[64:65], v[6:7] neg_lo:[0,0,1] neg_hi:[0,0,1]
	v_pk_fma_f32 v[6:7], v[8:9], v[64:65], v[6:7] op_sel_hi:[1,0,1]
	v_pk_add_f32 v[4:5], v[4:5], v[20:21]
	v_mov_b32_e32 v6, v67
	v_mov_b32_e32 v19, v7
	v_pk_mul_f32 v[6:7], v[10:11], v[6:7] op_sel:[1,0] op_sel_hi:[0,0]
	v_pk_fma_f32 v[8:9], v[10:11], v[66:67], v[6:7] neg_lo:[0,0,1] neg_hi:[0,0,1]
	v_pk_fma_f32 v[6:7], v[10:11], v[66:67], v[6:7] op_sel_hi:[1,0,1]
	v_pk_add_f32 v[4:5], v[4:5], v[18:19]
	v_mov_b32_e32 v9, v7
	s_waitcnt vmcnt(1) lgkmcnt(1)
	v_pk_mul_f32 v[6:7], v[12:13], v[68:69] op_sel:[1,1] op_sel_hi:[0,1]
	v_pk_add_f32 v[4:5], v[4:5], v[8:9]
	v_pk_fma_f32 v[8:9], v[12:13], v[68:69], v[6:7] neg_lo:[0,0,1] neg_hi:[0,0,1]
	v_pk_fma_f32 v[6:7], v[12:13], v[68:69], v[6:7] op_sel_hi:[1,0,1]
	s_nop 0
	v_mov_b32_e32 v6, v71
	v_mov_b32_e32 v9, v7
	v_pk_mul_f32 v[6:7], v[14:15], v[6:7] op_sel:[1,0] op_sel_hi:[0,0]
	v_pk_add_f32 v[4:5], v[4:5], v[8:9]
	v_pk_fma_f32 v[8:9], v[14:15], v[70:71], v[6:7] neg_lo:[0,0,1] neg_hi:[0,0,1]
	v_pk_fma_f32 v[6:7], v[14:15], v[70:71], v[6:7] op_sel_hi:[1,0,1]
	s_nop 0
	v_mov_b32_e32 v9, v7
	s_waitcnt vmcnt(0) lgkmcnt(0)
	v_pk_mul_f32 v[6:7], v[16:17], v[78:79] op_sel:[1,1] op_sel_hi:[0,1]
	v_pk_add_f32 v[4:5], v[4:5], v[8:9]
	v_pk_fma_f32 v[8:9], v[16:17], v[78:79], v[6:7] neg_lo:[0,0,1] neg_hi:[0,0,1]
	v_pk_fma_f32 v[6:7], v[16:17], v[78:79], v[6:7] op_sel_hi:[1,0,1]
	s_nop 0
	v_mov_b32_e32 v9, v7
	scratch_load_dwordx2 v[6:7], off, off offset:144
	v_pk_add_f32 v[4:5], v[4:5], v[8:9]
	s_waitcnt vmcnt(0)
	v_pk_add_f32 v[4:5], v[6:7], v[4:5] neg_lo:[0,1] neg_hi:[0,1]
	scratch_store_dwordx2 off, v[4:5], off offset:144
	s_and_saveexec_b64 s[0:1], vcc
	s_cbranch_execz .LBB39_219
; %bb.218:
	scratch_load_dwordx2 v[4:5], off, off offset:136
	v_mov_b32_e32 v3, v2
	scratch_store_dwordx2 off, v[2:3], off offset:136
	s_waitcnt vmcnt(1)
	ds_write_b64 v1, v[4:5]
.LBB39_219:
	s_or_b64 exec, exec, s[0:1]
	s_waitcnt lgkmcnt(0)
	; wave barrier
	ds_read_b128 v[4:7], v2 offset:464
	ds_read_b128 v[8:11], v2 offset:480
	;; [unrolled: 1-line block ×4, first 2 shown]
	scratch_load_dwordx4 v[20:23], off, off offset:144
	scratch_load_dwordx4 v[40:43], off, off offset:208
	v_cmp_lt_u32_e32 vcc, 16, v0
	scratch_load_dwordx4 v[48:51], off, off offset:224
	scratch_load_dwordx4 v[56:59], off, off offset:240
	s_waitcnt vmcnt(3) lgkmcnt(3)
	v_mul_f32_e32 v3, v4, v21
	v_fmac_f32_e32 v3, v5, v20
	v_mul_f32_e32 v24, v6, v23
	v_add_f32_e32 v3, 0, v3
	v_fmac_f32_e32 v24, v7, v22
	v_add_f32_e32 v3, v3, v24
	scratch_load_dwordx4 v[24:27], off, off offset:160
	s_waitcnt vmcnt(0) lgkmcnt(2)
	v_mul_f32_e32 v28, v8, v25
	v_fmac_f32_e32 v28, v9, v24
	v_add_f32_e32 v3, v3, v28
	v_mul_f32_e32 v28, v10, v27
	v_fmac_f32_e32 v28, v11, v26
	v_add_f32_e32 v3, v3, v28
	scratch_load_dwordx4 v[28:31], off, off offset:176
	s_waitcnt vmcnt(0) lgkmcnt(1)
	v_mul_f32_e32 v32, v12, v29
	v_fmac_f32_e32 v32, v13, v28
	v_add_f32_e32 v3, v3, v32
	v_mul_f32_e32 v32, v14, v31
	;; [unrolled: 8-line block ×3, first 2 shown]
	v_fmac_f32_e32 v36, v19, v34
	v_add_f32_e32 v3, v3, v36
	ds_read_b128 v[36:39], v2 offset:528
	s_waitcnt lgkmcnt(0)
	v_mul_f32_e32 v44, v36, v41
	v_fmac_f32_e32 v44, v37, v40
	v_add_f32_e32 v3, v3, v44
	v_mul_f32_e32 v44, v38, v43
	v_fmac_f32_e32 v44, v39, v42
	v_add_f32_e32 v3, v3, v44
	ds_read_b128 v[44:47], v2 offset:544
	s_waitcnt lgkmcnt(0)
	v_mul_f32_e32 v52, v44, v49
	v_fmac_f32_e32 v52, v45, v48
	v_add_f32_e32 v3, v3, v52
	v_mul_f32_e32 v52, v46, v51
	v_fmac_f32_e32 v52, v47, v50
	v_add_f32_e32 v77, v3, v52
	ds_read_b128 v[52:55], v2 offset:560
	scratch_load_dwordx4 v[60:63], off, off offset:256
	scratch_load_dwordx4 v[64:67], off, off offset:272
	;; [unrolled: 1-line block ×4, first 2 shown]
	v_mul_f32_e32 v3, v5, v21
	v_fma_f32 v3, v4, v20, -v3
	v_mul_f32_e32 v4, v7, v23
	v_add_f32_e32 v3, 0, v3
	v_fma_f32 v4, v6, v22, -v4
	v_add_f32_e32 v3, v3, v4
	v_mul_f32_e32 v4, v9, v25
	v_fma_f32 v4, v8, v24, -v4
	v_add_f32_e32 v3, v3, v4
	v_mul_f32_e32 v4, v11, v27
	;; [unrolled: 3-line block ×10, first 2 shown]
	v_fma_f32 v4, v46, v50, -v4
	v_add_f32_e32 v76, v3, v4
	ds_read_b128 v[4:7], v2 offset:576
	ds_read_b128 v[8:11], v2 offset:592
	;; [unrolled: 1-line block ×4, first 2 shown]
	s_waitcnt lgkmcnt(4)
	v_mul_f32_e32 v79, v52, v57
	v_mul_f32_e32 v3, v53, v57
	v_fmac_f32_e32 v79, v53, v56
	v_mul_f32_e32 v81, v54, v59
	v_fma_f32 v78, v52, v56, -v3
	v_mul_f32_e32 v3, v55, v59
	v_fmac_f32_e32 v81, v55, v58
	v_fma_f32 v80, v54, v58, -v3
	v_pk_add_f32 v[2:3], v[76:77], v[78:79]
	s_waitcnt vmcnt(3) lgkmcnt(3)
	v_pk_mul_f32 v[20:21], v[4:5], v[60:61] op_sel:[1,1] op_sel_hi:[0,1]
	v_pk_fma_f32 v[22:23], v[4:5], v[60:61], v[20:21] neg_lo:[0,0,1] neg_hi:[0,0,1]
	v_pk_fma_f32 v[4:5], v[4:5], v[60:61], v[20:21] op_sel_hi:[1,0,1]
	v_pk_add_f32 v[2:3], v[2:3], v[80:81]
	v_mov_b32_e32 v4, v63
	v_mov_b32_e32 v23, v5
	v_pk_mul_f32 v[4:5], v[6:7], v[4:5] op_sel:[1,0] op_sel_hi:[0,0]
	v_pk_fma_f32 v[20:21], v[6:7], v[62:63], v[4:5] neg_lo:[0,0,1] neg_hi:[0,0,1]
	v_pk_fma_f32 v[4:5], v[6:7], v[62:63], v[4:5] op_sel_hi:[1,0,1]
	v_pk_add_f32 v[2:3], v[2:3], v[22:23]
	v_mov_b32_e32 v21, v5
	s_waitcnt vmcnt(2) lgkmcnt(2)
	v_pk_mul_f32 v[4:5], v[8:9], v[64:65] op_sel:[1,1] op_sel_hi:[0,1]
	v_pk_fma_f32 v[6:7], v[8:9], v[64:65], v[4:5] neg_lo:[0,0,1] neg_hi:[0,0,1]
	v_pk_fma_f32 v[4:5], v[8:9], v[64:65], v[4:5] op_sel_hi:[1,0,1]
	v_pk_add_f32 v[2:3], v[2:3], v[20:21]
	v_mov_b32_e32 v4, v67
	v_mov_b32_e32 v7, v5
	v_pk_mul_f32 v[4:5], v[10:11], v[4:5] op_sel:[1,0] op_sel_hi:[0,0]
	v_pk_add_f32 v[2:3], v[2:3], v[6:7]
	v_pk_fma_f32 v[6:7], v[10:11], v[66:67], v[4:5] neg_lo:[0,0,1] neg_hi:[0,0,1]
	v_pk_fma_f32 v[4:5], v[10:11], v[66:67], v[4:5] op_sel_hi:[1,0,1]
	s_nop 0
	v_mov_b32_e32 v7, v5
	s_waitcnt vmcnt(1) lgkmcnt(1)
	v_pk_mul_f32 v[4:5], v[12:13], v[68:69] op_sel:[1,1] op_sel_hi:[0,1]
	v_pk_add_f32 v[2:3], v[2:3], v[6:7]
	v_pk_fma_f32 v[6:7], v[12:13], v[68:69], v[4:5] neg_lo:[0,0,1] neg_hi:[0,0,1]
	v_pk_fma_f32 v[4:5], v[12:13], v[68:69], v[4:5] op_sel_hi:[1,0,1]
	s_nop 0
	v_mov_b32_e32 v4, v71
	v_mov_b32_e32 v7, v5
	v_pk_mul_f32 v[4:5], v[14:15], v[4:5] op_sel:[1,0] op_sel_hi:[0,0]
	v_pk_add_f32 v[2:3], v[2:3], v[6:7]
	v_pk_fma_f32 v[6:7], v[14:15], v[70:71], v[4:5] neg_lo:[0,0,1] neg_hi:[0,0,1]
	v_pk_fma_f32 v[4:5], v[14:15], v[70:71], v[4:5] op_sel_hi:[1,0,1]
	s_nop 0
	v_mov_b32_e32 v7, v5
	s_waitcnt vmcnt(0) lgkmcnt(0)
	v_pk_mul_f32 v[4:5], v[16:17], v[72:73] op_sel:[1,1] op_sel_hi:[0,1]
	v_pk_add_f32 v[2:3], v[2:3], v[6:7]
	v_pk_fma_f32 v[6:7], v[16:17], v[72:73], v[4:5] neg_lo:[0,0,1] neg_hi:[0,0,1]
	v_pk_fma_f32 v[4:5], v[16:17], v[72:73], v[4:5] op_sel_hi:[1,0,1]
	s_nop 0
	v_mov_b32_e32 v4, v75
	v_mov_b32_e32 v7, v5
	v_pk_mul_f32 v[4:5], v[18:19], v[4:5] op_sel:[1,0] op_sel_hi:[0,0]
	v_pk_add_f32 v[2:3], v[2:3], v[6:7]
	v_pk_fma_f32 v[6:7], v[18:19], v[74:75], v[4:5] neg_lo:[0,0,1] neg_hi:[0,0,1]
	v_pk_fma_f32 v[4:5], v[18:19], v[74:75], v[4:5] op_sel_hi:[1,0,1]
	s_nop 0
	v_mov_b32_e32 v7, v5
	scratch_load_dwordx2 v[4:5], off, off offset:136
	v_pk_add_f32 v[2:3], v[2:3], v[6:7]
	s_waitcnt vmcnt(0)
	v_pk_add_f32 v[2:3], v[4:5], v[2:3] neg_lo:[0,1] neg_hi:[0,1]
	scratch_store_dwordx2 off, v[2:3], off offset:136
	s_and_saveexec_b64 s[0:1], vcc
	s_cbranch_execz .LBB39_221
; %bb.220:
	scratch_load_dwordx2 v[2:3], off, off offset:128
	v_mov_b32_e32 v4, 0
	v_mov_b32_e32 v5, v4
	scratch_store_dwordx2 off, v[4:5], off offset:128
	s_waitcnt vmcnt(1)
	ds_write_b64 v1, v[2:3]
.LBB39_221:
	s_or_b64 exec, exec, s[0:1]
	s_waitcnt lgkmcnt(0)
	; wave barrier
	scratch_load_dwordx4 v[8:11], off, off offset:136
	scratch_load_dwordx4 v[16:19], off, off offset:152
	;; [unrolled: 1-line block ×8, first 2 shown]
	v_mov_b32_e32 v2, 0
	ds_read2_b64 v[4:7], v2 offset0:57 offset1:58
	v_cmp_lt_u32_e32 vcc, 15, v0
	s_waitcnt vmcnt(7) lgkmcnt(0)
	v_mul_f32_e32 v3, v4, v9
	v_fmac_f32_e32 v3, v5, v8
	v_mul_f32_e32 v12, v6, v11
	v_add_f32_e32 v3, 0, v3
	v_fmac_f32_e32 v12, v7, v10
	v_add_f32_e32 v3, v3, v12
	ds_read2_b64 v[12:15], v2 offset0:59 offset1:60
	s_waitcnt vmcnt(6) lgkmcnt(0)
	v_mul_f32_e32 v20, v12, v17
	v_fmac_f32_e32 v20, v13, v16
	v_add_f32_e32 v3, v3, v20
	v_mul_f32_e32 v20, v14, v19
	v_fmac_f32_e32 v20, v15, v18
	v_add_f32_e32 v3, v3, v20
	ds_read2_b64 v[20:23], v2 offset0:61 offset1:62
	s_waitcnt vmcnt(5) lgkmcnt(0)
	v_mul_f32_e32 v28, v20, v25
	v_fmac_f32_e32 v28, v21, v24
	v_add_f32_e32 v3, v3, v28
	v_mul_f32_e32 v28, v22, v27
	;; [unrolled: 8-line block ×5, first 2 shown]
	v_fmac_f32_e32 v52, v47, v50
	v_add_f32_e32 v3, v3, v52
	ds_read2_b64 v[52:55], v2 offset0:69 offset1:70
	s_waitcnt vmcnt(1) lgkmcnt(0)
	v_mul_f32_e32 v60, v52, v57
	v_fmac_f32_e32 v60, v53, v56
	v_add_f32_e32 v81, v3, v60
	ds_read2_b64 v[60:63], v2 offset0:71 offset1:72
	scratch_load_dwordx4 v[68:71], off, off offset:264
	scratch_load_dwordx4 v[72:75], off, off offset:280
	;; [unrolled: 1-line block ×3, first 2 shown]
	scratch_load_dwordx2 v[86:87], off, off offset:312
	v_mul_f32_e32 v3, v5, v9
	v_fma_f32 v3, v4, v8, -v3
	v_mul_f32_e32 v4, v7, v11
	v_add_f32_e32 v3, 0, v3
	v_fma_f32 v4, v6, v10, -v4
	v_add_f32_e32 v3, v3, v4
	v_mul_f32_e32 v4, v13, v17
	v_fma_f32 v4, v12, v16, -v4
	v_add_f32_e32 v3, v3, v4
	v_mul_f32_e32 v4, v15, v19
	;; [unrolled: 3-line block ×11, first 2 shown]
	v_fma_f32 v4, v52, v56, -v4
	v_mul_f32_e32 v83, v54, v59
	v_add_f32_e32 v80, v3, v4
	v_mul_f32_e32 v3, v55, v59
	s_waitcnt vmcnt(4)
	v_mov_b32_e32 v20, v67
	v_fmac_f32_e32 v83, v55, v58
	s_waitcnt lgkmcnt(0)
	v_mul_f32_e32 v85, v60, v65
	v_fma_f32 v82, v54, v58, -v3
	v_mul_f32_e32 v3, v61, v65
	ds_read2_b64 v[4:7], v2 offset0:73 offset1:74
	ds_read2_b64 v[8:11], v2 offset0:75 offset1:76
	ds_read2_b64 v[12:15], v2 offset0:77 offset1:78
	ds_read_b64 v[16:17], v2 offset:632
	v_pk_mul_f32 v[20:21], v[62:63], v[20:21] op_sel:[1,0] op_sel_hi:[0,0]
	v_fmac_f32_e32 v85, v61, v64
	v_fma_f32 v84, v60, v64, -v3
	v_pk_add_f32 v[18:19], v[80:81], v[82:83]
	v_pk_fma_f32 v[22:23], v[62:63], v[66:67], v[20:21] neg_lo:[0,0,1] neg_hi:[0,0,1]
	v_pk_fma_f32 v[20:21], v[62:63], v[66:67], v[20:21] op_sel_hi:[1,0,1]
	v_pk_add_f32 v[18:19], v[18:19], v[84:85]
	v_mov_b32_e32 v23, v21
	v_pk_add_f32 v[18:19], v[18:19], v[22:23]
	s_waitcnt vmcnt(3) lgkmcnt(3)
	v_pk_mul_f32 v[20:21], v[4:5], v[68:69] op_sel:[1,1] op_sel_hi:[0,1]
	v_pk_fma_f32 v[22:23], v[4:5], v[68:69], v[20:21] neg_lo:[0,0,1] neg_hi:[0,0,1]
	v_pk_fma_f32 v[4:5], v[4:5], v[68:69], v[20:21] op_sel_hi:[1,0,1]
	s_nop 0
	v_mov_b32_e32 v23, v5
	v_pk_add_f32 v[4:5], v[18:19], v[22:23]
	v_mov_b32_e32 v18, v71
	v_pk_mul_f32 v[18:19], v[6:7], v[18:19] op_sel:[1,0] op_sel_hi:[0,0]
	v_pk_fma_f32 v[20:21], v[6:7], v[70:71], v[18:19] neg_lo:[0,0,1] neg_hi:[0,0,1]
	v_pk_fma_f32 v[6:7], v[6:7], v[70:71], v[18:19] op_sel_hi:[1,0,1]
	s_nop 0
	v_mov_b32_e32 v21, v7
	s_waitcnt vmcnt(2) lgkmcnt(2)
	v_pk_mul_f32 v[6:7], v[8:9], v[72:73] op_sel:[1,1] op_sel_hi:[0,1]
	v_pk_fma_f32 v[18:19], v[8:9], v[72:73], v[6:7] neg_lo:[0,0,1] neg_hi:[0,0,1]
	v_pk_fma_f32 v[6:7], v[8:9], v[72:73], v[6:7] op_sel_hi:[1,0,1]
	v_pk_add_f32 v[4:5], v[4:5], v[20:21]
	v_mov_b32_e32 v6, v75
	v_mov_b32_e32 v19, v7
	v_pk_mul_f32 v[6:7], v[10:11], v[6:7] op_sel:[1,0] op_sel_hi:[0,0]
	v_pk_fma_f32 v[8:9], v[10:11], v[74:75], v[6:7] neg_lo:[0,0,1] neg_hi:[0,0,1]
	v_pk_fma_f32 v[6:7], v[10:11], v[74:75], v[6:7] op_sel_hi:[1,0,1]
	v_pk_add_f32 v[4:5], v[4:5], v[18:19]
	v_mov_b32_e32 v9, v7
	s_waitcnt vmcnt(1) lgkmcnt(1)
	v_pk_mul_f32 v[6:7], v[12:13], v[76:77] op_sel:[1,1] op_sel_hi:[0,1]
	v_pk_add_f32 v[4:5], v[4:5], v[8:9]
	v_pk_fma_f32 v[8:9], v[12:13], v[76:77], v[6:7] neg_lo:[0,0,1] neg_hi:[0,0,1]
	v_pk_fma_f32 v[6:7], v[12:13], v[76:77], v[6:7] op_sel_hi:[1,0,1]
	s_nop 0
	v_mov_b32_e32 v6, v79
	v_mov_b32_e32 v9, v7
	v_pk_mul_f32 v[6:7], v[14:15], v[6:7] op_sel:[1,0] op_sel_hi:[0,0]
	v_pk_add_f32 v[4:5], v[4:5], v[8:9]
	v_pk_fma_f32 v[8:9], v[14:15], v[78:79], v[6:7] neg_lo:[0,0,1] neg_hi:[0,0,1]
	v_pk_fma_f32 v[6:7], v[14:15], v[78:79], v[6:7] op_sel_hi:[1,0,1]
	s_nop 0
	v_mov_b32_e32 v9, v7
	s_waitcnt vmcnt(0) lgkmcnt(0)
	v_pk_mul_f32 v[6:7], v[16:17], v[86:87] op_sel:[1,1] op_sel_hi:[0,1]
	v_pk_add_f32 v[4:5], v[4:5], v[8:9]
	v_pk_fma_f32 v[8:9], v[16:17], v[86:87], v[6:7] neg_lo:[0,0,1] neg_hi:[0,0,1]
	v_pk_fma_f32 v[6:7], v[16:17], v[86:87], v[6:7] op_sel_hi:[1,0,1]
	s_nop 0
	v_mov_b32_e32 v9, v7
	scratch_load_dwordx2 v[6:7], off, off offset:128
	v_pk_add_f32 v[4:5], v[4:5], v[8:9]
	s_waitcnt vmcnt(0)
	v_pk_add_f32 v[4:5], v[6:7], v[4:5] neg_lo:[0,1] neg_hi:[0,1]
	scratch_store_dwordx2 off, v[4:5], off offset:128
	s_and_saveexec_b64 s[0:1], vcc
	s_cbranch_execz .LBB39_223
; %bb.222:
	scratch_load_dwordx2 v[4:5], off, off offset:120
	v_mov_b32_e32 v3, v2
	scratch_store_dwordx2 off, v[2:3], off offset:120
	s_waitcnt vmcnt(1)
	ds_write_b64 v1, v[4:5]
.LBB39_223:
	s_or_b64 exec, exec, s[0:1]
	s_waitcnt lgkmcnt(0)
	; wave barrier
	ds_read_b128 v[4:7], v2 offset:448
	ds_read_b128 v[8:11], v2 offset:464
	;; [unrolled: 1-line block ×4, first 2 shown]
	scratch_load_dwordx4 v[20:23], off, off offset:128
	scratch_load_dwordx4 v[40:43], off, off offset:192
	v_cmp_lt_u32_e32 vcc, 14, v0
	scratch_load_dwordx4 v[48:51], off, off offset:208
	scratch_load_dwordx4 v[56:59], off, off offset:224
	;; [unrolled: 1-line block ×3, first 2 shown]
	s_waitcnt vmcnt(4) lgkmcnt(3)
	v_mul_f32_e32 v3, v4, v21
	v_fmac_f32_e32 v3, v5, v20
	v_mul_f32_e32 v24, v6, v23
	v_add_f32_e32 v3, 0, v3
	v_fmac_f32_e32 v24, v7, v22
	v_add_f32_e32 v3, v3, v24
	scratch_load_dwordx4 v[24:27], off, off offset:144
	s_waitcnt vmcnt(0) lgkmcnt(2)
	v_mul_f32_e32 v28, v8, v25
	v_fmac_f32_e32 v28, v9, v24
	v_add_f32_e32 v3, v3, v28
	v_mul_f32_e32 v28, v10, v27
	v_fmac_f32_e32 v28, v11, v26
	v_add_f32_e32 v3, v3, v28
	scratch_load_dwordx4 v[28:31], off, off offset:160
	s_waitcnt vmcnt(0) lgkmcnt(1)
	v_mul_f32_e32 v32, v12, v29
	v_fmac_f32_e32 v32, v13, v28
	v_add_f32_e32 v3, v3, v32
	v_mul_f32_e32 v32, v14, v31
	;; [unrolled: 8-line block ×3, first 2 shown]
	v_fmac_f32_e32 v36, v19, v34
	v_add_f32_e32 v3, v3, v36
	ds_read_b128 v[36:39], v2 offset:512
	s_waitcnt lgkmcnt(0)
	v_mul_f32_e32 v44, v36, v41
	v_fmac_f32_e32 v44, v37, v40
	v_add_f32_e32 v3, v3, v44
	v_mul_f32_e32 v44, v38, v43
	v_fmac_f32_e32 v44, v39, v42
	v_add_f32_e32 v3, v3, v44
	ds_read_b128 v[44:47], v2 offset:528
	s_waitcnt lgkmcnt(0)
	v_mul_f32_e32 v52, v44, v49
	v_fmac_f32_e32 v52, v45, v48
	v_add_f32_e32 v3, v3, v52
	v_mul_f32_e32 v52, v46, v51
	;; [unrolled: 8-line block ×3, first 2 shown]
	v_fmac_f32_e32 v60, v55, v58
	v_add_f32_e32 v85, v3, v60
	ds_read_b128 v[60:63], v2 offset:560
	scratch_load_dwordx4 v[68:71], off, off offset:256
	scratch_load_dwordx4 v[72:75], off, off offset:272
	;; [unrolled: 1-line block ×4, first 2 shown]
	v_mul_f32_e32 v3, v5, v21
	v_fma_f32 v3, v4, v20, -v3
	v_mul_f32_e32 v4, v7, v23
	v_add_f32_e32 v3, 0, v3
	v_fma_f32 v4, v6, v22, -v4
	v_add_f32_e32 v3, v3, v4
	v_mul_f32_e32 v4, v9, v25
	v_fma_f32 v4, v8, v24, -v4
	v_add_f32_e32 v3, v3, v4
	v_mul_f32_e32 v4, v11, v27
	v_fma_f32 v4, v10, v26, -v4
	v_add_f32_e32 v3, v3, v4
	v_mul_f32_e32 v4, v13, v29
	v_fma_f32 v4, v12, v28, -v4
	v_add_f32_e32 v3, v3, v4
	v_mul_f32_e32 v4, v15, v31
	v_fma_f32 v4, v14, v30, -v4
	v_add_f32_e32 v3, v3, v4
	v_mul_f32_e32 v4, v17, v33
	v_fma_f32 v4, v16, v32, -v4
	v_add_f32_e32 v3, v3, v4
	v_mul_f32_e32 v4, v19, v35
	v_fma_f32 v4, v18, v34, -v4
	v_add_f32_e32 v3, v3, v4
	v_mul_f32_e32 v4, v37, v41
	v_fma_f32 v4, v36, v40, -v4
	v_add_f32_e32 v3, v3, v4
	v_mul_f32_e32 v4, v39, v43
	v_fma_f32 v4, v38, v42, -v4
	v_add_f32_e32 v3, v3, v4
	v_mul_f32_e32 v4, v45, v49
	v_fma_f32 v4, v44, v48, -v4
	v_add_f32_e32 v3, v3, v4
	v_mul_f32_e32 v4, v47, v51
	v_fma_f32 v4, v46, v50, -v4
	v_add_f32_e32 v3, v3, v4
	v_mul_f32_e32 v4, v53, v57
	v_fma_f32 v4, v52, v56, -v4
	v_add_f32_e32 v3, v3, v4
	v_mul_f32_e32 v4, v55, v59
	v_fma_f32 v4, v54, v58, -v4
	v_add_f32_e32 v84, v3, v4
	ds_read_b128 v[4:7], v2 offset:576
	ds_read_b128 v[8:11], v2 offset:592
	;; [unrolled: 1-line block ×4, first 2 shown]
	s_waitcnt lgkmcnt(4)
	v_mul_f32_e32 v87, v60, v65
	v_mul_f32_e32 v3, v61, v65
	v_fmac_f32_e32 v87, v61, v64
	v_mul_f32_e32 v89, v62, v67
	v_fma_f32 v86, v60, v64, -v3
	v_mul_f32_e32 v3, v63, v67
	v_fmac_f32_e32 v89, v63, v66
	v_fma_f32 v88, v62, v66, -v3
	v_pk_add_f32 v[2:3], v[84:85], v[86:87]
	s_waitcnt vmcnt(3) lgkmcnt(3)
	v_pk_mul_f32 v[20:21], v[4:5], v[68:69] op_sel:[1,1] op_sel_hi:[0,1]
	v_pk_fma_f32 v[22:23], v[4:5], v[68:69], v[20:21] neg_lo:[0,0,1] neg_hi:[0,0,1]
	v_pk_fma_f32 v[4:5], v[4:5], v[68:69], v[20:21] op_sel_hi:[1,0,1]
	v_pk_add_f32 v[2:3], v[2:3], v[88:89]
	v_mov_b32_e32 v4, v71
	v_mov_b32_e32 v23, v5
	v_pk_mul_f32 v[4:5], v[6:7], v[4:5] op_sel:[1,0] op_sel_hi:[0,0]
	v_pk_fma_f32 v[20:21], v[6:7], v[70:71], v[4:5] neg_lo:[0,0,1] neg_hi:[0,0,1]
	v_pk_fma_f32 v[4:5], v[6:7], v[70:71], v[4:5] op_sel_hi:[1,0,1]
	v_pk_add_f32 v[2:3], v[2:3], v[22:23]
	v_mov_b32_e32 v21, v5
	s_waitcnt vmcnt(2) lgkmcnt(2)
	v_pk_mul_f32 v[4:5], v[8:9], v[72:73] op_sel:[1,1] op_sel_hi:[0,1]
	v_pk_fma_f32 v[6:7], v[8:9], v[72:73], v[4:5] neg_lo:[0,0,1] neg_hi:[0,0,1]
	v_pk_fma_f32 v[4:5], v[8:9], v[72:73], v[4:5] op_sel_hi:[1,0,1]
	v_pk_add_f32 v[2:3], v[2:3], v[20:21]
	v_mov_b32_e32 v4, v75
	v_mov_b32_e32 v7, v5
	v_pk_mul_f32 v[4:5], v[10:11], v[4:5] op_sel:[1,0] op_sel_hi:[0,0]
	v_pk_add_f32 v[2:3], v[2:3], v[6:7]
	v_pk_fma_f32 v[6:7], v[10:11], v[74:75], v[4:5] neg_lo:[0,0,1] neg_hi:[0,0,1]
	v_pk_fma_f32 v[4:5], v[10:11], v[74:75], v[4:5] op_sel_hi:[1,0,1]
	s_nop 0
	v_mov_b32_e32 v7, v5
	s_waitcnt vmcnt(1) lgkmcnt(1)
	v_pk_mul_f32 v[4:5], v[12:13], v[76:77] op_sel:[1,1] op_sel_hi:[0,1]
	v_pk_add_f32 v[2:3], v[2:3], v[6:7]
	v_pk_fma_f32 v[6:7], v[12:13], v[76:77], v[4:5] neg_lo:[0,0,1] neg_hi:[0,0,1]
	v_pk_fma_f32 v[4:5], v[12:13], v[76:77], v[4:5] op_sel_hi:[1,0,1]
	s_nop 0
	v_mov_b32_e32 v4, v79
	v_mov_b32_e32 v7, v5
	v_pk_mul_f32 v[4:5], v[14:15], v[4:5] op_sel:[1,0] op_sel_hi:[0,0]
	v_pk_add_f32 v[2:3], v[2:3], v[6:7]
	v_pk_fma_f32 v[6:7], v[14:15], v[78:79], v[4:5] neg_lo:[0,0,1] neg_hi:[0,0,1]
	v_pk_fma_f32 v[4:5], v[14:15], v[78:79], v[4:5] op_sel_hi:[1,0,1]
	s_nop 0
	v_mov_b32_e32 v7, v5
	s_waitcnt vmcnt(0) lgkmcnt(0)
	v_pk_mul_f32 v[4:5], v[16:17], v[80:81] op_sel:[1,1] op_sel_hi:[0,1]
	v_pk_add_f32 v[2:3], v[2:3], v[6:7]
	v_pk_fma_f32 v[6:7], v[16:17], v[80:81], v[4:5] neg_lo:[0,0,1] neg_hi:[0,0,1]
	v_pk_fma_f32 v[4:5], v[16:17], v[80:81], v[4:5] op_sel_hi:[1,0,1]
	s_nop 0
	v_mov_b32_e32 v4, v83
	v_mov_b32_e32 v7, v5
	v_pk_mul_f32 v[4:5], v[18:19], v[4:5] op_sel:[1,0] op_sel_hi:[0,0]
	v_pk_add_f32 v[2:3], v[2:3], v[6:7]
	v_pk_fma_f32 v[6:7], v[18:19], v[82:83], v[4:5] neg_lo:[0,0,1] neg_hi:[0,0,1]
	v_pk_fma_f32 v[4:5], v[18:19], v[82:83], v[4:5] op_sel_hi:[1,0,1]
	s_nop 0
	v_mov_b32_e32 v7, v5
	scratch_load_dwordx2 v[4:5], off, off offset:120
	v_pk_add_f32 v[2:3], v[2:3], v[6:7]
	s_waitcnt vmcnt(0)
	v_pk_add_f32 v[2:3], v[4:5], v[2:3] neg_lo:[0,1] neg_hi:[0,1]
	scratch_store_dwordx2 off, v[2:3], off offset:120
	s_and_saveexec_b64 s[0:1], vcc
	s_cbranch_execz .LBB39_225
; %bb.224:
	scratch_load_dwordx2 v[2:3], off, off offset:112
	v_mov_b32_e32 v4, 0
	v_mov_b32_e32 v5, v4
	scratch_store_dwordx2 off, v[4:5], off offset:112
	s_waitcnt vmcnt(1)
	ds_write_b64 v1, v[2:3]
.LBB39_225:
	s_or_b64 exec, exec, s[0:1]
	s_waitcnt lgkmcnt(0)
	; wave barrier
	scratch_load_dwordx4 v[2:5], off, off offset:120
	scratch_load_dwordx4 v[22:25], off, off offset:136
	;; [unrolled: 1-line block ×12, first 2 shown]
	scratch_load_dwordx2 v[50:51], off, off offset:312
	scratch_load_dwordx2 v[56:57], off, off offset:112
	v_mov_b32_e32 v58, 0
	ds_read2_b64 v[52:55], v58 offset0:55 offset1:56
	ds_read2_b64 v[60:63], v58 offset0:57 offset1:58
	;; [unrolled: 1-line block ×10, first 2 shown]
	v_cmp_lt_u32_e32 vcc, 13, v0
	s_waitcnt vmcnt(13) lgkmcnt(9)
	v_mul_f32_e32 v59, v52, v3
	v_mul_f32_e32 v96, v54, v5
	;; [unrolled: 1-line block ×3, first 2 shown]
	s_waitcnt vmcnt(10) lgkmcnt(6)
	v_mul_f32_e32 v103, v68, v11
	v_mul_f32_e32 v11, v69, v11
	v_fmac_f32_e32 v59, v53, v2
	v_mul_f32_e32 v98, v60, v23
	v_mul_f32_e32 v5, v55, v5
	v_fmac_f32_e32 v96, v55, v4
	v_fmac_f32_e32 v103, v69, v10
	v_fma_f32 v2, v52, v2, -v3
	v_fma_f32 v10, v68, v10, -v11
	v_add_f32_e32 v11, 0, v59
	v_mul_f32_e32 v100, v62, v25
	v_fmac_f32_e32 v98, v61, v22
	v_fma_f32 v3, v54, v4, -v5
	v_add_f32_e32 v2, 0, v2
	v_add_f32_e32 v11, v11, v96
	v_mul_f32_e32 v101, v64, v39
	v_fmac_f32_e32 v100, v63, v24
	v_add_f32_e32 v2, v2, v3
	v_add_f32_e32 v3, v11, v98
	v_mul_f32_e32 v102, v66, v41
	v_fmac_f32_e32 v101, v65, v38
	v_add_f32_e32 v3, v3, v100
	v_fmac_f32_e32 v102, v67, v40
	v_add_f32_e32 v3, v3, v101
	v_mul_f32_e32 v104, v70, v13
	v_add_f32_e32 v3, v3, v102
	s_waitcnt vmcnt(9) lgkmcnt(5)
	v_mul_f32_e32 v105, v72, v15
	v_fmac_f32_e32 v104, v71, v12
	v_add_f32_e32 v3, v3, v103
	v_mul_f32_e32 v106, v74, v17
	v_fmac_f32_e32 v105, v73, v14
	v_add_f32_e32 v3, v3, v104
	s_waitcnt vmcnt(8) lgkmcnt(4)
	v_mul_f32_e32 v107, v76, v27
	v_fmac_f32_e32 v106, v75, v16
	v_add_f32_e32 v3, v3, v105
	v_mul_f32_e32 v108, v78, v29
	v_mul_f32_e32 v23, v61, v23
	v_fmac_f32_e32 v107, v77, v26
	v_add_f32_e32 v3, v3, v106
	s_waitcnt vmcnt(7) lgkmcnt(3)
	v_mul_f32_e32 v109, v80, v31
	v_mul_f32_e32 v25, v63, v25
	v_fmac_f32_e32 v108, v79, v28
	v_fma_f32 v4, v60, v22, -v23
	v_add_f32_e32 v3, v3, v107
	v_mul_f32_e32 v110, v82, v33
	v_mul_f32_e32 v39, v65, v39
	v_fmac_f32_e32 v109, v81, v30
	v_fma_f32 v5, v62, v24, -v25
	v_add_f32_e32 v2, v2, v4
	v_add_f32_e32 v3, v3, v108
	s_waitcnt vmcnt(6) lgkmcnt(2)
	v_mul_f32_e32 v111, v84, v43
	v_mul_f32_e32 v41, v67, v41
	v_fmac_f32_e32 v110, v83, v32
	v_fma_f32 v22, v64, v38, -v39
	v_add_f32_e32 v2, v2, v5
	v_add_f32_e32 v3, v3, v109
	v_fmac_f32_e32 v111, v85, v42
	v_fma_f32 v23, v66, v40, -v41
	v_add_f32_e32 v2, v2, v22
	v_add_f32_e32 v3, v3, v110
	;; [unrolled: 1-line block ×4, first 2 shown]
	v_mul_f32_e32 v3, v71, v13
	v_add_f32_e32 v2, v2, v10
	v_fma_f32 v3, v70, v12, -v3
	v_add_f32_e32 v2, v2, v3
	v_mul_f32_e32 v3, v73, v15
	v_fma_f32 v3, v72, v14, -v3
	v_add_f32_e32 v2, v2, v3
	v_mul_f32_e32 v3, v75, v17
	;; [unrolled: 3-line block ×7, first 2 shown]
	v_fma_f32 v3, v84, v42, -v3
	v_mul_f32_e32 v97, v86, v45
	v_add_f32_e32 v22, v2, v3
	v_mul_f32_e32 v2, v87, v45
	v_fmac_f32_e32 v97, v87, v44
	v_fma_f32 v96, v86, v44, -v2
	v_pk_add_f32 v[16:17], v[22:23], v[96:97]
	s_waitcnt vmcnt(5)
	v_mov_b32_e32 v22, v49
	s_waitcnt lgkmcnt(1)
	v_mul_f32_e32 v99, v88, v47
	v_mul_f32_e32 v2, v89, v47
	v_pk_mul_f32 v[22:23], v[90:91], v[22:23] op_sel:[1,0] op_sel_hi:[0,0]
	v_fmac_f32_e32 v99, v89, v46
	v_fma_f32 v98, v88, v46, -v2
	v_pk_fma_f32 v[24:25], v[90:91], v[48:49], v[22:23] neg_lo:[0,0,1] neg_hi:[0,0,1]
	v_pk_fma_f32 v[22:23], v[90:91], v[48:49], v[22:23] op_sel_hi:[1,0,1]
	v_pk_add_f32 v[16:17], v[16:17], v[98:99]
	v_mov_b32_e32 v25, v23
	s_waitcnt vmcnt(4) lgkmcnt(0)
	v_pk_mul_f32 v[22:23], v[92:93], v[34:35] op_sel:[1,1] op_sel_hi:[0,1]
	v_pk_add_f32 v[16:17], v[16:17], v[24:25]
	v_pk_fma_f32 v[24:25], v[92:93], v[34:35], v[22:23] neg_lo:[0,0,1] neg_hi:[0,0,1]
	v_pk_fma_f32 v[22:23], v[92:93], v[34:35], v[22:23] op_sel_hi:[1,0,1]
	ds_read2_b64 v[2:5], v58 offset0:75 offset1:76
	ds_read2_b64 v[10:13], v58 offset0:77 offset1:78
	ds_read_b64 v[14:15], v58 offset:632
	v_mov_b32_e32 v22, v37
	v_mov_b32_e32 v25, v23
	v_pk_mul_f32 v[22:23], v[94:95], v[22:23] op_sel:[1,0] op_sel_hi:[0,0]
	v_pk_add_f32 v[16:17], v[16:17], v[24:25]
	v_pk_fma_f32 v[24:25], v[94:95], v[36:37], v[22:23] neg_lo:[0,0,1] neg_hi:[0,0,1]
	v_pk_fma_f32 v[22:23], v[94:95], v[36:37], v[22:23] op_sel_hi:[1,0,1]
	s_nop 0
	v_mov_b32_e32 v25, v23
	s_waitcnt vmcnt(3) lgkmcnt(2)
	v_pk_mul_f32 v[22:23], v[2:3], v[18:19] op_sel:[1,1] op_sel_hi:[0,1]
	v_pk_add_f32 v[16:17], v[16:17], v[24:25]
	v_pk_fma_f32 v[24:25], v[2:3], v[18:19], v[22:23] neg_lo:[0,0,1] neg_hi:[0,0,1]
	v_pk_fma_f32 v[2:3], v[2:3], v[18:19], v[22:23] op_sel_hi:[1,0,1]
	s_nop 0
	v_mov_b32_e32 v25, v3
	v_pk_add_f32 v[2:3], v[16:17], v[24:25]
	v_mov_b32_e32 v16, v21
	v_pk_mul_f32 v[16:17], v[4:5], v[16:17] op_sel:[1,0] op_sel_hi:[0,0]
	v_pk_fma_f32 v[18:19], v[4:5], v[20:21], v[16:17] neg_lo:[0,0,1] neg_hi:[0,0,1]
	v_pk_fma_f32 v[4:5], v[4:5], v[20:21], v[16:17] op_sel_hi:[1,0,1]
	s_nop 0
	v_mov_b32_e32 v19, v5
	s_waitcnt vmcnt(2) lgkmcnt(1)
	v_pk_mul_f32 v[4:5], v[10:11], v[6:7] op_sel:[1,1] op_sel_hi:[0,1]
	v_pk_fma_f32 v[16:17], v[10:11], v[6:7], v[4:5] neg_lo:[0,0,1] neg_hi:[0,0,1]
	v_pk_fma_f32 v[4:5], v[10:11], v[6:7], v[4:5] op_sel_hi:[1,0,1]
	v_pk_add_f32 v[2:3], v[2:3], v[18:19]
	v_mov_b32_e32 v4, v9
	v_mov_b32_e32 v17, v5
	v_pk_mul_f32 v[4:5], v[12:13], v[4:5] op_sel:[1,0] op_sel_hi:[0,0]
	v_pk_fma_f32 v[6:7], v[12:13], v[8:9], v[4:5] neg_lo:[0,0,1] neg_hi:[0,0,1]
	v_pk_fma_f32 v[4:5], v[12:13], v[8:9], v[4:5] op_sel_hi:[1,0,1]
	v_pk_add_f32 v[2:3], v[2:3], v[16:17]
	v_mov_b32_e32 v7, v5
	s_waitcnt vmcnt(1) lgkmcnt(0)
	v_pk_mul_f32 v[4:5], v[14:15], v[50:51] op_sel:[1,1] op_sel_hi:[0,1]
	v_pk_add_f32 v[2:3], v[2:3], v[6:7]
	v_pk_fma_f32 v[6:7], v[14:15], v[50:51], v[4:5] neg_lo:[0,0,1] neg_hi:[0,0,1]
	v_pk_fma_f32 v[4:5], v[14:15], v[50:51], v[4:5] op_sel_hi:[1,0,1]
	s_nop 0
	v_mov_b32_e32 v7, v5
	v_pk_add_f32 v[2:3], v[2:3], v[6:7]
	s_waitcnt vmcnt(0)
	v_pk_add_f32 v[2:3], v[56:57], v[2:3] neg_lo:[0,1] neg_hi:[0,1]
	scratch_store_dwordx2 off, v[2:3], off offset:112
	s_and_saveexec_b64 s[0:1], vcc
	s_cbranch_execz .LBB39_227
; %bb.226:
	scratch_load_dwordx2 v[2:3], off, off offset:104
	v_mov_b32_e32 v59, v58
	scratch_store_dwordx2 off, v[58:59], off offset:104
	s_waitcnt vmcnt(1)
	ds_write_b64 v1, v[2:3]
.LBB39_227:
	s_or_b64 exec, exec, s[0:1]
	s_waitcnt lgkmcnt(0)
	; wave barrier
	scratch_load_dwordx4 v[10:13], off, off offset:112
	scratch_load_dwordx4 v[26:29], off, off offset:128
	scratch_load_dwordx4 v[42:45], off, off offset:144
	scratch_load_dwordx4 v[2:5], off, off offset:160
	scratch_load_dwordx4 v[14:17], off, off offset:176
	scratch_load_dwordx4 v[18:21], off, off offset:192
	scratch_load_dwordx4 v[30:33], off, off offset:208
	scratch_load_dwordx4 v[38:41], off, off offset:224
	scratch_load_dwordx4 v[46:49], off, off offset:240
	ds_read_b128 v[60:63], v58 offset:432
	ds_read_b128 v[64:67], v58 offset:448
	;; [unrolled: 1-line block ×8, first 2 shown]
	scratch_load_dwordx4 v[50:53], off, off offset:256
	scratch_load_dwordx4 v[34:37], off, off offset:272
	;; [unrolled: 1-line block ×4, first 2 shown]
	ds_read_b128 v[88:91], v58 offset:560
	ds_read_b128 v[92:95], v58 offset:576
	scratch_load_dwordx2 v[96:97], off, off offset:104
	v_cmp_lt_u32_e32 vcc, 12, v0
	s_waitcnt vmcnt(13) lgkmcnt(9)
	v_mul_f32_e32 v59, v60, v11
	v_mul_f32_e32 v98, v62, v13
	v_fmac_f32_e32 v59, v61, v10
	s_waitcnt vmcnt(10) lgkmcnt(6)
	v_mul_f32_e32 v105, v72, v3
	v_mul_f32_e32 v3, v73, v3
	;; [unrolled: 1-line block ×3, first 2 shown]
	v_fmac_f32_e32 v98, v63, v12
	v_fmac_f32_e32 v105, v73, v2
	v_fma_f32 v2, v72, v2, -v3
	v_add_f32_e32 v3, 0, v59
	v_mul_f32_e32 v102, v66, v29
	v_fmac_f32_e32 v100, v65, v26
	v_add_f32_e32 v3, v3, v98
	v_mul_f32_e32 v103, v68, v43
	v_fmac_f32_e32 v102, v67, v28
	;; [unrolled: 3-line block ×3, first 2 shown]
	v_add_f32_e32 v3, v3, v102
	v_fmac_f32_e32 v104, v71, v44
	v_add_f32_e32 v3, v3, v103
	v_mul_f32_e32 v106, v74, v5
	v_add_f32_e32 v3, v3, v104
	s_waitcnt vmcnt(9) lgkmcnt(5)
	v_mul_f32_e32 v107, v76, v15
	v_fmac_f32_e32 v106, v75, v4
	v_add_f32_e32 v3, v3, v105
	v_mul_f32_e32 v108, v78, v17
	v_fmac_f32_e32 v107, v77, v14
	v_add_f32_e32 v3, v3, v106
	s_waitcnt vmcnt(8) lgkmcnt(4)
	v_mul_f32_e32 v109, v80, v19
	v_mul_f32_e32 v11, v61, v11
	v_fmac_f32_e32 v108, v79, v16
	v_add_f32_e32 v3, v3, v107
	v_mul_f32_e32 v110, v82, v21
	v_mul_f32_e32 v13, v63, v13
	v_fmac_f32_e32 v109, v81, v18
	v_fma_f32 v10, v60, v10, -v11
	v_add_f32_e32 v3, v3, v108
	s_waitcnt vmcnt(7) lgkmcnt(3)
	v_mul_f32_e32 v111, v84, v31
	v_mul_f32_e32 v27, v65, v27
	v_fmac_f32_e32 v110, v83, v20
	v_fma_f32 v11, v62, v12, -v13
	v_add_f32_e32 v10, 0, v10
	v_add_f32_e32 v3, v3, v109
	v_mul_f32_e32 v112, v86, v33
	v_mul_f32_e32 v29, v67, v29
	v_fmac_f32_e32 v111, v85, v30
	v_fma_f32 v12, v64, v26, -v27
	v_add_f32_e32 v10, v10, v11
	v_add_f32_e32 v3, v3, v110
	s_waitcnt vmcnt(6) lgkmcnt(2)
	v_mul_f32_e32 v113, v54, v39
	v_mul_f32_e32 v43, v69, v43
	v_fmac_f32_e32 v112, v87, v32
	v_fma_f32 v13, v66, v28, -v29
	v_add_f32_e32 v10, v10, v12
	v_add_f32_e32 v3, v3, v111
	v_mul_f32_e32 v114, v56, v41
	v_mul_f32_e32 v45, v71, v45
	v_fmac_f32_e32 v113, v55, v38
	v_fma_f32 v26, v68, v42, -v43
	v_add_f32_e32 v10, v10, v13
	v_add_f32_e32 v3, v3, v112
	v_fmac_f32_e32 v114, v57, v40
	v_fma_f32 v27, v70, v44, -v45
	v_add_f32_e32 v10, v10, v26
	v_add_f32_e32 v3, v3, v113
	;; [unrolled: 1-line block ×4, first 2 shown]
	v_mul_f32_e32 v3, v75, v5
	v_add_f32_e32 v2, v10, v2
	v_fma_f32 v3, v74, v4, -v3
	v_add_f32_e32 v2, v2, v3
	v_mul_f32_e32 v3, v77, v15
	v_fma_f32 v3, v76, v14, -v3
	v_add_f32_e32 v2, v2, v3
	v_mul_f32_e32 v3, v79, v17
	;; [unrolled: 3-line block ×8, first 2 shown]
	v_fma_f32 v3, v56, v40, -v3
	s_waitcnt vmcnt(5) lgkmcnt(1)
	v_mul_f32_e32 v99, v88, v47
	v_add_f32_e32 v26, v2, v3
	v_mul_f32_e32 v2, v89, v47
	v_fmac_f32_e32 v99, v89, v46
	v_fma_f32 v98, v88, v46, -v2
	s_waitcnt vmcnt(4) lgkmcnt(0)
	v_pk_mul_f32 v[20:21], v[92:93], v[50:51] op_sel:[1,1] op_sel_hi:[0,1]
	v_mul_f32_e32 v101, v90, v49
	v_mul_f32_e32 v2, v91, v49
	v_pk_add_f32 v[18:19], v[26:27], v[98:99]
	v_pk_fma_f32 v[26:27], v[92:93], v[50:51], v[20:21] neg_lo:[0,0,1] neg_hi:[0,0,1]
	v_pk_fma_f32 v[20:21], v[92:93], v[50:51], v[20:21] op_sel_hi:[1,0,1]
	v_fmac_f32_e32 v101, v91, v48
	v_fma_f32 v100, v90, v48, -v2
	ds_read_b128 v[2:5], v58 offset:592
	ds_read_b128 v[10:13], v58 offset:608
	;; [unrolled: 1-line block ×3, first 2 shown]
	v_mov_b32_e32 v20, v53
	v_pk_add_f32 v[18:19], v[18:19], v[100:101]
	v_mov_b32_e32 v27, v21
	v_pk_mul_f32 v[20:21], v[94:95], v[20:21] op_sel:[1,0] op_sel_hi:[0,0]
	v_pk_add_f32 v[18:19], v[18:19], v[26:27]
	v_pk_fma_f32 v[26:27], v[94:95], v[52:53], v[20:21] neg_lo:[0,0,1] neg_hi:[0,0,1]
	v_pk_fma_f32 v[20:21], v[94:95], v[52:53], v[20:21] op_sel_hi:[1,0,1]
	s_nop 0
	v_mov_b32_e32 v27, v21
	s_waitcnt vmcnt(3) lgkmcnt(2)
	v_pk_mul_f32 v[20:21], v[2:3], v[34:35] op_sel:[1,1] op_sel_hi:[0,1]
	v_pk_add_f32 v[18:19], v[18:19], v[26:27]
	v_pk_fma_f32 v[26:27], v[2:3], v[34:35], v[20:21] neg_lo:[0,0,1] neg_hi:[0,0,1]
	v_pk_fma_f32 v[2:3], v[2:3], v[34:35], v[20:21] op_sel_hi:[1,0,1]
	s_nop 0
	v_mov_b32_e32 v27, v3
	v_pk_add_f32 v[2:3], v[18:19], v[26:27]
	v_mov_b32_e32 v18, v37
	v_pk_mul_f32 v[18:19], v[4:5], v[18:19] op_sel:[1,0] op_sel_hi:[0,0]
	v_pk_fma_f32 v[20:21], v[4:5], v[36:37], v[18:19] neg_lo:[0,0,1] neg_hi:[0,0,1]
	v_pk_fma_f32 v[4:5], v[4:5], v[36:37], v[18:19] op_sel_hi:[1,0,1]
	s_nop 0
	v_mov_b32_e32 v21, v5
	s_waitcnt vmcnt(2) lgkmcnt(1)
	v_pk_mul_f32 v[4:5], v[10:11], v[22:23] op_sel:[1,1] op_sel_hi:[0,1]
	v_pk_fma_f32 v[18:19], v[10:11], v[22:23], v[4:5] neg_lo:[0,0,1] neg_hi:[0,0,1]
	v_pk_fma_f32 v[4:5], v[10:11], v[22:23], v[4:5] op_sel_hi:[1,0,1]
	v_pk_add_f32 v[2:3], v[2:3], v[20:21]
	v_mov_b32_e32 v4, v25
	v_mov_b32_e32 v19, v5
	v_pk_mul_f32 v[4:5], v[12:13], v[4:5] op_sel:[1,0] op_sel_hi:[0,0]
	v_pk_fma_f32 v[10:11], v[12:13], v[24:25], v[4:5] neg_lo:[0,0,1] neg_hi:[0,0,1]
	v_pk_fma_f32 v[4:5], v[12:13], v[24:25], v[4:5] op_sel_hi:[1,0,1]
	v_pk_add_f32 v[2:3], v[2:3], v[18:19]
	v_mov_b32_e32 v11, v5
	s_waitcnt vmcnt(1) lgkmcnt(0)
	v_pk_mul_f32 v[4:5], v[14:15], v[6:7] op_sel:[1,1] op_sel_hi:[0,1]
	v_pk_add_f32 v[2:3], v[2:3], v[10:11]
	v_pk_fma_f32 v[10:11], v[14:15], v[6:7], v[4:5] neg_lo:[0,0,1] neg_hi:[0,0,1]
	v_pk_fma_f32 v[4:5], v[14:15], v[6:7], v[4:5] op_sel_hi:[1,0,1]
	s_nop 0
	v_mov_b32_e32 v4, v9
	v_mov_b32_e32 v11, v5
	v_pk_mul_f32 v[4:5], v[16:17], v[4:5] op_sel:[1,0] op_sel_hi:[0,0]
	v_pk_fma_f32 v[6:7], v[16:17], v[8:9], v[4:5] neg_lo:[0,0,1] neg_hi:[0,0,1]
	v_pk_fma_f32 v[4:5], v[16:17], v[8:9], v[4:5] op_sel_hi:[1,0,1]
	v_pk_add_f32 v[2:3], v[2:3], v[10:11]
	v_mov_b32_e32 v7, v5
	v_pk_add_f32 v[2:3], v[2:3], v[6:7]
	s_waitcnt vmcnt(0)
	v_pk_add_f32 v[2:3], v[96:97], v[2:3] neg_lo:[0,1] neg_hi:[0,1]
	scratch_store_dwordx2 off, v[2:3], off offset:104
	s_and_saveexec_b64 s[0:1], vcc
	s_cbranch_execz .LBB39_229
; %bb.228:
	scratch_load_dwordx2 v[2:3], off, off offset:96
	v_mov_b32_e32 v4, 0
	v_mov_b32_e32 v5, v4
	scratch_store_dwordx2 off, v[4:5], off offset:96
	s_waitcnt vmcnt(1)
	ds_write_b64 v1, v[2:3]
.LBB39_229:
	s_or_b64 exec, exec, s[0:1]
	s_waitcnt lgkmcnt(0)
	; wave barrier
	scratch_load_dwordx4 v[10:13], off, off offset:104
	scratch_load_dwordx4 v[30:33], off, off offset:120
	;; [unrolled: 1-line block ×13, first 2 shown]
	scratch_load_dwordx2 v[54:55], off, off offset:312
	scratch_load_dwordx2 v[80:81], off, off offset:96
	v_mov_b32_e32 v82, 0
	ds_read2_b64 v[56:59], v82 offset0:53 offset1:54
	ds_read2_b64 v[60:63], v82 offset0:55 offset1:56
	ds_read2_b64 v[64:67], v82 offset0:57 offset1:58
	ds_read2_b64 v[68:71], v82 offset0:59 offset1:60
	ds_read2_b64 v[72:75], v82 offset0:61 offset1:62
	ds_read2_b64 v[76:79], v82 offset0:63 offset1:64
	ds_read2_b64 v[84:87], v82 offset0:65 offset1:66
	ds_read2_b64 v[88:91], v82 offset0:67 offset1:68
	ds_read2_b64 v[92:95], v82 offset0:69 offset1:70
	ds_read2_b64 v[96:99], v82 offset0:71 offset1:72
	v_cmp_lt_u32_e32 vcc, 11, v0
	s_waitcnt vmcnt(14) lgkmcnt(9)
	v_mul_f32_e32 v83, v56, v11
	v_mul_f32_e32 v100, v58, v13
	s_waitcnt vmcnt(12) lgkmcnt(7)
	v_mul_f32_e32 v105, v64, v3
	v_mul_f32_e32 v3, v65, v3
	v_fmac_f32_e32 v83, v57, v10
	v_mul_f32_e32 v102, v60, v31
	v_fmac_f32_e32 v100, v59, v12
	v_fmac_f32_e32 v105, v65, v2
	v_fma_f32 v2, v64, v2, -v3
	v_add_f32_e32 v3, 0, v83
	v_mul_f32_e32 v104, v62, v33
	v_fmac_f32_e32 v102, v61, v30
	v_add_f32_e32 v3, v3, v100
	v_fmac_f32_e32 v104, v63, v32
	v_add_f32_e32 v3, v3, v102
	v_mul_f32_e32 v106, v66, v5
	v_add_f32_e32 v3, v3, v104
	s_waitcnt vmcnt(11) lgkmcnt(6)
	v_mul_f32_e32 v107, v68, v7
	v_fmac_f32_e32 v106, v67, v4
	v_add_f32_e32 v3, v3, v105
	v_mul_f32_e32 v108, v70, v9
	v_fmac_f32_e32 v107, v69, v6
	v_add_f32_e32 v3, v3, v106
	s_waitcnt vmcnt(10) lgkmcnt(5)
	v_mul_f32_e32 v109, v72, v19
	v_fmac_f32_e32 v108, v71, v8
	v_add_f32_e32 v3, v3, v107
	v_mul_f32_e32 v110, v74, v21
	v_fmac_f32_e32 v109, v73, v18
	;; [unrolled: 7-line block ×3, first 2 shown]
	v_add_f32_e32 v3, v3, v110
	s_waitcnt vmcnt(8) lgkmcnt(3)
	v_mul_f32_e32 v113, v84, v35
	v_mul_f32_e32 v11, v57, v11
	v_fmac_f32_e32 v112, v79, v24
	v_add_f32_e32 v3, v3, v111
	v_mul_f32_e32 v114, v86, v37
	v_mul_f32_e32 v13, v59, v13
	v_fmac_f32_e32 v113, v85, v34
	v_fma_f32 v10, v56, v10, -v11
	v_add_f32_e32 v3, v3, v112
	s_waitcnt vmcnt(7) lgkmcnt(2)
	v_mul_f32_e32 v115, v88, v39
	v_mul_f32_e32 v31, v61, v31
	v_fmac_f32_e32 v114, v87, v36
	v_fma_f32 v11, v58, v12, -v13
	v_add_f32_e32 v10, 0, v10
	v_add_f32_e32 v3, v3, v113
	v_mul_f32_e32 v116, v90, v41
	v_mul_f32_e32 v33, v63, v33
	v_fmac_f32_e32 v115, v89, v38
	v_fma_f32 v12, v60, v30, -v31
	v_add_f32_e32 v10, v10, v11
	v_add_f32_e32 v3, v3, v114
	s_waitcnt vmcnt(6) lgkmcnt(1)
	v_mul_f32_e32 v117, v92, v51
	v_fmac_f32_e32 v116, v91, v40
	v_fma_f32 v13, v62, v32, -v33
	v_add_f32_e32 v10, v10, v12
	v_add_f32_e32 v3, v3, v115
	v_mul_f32_e32 v5, v67, v5
	v_fmac_f32_e32 v117, v93, v50
	v_add_f32_e32 v10, v10, v13
	v_add_f32_e32 v3, v3, v116
	;; [unrolled: 1-line block ×4, first 2 shown]
	v_fma_f32 v3, v66, v4, -v5
	v_add_f32_e32 v2, v2, v3
	v_mul_f32_e32 v3, v69, v7
	v_fma_f32 v3, v68, v6, -v3
	v_add_f32_e32 v2, v2, v3
	v_mul_f32_e32 v3, v71, v9
	;; [unrolled: 3-line block ×12, first 2 shown]
	v_mul_f32_e32 v101, v94, v53
	v_fma_f32 v100, v94, v52, -v2
	s_waitcnt vmcnt(5) lgkmcnt(0)
	v_mul_f32_e32 v2, v97, v47
	v_mov_b32_e32 v22, v49
	v_mul_f32_e32 v103, v96, v47
	v_fmac_f32_e32 v101, v95, v52
	v_fma_f32 v102, v96, v46, -v2
	ds_read2_b64 v[2:5], v82 offset0:73 offset1:74
	ds_read2_b64 v[6:9], v82 offset0:75 offset1:76
	;; [unrolled: 1-line block ×3, first 2 shown]
	ds_read_b64 v[18:19], v82 offset:632
	v_pk_mul_f32 v[22:23], v[98:99], v[22:23] op_sel:[1,0] op_sel_hi:[0,0]
	v_fmac_f32_e32 v103, v97, v46
	v_pk_add_f32 v[20:21], v[30:31], v[100:101]
	v_pk_fma_f32 v[24:25], v[98:99], v[48:49], v[22:23] neg_lo:[0,0,1] neg_hi:[0,0,1]
	v_pk_fma_f32 v[22:23], v[98:99], v[48:49], v[22:23] op_sel_hi:[1,0,1]
	v_pk_add_f32 v[20:21], v[20:21], v[102:103]
	v_mov_b32_e32 v25, v23
	s_waitcnt vmcnt(4) lgkmcnt(3)
	v_pk_mul_f32 v[22:23], v[2:3], v[42:43] op_sel:[1,1] op_sel_hi:[0,1]
	v_pk_add_f32 v[20:21], v[20:21], v[24:25]
	v_pk_fma_f32 v[24:25], v[2:3], v[42:43], v[22:23] neg_lo:[0,0,1] neg_hi:[0,0,1]
	v_pk_fma_f32 v[2:3], v[2:3], v[42:43], v[22:23] op_sel_hi:[1,0,1]
	s_nop 0
	v_mov_b32_e32 v25, v3
	v_pk_add_f32 v[2:3], v[20:21], v[24:25]
	v_mov_b32_e32 v20, v45
	v_pk_mul_f32 v[20:21], v[4:5], v[20:21] op_sel:[1,0] op_sel_hi:[0,0]
	v_pk_fma_f32 v[22:23], v[4:5], v[44:45], v[20:21] neg_lo:[0,0,1] neg_hi:[0,0,1]
	v_pk_fma_f32 v[4:5], v[4:5], v[44:45], v[20:21] op_sel_hi:[1,0,1]
	s_nop 0
	v_mov_b32_e32 v23, v5
	s_waitcnt vmcnt(3) lgkmcnt(2)
	v_pk_mul_f32 v[4:5], v[6:7], v[26:27] op_sel:[1,1] op_sel_hi:[0,1]
	v_pk_fma_f32 v[20:21], v[6:7], v[26:27], v[4:5] neg_lo:[0,0,1] neg_hi:[0,0,1]
	v_pk_fma_f32 v[4:5], v[6:7], v[26:27], v[4:5] op_sel_hi:[1,0,1]
	v_pk_add_f32 v[2:3], v[2:3], v[22:23]
	v_mov_b32_e32 v4, v29
	v_mov_b32_e32 v21, v5
	v_pk_mul_f32 v[4:5], v[8:9], v[4:5] op_sel:[1,0] op_sel_hi:[0,0]
	v_pk_fma_f32 v[6:7], v[8:9], v[28:29], v[4:5] neg_lo:[0,0,1] neg_hi:[0,0,1]
	v_pk_fma_f32 v[4:5], v[8:9], v[28:29], v[4:5] op_sel_hi:[1,0,1]
	v_pk_add_f32 v[2:3], v[2:3], v[20:21]
	v_mov_b32_e32 v7, v5
	s_waitcnt vmcnt(2) lgkmcnt(1)
	v_pk_mul_f32 v[4:5], v[10:11], v[14:15] op_sel:[1,1] op_sel_hi:[0,1]
	v_pk_add_f32 v[2:3], v[2:3], v[6:7]
	v_pk_fma_f32 v[6:7], v[10:11], v[14:15], v[4:5] neg_lo:[0,0,1] neg_hi:[0,0,1]
	v_pk_fma_f32 v[4:5], v[10:11], v[14:15], v[4:5] op_sel_hi:[1,0,1]
	s_nop 0
	v_mov_b32_e32 v4, v17
	v_mov_b32_e32 v7, v5
	v_pk_mul_f32 v[4:5], v[12:13], v[4:5] op_sel:[1,0] op_sel_hi:[0,0]
	v_pk_add_f32 v[2:3], v[2:3], v[6:7]
	v_pk_fma_f32 v[6:7], v[12:13], v[16:17], v[4:5] neg_lo:[0,0,1] neg_hi:[0,0,1]
	v_pk_fma_f32 v[4:5], v[12:13], v[16:17], v[4:5] op_sel_hi:[1,0,1]
	s_nop 0
	v_mov_b32_e32 v7, v5
	s_waitcnt vmcnt(1) lgkmcnt(0)
	v_pk_mul_f32 v[4:5], v[18:19], v[54:55] op_sel:[1,1] op_sel_hi:[0,1]
	v_pk_add_f32 v[2:3], v[2:3], v[6:7]
	v_pk_fma_f32 v[6:7], v[18:19], v[54:55], v[4:5] neg_lo:[0,0,1] neg_hi:[0,0,1]
	v_pk_fma_f32 v[4:5], v[18:19], v[54:55], v[4:5] op_sel_hi:[1,0,1]
	s_nop 0
	v_mov_b32_e32 v7, v5
	v_pk_add_f32 v[2:3], v[2:3], v[6:7]
	s_waitcnt vmcnt(0)
	v_pk_add_f32 v[2:3], v[80:81], v[2:3] neg_lo:[0,1] neg_hi:[0,1]
	scratch_store_dwordx2 off, v[2:3], off offset:96
	s_and_saveexec_b64 s[0:1], vcc
	s_cbranch_execz .LBB39_231
; %bb.230:
	scratch_load_dwordx2 v[2:3], off, off offset:88
	v_mov_b32_e32 v83, v82
	scratch_store_dwordx2 off, v[82:83], off offset:88
	s_waitcnt vmcnt(1)
	ds_write_b64 v1, v[2:3]
.LBB39_231:
	s_or_b64 exec, exec, s[0:1]
	s_waitcnt lgkmcnt(0)
	; wave barrier
	scratch_load_dwordx4 v[18:21], off, off offset:96
	scratch_load_dwordx4 v[34:37], off, off offset:112
	;; [unrolled: 1-line block ×10, first 2 shown]
	ds_read_b128 v[84:87], v82 offset:416
	ds_read_b128 v[88:91], v82 offset:432
	;; [unrolled: 1-line block ×10, first 2 shown]
	scratch_load_dwordx4 v[54:57], off, off offset:256
	scratch_load_dwordx4 v[46:49], off, off offset:272
	;; [unrolled: 1-line block ×4, first 2 shown]
	scratch_load_dwordx2 v[100:101], off, off offset:88
	v_cmp_lt_u32_e32 vcc, 10, v0
	s_waitcnt vmcnt(14) lgkmcnt(9)
	v_mul_f32_e32 v83, v84, v19
	v_mul_f32_e32 v102, v86, v21
	s_waitcnt vmcnt(12) lgkmcnt(7)
	v_mul_f32_e32 v107, v92, v3
	v_mul_f32_e32 v3, v93, v3
	v_fmac_f32_e32 v83, v85, v18
	v_mul_f32_e32 v104, v88, v35
	v_fmac_f32_e32 v102, v87, v20
	v_fmac_f32_e32 v107, v93, v2
	v_fma_f32 v2, v92, v2, -v3
	v_add_f32_e32 v3, 0, v83
	v_mul_f32_e32 v106, v90, v37
	v_fmac_f32_e32 v104, v89, v34
	v_add_f32_e32 v3, v3, v102
	v_fmac_f32_e32 v106, v91, v36
	v_add_f32_e32 v3, v3, v104
	v_mul_f32_e32 v108, v94, v5
	v_add_f32_e32 v3, v3, v106
	s_waitcnt vmcnt(11) lgkmcnt(6)
	v_mul_f32_e32 v109, v96, v7
	v_fmac_f32_e32 v108, v95, v4
	v_add_f32_e32 v3, v3, v107
	v_mul_f32_e32 v110, v98, v9
	v_fmac_f32_e32 v109, v97, v6
	v_add_f32_e32 v3, v3, v108
	s_waitcnt vmcnt(10) lgkmcnt(5)
	v_mul_f32_e32 v111, v78, v11
	v_fmac_f32_e32 v110, v99, v8
	v_add_f32_e32 v3, v3, v109
	v_mul_f32_e32 v112, v80, v13
	v_fmac_f32_e32 v111, v79, v10
	;; [unrolled: 7-line block ×4, first 2 shown]
	v_add_f32_e32 v3, v3, v114
	s_waitcnt vmcnt(7) lgkmcnt(2)
	v_mul_f32_e32 v117, v66, v39
	v_mul_f32_e32 v19, v85, v19
	v_fmac_f32_e32 v116, v73, v28
	v_add_f32_e32 v3, v3, v115
	v_mul_f32_e32 v198, v68, v41
	v_mul_f32_e32 v21, v87, v21
	v_fmac_f32_e32 v117, v67, v38
	v_fma_f32 v18, v84, v18, -v19
	v_add_f32_e32 v3, v3, v116
	s_waitcnt vmcnt(6) lgkmcnt(1)
	v_mul_f32_e32 v199, v62, v43
	v_mul_f32_e32 v35, v89, v35
	v_fmac_f32_e32 v198, v69, v40
	v_fma_f32 v19, v86, v20, -v21
	v_add_f32_e32 v18, 0, v18
	v_add_f32_e32 v3, v3, v117
	v_mul_f32_e32 v200, v64, v45
	v_mul_f32_e32 v37, v91, v37
	v_fmac_f32_e32 v199, v63, v42
	v_fma_f32 v20, v88, v34, -v35
	v_add_f32_e32 v18, v18, v19
	v_add_f32_e32 v3, v3, v198
	v_fmac_f32_e32 v200, v65, v44
	v_fma_f32 v21, v90, v36, -v37
	v_add_f32_e32 v18, v18, v20
	v_add_f32_e32 v3, v3, v199
	;; [unrolled: 1-line block ×4, first 2 shown]
	v_mul_f32_e32 v3, v95, v5
	v_add_f32_e32 v2, v18, v2
	v_fma_f32 v3, v94, v4, -v3
	v_add_f32_e32 v2, v2, v3
	v_mul_f32_e32 v3, v97, v7
	v_fma_f32 v3, v96, v6, -v3
	v_add_f32_e32 v2, v2, v3
	v_mul_f32_e32 v3, v99, v9
	;; [unrolled: 3-line block ×12, first 2 shown]
	v_fma_f32 v3, v64, v44, -v3
	v_add_f32_e32 v34, v2, v3
	s_waitcnt vmcnt(5) lgkmcnt(0)
	v_mul_f32_e32 v2, v59, v51
	v_fma_f32 v102, v58, v50, -v2
	v_mul_f32_e32 v2, v61, v53
	v_fma_f32 v104, v60, v52, -v2
	ds_read_b128 v[2:5], v82 offset:576
	ds_read_b128 v[6:9], v82 offset:592
	;; [unrolled: 1-line block ×4, first 2 shown]
	v_mul_f32_e32 v103, v58, v51
	v_mul_f32_e32 v105, v60, v53
	v_fmac_f32_e32 v103, v59, v50
	s_waitcnt vmcnt(4) lgkmcnt(3)
	v_pk_mul_f32 v[24:25], v[2:3], v[54:55] op_sel:[1,1] op_sel_hi:[0,1]
	v_fmac_f32_e32 v105, v61, v52
	v_pk_add_f32 v[22:23], v[34:35], v[102:103]
	v_pk_fma_f32 v[26:27], v[2:3], v[54:55], v[24:25] neg_lo:[0,0,1] neg_hi:[0,0,1]
	v_pk_fma_f32 v[2:3], v[2:3], v[54:55], v[24:25] op_sel_hi:[1,0,1]
	v_pk_add_f32 v[22:23], v[22:23], v[104:105]
	v_mov_b32_e32 v27, v3
	v_pk_add_f32 v[2:3], v[22:23], v[26:27]
	v_mov_b32_e32 v22, v57
	v_pk_mul_f32 v[22:23], v[4:5], v[22:23] op_sel:[1,0] op_sel_hi:[0,0]
	v_pk_fma_f32 v[24:25], v[4:5], v[56:57], v[22:23] neg_lo:[0,0,1] neg_hi:[0,0,1]
	v_pk_fma_f32 v[4:5], v[4:5], v[56:57], v[22:23] op_sel_hi:[1,0,1]
	s_nop 0
	v_mov_b32_e32 v25, v5
	s_waitcnt vmcnt(3) lgkmcnt(2)
	v_pk_mul_f32 v[4:5], v[6:7], v[46:47] op_sel:[1,1] op_sel_hi:[0,1]
	v_pk_fma_f32 v[22:23], v[6:7], v[46:47], v[4:5] neg_lo:[0,0,1] neg_hi:[0,0,1]
	v_pk_fma_f32 v[4:5], v[6:7], v[46:47], v[4:5] op_sel_hi:[1,0,1]
	v_pk_add_f32 v[2:3], v[2:3], v[24:25]
	v_mov_b32_e32 v4, v49
	v_mov_b32_e32 v23, v5
	v_pk_mul_f32 v[4:5], v[8:9], v[4:5] op_sel:[1,0] op_sel_hi:[0,0]
	v_pk_fma_f32 v[6:7], v[8:9], v[48:49], v[4:5] neg_lo:[0,0,1] neg_hi:[0,0,1]
	v_pk_fma_f32 v[4:5], v[8:9], v[48:49], v[4:5] op_sel_hi:[1,0,1]
	v_pk_add_f32 v[2:3], v[2:3], v[22:23]
	v_mov_b32_e32 v7, v5
	s_waitcnt vmcnt(2) lgkmcnt(1)
	v_pk_mul_f32 v[4:5], v[10:11], v[30:31] op_sel:[1,1] op_sel_hi:[0,1]
	v_pk_add_f32 v[2:3], v[2:3], v[6:7]
	v_pk_fma_f32 v[6:7], v[10:11], v[30:31], v[4:5] neg_lo:[0,0,1] neg_hi:[0,0,1]
	v_pk_fma_f32 v[4:5], v[10:11], v[30:31], v[4:5] op_sel_hi:[1,0,1]
	s_nop 0
	v_mov_b32_e32 v4, v33
	v_mov_b32_e32 v7, v5
	v_pk_mul_f32 v[4:5], v[12:13], v[4:5] op_sel:[1,0] op_sel_hi:[0,0]
	v_pk_add_f32 v[2:3], v[2:3], v[6:7]
	v_pk_fma_f32 v[6:7], v[12:13], v[32:33], v[4:5] neg_lo:[0,0,1] neg_hi:[0,0,1]
	v_pk_fma_f32 v[4:5], v[12:13], v[32:33], v[4:5] op_sel_hi:[1,0,1]
	s_nop 0
	v_mov_b32_e32 v7, v5
	s_waitcnt vmcnt(1) lgkmcnt(0)
	v_pk_mul_f32 v[4:5], v[18:19], v[14:15] op_sel:[1,1] op_sel_hi:[0,1]
	v_pk_add_f32 v[2:3], v[2:3], v[6:7]
	v_pk_fma_f32 v[6:7], v[18:19], v[14:15], v[4:5] neg_lo:[0,0,1] neg_hi:[0,0,1]
	v_pk_fma_f32 v[4:5], v[18:19], v[14:15], v[4:5] op_sel_hi:[1,0,1]
	s_nop 0
	v_mov_b32_e32 v4, v17
	v_mov_b32_e32 v7, v5
	v_pk_mul_f32 v[4:5], v[20:21], v[4:5] op_sel:[1,0] op_sel_hi:[0,0]
	v_pk_add_f32 v[2:3], v[2:3], v[6:7]
	v_pk_fma_f32 v[6:7], v[20:21], v[16:17], v[4:5] neg_lo:[0,0,1] neg_hi:[0,0,1]
	v_pk_fma_f32 v[4:5], v[20:21], v[16:17], v[4:5] op_sel_hi:[1,0,1]
	s_nop 0
	v_mov_b32_e32 v7, v5
	v_pk_add_f32 v[2:3], v[2:3], v[6:7]
	s_waitcnt vmcnt(0)
	v_pk_add_f32 v[2:3], v[100:101], v[2:3] neg_lo:[0,1] neg_hi:[0,1]
	scratch_store_dwordx2 off, v[2:3], off offset:88
	s_and_saveexec_b64 s[0:1], vcc
	s_cbranch_execz .LBB39_233
; %bb.232:
	scratch_load_dwordx2 v[2:3], off, off offset:80
	v_mov_b32_e32 v4, 0
	v_mov_b32_e32 v5, v4
	scratch_store_dwordx2 off, v[4:5], off offset:80
	s_waitcnt vmcnt(1)
	ds_write_b64 v1, v[2:3]
.LBB39_233:
	s_or_b64 exec, exec, s[0:1]
	s_waitcnt lgkmcnt(0)
	; wave barrier
	scratch_load_dwordx4 v[18:21], off, off offset:88
	scratch_load_dwordx4 v[2:5], off, off offset:104
	;; [unrolled: 1-line block ×14, first 2 shown]
	scratch_load_dwordx2 v[58:59], off, off offset:312
	scratch_load_dwordx2 v[100:101], off, off offset:80
	v_mov_b32_e32 v102, 0
	ds_read2_b64 v[60:63], v102 offset0:51 offset1:52
	ds_read2_b64 v[64:67], v102 offset0:53 offset1:54
	;; [unrolled: 1-line block ×12, first 2 shown]
	v_cmp_lt_u32_e32 vcc, 9, v0
	s_waitcnt vmcnt(15) lgkmcnt(11)
	v_mul_f32_e32 v103, v60, v19
	v_mul_f32_e32 v112, v62, v21
	s_waitcnt vmcnt(14) lgkmcnt(10)
	v_mul_f32_e32 v114, v64, v3
	v_mul_f32_e32 v3, v65, v3
	v_fmac_f32_e32 v103, v61, v18
	v_fmac_f32_e32 v112, v63, v20
	;; [unrolled: 1-line block ×3, first 2 shown]
	v_fma_f32 v2, v64, v2, -v3
	v_add_f32_e32 v3, 0, v103
	v_mul_f32_e32 v116, v66, v5
	v_add_f32_e32 v3, v3, v112
	s_waitcnt vmcnt(13) lgkmcnt(9)
	v_mul_f32_e32 v117, v68, v7
	v_fmac_f32_e32 v116, v67, v4
	v_add_f32_e32 v3, v3, v114
	v_mul_f32_e32 v198, v70, v9
	v_fmac_f32_e32 v117, v69, v6
	v_add_f32_e32 v3, v3, v116
	s_waitcnt vmcnt(12) lgkmcnt(8)
	v_mul_f32_e32 v199, v72, v11
	v_fmac_f32_e32 v198, v71, v8
	v_add_f32_e32 v3, v3, v117
	v_mul_f32_e32 v200, v74, v13
	v_fmac_f32_e32 v199, v73, v10
	;; [unrolled: 7-line block ×6, first 2 shown]
	v_add_f32_e32 v3, v3, v206
	s_waitcnt vmcnt(7) lgkmcnt(3)
	v_mul_f32_e32 v209, v92, v43
	v_fmac_f32_e32 v208, v91, v40
	v_add_f32_e32 v3, v3, v207
	v_mul_f32_e32 v210, v94, v45
	v_mul_f32_e32 v19, v61, v19
	v_fmac_f32_e32 v209, v93, v42
	v_add_f32_e32 v3, v3, v208
	s_waitcnt vmcnt(6) lgkmcnt(2)
	v_mul_f32_e32 v211, v96, v51
	v_mul_f32_e32 v21, v63, v21
	v_fmac_f32_e32 v210, v95, v44
	v_fma_f32 v18, v60, v18, -v19
	v_add_f32_e32 v3, v3, v209
	v_fmac_f32_e32 v211, v97, v50
	v_fma_f32 v19, v62, v20, -v21
	v_add_f32_e32 v18, 0, v18
	v_add_f32_e32 v3, v3, v210
	;; [unrolled: 1-line block ×4, first 2 shown]
	v_mul_f32_e32 v3, v67, v5
	v_add_f32_e32 v2, v18, v2
	v_fma_f32 v3, v66, v4, -v3
	v_add_f32_e32 v2, v2, v3
	v_mul_f32_e32 v3, v69, v7
	v_fma_f32 v3, v68, v6, -v3
	v_add_f32_e32 v2, v2, v3
	v_mul_f32_e32 v3, v71, v9
	;; [unrolled: 3-line block ×15, first 2 shown]
	v_fma_f32 v3, v96, v50, -v3
	v_mul_f32_e32 v113, v98, v53
	v_add_f32_e32 v18, v2, v3
	v_mul_f32_e32 v2, v99, v53
	s_waitcnt vmcnt(5)
	v_mov_b32_e32 v14, v57
	s_waitcnt lgkmcnt(1)
	v_mul_f32_e32 v115, v104, v55
	v_fmac_f32_e32 v113, v99, v52
	v_fma_f32 v112, v98, v52, -v2
	v_mul_f32_e32 v2, v105, v55
	v_pk_mul_f32 v[14:15], v[106:107], v[14:15] op_sel:[1,0] op_sel_hi:[0,0]
	v_fmac_f32_e32 v115, v105, v54
	v_fma_f32 v114, v104, v54, -v2
	v_pk_add_f32 v[12:13], v[18:19], v[112:113]
	v_pk_fma_f32 v[16:17], v[106:107], v[56:57], v[14:15] neg_lo:[0,0,1] neg_hi:[0,0,1]
	v_pk_fma_f32 v[14:15], v[106:107], v[56:57], v[14:15] op_sel_hi:[1,0,1]
	v_pk_add_f32 v[12:13], v[12:13], v[114:115]
	v_mov_b32_e32 v17, v15
	s_waitcnt vmcnt(4) lgkmcnt(0)
	v_pk_mul_f32 v[14:15], v[108:109], v[46:47] op_sel:[1,1] op_sel_hi:[0,1]
	v_pk_add_f32 v[12:13], v[12:13], v[16:17]
	v_pk_fma_f32 v[16:17], v[108:109], v[46:47], v[14:15] neg_lo:[0,0,1] neg_hi:[0,0,1]
	v_pk_fma_f32 v[14:15], v[108:109], v[46:47], v[14:15] op_sel_hi:[1,0,1]
	ds_read2_b64 v[2:5], v102 offset0:75 offset1:76
	ds_read2_b64 v[6:9], v102 offset0:77 offset1:78
	ds_read_b64 v[10:11], v102 offset:632
	v_mov_b32_e32 v14, v49
	v_mov_b32_e32 v17, v15
	v_pk_mul_f32 v[14:15], v[110:111], v[14:15] op_sel:[1,0] op_sel_hi:[0,0]
	v_pk_add_f32 v[12:13], v[12:13], v[16:17]
	v_pk_fma_f32 v[16:17], v[110:111], v[48:49], v[14:15] neg_lo:[0,0,1] neg_hi:[0,0,1]
	v_pk_fma_f32 v[14:15], v[110:111], v[48:49], v[14:15] op_sel_hi:[1,0,1]
	s_nop 0
	v_mov_b32_e32 v17, v15
	s_waitcnt vmcnt(3) lgkmcnt(2)
	v_pk_mul_f32 v[14:15], v[2:3], v[34:35] op_sel:[1,1] op_sel_hi:[0,1]
	v_pk_add_f32 v[12:13], v[12:13], v[16:17]
	v_pk_fma_f32 v[16:17], v[2:3], v[34:35], v[14:15] neg_lo:[0,0,1] neg_hi:[0,0,1]
	v_pk_fma_f32 v[2:3], v[2:3], v[34:35], v[14:15] op_sel_hi:[1,0,1]
	s_nop 0
	v_mov_b32_e32 v17, v3
	v_pk_add_f32 v[2:3], v[12:13], v[16:17]
	v_mov_b32_e32 v12, v37
	v_pk_mul_f32 v[12:13], v[4:5], v[12:13] op_sel:[1,0] op_sel_hi:[0,0]
	v_pk_fma_f32 v[14:15], v[4:5], v[36:37], v[12:13] neg_lo:[0,0,1] neg_hi:[0,0,1]
	v_pk_fma_f32 v[4:5], v[4:5], v[36:37], v[12:13] op_sel_hi:[1,0,1]
	s_nop 0
	v_mov_b32_e32 v15, v5
	s_waitcnt vmcnt(2) lgkmcnt(1)
	v_pk_mul_f32 v[4:5], v[6:7], v[22:23] op_sel:[1,1] op_sel_hi:[0,1]
	v_pk_fma_f32 v[12:13], v[6:7], v[22:23], v[4:5] neg_lo:[0,0,1] neg_hi:[0,0,1]
	v_pk_fma_f32 v[4:5], v[6:7], v[22:23], v[4:5] op_sel_hi:[1,0,1]
	v_pk_add_f32 v[2:3], v[2:3], v[14:15]
	v_mov_b32_e32 v4, v25
	v_mov_b32_e32 v13, v5
	v_pk_mul_f32 v[4:5], v[8:9], v[4:5] op_sel:[1,0] op_sel_hi:[0,0]
	v_pk_fma_f32 v[6:7], v[8:9], v[24:25], v[4:5] neg_lo:[0,0,1] neg_hi:[0,0,1]
	v_pk_fma_f32 v[4:5], v[8:9], v[24:25], v[4:5] op_sel_hi:[1,0,1]
	v_pk_add_f32 v[2:3], v[2:3], v[12:13]
	v_mov_b32_e32 v7, v5
	s_waitcnt vmcnt(1) lgkmcnt(0)
	v_pk_mul_f32 v[4:5], v[10:11], v[58:59] op_sel:[1,1] op_sel_hi:[0,1]
	v_pk_add_f32 v[2:3], v[2:3], v[6:7]
	v_pk_fma_f32 v[6:7], v[10:11], v[58:59], v[4:5] neg_lo:[0,0,1] neg_hi:[0,0,1]
	v_pk_fma_f32 v[4:5], v[10:11], v[58:59], v[4:5] op_sel_hi:[1,0,1]
	s_nop 0
	v_mov_b32_e32 v7, v5
	v_pk_add_f32 v[2:3], v[2:3], v[6:7]
	s_waitcnt vmcnt(0)
	v_pk_add_f32 v[2:3], v[100:101], v[2:3] neg_lo:[0,1] neg_hi:[0,1]
	scratch_store_dwordx2 off, v[2:3], off offset:80
	s_and_saveexec_b64 s[0:1], vcc
	s_cbranch_execz .LBB39_235
; %bb.234:
	scratch_load_dwordx2 v[2:3], off, off offset:72
	v_mov_b32_e32 v103, v102
	scratch_store_dwordx2 off, v[102:103], off offset:72
	s_waitcnt vmcnt(1)
	ds_write_b64 v1, v[2:3]
.LBB39_235:
	s_or_b64 exec, exec, s[0:1]
	s_waitcnt lgkmcnt(0)
	; wave barrier
	scratch_load_dwordx4 v[22:25], off, off offset:80
	scratch_load_dwordx4 v[2:5], off, off offset:96
	scratch_load_dwordx4 v[6:9], off, off offset:112
	scratch_load_dwordx4 v[10:13], off, off offset:128
	scratch_load_dwordx4 v[14:17], off, off offset:144
	scratch_load_dwordx4 v[18:21], off, off offset:160
	scratch_load_dwordx4 v[30:33], off, off offset:176
	scratch_load_dwordx4 v[34:37], off, off offset:192
	scratch_load_dwordx4 v[42:45], off, off offset:208
	scratch_load_dwordx4 v[46:49], off, off offset:224
	scratch_load_dwordx4 v[54:57], off, off offset:240
	ds_read_b128 v[104:107], v102 offset:400
	ds_read_b128 v[98:101], v102 offset:416
	ds_read_b128 v[94:97], v102 offset:432
	ds_read_b128 v[90:93], v102 offset:448
	ds_read_b128 v[86:89], v102 offset:464
	ds_read_b128 v[82:85], v102 offset:480
	ds_read_b128 v[74:77], v102 offset:496
	ds_read_b128 v[70:73], v102 offset:512
	ds_read_b128 v[66:69], v102 offset:528
	ds_read_b128 v[62:65], v102 offset:544
	scratch_load_dwordx4 v[58:61], off, off offset:256
	scratch_load_dwordx4 v[50:53], off, off offset:272
	;; [unrolled: 1-line block ×4, first 2 shown]
	ds_read_b128 v[78:81], v102 offset:560
	ds_read_b128 v[108:111], v102 offset:576
	scratch_load_dwordx2 v[112:113], off, off offset:72
	v_cmp_lt_u32_e32 vcc, 8, v0
	s_waitcnt vmcnt(15) lgkmcnt(11)
	v_mul_f32_e32 v103, v104, v23
	v_mul_f32_e32 v114, v106, v25
	s_waitcnt vmcnt(14) lgkmcnt(10)
	v_mul_f32_e32 v116, v98, v3
	v_mul_f32_e32 v3, v99, v3
	v_fmac_f32_e32 v103, v105, v22
	v_fmac_f32_e32 v114, v107, v24
	;; [unrolled: 1-line block ×3, first 2 shown]
	v_fma_f32 v2, v98, v2, -v3
	v_add_f32_e32 v3, 0, v103
	v_mul_f32_e32 v198, v100, v5
	v_add_f32_e32 v3, v3, v114
	s_waitcnt vmcnt(13) lgkmcnt(9)
	v_mul_f32_e32 v199, v94, v7
	v_fmac_f32_e32 v198, v101, v4
	v_add_f32_e32 v3, v3, v116
	v_mul_f32_e32 v200, v96, v9
	v_fmac_f32_e32 v199, v95, v6
	v_add_f32_e32 v3, v3, v198
	s_waitcnt vmcnt(12) lgkmcnt(8)
	v_mul_f32_e32 v201, v90, v11
	v_fmac_f32_e32 v200, v97, v8
	v_add_f32_e32 v3, v3, v199
	v_mul_f32_e32 v202, v92, v13
	v_fmac_f32_e32 v201, v91, v10
	;; [unrolled: 7-line block ×7, first 2 shown]
	v_add_f32_e32 v3, v3, v210
	s_waitcnt vmcnt(6) lgkmcnt(2)
	v_mul_f32_e32 v213, v62, v47
	v_mul_f32_e32 v23, v105, v23
	v_fmac_f32_e32 v212, v69, v44
	v_add_f32_e32 v3, v3, v211
	v_mul_f32_e32 v214, v64, v49
	v_mul_f32_e32 v25, v107, v25
	v_fmac_f32_e32 v213, v63, v46
	v_fma_f32 v22, v104, v22, -v23
	v_add_f32_e32 v3, v3, v212
	v_fmac_f32_e32 v214, v65, v48
	v_fma_f32 v23, v106, v24, -v25
	v_add_f32_e32 v22, 0, v22
	v_add_f32_e32 v3, v3, v213
	;; [unrolled: 1-line block ×4, first 2 shown]
	v_mul_f32_e32 v3, v101, v5
	v_add_f32_e32 v2, v22, v2
	v_fma_f32 v3, v100, v4, -v3
	v_add_f32_e32 v2, v2, v3
	v_mul_f32_e32 v3, v95, v7
	v_fma_f32 v3, v94, v6, -v3
	v_add_f32_e32 v2, v2, v3
	v_mul_f32_e32 v3, v97, v9
	;; [unrolled: 3-line block ×16, first 2 shown]
	v_fma_f32 v3, v64, v48, -v3
	s_waitcnt vmcnt(5) lgkmcnt(1)
	v_mul_f32_e32 v115, v78, v55
	v_add_f32_e32 v22, v2, v3
	v_mul_f32_e32 v2, v79, v55
	s_waitcnt vmcnt(4) lgkmcnt(0)
	v_pk_mul_f32 v[16:17], v[108:109], v[58:59] op_sel:[1,1] op_sel_hi:[0,1]
	v_mul_f32_e32 v117, v80, v57
	v_fmac_f32_e32 v115, v79, v54
	v_fma_f32 v114, v78, v54, -v2
	v_mul_f32_e32 v2, v81, v57
	v_pk_fma_f32 v[18:19], v[108:109], v[58:59], v[16:17] neg_lo:[0,0,1] neg_hi:[0,0,1]
	v_pk_fma_f32 v[16:17], v[108:109], v[58:59], v[16:17] op_sel_hi:[1,0,1]
	v_fmac_f32_e32 v117, v81, v56
	v_fma_f32 v116, v80, v56, -v2
	ds_read_b128 v[2:5], v102 offset:592
	ds_read_b128 v[6:9], v102 offset:608
	;; [unrolled: 1-line block ×3, first 2 shown]
	v_pk_add_f32 v[14:15], v[22:23], v[114:115]
	v_mov_b32_e32 v16, v61
	v_pk_add_f32 v[14:15], v[14:15], v[116:117]
	v_mov_b32_e32 v19, v17
	v_pk_mul_f32 v[16:17], v[110:111], v[16:17] op_sel:[1,0] op_sel_hi:[0,0]
	v_pk_add_f32 v[14:15], v[14:15], v[18:19]
	v_pk_fma_f32 v[18:19], v[110:111], v[60:61], v[16:17] neg_lo:[0,0,1] neg_hi:[0,0,1]
	v_pk_fma_f32 v[16:17], v[110:111], v[60:61], v[16:17] op_sel_hi:[1,0,1]
	s_nop 0
	v_mov_b32_e32 v19, v17
	s_waitcnt vmcnt(3) lgkmcnt(2)
	v_pk_mul_f32 v[16:17], v[2:3], v[50:51] op_sel:[1,1] op_sel_hi:[0,1]
	v_pk_add_f32 v[14:15], v[14:15], v[18:19]
	v_pk_fma_f32 v[18:19], v[2:3], v[50:51], v[16:17] neg_lo:[0,0,1] neg_hi:[0,0,1]
	v_pk_fma_f32 v[2:3], v[2:3], v[50:51], v[16:17] op_sel_hi:[1,0,1]
	s_nop 0
	v_mov_b32_e32 v19, v3
	v_pk_add_f32 v[2:3], v[14:15], v[18:19]
	v_mov_b32_e32 v14, v53
	v_pk_mul_f32 v[14:15], v[4:5], v[14:15] op_sel:[1,0] op_sel_hi:[0,0]
	v_pk_fma_f32 v[16:17], v[4:5], v[52:53], v[14:15] neg_lo:[0,0,1] neg_hi:[0,0,1]
	v_pk_fma_f32 v[4:5], v[4:5], v[52:53], v[14:15] op_sel_hi:[1,0,1]
	s_nop 0
	v_mov_b32_e32 v17, v5
	s_waitcnt vmcnt(2) lgkmcnt(1)
	v_pk_mul_f32 v[4:5], v[6:7], v[38:39] op_sel:[1,1] op_sel_hi:[0,1]
	v_pk_fma_f32 v[14:15], v[6:7], v[38:39], v[4:5] neg_lo:[0,0,1] neg_hi:[0,0,1]
	v_pk_fma_f32 v[4:5], v[6:7], v[38:39], v[4:5] op_sel_hi:[1,0,1]
	v_pk_add_f32 v[2:3], v[2:3], v[16:17]
	v_mov_b32_e32 v4, v41
	v_mov_b32_e32 v15, v5
	v_pk_mul_f32 v[4:5], v[8:9], v[4:5] op_sel:[1,0] op_sel_hi:[0,0]
	v_pk_fma_f32 v[6:7], v[8:9], v[40:41], v[4:5] neg_lo:[0,0,1] neg_hi:[0,0,1]
	v_pk_fma_f32 v[4:5], v[8:9], v[40:41], v[4:5] op_sel_hi:[1,0,1]
	v_pk_add_f32 v[2:3], v[2:3], v[14:15]
	v_mov_b32_e32 v7, v5
	s_waitcnt vmcnt(1) lgkmcnt(0)
	v_pk_mul_f32 v[4:5], v[10:11], v[26:27] op_sel:[1,1] op_sel_hi:[0,1]
	v_pk_add_f32 v[2:3], v[2:3], v[6:7]
	v_pk_fma_f32 v[6:7], v[10:11], v[26:27], v[4:5] neg_lo:[0,0,1] neg_hi:[0,0,1]
	v_pk_fma_f32 v[4:5], v[10:11], v[26:27], v[4:5] op_sel_hi:[1,0,1]
	s_nop 0
	v_mov_b32_e32 v4, v29
	v_mov_b32_e32 v7, v5
	v_pk_mul_f32 v[4:5], v[12:13], v[4:5] op_sel:[1,0] op_sel_hi:[0,0]
	v_pk_add_f32 v[2:3], v[2:3], v[6:7]
	v_pk_fma_f32 v[6:7], v[12:13], v[28:29], v[4:5] neg_lo:[0,0,1] neg_hi:[0,0,1]
	v_pk_fma_f32 v[4:5], v[12:13], v[28:29], v[4:5] op_sel_hi:[1,0,1]
	s_nop 0
	v_mov_b32_e32 v7, v5
	v_pk_add_f32 v[2:3], v[2:3], v[6:7]
	s_waitcnt vmcnt(0)
	v_pk_add_f32 v[2:3], v[112:113], v[2:3] neg_lo:[0,1] neg_hi:[0,1]
	scratch_store_dwordx2 off, v[2:3], off offset:72
	s_and_saveexec_b64 s[0:1], vcc
	s_cbranch_execz .LBB39_237
; %bb.236:
	scratch_load_dwordx2 v[2:3], off, off offset:64
	v_mov_b32_e32 v4, 0
	v_mov_b32_e32 v5, v4
	scratch_store_dwordx2 off, v[4:5], off offset:64
	s_waitcnt vmcnt(1)
	ds_write_b64 v1, v[2:3]
.LBB39_237:
	s_or_b64 exec, exec, s[0:1]
	s_waitcnt lgkmcnt(0)
	; wave barrier
	scratch_load_dwordx4 v[2:5], off, off offset:72
	scratch_load_dwordx4 v[6:9], off, off offset:88
	;; [unrolled: 1-line block ×15, first 2 shown]
	scratch_load_dwordx2 v[62:63], off, off offset:312
	scratch_load_dwordx2 v[112:113], off, off offset:64
	v_mov_b32_e32 v114, 0
	ds_read2_b64 v[64:67], v114 offset0:49 offset1:50
	ds_read2_b64 v[68:71], v114 offset0:51 offset1:52
	;; [unrolled: 1-line block ×12, first 2 shown]
	v_cmp_lt_u32_e32 vcc, 7, v0
	s_waitcnt vmcnt(16) lgkmcnt(11)
	v_mul_f32_e32 v115, v64, v3
	v_mul_f32_e32 v116, v66, v5
	;; [unrolled: 1-line block ×3, first 2 shown]
	v_fmac_f32_e32 v115, v65, v2
	s_waitcnt vmcnt(15) lgkmcnt(10)
	v_mul_f32_e32 v198, v68, v7
	v_fmac_f32_e32 v116, v67, v4
	v_fma_f32 v2, v64, v2, -v3
	v_add_f32_e32 v3, 0, v115
	v_mul_f32_e32 v200, v70, v9
	v_fmac_f32_e32 v198, v69, v6
	v_add_f32_e32 v3, v3, v116
	s_waitcnt vmcnt(14) lgkmcnt(9)
	v_mul_f32_e32 v201, v72, v11
	v_fmac_f32_e32 v200, v71, v8
	v_add_f32_e32 v3, v3, v198
	v_mul_f32_e32 v202, v74, v13
	v_fmac_f32_e32 v201, v73, v10
	v_add_f32_e32 v3, v3, v200
	s_waitcnt vmcnt(13) lgkmcnt(8)
	v_mul_f32_e32 v203, v76, v15
	v_fmac_f32_e32 v202, v75, v12
	;; [unrolled: 7-line block ×9, first 2 shown]
	v_add_f32_e32 v3, v3, v215
	v_mul_f32_e32 v5, v67, v5
	v_fmac_f32_e32 v217, v105, v58
	v_add_f32_e32 v3, v3, v216
	v_add_f32_e32 v2, 0, v2
	;; [unrolled: 1-line block ×3, first 2 shown]
	v_fma_f32 v3, v66, v4, -v5
	v_add_f32_e32 v2, v2, v3
	v_mul_f32_e32 v3, v69, v7
	v_fma_f32 v3, v68, v6, -v3
	v_add_f32_e32 v2, v2, v3
	v_mul_f32_e32 v3, v71, v9
	;; [unrolled: 3-line block ×20, first 2 shown]
	v_mul_f32_e32 v117, v106, v61
	v_fma_f32 v116, v106, v60, -v2
	s_waitcnt vmcnt(5) lgkmcnt(0)
	v_mul_f32_e32 v2, v109, v55
	v_mov_b32_e32 v18, v57
	v_mul_f32_e32 v199, v108, v55
	v_fmac_f32_e32 v117, v107, v60
	v_fma_f32 v198, v108, v54, -v2
	ds_read2_b64 v[2:5], v114 offset0:73 offset1:74
	ds_read2_b64 v[6:9], v114 offset0:75 offset1:76
	;; [unrolled: 1-line block ×3, first 2 shown]
	ds_read_b64 v[14:15], v114 offset:632
	v_pk_mul_f32 v[18:19], v[110:111], v[18:19] op_sel:[1,0] op_sel_hi:[0,0]
	v_fmac_f32_e32 v199, v109, v54
	v_pk_add_f32 v[16:17], v[64:65], v[116:117]
	v_pk_fma_f32 v[20:21], v[110:111], v[56:57], v[18:19] neg_lo:[0,0,1] neg_hi:[0,0,1]
	v_pk_fma_f32 v[18:19], v[110:111], v[56:57], v[18:19] op_sel_hi:[1,0,1]
	v_pk_add_f32 v[16:17], v[16:17], v[198:199]
	v_mov_b32_e32 v21, v19
	s_waitcnt vmcnt(4) lgkmcnt(3)
	v_pk_mul_f32 v[18:19], v[2:3], v[50:51] op_sel:[1,1] op_sel_hi:[0,1]
	v_pk_add_f32 v[16:17], v[16:17], v[20:21]
	v_pk_fma_f32 v[20:21], v[2:3], v[50:51], v[18:19] neg_lo:[0,0,1] neg_hi:[0,0,1]
	v_pk_fma_f32 v[2:3], v[2:3], v[50:51], v[18:19] op_sel_hi:[1,0,1]
	s_nop 0
	v_mov_b32_e32 v21, v3
	v_pk_add_f32 v[2:3], v[16:17], v[20:21]
	v_mov_b32_e32 v16, v53
	v_pk_mul_f32 v[16:17], v[4:5], v[16:17] op_sel:[1,0] op_sel_hi:[0,0]
	v_pk_fma_f32 v[18:19], v[4:5], v[52:53], v[16:17] neg_lo:[0,0,1] neg_hi:[0,0,1]
	v_pk_fma_f32 v[4:5], v[4:5], v[52:53], v[16:17] op_sel_hi:[1,0,1]
	s_nop 0
	v_mov_b32_e32 v19, v5
	s_waitcnt vmcnt(3) lgkmcnt(2)
	v_pk_mul_f32 v[4:5], v[6:7], v[38:39] op_sel:[1,1] op_sel_hi:[0,1]
	v_pk_fma_f32 v[16:17], v[6:7], v[38:39], v[4:5] neg_lo:[0,0,1] neg_hi:[0,0,1]
	v_pk_fma_f32 v[4:5], v[6:7], v[38:39], v[4:5] op_sel_hi:[1,0,1]
	v_pk_add_f32 v[2:3], v[2:3], v[18:19]
	v_mov_b32_e32 v4, v41
	v_mov_b32_e32 v17, v5
	v_pk_mul_f32 v[4:5], v[8:9], v[4:5] op_sel:[1,0] op_sel_hi:[0,0]
	v_pk_fma_f32 v[6:7], v[8:9], v[40:41], v[4:5] neg_lo:[0,0,1] neg_hi:[0,0,1]
	v_pk_fma_f32 v[4:5], v[8:9], v[40:41], v[4:5] op_sel_hi:[1,0,1]
	v_pk_add_f32 v[2:3], v[2:3], v[16:17]
	v_mov_b32_e32 v7, v5
	s_waitcnt vmcnt(2) lgkmcnt(1)
	v_pk_mul_f32 v[4:5], v[10:11], v[26:27] op_sel:[1,1] op_sel_hi:[0,1]
	v_pk_add_f32 v[2:3], v[2:3], v[6:7]
	v_pk_fma_f32 v[6:7], v[10:11], v[26:27], v[4:5] neg_lo:[0,0,1] neg_hi:[0,0,1]
	v_pk_fma_f32 v[4:5], v[10:11], v[26:27], v[4:5] op_sel_hi:[1,0,1]
	s_nop 0
	v_mov_b32_e32 v4, v29
	v_mov_b32_e32 v7, v5
	v_pk_mul_f32 v[4:5], v[12:13], v[4:5] op_sel:[1,0] op_sel_hi:[0,0]
	v_pk_add_f32 v[2:3], v[2:3], v[6:7]
	v_pk_fma_f32 v[6:7], v[12:13], v[28:29], v[4:5] neg_lo:[0,0,1] neg_hi:[0,0,1]
	v_pk_fma_f32 v[4:5], v[12:13], v[28:29], v[4:5] op_sel_hi:[1,0,1]
	s_nop 0
	v_mov_b32_e32 v7, v5
	s_waitcnt vmcnt(1) lgkmcnt(0)
	v_pk_mul_f32 v[4:5], v[14:15], v[62:63] op_sel:[1,1] op_sel_hi:[0,1]
	v_pk_add_f32 v[2:3], v[2:3], v[6:7]
	v_pk_fma_f32 v[6:7], v[14:15], v[62:63], v[4:5] neg_lo:[0,0,1] neg_hi:[0,0,1]
	v_pk_fma_f32 v[4:5], v[14:15], v[62:63], v[4:5] op_sel_hi:[1,0,1]
	s_nop 0
	v_mov_b32_e32 v7, v5
	v_pk_add_f32 v[2:3], v[2:3], v[6:7]
	s_waitcnt vmcnt(0)
	v_pk_add_f32 v[2:3], v[112:113], v[2:3] neg_lo:[0,1] neg_hi:[0,1]
	scratch_store_dwordx2 off, v[2:3], off offset:64
	s_and_saveexec_b64 s[0:1], vcc
	s_cbranch_execz .LBB39_239
; %bb.238:
	scratch_load_dwordx2 v[2:3], off, off offset:56
	v_mov_b32_e32 v115, v114
	scratch_store_dwordx2 off, v[114:115], off offset:56
	s_waitcnt vmcnt(1)
	ds_write_b64 v1, v[2:3]
.LBB39_239:
	s_or_b64 exec, exec, s[0:1]
	s_waitcnt lgkmcnt(0)
	; wave barrier
	scratch_load_dwordx4 v[2:5], off, off offset:64
	scratch_load_dwordx4 v[6:9], off, off offset:80
	;; [unrolled: 1-line block ×12, first 2 shown]
	ds_read_b128 v[110:113], v114 offset:384
	ds_read_b128 v[106:109], v114 offset:400
	;; [unrolled: 1-line block ×12, first 2 shown]
	scratch_load_dwordx4 v[62:65], off, off offset:256
	scratch_load_dwordx4 v[54:57], off, off offset:272
	;; [unrolled: 1-line block ×4, first 2 shown]
	scratch_load_dwordx2 v[116:117], off, off offset:56
	v_cmp_lt_u32_e32 vcc, 6, v0
	s_waitcnt vmcnt(16) lgkmcnt(11)
	v_mul_f32_e32 v115, v110, v3
	v_mul_f32_e32 v198, v112, v5
	;; [unrolled: 1-line block ×3, first 2 shown]
	v_fmac_f32_e32 v115, v111, v2
	s_waitcnt vmcnt(15) lgkmcnt(10)
	v_mul_f32_e32 v200, v106, v7
	v_fmac_f32_e32 v198, v113, v4
	v_fma_f32 v2, v110, v2, -v3
	v_add_f32_e32 v3, 0, v115
	v_mul_f32_e32 v202, v108, v9
	v_fmac_f32_e32 v200, v107, v6
	v_add_f32_e32 v3, v3, v198
	s_waitcnt vmcnt(14) lgkmcnt(9)
	v_mul_f32_e32 v203, v102, v11
	v_fmac_f32_e32 v202, v109, v8
	v_add_f32_e32 v3, v3, v200
	v_mul_f32_e32 v204, v104, v13
	v_fmac_f32_e32 v203, v103, v10
	v_add_f32_e32 v3, v3, v202
	s_waitcnt vmcnt(13) lgkmcnt(8)
	v_mul_f32_e32 v205, v98, v15
	v_fmac_f32_e32 v204, v105, v12
	;; [unrolled: 7-line block ×9, first 2 shown]
	v_add_f32_e32 v3, v3, v217
	v_mul_f32_e32 v220, v72, v53
	v_fmac_f32_e32 v219, v71, v50
	v_add_f32_e32 v3, v3, v218
	v_fmac_f32_e32 v220, v73, v52
	v_add_f32_e32 v3, v3, v219
	v_add_f32_e32 v111, v3, v220
	v_mul_f32_e32 v3, v113, v5
	v_add_f32_e32 v2, 0, v2
	v_fma_f32 v3, v112, v4, -v3
	v_add_f32_e32 v2, v2, v3
	v_mul_f32_e32 v3, v107, v7
	v_fma_f32 v3, v106, v6, -v3
	v_add_f32_e32 v2, v2, v3
	v_mul_f32_e32 v3, v109, v9
	;; [unrolled: 3-line block ×20, first 2 shown]
	v_fma_f32 v3, v72, v52, -v3
	v_add_f32_e32 v110, v2, v3
	s_waitcnt vmcnt(5) lgkmcnt(0)
	v_mul_f32_e32 v2, v67, v59
	v_fma_f32 v198, v66, v58, -v2
	v_mul_f32_e32 v2, v69, v61
	v_fma_f32 v200, v68, v60, -v2
	ds_read_b128 v[2:5], v114 offset:576
	ds_read_b128 v[6:9], v114 offset:592
	;; [unrolled: 1-line block ×4, first 2 shown]
	v_mul_f32_e32 v199, v66, v59
	v_mul_f32_e32 v201, v68, v61
	v_fmac_f32_e32 v199, v67, v58
	s_waitcnt vmcnt(4) lgkmcnt(3)
	v_pk_mul_f32 v[20:21], v[2:3], v[62:63] op_sel:[1,1] op_sel_hi:[0,1]
	v_fmac_f32_e32 v201, v69, v60
	v_pk_add_f32 v[18:19], v[110:111], v[198:199]
	v_pk_fma_f32 v[22:23], v[2:3], v[62:63], v[20:21] neg_lo:[0,0,1] neg_hi:[0,0,1]
	v_pk_fma_f32 v[2:3], v[2:3], v[62:63], v[20:21] op_sel_hi:[1,0,1]
	v_pk_add_f32 v[18:19], v[18:19], v[200:201]
	v_mov_b32_e32 v23, v3
	v_pk_add_f32 v[2:3], v[18:19], v[22:23]
	v_mov_b32_e32 v18, v65
	v_pk_mul_f32 v[18:19], v[4:5], v[18:19] op_sel:[1,0] op_sel_hi:[0,0]
	v_pk_fma_f32 v[20:21], v[4:5], v[64:65], v[18:19] neg_lo:[0,0,1] neg_hi:[0,0,1]
	v_pk_fma_f32 v[4:5], v[4:5], v[64:65], v[18:19] op_sel_hi:[1,0,1]
	s_nop 0
	v_mov_b32_e32 v21, v5
	s_waitcnt vmcnt(3) lgkmcnt(2)
	v_pk_mul_f32 v[4:5], v[6:7], v[54:55] op_sel:[1,1] op_sel_hi:[0,1]
	v_pk_fma_f32 v[18:19], v[6:7], v[54:55], v[4:5] neg_lo:[0,0,1] neg_hi:[0,0,1]
	v_pk_fma_f32 v[4:5], v[6:7], v[54:55], v[4:5] op_sel_hi:[1,0,1]
	v_pk_add_f32 v[2:3], v[2:3], v[20:21]
	v_mov_b32_e32 v4, v57
	v_mov_b32_e32 v19, v5
	v_pk_mul_f32 v[4:5], v[8:9], v[4:5] op_sel:[1,0] op_sel_hi:[0,0]
	v_pk_fma_f32 v[6:7], v[8:9], v[56:57], v[4:5] neg_lo:[0,0,1] neg_hi:[0,0,1]
	v_pk_fma_f32 v[4:5], v[8:9], v[56:57], v[4:5] op_sel_hi:[1,0,1]
	v_pk_add_f32 v[2:3], v[2:3], v[18:19]
	v_mov_b32_e32 v7, v5
	s_waitcnt vmcnt(2) lgkmcnt(1)
	v_pk_mul_f32 v[4:5], v[10:11], v[42:43] op_sel:[1,1] op_sel_hi:[0,1]
	v_pk_add_f32 v[2:3], v[2:3], v[6:7]
	v_pk_fma_f32 v[6:7], v[10:11], v[42:43], v[4:5] neg_lo:[0,0,1] neg_hi:[0,0,1]
	v_pk_fma_f32 v[4:5], v[10:11], v[42:43], v[4:5] op_sel_hi:[1,0,1]
	s_nop 0
	v_mov_b32_e32 v4, v45
	v_mov_b32_e32 v7, v5
	v_pk_mul_f32 v[4:5], v[12:13], v[4:5] op_sel:[1,0] op_sel_hi:[0,0]
	v_pk_add_f32 v[2:3], v[2:3], v[6:7]
	v_pk_fma_f32 v[6:7], v[12:13], v[44:45], v[4:5] neg_lo:[0,0,1] neg_hi:[0,0,1]
	v_pk_fma_f32 v[4:5], v[12:13], v[44:45], v[4:5] op_sel_hi:[1,0,1]
	s_nop 0
	v_mov_b32_e32 v7, v5
	s_waitcnt vmcnt(1) lgkmcnt(0)
	v_pk_mul_f32 v[4:5], v[14:15], v[34:35] op_sel:[1,1] op_sel_hi:[0,1]
	v_pk_add_f32 v[2:3], v[2:3], v[6:7]
	v_pk_fma_f32 v[6:7], v[14:15], v[34:35], v[4:5] neg_lo:[0,0,1] neg_hi:[0,0,1]
	v_pk_fma_f32 v[4:5], v[14:15], v[34:35], v[4:5] op_sel_hi:[1,0,1]
	s_nop 0
	v_mov_b32_e32 v4, v37
	v_mov_b32_e32 v7, v5
	v_pk_mul_f32 v[4:5], v[16:17], v[4:5] op_sel:[1,0] op_sel_hi:[0,0]
	v_pk_add_f32 v[2:3], v[2:3], v[6:7]
	v_pk_fma_f32 v[6:7], v[16:17], v[36:37], v[4:5] neg_lo:[0,0,1] neg_hi:[0,0,1]
	v_pk_fma_f32 v[4:5], v[16:17], v[36:37], v[4:5] op_sel_hi:[1,0,1]
	s_nop 0
	v_mov_b32_e32 v7, v5
	v_pk_add_f32 v[2:3], v[2:3], v[6:7]
	s_waitcnt vmcnt(0)
	v_pk_add_f32 v[2:3], v[116:117], v[2:3] neg_lo:[0,1] neg_hi:[0,1]
	scratch_store_dwordx2 off, v[2:3], off offset:56
	s_and_saveexec_b64 s[0:1], vcc
	s_cbranch_execz .LBB39_241
; %bb.240:
	scratch_load_dwordx2 v[2:3], off, off offset:48
	v_mov_b32_e32 v4, 0
	v_mov_b32_e32 v5, v4
	scratch_store_dwordx2 off, v[4:5], off offset:48
	s_waitcnt vmcnt(1)
	ds_write_b64 v1, v[2:3]
.LBB39_241:
	s_or_b64 exec, exec, s[0:1]
	s_waitcnt lgkmcnt(0)
	; wave barrier
	scratch_load_dwordx4 v[2:5], off, off offset:56
	scratch_load_dwordx4 v[6:9], off, off offset:72
	;; [unrolled: 1-line block ×13, first 2 shown]
	v_mov_b32_e32 v106, 0
	scratch_load_dwordx2 v[116:117], off, off offset:48
	ds_read2_b64 v[54:57], v106 offset0:47 offset1:48
	ds_read2_b64 v[58:61], v106 offset0:49 offset1:50
	;; [unrolled: 1-line block ×14, first 2 shown]
	v_cmp_lt_u32_e32 vcc, 5, v0
	s_waitcnt vmcnt(13) lgkmcnt(13)
	v_mul_f32_e32 v107, v54, v3
	v_mul_f32_e32 v112, v56, v5
	v_fmac_f32_e32 v107, v55, v2
	s_waitcnt vmcnt(12) lgkmcnt(12)
	v_mul_f32_e32 v113, v58, v7
	v_fmac_f32_e32 v112, v57, v4
	v_add_f32_e32 v107, 0, v107
	v_mul_f32_e32 v114, v60, v9
	v_fmac_f32_e32 v113, v59, v6
	v_add_f32_e32 v107, v107, v112
	s_waitcnt vmcnt(11) lgkmcnt(11)
	v_mul_f32_e32 v115, v62, v11
	v_fmac_f32_e32 v114, v61, v8
	v_add_f32_e32 v107, v107, v113
	v_mul_f32_e32 v198, v64, v13
	v_fmac_f32_e32 v115, v63, v10
	v_add_f32_e32 v107, v107, v114
	;; [unrolled: 7-line block ×8, first 2 shown]
	s_waitcnt vmcnt(4) lgkmcnt(4)
	v_mul_f32_e32 v213, v90, v39
	v_fmac_f32_e32 v212, v89, v36
	v_add_f32_e32 v107, v107, v211
	v_fmac_f32_e32 v213, v91, v38
	v_add_f32_e32 v107, v107, v212
	v_add_f32_e32 v107, v107, v213
	scratch_load_dwordx4 v[112:115], off, off offset:264
	scratch_load_dwordx4 v[198:201], off, off offset:280
	scratch_load_dwordx4 v[202:205], off, off offset:296
	scratch_load_dwordx2 v[212:213], off, off offset:312
	v_mul_f32_e32 v3, v55, v3
	v_fma_f32 v2, v54, v2, -v3
	v_mul_f32_e32 v3, v57, v5
	v_add_f32_e32 v2, 0, v2
	v_fma_f32 v3, v56, v4, -v3
	v_add_f32_e32 v2, v2, v3
	v_mul_f32_e32 v3, v59, v7
	v_fma_f32 v3, v58, v6, -v3
	v_add_f32_e32 v2, v2, v3
	v_mul_f32_e32 v3, v61, v9
	;; [unrolled: 3-line block ×18, first 2 shown]
	v_fma_f32 v3, v92, v40, -v3
	v_add_f32_e32 v2, v2, v3
	s_waitcnt vmcnt(7) lgkmcnt(3)
	v_mul_f32_e32 v3, v95, v43
	v_fma_f32 v3, v94, v42, -v3
	v_mul_f32_e32 v214, v92, v41
	v_add_f32_e32 v2, v2, v3
	v_mul_f32_e32 v3, v97, v45
	v_mul_f32_e32 v215, v94, v43
	v_fmac_f32_e32 v214, v93, v40
	v_fma_f32 v3, v96, v44, -v3
	v_mul_f32_e32 v216, v96, v45
	v_fmac_f32_e32 v215, v95, v42
	v_add_f32_e32 v107, v107, v214
	v_add_f32_e32 v2, v2, v3
	s_waitcnt vmcnt(6) lgkmcnt(2)
	v_mul_f32_e32 v3, v99, v47
	v_mul_f32_e32 v217, v98, v47
	v_fmac_f32_e32 v216, v97, v44
	v_add_f32_e32 v107, v107, v215
	v_fma_f32 v3, v98, v46, -v3
	v_mul_f32_e32 v207, v100, v49
	v_fmac_f32_e32 v217, v99, v46
	v_add_f32_e32 v107, v107, v216
	v_add_f32_e32 v210, v2, v3
	v_mul_f32_e32 v2, v101, v49
	s_waitcnt vmcnt(5)
	v_mov_b32_e32 v14, v53
	s_waitcnt lgkmcnt(1)
	v_mul_f32_e32 v209, v102, v51
	v_fmac_f32_e32 v207, v101, v48
	v_add_f32_e32 v211, v107, v217
	v_fma_f32 v206, v100, v48, -v2
	v_mul_f32_e32 v2, v103, v51
	v_pk_mul_f32 v[14:15], v[104:105], v[14:15] op_sel:[1,0] op_sel_hi:[0,0]
	v_fmac_f32_e32 v209, v103, v50
	v_fma_f32 v208, v102, v50, -v2
	v_pk_add_f32 v[12:13], v[210:211], v[206:207]
	v_pk_fma_f32 v[16:17], v[104:105], v[52:53], v[14:15] neg_lo:[0,0,1] neg_hi:[0,0,1]
	v_pk_fma_f32 v[14:15], v[104:105], v[52:53], v[14:15] op_sel_hi:[1,0,1]
	v_pk_add_f32 v[12:13], v[12:13], v[208:209]
	v_mov_b32_e32 v17, v15
	s_waitcnt vmcnt(3) lgkmcnt(0)
	v_pk_mul_f32 v[14:15], v[108:109], v[112:113] op_sel:[1,1] op_sel_hi:[0,1]
	v_pk_add_f32 v[12:13], v[12:13], v[16:17]
	v_pk_fma_f32 v[16:17], v[108:109], v[112:113], v[14:15] neg_lo:[0,0,1] neg_hi:[0,0,1]
	v_pk_fma_f32 v[14:15], v[108:109], v[112:113], v[14:15] op_sel_hi:[1,0,1]
	ds_read2_b64 v[2:5], v106 offset0:75 offset1:76
	ds_read2_b64 v[6:9], v106 offset0:77 offset1:78
	ds_read_b64 v[10:11], v106 offset:632
	v_mov_b32_e32 v14, v115
	v_mov_b32_e32 v17, v15
	v_pk_mul_f32 v[14:15], v[110:111], v[14:15] op_sel:[1,0] op_sel_hi:[0,0]
	v_pk_add_f32 v[12:13], v[12:13], v[16:17]
	v_pk_fma_f32 v[16:17], v[110:111], v[114:115], v[14:15] neg_lo:[0,0,1] neg_hi:[0,0,1]
	v_pk_fma_f32 v[14:15], v[110:111], v[114:115], v[14:15] op_sel_hi:[1,0,1]
	s_nop 0
	v_mov_b32_e32 v17, v15
	s_waitcnt vmcnt(2) lgkmcnt(2)
	v_pk_mul_f32 v[14:15], v[2:3], v[198:199] op_sel:[1,1] op_sel_hi:[0,1]
	v_pk_add_f32 v[12:13], v[12:13], v[16:17]
	v_pk_fma_f32 v[16:17], v[2:3], v[198:199], v[14:15] neg_lo:[0,0,1] neg_hi:[0,0,1]
	v_pk_fma_f32 v[2:3], v[2:3], v[198:199], v[14:15] op_sel_hi:[1,0,1]
	s_nop 0
	v_mov_b32_e32 v17, v3
	v_pk_add_f32 v[2:3], v[12:13], v[16:17]
	v_mov_b32_e32 v12, v201
	v_pk_mul_f32 v[12:13], v[4:5], v[12:13] op_sel:[1,0] op_sel_hi:[0,0]
	v_pk_fma_f32 v[14:15], v[4:5], v[200:201], v[12:13] neg_lo:[0,0,1] neg_hi:[0,0,1]
	v_pk_fma_f32 v[4:5], v[4:5], v[200:201], v[12:13] op_sel_hi:[1,0,1]
	s_nop 0
	v_mov_b32_e32 v15, v5
	s_waitcnt vmcnt(1) lgkmcnt(1)
	v_pk_mul_f32 v[4:5], v[6:7], v[202:203] op_sel:[1,1] op_sel_hi:[0,1]
	v_pk_fma_f32 v[12:13], v[6:7], v[202:203], v[4:5] neg_lo:[0,0,1] neg_hi:[0,0,1]
	v_pk_fma_f32 v[4:5], v[6:7], v[202:203], v[4:5] op_sel_hi:[1,0,1]
	v_pk_add_f32 v[2:3], v[2:3], v[14:15]
	v_mov_b32_e32 v4, v205
	v_mov_b32_e32 v13, v5
	v_pk_mul_f32 v[4:5], v[8:9], v[4:5] op_sel:[1,0] op_sel_hi:[0,0]
	v_pk_fma_f32 v[6:7], v[8:9], v[204:205], v[4:5] neg_lo:[0,0,1] neg_hi:[0,0,1]
	v_pk_fma_f32 v[4:5], v[8:9], v[204:205], v[4:5] op_sel_hi:[1,0,1]
	v_pk_add_f32 v[2:3], v[2:3], v[12:13]
	v_mov_b32_e32 v7, v5
	s_waitcnt vmcnt(0) lgkmcnt(0)
	v_pk_mul_f32 v[4:5], v[10:11], v[212:213] op_sel:[1,1] op_sel_hi:[0,1]
	v_pk_add_f32 v[2:3], v[2:3], v[6:7]
	v_pk_fma_f32 v[6:7], v[10:11], v[212:213], v[4:5] neg_lo:[0,0,1] neg_hi:[0,0,1]
	v_pk_fma_f32 v[4:5], v[10:11], v[212:213], v[4:5] op_sel_hi:[1,0,1]
	s_nop 0
	v_mov_b32_e32 v7, v5
	v_pk_add_f32 v[2:3], v[2:3], v[6:7]
	s_nop 0
	v_pk_add_f32 v[2:3], v[116:117], v[2:3] neg_lo:[0,1] neg_hi:[0,1]
	scratch_store_dwordx2 off, v[2:3], off offset:48
	s_and_saveexec_b64 s[0:1], vcc
	s_cbranch_execz .LBB39_243
; %bb.242:
	scratch_load_dwordx2 v[2:3], off, off offset:40
	v_mov_b32_e32 v107, v106
	scratch_store_dwordx2 off, v[106:107], off offset:40
	s_waitcnt vmcnt(1)
	ds_write_b64 v1, v[2:3]
.LBB39_243:
	s_or_b64 exec, exec, s[0:1]
	s_waitcnt lgkmcnt(0)
	; wave barrier
	scratch_load_dwordx4 v[2:5], off, off offset:48
	scratch_load_dwordx4 v[6:9], off, off offset:64
	;; [unrolled: 1-line block ×13, first 2 shown]
	ds_read_b128 v[102:105], v106 offset:368
	ds_read_b128 v[98:101], v106 offset:384
	;; [unrolled: 1-line block ×14, first 2 shown]
	scratch_load_dwordx2 v[116:117], off, off offset:40
	v_cmp_lt_u32_e32 vcc, 4, v0
	s_waitcnt vmcnt(13) lgkmcnt(13)
	v_mul_f32_e32 v107, v102, v3
	v_mul_f32_e32 v112, v104, v5
	v_fmac_f32_e32 v107, v103, v2
	s_waitcnt vmcnt(12) lgkmcnt(12)
	v_mul_f32_e32 v113, v98, v7
	v_fmac_f32_e32 v112, v105, v4
	v_add_f32_e32 v107, 0, v107
	v_mul_f32_e32 v114, v100, v9
	v_fmac_f32_e32 v113, v99, v6
	v_add_f32_e32 v107, v107, v112
	s_waitcnt vmcnt(11) lgkmcnt(11)
	v_mul_f32_e32 v115, v94, v11
	v_fmac_f32_e32 v114, v101, v8
	v_add_f32_e32 v107, v107, v113
	v_mul_f32_e32 v198, v96, v13
	v_fmac_f32_e32 v115, v95, v10
	v_add_f32_e32 v107, v107, v114
	;; [unrolled: 7-line block ×7, first 2 shown]
	s_waitcnt vmcnt(5) lgkmcnt(5)
	v_mul_f32_e32 v209, v70, v35
	v_fmac_f32_e32 v208, v77, v32
	v_add_f32_e32 v107, v107, v207
	v_fmac_f32_e32 v209, v71, v34
	v_add_f32_e32 v107, v107, v208
	v_add_f32_e32 v107, v107, v209
	scratch_load_dwordx4 v[112:115], off, off offset:256
	scratch_load_dwordx4 v[198:201], off, off offset:272
	;; [unrolled: 1-line block ×4, first 2 shown]
	v_mul_f32_e32 v3, v103, v3
	v_fma_f32 v2, v102, v2, -v3
	v_mul_f32_e32 v3, v105, v5
	v_add_f32_e32 v2, 0, v2
	v_fma_f32 v3, v104, v4, -v3
	v_add_f32_e32 v2, v2, v3
	v_mul_f32_e32 v3, v99, v7
	v_fma_f32 v3, v98, v6, -v3
	v_add_f32_e32 v2, v2, v3
	v_mul_f32_e32 v3, v101, v9
	v_fma_f32 v3, v100, v8, -v3
	v_add_f32_e32 v2, v2, v3
	v_mul_f32_e32 v3, v95, v11
	v_fma_f32 v3, v94, v10, -v3
	v_add_f32_e32 v2, v2, v3
	v_mul_f32_e32 v3, v97, v13
	v_fma_f32 v3, v96, v12, -v3
	v_add_f32_e32 v2, v2, v3
	v_mul_f32_e32 v3, v91, v15
	v_fma_f32 v3, v90, v14, -v3
	v_add_f32_e32 v2, v2, v3
	v_mul_f32_e32 v3, v93, v17
	v_fma_f32 v3, v92, v16, -v3
	v_add_f32_e32 v2, v2, v3
	v_mul_f32_e32 v3, v87, v19
	v_fma_f32 v3, v86, v18, -v3
	v_add_f32_e32 v2, v2, v3
	v_mul_f32_e32 v3, v89, v21
	v_fma_f32 v3, v88, v20, -v3
	v_add_f32_e32 v2, v2, v3
	v_mul_f32_e32 v3, v83, v23
	v_fma_f32 v3, v82, v22, -v3
	v_add_f32_e32 v2, v2, v3
	v_mul_f32_e32 v3, v85, v25
	v_fma_f32 v3, v84, v24, -v3
	v_add_f32_e32 v2, v2, v3
	v_mul_f32_e32 v3, v79, v27
	v_fma_f32 v3, v78, v26, -v3
	v_add_f32_e32 v2, v2, v3
	v_mul_f32_e32 v3, v81, v29
	v_fma_f32 v3, v80, v28, -v3
	v_add_f32_e32 v2, v2, v3
	v_mul_f32_e32 v3, v75, v31
	v_fma_f32 v3, v74, v30, -v3
	v_add_f32_e32 v2, v2, v3
	v_mul_f32_e32 v3, v77, v33
	v_fma_f32 v3, v76, v32, -v3
	v_add_f32_e32 v2, v2, v3
	v_mul_f32_e32 v3, v71, v35
	v_fma_f32 v3, v70, v34, -v3
	v_add_f32_e32 v2, v2, v3
	v_mul_f32_e32 v3, v73, v37
	v_fma_f32 v3, v72, v36, -v3
	v_add_f32_e32 v2, v2, v3
	s_waitcnt vmcnt(8) lgkmcnt(4)
	v_mul_f32_e32 v3, v67, v39
	v_fma_f32 v3, v66, v38, -v3
	v_add_f32_e32 v2, v2, v3
	v_mul_f32_e32 v3, v69, v41
	v_fma_f32 v3, v68, v40, -v3
	v_add_f32_e32 v2, v2, v3
	s_waitcnt vmcnt(7) lgkmcnt(3)
	v_mul_f32_e32 v3, v63, v43
	v_mul_f32_e32 v210, v72, v37
	v_fma_f32 v3, v62, v42, -v3
	v_mul_f32_e32 v212, v66, v39
	v_fmac_f32_e32 v210, v73, v36
	v_add_f32_e32 v2, v2, v3
	v_mul_f32_e32 v3, v65, v45
	v_mul_f32_e32 v214, v68, v41
	v_fmac_f32_e32 v212, v67, v38
	v_add_f32_e32 v107, v107, v210
	v_fma_f32 v3, v64, v44, -v3
	v_mul_f32_e32 v215, v62, v43
	v_fmac_f32_e32 v214, v69, v40
	v_add_f32_e32 v107, v107, v212
	v_add_f32_e32 v2, v2, v3
	s_waitcnt vmcnt(6) lgkmcnt(2)
	v_mul_f32_e32 v3, v59, v47
	v_mul_f32_e32 v216, v64, v45
	v_fmac_f32_e32 v215, v63, v42
	v_add_f32_e32 v107, v107, v214
	v_fma_f32 v3, v58, v46, -v3
	v_mul_f32_e32 v217, v58, v47
	v_fmac_f32_e32 v216, v65, v44
	v_add_f32_e32 v107, v107, v215
	v_add_f32_e32 v2, v2, v3
	v_mul_f32_e32 v3, v61, v49
	v_mul_f32_e32 v218, v60, v49
	v_fmac_f32_e32 v217, v59, v46
	v_add_f32_e32 v107, v107, v216
	v_fma_f32 v3, v60, v48, -v3
	s_waitcnt vmcnt(5) lgkmcnt(1)
	v_mul_f32_e32 v211, v54, v51
	v_fmac_f32_e32 v218, v61, v48
	v_add_f32_e32 v107, v107, v217
	v_add_f32_e32 v214, v2, v3
	v_mul_f32_e32 v2, v55, v51
	s_waitcnt vmcnt(3) lgkmcnt(0)
	v_pk_mul_f32 v[16:17], v[108:109], v[112:113] op_sel:[1,1] op_sel_hi:[0,1]
	v_mul_f32_e32 v213, v56, v53
	v_fmac_f32_e32 v211, v55, v50
	v_add_f32_e32 v215, v107, v218
	v_fma_f32 v210, v54, v50, -v2
	v_mul_f32_e32 v2, v57, v53
	v_pk_fma_f32 v[18:19], v[108:109], v[112:113], v[16:17] neg_lo:[0,0,1] neg_hi:[0,0,1]
	v_pk_fma_f32 v[16:17], v[108:109], v[112:113], v[16:17] op_sel_hi:[1,0,1]
	v_fmac_f32_e32 v213, v57, v52
	v_fma_f32 v212, v56, v52, -v2
	ds_read_b128 v[2:5], v106 offset:592
	ds_read_b128 v[6:9], v106 offset:608
	;; [unrolled: 1-line block ×3, first 2 shown]
	v_pk_add_f32 v[14:15], v[214:215], v[210:211]
	v_mov_b32_e32 v16, v115
	v_pk_add_f32 v[14:15], v[14:15], v[212:213]
	v_mov_b32_e32 v19, v17
	v_pk_mul_f32 v[16:17], v[110:111], v[16:17] op_sel:[1,0] op_sel_hi:[0,0]
	v_pk_add_f32 v[14:15], v[14:15], v[18:19]
	v_pk_fma_f32 v[18:19], v[110:111], v[114:115], v[16:17] neg_lo:[0,0,1] neg_hi:[0,0,1]
	v_pk_fma_f32 v[16:17], v[110:111], v[114:115], v[16:17] op_sel_hi:[1,0,1]
	s_nop 0
	v_mov_b32_e32 v19, v17
	s_waitcnt vmcnt(2) lgkmcnt(2)
	v_pk_mul_f32 v[16:17], v[2:3], v[198:199] op_sel:[1,1] op_sel_hi:[0,1]
	v_pk_add_f32 v[14:15], v[14:15], v[18:19]
	v_pk_fma_f32 v[18:19], v[2:3], v[198:199], v[16:17] neg_lo:[0,0,1] neg_hi:[0,0,1]
	v_pk_fma_f32 v[2:3], v[2:3], v[198:199], v[16:17] op_sel_hi:[1,0,1]
	s_nop 0
	v_mov_b32_e32 v19, v3
	v_pk_add_f32 v[2:3], v[14:15], v[18:19]
	v_mov_b32_e32 v14, v201
	v_pk_mul_f32 v[14:15], v[4:5], v[14:15] op_sel:[1,0] op_sel_hi:[0,0]
	v_pk_fma_f32 v[16:17], v[4:5], v[200:201], v[14:15] neg_lo:[0,0,1] neg_hi:[0,0,1]
	v_pk_fma_f32 v[4:5], v[4:5], v[200:201], v[14:15] op_sel_hi:[1,0,1]
	s_nop 0
	v_mov_b32_e32 v17, v5
	s_waitcnt vmcnt(1) lgkmcnt(1)
	v_pk_mul_f32 v[4:5], v[6:7], v[202:203] op_sel:[1,1] op_sel_hi:[0,1]
	v_pk_fma_f32 v[14:15], v[6:7], v[202:203], v[4:5] neg_lo:[0,0,1] neg_hi:[0,0,1]
	v_pk_fma_f32 v[4:5], v[6:7], v[202:203], v[4:5] op_sel_hi:[1,0,1]
	v_pk_add_f32 v[2:3], v[2:3], v[16:17]
	v_mov_b32_e32 v4, v205
	v_mov_b32_e32 v15, v5
	v_pk_mul_f32 v[4:5], v[8:9], v[4:5] op_sel:[1,0] op_sel_hi:[0,0]
	v_pk_fma_f32 v[6:7], v[8:9], v[204:205], v[4:5] neg_lo:[0,0,1] neg_hi:[0,0,1]
	v_pk_fma_f32 v[4:5], v[8:9], v[204:205], v[4:5] op_sel_hi:[1,0,1]
	v_pk_add_f32 v[2:3], v[2:3], v[14:15]
	v_mov_b32_e32 v7, v5
	s_waitcnt vmcnt(0) lgkmcnt(0)
	v_pk_mul_f32 v[4:5], v[10:11], v[206:207] op_sel:[1,1] op_sel_hi:[0,1]
	v_pk_add_f32 v[2:3], v[2:3], v[6:7]
	v_pk_fma_f32 v[6:7], v[10:11], v[206:207], v[4:5] neg_lo:[0,0,1] neg_hi:[0,0,1]
	v_pk_fma_f32 v[4:5], v[10:11], v[206:207], v[4:5] op_sel_hi:[1,0,1]
	s_nop 0
	v_mov_b32_e32 v4, v209
	v_mov_b32_e32 v7, v5
	v_pk_mul_f32 v[4:5], v[12:13], v[4:5] op_sel:[1,0] op_sel_hi:[0,0]
	v_pk_add_f32 v[2:3], v[2:3], v[6:7]
	v_pk_fma_f32 v[6:7], v[12:13], v[208:209], v[4:5] neg_lo:[0,0,1] neg_hi:[0,0,1]
	v_pk_fma_f32 v[4:5], v[12:13], v[208:209], v[4:5] op_sel_hi:[1,0,1]
	s_nop 0
	v_mov_b32_e32 v7, v5
	v_pk_add_f32 v[2:3], v[2:3], v[6:7]
	s_nop 0
	v_pk_add_f32 v[2:3], v[116:117], v[2:3] neg_lo:[0,1] neg_hi:[0,1]
	scratch_store_dwordx2 off, v[2:3], off offset:40
	s_and_saveexec_b64 s[0:1], vcc
	s_cbranch_execz .LBB39_245
; %bb.244:
	scratch_load_dwordx2 v[2:3], off, off offset:32
	v_mov_b32_e32 v4, 0
	v_mov_b32_e32 v5, v4
	scratch_store_dwordx2 off, v[4:5], off offset:32
	s_waitcnt vmcnt(1)
	ds_write_b64 v1, v[2:3]
.LBB39_245:
	s_or_b64 exec, exec, s[0:1]
	s_waitcnt lgkmcnt(0)
	; wave barrier
	scratch_load_dwordx4 v[2:5], off, off offset:40
	scratch_load_dwordx4 v[6:9], off, off offset:56
	;; [unrolled: 1-line block ×13, first 2 shown]
	v_mov_b32_e32 v114, 0
	scratch_load_dwordx4 v[54:57], off, off offset:248
	scratch_load_dwordx2 v[116:117], off, off offset:32
	ds_read2_b64 v[58:61], v114 offset0:45 offset1:46
	ds_read2_b64 v[62:65], v114 offset0:47 offset1:48
	;; [unrolled: 1-line block ×14, first 2 shown]
	v_cmp_lt_u32_e32 vcc, 3, v0
	s_waitcnt vmcnt(14) lgkmcnt(13)
	v_mul_f32_e32 v115, v58, v3
	v_mul_f32_e32 v198, v60, v5
	v_fmac_f32_e32 v115, v59, v2
	s_waitcnt vmcnt(13) lgkmcnt(12)
	v_mul_f32_e32 v199, v62, v7
	v_fmac_f32_e32 v198, v61, v4
	v_add_f32_e32 v115, 0, v115
	v_mul_f32_e32 v200, v64, v9
	v_fmac_f32_e32 v199, v63, v6
	v_add_f32_e32 v115, v115, v198
	s_waitcnt vmcnt(12) lgkmcnt(11)
	v_mul_f32_e32 v201, v66, v11
	v_fmac_f32_e32 v200, v65, v8
	v_add_f32_e32 v115, v115, v199
	v_mul_f32_e32 v202, v68, v13
	v_fmac_f32_e32 v201, v67, v10
	v_add_f32_e32 v115, v115, v200
	;; [unrolled: 7-line block ×6, first 2 shown]
	s_waitcnt vmcnt(7) lgkmcnt(6)
	v_mul_f32_e32 v211, v86, v31
	v_fmac_f32_e32 v210, v85, v28
	v_add_f32_e32 v115, v115, v209
	scratch_load_dwordx4 v[198:201], off, off offset:264
	v_mul_f32_e32 v212, v88, v33
	v_fmac_f32_e32 v211, v87, v30
	v_add_f32_e32 v115, v115, v210
	s_waitcnt vmcnt(7) lgkmcnt(5)
	v_mul_f32_e32 v213, v90, v35
	v_fmac_f32_e32 v212, v89, v32
	v_add_f32_e32 v115, v115, v211
	v_mul_f32_e32 v214, v92, v37
	v_fmac_f32_e32 v213, v91, v34
	v_add_f32_e32 v115, v115, v212
	s_waitcnt vmcnt(6) lgkmcnt(4)
	v_mul_f32_e32 v215, v94, v39
	v_fmac_f32_e32 v214, v93, v36
	v_add_f32_e32 v115, v115, v213
	;; [unrolled: 7-line block ×3, first 2 shown]
	v_fmac_f32_e32 v217, v99, v42
	v_add_f32_e32 v115, v115, v216
	v_add_f32_e32 v115, v115, v217
	scratch_load_dwordx4 v[202:205], off, off offset:280
	scratch_load_dwordx4 v[206:209], off, off offset:296
	scratch_load_dwordx2 v[216:217], off, off offset:312
	v_mul_f32_e32 v3, v59, v3
	v_fma_f32 v2, v58, v2, -v3
	v_mul_f32_e32 v3, v61, v5
	v_add_f32_e32 v2, 0, v2
	v_fma_f32 v3, v60, v4, -v3
	v_add_f32_e32 v2, v2, v3
	v_mul_f32_e32 v3, v63, v7
	v_fma_f32 v3, v62, v6, -v3
	v_add_f32_e32 v2, v2, v3
	v_mul_f32_e32 v3, v65, v9
	v_fma_f32 v3, v64, v8, -v3
	v_add_f32_e32 v2, v2, v3
	v_mul_f32_e32 v3, v67, v11
	v_fma_f32 v3, v66, v10, -v3
	v_add_f32_e32 v2, v2, v3
	v_mul_f32_e32 v3, v69, v13
	v_fma_f32 v3, v68, v12, -v3
	v_add_f32_e32 v2, v2, v3
	v_mul_f32_e32 v3, v71, v15
	v_fma_f32 v3, v70, v14, -v3
	v_add_f32_e32 v2, v2, v3
	v_mul_f32_e32 v3, v73, v17
	v_fma_f32 v3, v72, v16, -v3
	v_add_f32_e32 v2, v2, v3
	v_mul_f32_e32 v3, v75, v19
	v_fma_f32 v3, v74, v18, -v3
	v_add_f32_e32 v2, v2, v3
	v_mul_f32_e32 v3, v77, v21
	v_fma_f32 v3, v76, v20, -v3
	v_add_f32_e32 v2, v2, v3
	v_mul_f32_e32 v3, v79, v23
	v_fma_f32 v3, v78, v22, -v3
	v_add_f32_e32 v2, v2, v3
	v_mul_f32_e32 v3, v81, v25
	v_fma_f32 v3, v80, v24, -v3
	v_add_f32_e32 v2, v2, v3
	v_mul_f32_e32 v3, v83, v27
	v_fma_f32 v3, v82, v26, -v3
	v_add_f32_e32 v2, v2, v3
	v_mul_f32_e32 v3, v85, v29
	v_fma_f32 v3, v84, v28, -v3
	v_add_f32_e32 v2, v2, v3
	v_mul_f32_e32 v3, v87, v31
	v_fma_f32 v3, v86, v30, -v3
	v_add_f32_e32 v2, v2, v3
	v_mul_f32_e32 v3, v89, v33
	v_fma_f32 v3, v88, v32, -v3
	v_add_f32_e32 v2, v2, v3
	v_mul_f32_e32 v3, v91, v35
	v_fma_f32 v3, v90, v34, -v3
	v_add_f32_e32 v2, v2, v3
	v_mul_f32_e32 v3, v93, v37
	v_fma_f32 v3, v92, v36, -v3
	v_add_f32_e32 v2, v2, v3
	v_mul_f32_e32 v3, v95, v39
	v_fma_f32 v3, v94, v38, -v3
	v_add_f32_e32 v2, v2, v3
	v_mul_f32_e32 v3, v97, v41
	v_fma_f32 v3, v96, v40, -v3
	v_add_f32_e32 v2, v2, v3
	v_mul_f32_e32 v3, v99, v43
	v_fma_f32 v3, v98, v42, -v3
	v_add_f32_e32 v2, v2, v3
	v_mul_f32_e32 v3, v101, v45
	v_fma_f32 v3, v100, v44, -v3
	v_add_f32_e32 v2, v2, v3
	s_waitcnt vmcnt(7) lgkmcnt(2)
	v_mul_f32_e32 v3, v103, v47
	v_fma_f32 v3, v102, v46, -v3
	v_add_f32_e32 v2, v2, v3
	v_mul_f32_e32 v3, v105, v49
	v_mul_f32_e32 v218, v100, v45
	v_fma_f32 v3, v104, v48, -v3
	v_mul_f32_e32 v219, v102, v47
	v_fmac_f32_e32 v218, v101, v44
	v_add_f32_e32 v2, v2, v3
	s_waitcnt vmcnt(6) lgkmcnt(1)
	v_mul_f32_e32 v3, v107, v51
	v_mul_f32_e32 v220, v104, v49
	v_fmac_f32_e32 v219, v103, v46
	v_add_f32_e32 v115, v115, v218
	v_fma_f32 v3, v106, v50, -v3
	v_mul_f32_e32 v221, v106, v51
	v_fmac_f32_e32 v220, v105, v48
	v_add_f32_e32 v115, v115, v219
	v_add_f32_e32 v210, v2, v3
	v_mul_f32_e32 v2, v109, v53
	v_fmac_f32_e32 v221, v107, v50
	v_add_f32_e32 v115, v115, v220
	v_mul_f32_e32 v213, v108, v53
	v_fma_f32 v212, v108, v52, -v2
	s_waitcnt vmcnt(5) lgkmcnt(0)
	v_mul_f32_e32 v2, v111, v55
	v_mov_b32_e32 v18, v57
	v_add_f32_e32 v211, v115, v221
	v_fmac_f32_e32 v213, v109, v52
	v_mul_f32_e32 v215, v110, v55
	v_fma_f32 v214, v110, v54, -v2
	ds_read2_b64 v[2:5], v114 offset0:73 offset1:74
	ds_read2_b64 v[6:9], v114 offset0:75 offset1:76
	;; [unrolled: 1-line block ×3, first 2 shown]
	ds_read_b64 v[14:15], v114 offset:632
	v_pk_mul_f32 v[18:19], v[112:113], v[18:19] op_sel:[1,0] op_sel_hi:[0,0]
	v_fmac_f32_e32 v215, v111, v54
	v_pk_add_f32 v[16:17], v[210:211], v[212:213]
	v_pk_fma_f32 v[20:21], v[112:113], v[56:57], v[18:19] neg_lo:[0,0,1] neg_hi:[0,0,1]
	v_pk_fma_f32 v[18:19], v[112:113], v[56:57], v[18:19] op_sel_hi:[1,0,1]
	v_pk_add_f32 v[16:17], v[16:17], v[214:215]
	v_mov_b32_e32 v21, v19
	s_waitcnt vmcnt(3) lgkmcnt(3)
	v_pk_mul_f32 v[18:19], v[2:3], v[198:199] op_sel:[1,1] op_sel_hi:[0,1]
	v_pk_add_f32 v[16:17], v[16:17], v[20:21]
	v_pk_fma_f32 v[20:21], v[2:3], v[198:199], v[18:19] neg_lo:[0,0,1] neg_hi:[0,0,1]
	v_pk_fma_f32 v[2:3], v[2:3], v[198:199], v[18:19] op_sel_hi:[1,0,1]
	s_nop 0
	v_mov_b32_e32 v21, v3
	v_pk_add_f32 v[2:3], v[16:17], v[20:21]
	v_mov_b32_e32 v16, v201
	v_pk_mul_f32 v[16:17], v[4:5], v[16:17] op_sel:[1,0] op_sel_hi:[0,0]
	v_pk_fma_f32 v[18:19], v[4:5], v[200:201], v[16:17] neg_lo:[0,0,1] neg_hi:[0,0,1]
	v_pk_fma_f32 v[4:5], v[4:5], v[200:201], v[16:17] op_sel_hi:[1,0,1]
	s_nop 0
	v_mov_b32_e32 v19, v5
	s_waitcnt vmcnt(2) lgkmcnt(2)
	v_pk_mul_f32 v[4:5], v[6:7], v[202:203] op_sel:[1,1] op_sel_hi:[0,1]
	v_pk_fma_f32 v[16:17], v[6:7], v[202:203], v[4:5] neg_lo:[0,0,1] neg_hi:[0,0,1]
	v_pk_fma_f32 v[4:5], v[6:7], v[202:203], v[4:5] op_sel_hi:[1,0,1]
	v_pk_add_f32 v[2:3], v[2:3], v[18:19]
	v_mov_b32_e32 v4, v205
	v_mov_b32_e32 v17, v5
	v_pk_mul_f32 v[4:5], v[8:9], v[4:5] op_sel:[1,0] op_sel_hi:[0,0]
	v_pk_fma_f32 v[6:7], v[8:9], v[204:205], v[4:5] neg_lo:[0,0,1] neg_hi:[0,0,1]
	v_pk_fma_f32 v[4:5], v[8:9], v[204:205], v[4:5] op_sel_hi:[1,0,1]
	v_pk_add_f32 v[2:3], v[2:3], v[16:17]
	v_mov_b32_e32 v7, v5
	s_waitcnt vmcnt(1) lgkmcnt(1)
	v_pk_mul_f32 v[4:5], v[10:11], v[206:207] op_sel:[1,1] op_sel_hi:[0,1]
	v_pk_add_f32 v[2:3], v[2:3], v[6:7]
	v_pk_fma_f32 v[6:7], v[10:11], v[206:207], v[4:5] neg_lo:[0,0,1] neg_hi:[0,0,1]
	v_pk_fma_f32 v[4:5], v[10:11], v[206:207], v[4:5] op_sel_hi:[1,0,1]
	s_nop 0
	v_mov_b32_e32 v4, v209
	v_mov_b32_e32 v7, v5
	v_pk_mul_f32 v[4:5], v[12:13], v[4:5] op_sel:[1,0] op_sel_hi:[0,0]
	v_pk_add_f32 v[2:3], v[2:3], v[6:7]
	v_pk_fma_f32 v[6:7], v[12:13], v[208:209], v[4:5] neg_lo:[0,0,1] neg_hi:[0,0,1]
	v_pk_fma_f32 v[4:5], v[12:13], v[208:209], v[4:5] op_sel_hi:[1,0,1]
	s_nop 0
	v_mov_b32_e32 v7, v5
	s_waitcnt vmcnt(0) lgkmcnt(0)
	v_pk_mul_f32 v[4:5], v[14:15], v[216:217] op_sel:[1,1] op_sel_hi:[0,1]
	v_pk_add_f32 v[2:3], v[2:3], v[6:7]
	v_pk_fma_f32 v[6:7], v[14:15], v[216:217], v[4:5] neg_lo:[0,0,1] neg_hi:[0,0,1]
	v_pk_fma_f32 v[4:5], v[14:15], v[216:217], v[4:5] op_sel_hi:[1,0,1]
	s_nop 0
	v_mov_b32_e32 v7, v5
	v_pk_add_f32 v[2:3], v[2:3], v[6:7]
	s_nop 0
	v_pk_add_f32 v[2:3], v[116:117], v[2:3] neg_lo:[0,1] neg_hi:[0,1]
	scratch_store_dwordx2 off, v[2:3], off offset:32
	s_and_saveexec_b64 s[0:1], vcc
	s_cbranch_execz .LBB39_247
; %bb.246:
	scratch_load_dwordx2 v[2:3], off, off offset:24
	v_mov_b32_e32 v115, v114
	scratch_store_dwordx2 off, v[114:115], off offset:24
	s_waitcnt vmcnt(1)
	ds_write_b64 v1, v[2:3]
.LBB39_247:
	s_or_b64 exec, exec, s[0:1]
	s_waitcnt lgkmcnt(0)
	; wave barrier
	scratch_load_dwordx4 v[2:5], off, off offset:32
	scratch_load_dwordx4 v[6:9], off, off offset:48
	;; [unrolled: 1-line block ×13, first 2 shown]
	ds_read_b128 v[110:113], v114 offset:352
	ds_read_b128 v[106:109], v114 offset:368
	;; [unrolled: 1-line block ×14, first 2 shown]
	scratch_load_dwordx4 v[66:69], off, off offset:240
	scratch_load_dwordx2 v[116:117], off, off offset:24
	v_cmp_lt_u32_e32 vcc, 2, v0
	s_waitcnt vmcnt(14) lgkmcnt(13)
	v_mul_f32_e32 v115, v110, v3
	v_mul_f32_e32 v198, v112, v5
	v_fmac_f32_e32 v115, v111, v2
	s_waitcnt vmcnt(13) lgkmcnt(12)
	v_mul_f32_e32 v199, v106, v7
	v_fmac_f32_e32 v198, v113, v4
	v_add_f32_e32 v115, 0, v115
	v_mul_f32_e32 v200, v108, v9
	v_fmac_f32_e32 v199, v107, v6
	v_add_f32_e32 v115, v115, v198
	s_waitcnt vmcnt(12) lgkmcnt(11)
	v_mul_f32_e32 v201, v102, v11
	v_fmac_f32_e32 v200, v109, v8
	v_add_f32_e32 v115, v115, v199
	v_mul_f32_e32 v202, v104, v13
	v_fmac_f32_e32 v201, v103, v10
	v_add_f32_e32 v115, v115, v200
	;; [unrolled: 7-line block ×4, first 2 shown]
	s_waitcnt vmcnt(9) lgkmcnt(8)
	v_mul_f32_e32 v207, v90, v23
	v_fmac_f32_e32 v206, v97, v20
	v_add_f32_e32 v115, v115, v205
	scratch_load_dwordx4 v[198:201], off, off offset:256
	v_mul_f32_e32 v208, v92, v25
	v_fmac_f32_e32 v207, v91, v22
	v_add_f32_e32 v115, v115, v206
	s_waitcnt vmcnt(9) lgkmcnt(7)
	v_mul_f32_e32 v209, v86, v27
	v_fmac_f32_e32 v208, v93, v24
	v_add_f32_e32 v115, v115, v207
	v_mul_f32_e32 v210, v88, v29
	v_fmac_f32_e32 v209, v87, v26
	v_add_f32_e32 v115, v115, v208
	s_waitcnt vmcnt(8) lgkmcnt(6)
	v_mul_f32_e32 v211, v82, v31
	v_fmac_f32_e32 v210, v89, v28
	v_add_f32_e32 v115, v115, v209
	;; [unrolled: 7-line block ×3, first 2 shown]
	v_fmac_f32_e32 v213, v79, v34
	v_add_f32_e32 v115, v115, v212
	v_add_f32_e32 v115, v115, v213
	scratch_load_dwordx4 v[202:205], off, off offset:272
	scratch_load_dwordx4 v[206:209], off, off offset:288
	;; [unrolled: 1-line block ×3, first 2 shown]
	v_mul_f32_e32 v3, v111, v3
	v_fma_f32 v2, v110, v2, -v3
	v_mul_f32_e32 v3, v113, v5
	v_add_f32_e32 v2, 0, v2
	v_fma_f32 v3, v112, v4, -v3
	v_add_f32_e32 v2, v2, v3
	v_mul_f32_e32 v3, v107, v7
	v_fma_f32 v3, v106, v6, -v3
	v_add_f32_e32 v2, v2, v3
	v_mul_f32_e32 v3, v109, v9
	;; [unrolled: 3-line block ×16, first 2 shown]
	v_fma_f32 v3, v80, v36, -v3
	v_add_f32_e32 v2, v2, v3
	s_waitcnt vmcnt(9) lgkmcnt(4)
	v_mul_f32_e32 v3, v75, v39
	v_fma_f32 v3, v74, v38, -v3
	v_add_f32_e32 v2, v2, v3
	v_mul_f32_e32 v3, v77, v41
	v_fma_f32 v3, v76, v40, -v3
	v_add_f32_e32 v2, v2, v3
	s_waitcnt vmcnt(8) lgkmcnt(3)
	v_mul_f32_e32 v3, v71, v43
	v_fma_f32 v3, v70, v42, -v3
	v_add_f32_e32 v2, v2, v3
	v_mul_f32_e32 v3, v73, v45
	v_fma_f32 v3, v72, v44, -v3
	v_add_f32_e32 v2, v2, v3
	s_waitcnt vmcnt(7) lgkmcnt(2)
	v_mul_f32_e32 v3, v63, v47
	v_fma_f32 v3, v62, v46, -v3
	v_mul_f32_e32 v214, v80, v37
	v_add_f32_e32 v2, v2, v3
	v_mul_f32_e32 v3, v65, v49
	v_mul_f32_e32 v215, v74, v39
	v_fmac_f32_e32 v214, v81, v36
	v_fma_f32 v3, v64, v48, -v3
	v_mul_f32_e32 v216, v76, v41
	v_fmac_f32_e32 v215, v75, v38
	v_add_f32_e32 v115, v115, v214
	v_add_f32_e32 v2, v2, v3
	s_waitcnt vmcnt(6) lgkmcnt(1)
	v_mul_f32_e32 v3, v55, v51
	v_mul_f32_e32 v217, v70, v43
	v_fmac_f32_e32 v216, v77, v40
	v_add_f32_e32 v115, v115, v215
	v_fma_f32 v3, v54, v50, -v3
	v_mul_f32_e32 v218, v72, v45
	v_fmac_f32_e32 v217, v71, v42
	v_add_f32_e32 v115, v115, v216
	v_add_f32_e32 v2, v2, v3
	v_mul_f32_e32 v3, v57, v53
	v_mul_f32_e32 v219, v62, v47
	v_fmac_f32_e32 v218, v73, v44
	v_add_f32_e32 v115, v115, v217
	v_fma_f32 v3, v56, v52, -v3
	v_mul_f32_e32 v220, v64, v49
	v_fmac_f32_e32 v219, v63, v46
	v_add_f32_e32 v115, v115, v218
	v_add_f32_e32 v214, v2, v3
	s_waitcnt vmcnt(5) lgkmcnt(0)
	v_mul_f32_e32 v2, v59, v67
	v_mul_f32_e32 v221, v54, v51
	v_fmac_f32_e32 v220, v65, v48
	v_add_f32_e32 v115, v115, v219
	v_fma_f32 v216, v58, v66, -v2
	v_mul_f32_e32 v2, v61, v69
	v_mul_f32_e32 v222, v56, v53
	v_fmac_f32_e32 v221, v55, v50
	v_add_f32_e32 v115, v115, v220
	v_fma_f32 v218, v60, v68, -v2
	ds_read_b128 v[2:5], v114 offset:576
	ds_read_b128 v[6:9], v114 offset:592
	;; [unrolled: 1-line block ×4, first 2 shown]
	v_add_f32_e32 v115, v115, v221
	v_fmac_f32_e32 v222, v57, v52
	v_mul_f32_e32 v217, v58, v67
	v_add_f32_e32 v215, v115, v222
	v_fmac_f32_e32 v217, v59, v66
	v_mul_f32_e32 v219, v60, v69
	s_waitcnt vmcnt(3) lgkmcnt(3)
	v_pk_mul_f32 v[20:21], v[2:3], v[198:199] op_sel:[1,1] op_sel_hi:[0,1]
	v_fmac_f32_e32 v219, v61, v68
	v_pk_add_f32 v[18:19], v[214:215], v[216:217]
	v_pk_fma_f32 v[22:23], v[2:3], v[198:199], v[20:21] neg_lo:[0,0,1] neg_hi:[0,0,1]
	v_pk_fma_f32 v[2:3], v[2:3], v[198:199], v[20:21] op_sel_hi:[1,0,1]
	v_pk_add_f32 v[18:19], v[18:19], v[218:219]
	v_mov_b32_e32 v23, v3
	v_pk_add_f32 v[2:3], v[18:19], v[22:23]
	v_mov_b32_e32 v18, v201
	v_pk_mul_f32 v[18:19], v[4:5], v[18:19] op_sel:[1,0] op_sel_hi:[0,0]
	v_pk_fma_f32 v[20:21], v[4:5], v[200:201], v[18:19] neg_lo:[0,0,1] neg_hi:[0,0,1]
	v_pk_fma_f32 v[4:5], v[4:5], v[200:201], v[18:19] op_sel_hi:[1,0,1]
	s_nop 0
	v_mov_b32_e32 v21, v5
	s_waitcnt vmcnt(2) lgkmcnt(2)
	v_pk_mul_f32 v[4:5], v[6:7], v[202:203] op_sel:[1,1] op_sel_hi:[0,1]
	v_pk_fma_f32 v[18:19], v[6:7], v[202:203], v[4:5] neg_lo:[0,0,1] neg_hi:[0,0,1]
	v_pk_fma_f32 v[4:5], v[6:7], v[202:203], v[4:5] op_sel_hi:[1,0,1]
	v_pk_add_f32 v[2:3], v[2:3], v[20:21]
	v_mov_b32_e32 v4, v205
	v_mov_b32_e32 v19, v5
	v_pk_mul_f32 v[4:5], v[8:9], v[4:5] op_sel:[1,0] op_sel_hi:[0,0]
	v_pk_fma_f32 v[6:7], v[8:9], v[204:205], v[4:5] neg_lo:[0,0,1] neg_hi:[0,0,1]
	v_pk_fma_f32 v[4:5], v[8:9], v[204:205], v[4:5] op_sel_hi:[1,0,1]
	v_pk_add_f32 v[2:3], v[2:3], v[18:19]
	v_mov_b32_e32 v7, v5
	s_waitcnt vmcnt(1) lgkmcnt(1)
	v_pk_mul_f32 v[4:5], v[10:11], v[206:207] op_sel:[1,1] op_sel_hi:[0,1]
	v_pk_add_f32 v[2:3], v[2:3], v[6:7]
	v_pk_fma_f32 v[6:7], v[10:11], v[206:207], v[4:5] neg_lo:[0,0,1] neg_hi:[0,0,1]
	v_pk_fma_f32 v[4:5], v[10:11], v[206:207], v[4:5] op_sel_hi:[1,0,1]
	s_nop 0
	v_mov_b32_e32 v4, v209
	v_mov_b32_e32 v7, v5
	v_pk_mul_f32 v[4:5], v[12:13], v[4:5] op_sel:[1,0] op_sel_hi:[0,0]
	v_pk_add_f32 v[2:3], v[2:3], v[6:7]
	v_pk_fma_f32 v[6:7], v[12:13], v[208:209], v[4:5] neg_lo:[0,0,1] neg_hi:[0,0,1]
	v_pk_fma_f32 v[4:5], v[12:13], v[208:209], v[4:5] op_sel_hi:[1,0,1]
	s_nop 0
	v_mov_b32_e32 v7, v5
	s_waitcnt vmcnt(0) lgkmcnt(0)
	v_pk_mul_f32 v[4:5], v[14:15], v[210:211] op_sel:[1,1] op_sel_hi:[0,1]
	v_pk_add_f32 v[2:3], v[2:3], v[6:7]
	v_pk_fma_f32 v[6:7], v[14:15], v[210:211], v[4:5] neg_lo:[0,0,1] neg_hi:[0,0,1]
	v_pk_fma_f32 v[4:5], v[14:15], v[210:211], v[4:5] op_sel_hi:[1,0,1]
	s_nop 0
	v_mov_b32_e32 v4, v213
	v_mov_b32_e32 v7, v5
	v_pk_mul_f32 v[4:5], v[16:17], v[4:5] op_sel:[1,0] op_sel_hi:[0,0]
	v_pk_add_f32 v[2:3], v[2:3], v[6:7]
	v_pk_fma_f32 v[6:7], v[16:17], v[212:213], v[4:5] neg_lo:[0,0,1] neg_hi:[0,0,1]
	v_pk_fma_f32 v[4:5], v[16:17], v[212:213], v[4:5] op_sel_hi:[1,0,1]
	s_nop 0
	v_mov_b32_e32 v7, v5
	v_pk_add_f32 v[2:3], v[2:3], v[6:7]
	s_nop 0
	v_pk_add_f32 v[2:3], v[116:117], v[2:3] neg_lo:[0,1] neg_hi:[0,1]
	scratch_store_dwordx2 off, v[2:3], off offset:24
	s_and_saveexec_b64 s[0:1], vcc
	s_cbranch_execz .LBB39_249
; %bb.248:
	scratch_load_dwordx2 v[2:3], off, off offset:16
	v_mov_b32_e32 v4, 0
	v_mov_b32_e32 v5, v4
	scratch_store_dwordx2 off, v[4:5], off offset:16
	s_waitcnt vmcnt(1)
	ds_write_b64 v1, v[2:3]
.LBB39_249:
	s_or_b64 exec, exec, s[0:1]
	s_waitcnt lgkmcnt(0)
	; wave barrier
	scratch_load_dwordx4 v[2:5], off, off offset:24
	scratch_load_dwordx4 v[6:9], off, off offset:40
	scratch_load_dwordx4 v[10:13], off, off offset:56
	scratch_load_dwordx4 v[14:17], off, off offset:72
	scratch_load_dwordx4 v[18:21], off, off offset:88
	scratch_load_dwordx4 v[22:25], off, off offset:104
	scratch_load_dwordx4 v[26:29], off, off offset:120
	scratch_load_dwordx4 v[30:33], off, off offset:136
	scratch_load_dwordx4 v[34:37], off, off offset:152
	scratch_load_dwordx4 v[38:41], off, off offset:168
	scratch_load_dwordx4 v[42:45], off, off offset:184
	scratch_load_dwordx4 v[46:49], off, off offset:200
	scratch_load_dwordx4 v[50:53], off, off offset:216
	scratch_load_dwordx4 v[54:57], off, off offset:232
	scratch_load_dwordx4 v[58:61], off, off offset:248
	scratch_load_dwordx2 v[220:221], off, off offset:16
	v_mov_b32_e32 v198, 0
	ds_read2_b64 v[62:65], v198 offset0:43 offset1:44
	ds_read2_b64 v[66:69], v198 offset0:45 offset1:46
	ds_read2_b64 v[70:73], v198 offset0:47 offset1:48
	ds_read2_b64 v[74:77], v198 offset0:49 offset1:50
	ds_read2_b64 v[78:81], v198 offset0:51 offset1:52
	ds_read2_b64 v[82:85], v198 offset0:53 offset1:54
	ds_read2_b64 v[86:89], v198 offset0:55 offset1:56
	ds_read2_b64 v[90:93], v198 offset0:57 offset1:58
	ds_read2_b64 v[94:97], v198 offset0:59 offset1:60
	ds_read2_b64 v[98:101], v198 offset0:61 offset1:62
	ds_read2_b64 v[102:105], v198 offset0:63 offset1:64
	ds_read2_b64 v[106:109], v198 offset0:65 offset1:66
	ds_read2_b64 v[110:113], v198 offset0:67 offset1:68
	ds_read2_b64 v[114:117], v198 offset0:69 offset1:70
	v_cmp_lt_u32_e32 vcc, 1, v0
	s_waitcnt vmcnt(15) lgkmcnt(13)
	v_mul_f32_e32 v199, v62, v3
	v_mul_f32_e32 v200, v64, v5
	v_fmac_f32_e32 v199, v63, v2
	s_waitcnt vmcnt(14) lgkmcnt(12)
	v_mul_f32_e32 v201, v66, v7
	v_fmac_f32_e32 v200, v65, v4
	v_add_f32_e32 v199, 0, v199
	v_mul_f32_e32 v202, v68, v9
	v_fmac_f32_e32 v201, v67, v6
	v_add_f32_e32 v199, v199, v200
	s_waitcnt vmcnt(13) lgkmcnt(11)
	v_mul_f32_e32 v203, v70, v11
	v_fmac_f32_e32 v202, v69, v8
	v_add_f32_e32 v199, v199, v201
	v_mul_f32_e32 v204, v72, v13
	v_fmac_f32_e32 v203, v71, v10
	v_add_f32_e32 v199, v199, v202
	;; [unrolled: 7-line block ×11, first 2 shown]
	s_waitcnt vmcnt(3) lgkmcnt(1)
	v_mul_f32_e32 v225, v110, v51
	v_fmac_f32_e32 v224, v109, v48
	v_add_f32_e32 v199, v199, v223
	v_add_f32_e32 v199, v199, v224
	v_fmac_f32_e32 v225, v111, v50
	v_mul_f32_e32 v200, v112, v53
	v_add_f32_e32 v199, v199, v225
	v_fmac_f32_e32 v200, v113, v52
	s_waitcnt vmcnt(2) lgkmcnt(0)
	v_mul_f32_e32 v204, v114, v55
	v_add_f32_e32 v199, v199, v200
	v_fmac_f32_e32 v204, v115, v54
	ds_read2_b64 v[200:203], v198 offset0:71 offset1:72
	v_add_f32_e32 v223, v199, v204
	ds_read2_b64 v[204:207], v198 offset0:73 offset1:74
	scratch_load_dwordx4 v[208:211], off, off offset:264
	scratch_load_dwordx4 v[212:215], off, off offset:280
	;; [unrolled: 1-line block ×3, first 2 shown]
	scratch_load_dwordx2 v[228:229], off, off offset:312
	v_mul_f32_e32 v3, v63, v3
	v_fma_f32 v2, v62, v2, -v3
	v_mul_f32_e32 v3, v65, v5
	v_add_f32_e32 v2, 0, v2
	v_fma_f32 v3, v64, v4, -v3
	v_add_f32_e32 v2, v2, v3
	v_mul_f32_e32 v3, v67, v7
	v_fma_f32 v3, v66, v6, -v3
	v_add_f32_e32 v2, v2, v3
	v_mul_f32_e32 v3, v69, v9
	;; [unrolled: 3-line block ×25, first 2 shown]
	v_fma_f32 v3, v114, v54, -v3
	v_mul_f32_e32 v225, v116, v57
	v_add_f32_e32 v222, v2, v3
	v_mul_f32_e32 v2, v117, v57
	s_waitcnt vmcnt(5)
	v_mov_b32_e32 v14, v61
	v_fmac_f32_e32 v225, v117, v56
	s_waitcnt lgkmcnt(1)
	v_mul_f32_e32 v227, v200, v59
	v_fma_f32 v224, v116, v56, -v2
	v_mul_f32_e32 v2, v201, v59
	v_pk_mul_f32 v[14:15], v[202:203], v[14:15] op_sel:[1,0] op_sel_hi:[0,0]
	v_fmac_f32_e32 v227, v201, v58
	v_fma_f32 v226, v200, v58, -v2
	v_pk_add_f32 v[12:13], v[222:223], v[224:225]
	v_pk_fma_f32 v[16:17], v[202:203], v[60:61], v[14:15] neg_lo:[0,0,1] neg_hi:[0,0,1]
	v_pk_fma_f32 v[14:15], v[202:203], v[60:61], v[14:15] op_sel_hi:[1,0,1]
	v_pk_add_f32 v[12:13], v[12:13], v[226:227]
	v_mov_b32_e32 v17, v15
	s_waitcnt vmcnt(3) lgkmcnt(0)
	v_pk_mul_f32 v[14:15], v[204:205], v[208:209] op_sel:[1,1] op_sel_hi:[0,1]
	v_pk_add_f32 v[12:13], v[12:13], v[16:17]
	v_pk_fma_f32 v[16:17], v[204:205], v[208:209], v[14:15] neg_lo:[0,0,1] neg_hi:[0,0,1]
	v_pk_fma_f32 v[14:15], v[204:205], v[208:209], v[14:15] op_sel_hi:[1,0,1]
	ds_read2_b64 v[2:5], v198 offset0:75 offset1:76
	ds_read2_b64 v[6:9], v198 offset0:77 offset1:78
	ds_read_b64 v[10:11], v198 offset:632
	v_mov_b32_e32 v14, v211
	v_mov_b32_e32 v17, v15
	v_pk_mul_f32 v[14:15], v[206:207], v[14:15] op_sel:[1,0] op_sel_hi:[0,0]
	v_pk_add_f32 v[12:13], v[12:13], v[16:17]
	v_pk_fma_f32 v[16:17], v[206:207], v[210:211], v[14:15] neg_lo:[0,0,1] neg_hi:[0,0,1]
	v_pk_fma_f32 v[14:15], v[206:207], v[210:211], v[14:15] op_sel_hi:[1,0,1]
	s_nop 0
	v_mov_b32_e32 v17, v15
	s_waitcnt vmcnt(2) lgkmcnt(2)
	v_pk_mul_f32 v[14:15], v[2:3], v[212:213] op_sel:[1,1] op_sel_hi:[0,1]
	v_pk_add_f32 v[12:13], v[12:13], v[16:17]
	v_pk_fma_f32 v[16:17], v[2:3], v[212:213], v[14:15] neg_lo:[0,0,1] neg_hi:[0,0,1]
	v_pk_fma_f32 v[2:3], v[2:3], v[212:213], v[14:15] op_sel_hi:[1,0,1]
	s_nop 0
	v_mov_b32_e32 v17, v3
	v_pk_add_f32 v[2:3], v[12:13], v[16:17]
	v_mov_b32_e32 v12, v215
	v_pk_mul_f32 v[12:13], v[4:5], v[12:13] op_sel:[1,0] op_sel_hi:[0,0]
	v_pk_fma_f32 v[14:15], v[4:5], v[214:215], v[12:13] neg_lo:[0,0,1] neg_hi:[0,0,1]
	v_pk_fma_f32 v[4:5], v[4:5], v[214:215], v[12:13] op_sel_hi:[1,0,1]
	s_nop 0
	v_mov_b32_e32 v15, v5
	s_waitcnt vmcnt(1) lgkmcnt(1)
	v_pk_mul_f32 v[4:5], v[6:7], v[216:217] op_sel:[1,1] op_sel_hi:[0,1]
	v_pk_fma_f32 v[12:13], v[6:7], v[216:217], v[4:5] neg_lo:[0,0,1] neg_hi:[0,0,1]
	v_pk_fma_f32 v[4:5], v[6:7], v[216:217], v[4:5] op_sel_hi:[1,0,1]
	v_pk_add_f32 v[2:3], v[2:3], v[14:15]
	v_mov_b32_e32 v4, v219
	v_mov_b32_e32 v13, v5
	v_pk_mul_f32 v[4:5], v[8:9], v[4:5] op_sel:[1,0] op_sel_hi:[0,0]
	v_pk_fma_f32 v[6:7], v[8:9], v[218:219], v[4:5] neg_lo:[0,0,1] neg_hi:[0,0,1]
	v_pk_fma_f32 v[4:5], v[8:9], v[218:219], v[4:5] op_sel_hi:[1,0,1]
	v_pk_add_f32 v[2:3], v[2:3], v[12:13]
	v_mov_b32_e32 v7, v5
	s_waitcnt vmcnt(0) lgkmcnt(0)
	v_pk_mul_f32 v[4:5], v[10:11], v[228:229] op_sel:[1,1] op_sel_hi:[0,1]
	v_pk_add_f32 v[2:3], v[2:3], v[6:7]
	v_pk_fma_f32 v[6:7], v[10:11], v[228:229], v[4:5] neg_lo:[0,0,1] neg_hi:[0,0,1]
	v_pk_fma_f32 v[4:5], v[10:11], v[228:229], v[4:5] op_sel_hi:[1,0,1]
	s_nop 0
	v_mov_b32_e32 v7, v5
	v_pk_add_f32 v[2:3], v[2:3], v[6:7]
	s_nop 0
	v_pk_add_f32 v[2:3], v[220:221], v[2:3] neg_lo:[0,1] neg_hi:[0,1]
	scratch_store_dwordx2 off, v[2:3], off offset:16
	s_and_saveexec_b64 s[0:1], vcc
	s_cbranch_execz .LBB39_251
; %bb.250:
	scratch_load_dwordx2 v[2:3], off, off offset:8
	v_mov_b32_e32 v199, v198
	scratch_store_dwordx2 off, v[198:199], off offset:8
	s_waitcnt vmcnt(1)
	ds_write_b64 v1, v[2:3]
.LBB39_251:
	s_or_b64 exec, exec, s[0:1]
	s_waitcnt lgkmcnt(0)
	; wave barrier
	scratch_load_dwordx4 v[2:5], off, off offset:16
	scratch_load_dwordx4 v[6:9], off, off offset:32
	;; [unrolled: 1-line block ×13, first 2 shown]
	ds_read_b128 v[114:117], v198 offset:336
	ds_read_b128 v[110:113], v198 offset:352
	;; [unrolled: 1-line block ×14, first 2 shown]
	scratch_load_dwordx4 v[62:65], off, off offset:224
	scratch_load_dwordx4 v[70:73], off, off offset:240
	scratch_load_dwordx2 v[224:225], off, off offset:8
	v_cmp_ne_u32_e32 vcc, 0, v0
	s_waitcnt vmcnt(15) lgkmcnt(13)
	v_mul_f32_e32 v199, v114, v3
	v_mul_f32_e32 v200, v116, v5
	v_fmac_f32_e32 v199, v115, v2
	s_waitcnt vmcnt(14) lgkmcnt(12)
	v_mul_f32_e32 v201, v110, v7
	v_fmac_f32_e32 v200, v117, v4
	v_add_f32_e32 v199, 0, v199
	v_mul_f32_e32 v202, v112, v9
	v_fmac_f32_e32 v201, v111, v6
	v_add_f32_e32 v199, v199, v200
	s_waitcnt vmcnt(13) lgkmcnt(11)
	v_mul_f32_e32 v203, v106, v11
	v_fmac_f32_e32 v202, v113, v8
	v_add_f32_e32 v199, v199, v201
	v_mul_f32_e32 v204, v108, v13
	v_fmac_f32_e32 v203, v107, v10
	v_add_f32_e32 v199, v199, v202
	;; [unrolled: 7-line block ×11, first 2 shown]
	s_waitcnt vmcnt(3) lgkmcnt(1)
	v_mul_f32_e32 v223, v54, v51
	v_fmac_f32_e32 v222, v69, v48
	v_add_f32_e32 v199, v199, v221
	v_fmac_f32_e32 v223, v55, v50
	v_add_f32_e32 v199, v199, v222
	v_mul_f32_e32 v200, v56, v53
	v_add_f32_e32 v199, v199, v223
	v_fmac_f32_e32 v200, v57, v52
	v_add_f32_e32 v199, v199, v200
	s_waitcnt vmcnt(2) lgkmcnt(0)
	v_mul_f32_e32 v200, v58, v63
	v_fmac_f32_e32 v200, v59, v62
	v_mul_f32_e32 v204, v60, v65
	v_add_f32_e32 v199, v199, v200
	v_fmac_f32_e32 v204, v61, v64
	ds_read_b128 v[200:203], v198 offset:560
	v_add_f32_e32 v227, v199, v204
	ds_read_b128 v[204:207], v198 offset:576
	scratch_load_dwordx4 v[208:211], off, off offset:256
	scratch_load_dwordx4 v[212:215], off, off offset:272
	;; [unrolled: 1-line block ×4, first 2 shown]
	v_mul_f32_e32 v3, v115, v3
	v_fma_f32 v2, v114, v2, -v3
	v_mul_f32_e32 v3, v117, v5
	v_add_f32_e32 v2, 0, v2
	v_fma_f32 v3, v116, v4, -v3
	v_add_f32_e32 v2, v2, v3
	v_mul_f32_e32 v3, v111, v7
	v_fma_f32 v3, v110, v6, -v3
	v_add_f32_e32 v2, v2, v3
	v_mul_f32_e32 v3, v113, v9
	;; [unrolled: 3-line block ×26, first 2 shown]
	v_fma_f32 v3, v60, v64, -v3
	s_waitcnt vmcnt(5) lgkmcnt(1)
	v_mul_f32_e32 v229, v200, v71
	v_add_f32_e32 v226, v2, v3
	v_mul_f32_e32 v2, v201, v71
	s_waitcnt vmcnt(3) lgkmcnt(0)
	v_pk_mul_f32 v[16:17], v[204:205], v[208:209] op_sel:[1,1] op_sel_hi:[0,1]
	v_fmac_f32_e32 v229, v201, v70
	v_mul_f32_e32 v231, v202, v73
	v_fma_f32 v228, v200, v70, -v2
	v_mul_f32_e32 v2, v203, v73
	v_pk_fma_f32 v[18:19], v[204:205], v[208:209], v[16:17] neg_lo:[0,0,1] neg_hi:[0,0,1]
	v_pk_fma_f32 v[16:17], v[204:205], v[208:209], v[16:17] op_sel_hi:[1,0,1]
	v_fmac_f32_e32 v231, v203, v72
	v_fma_f32 v230, v202, v72, -v2
	ds_read_b128 v[2:5], v198 offset:592
	ds_read_b128 v[6:9], v198 offset:608
	;; [unrolled: 1-line block ×3, first 2 shown]
	v_pk_add_f32 v[14:15], v[226:227], v[228:229]
	v_mov_b32_e32 v16, v211
	v_pk_add_f32 v[14:15], v[14:15], v[230:231]
	v_mov_b32_e32 v19, v17
	v_pk_mul_f32 v[16:17], v[206:207], v[16:17] op_sel:[1,0] op_sel_hi:[0,0]
	v_pk_add_f32 v[14:15], v[14:15], v[18:19]
	v_pk_fma_f32 v[18:19], v[206:207], v[210:211], v[16:17] neg_lo:[0,0,1] neg_hi:[0,0,1]
	v_pk_fma_f32 v[16:17], v[206:207], v[210:211], v[16:17] op_sel_hi:[1,0,1]
	s_nop 0
	v_mov_b32_e32 v19, v17
	s_waitcnt vmcnt(2) lgkmcnt(2)
	v_pk_mul_f32 v[16:17], v[2:3], v[212:213] op_sel:[1,1] op_sel_hi:[0,1]
	v_pk_add_f32 v[14:15], v[14:15], v[18:19]
	v_pk_fma_f32 v[18:19], v[2:3], v[212:213], v[16:17] neg_lo:[0,0,1] neg_hi:[0,0,1]
	v_pk_fma_f32 v[2:3], v[2:3], v[212:213], v[16:17] op_sel_hi:[1,0,1]
	s_nop 0
	v_mov_b32_e32 v19, v3
	v_pk_add_f32 v[2:3], v[14:15], v[18:19]
	v_mov_b32_e32 v14, v215
	v_pk_mul_f32 v[14:15], v[4:5], v[14:15] op_sel:[1,0] op_sel_hi:[0,0]
	v_pk_fma_f32 v[16:17], v[4:5], v[214:215], v[14:15] neg_lo:[0,0,1] neg_hi:[0,0,1]
	v_pk_fma_f32 v[4:5], v[4:5], v[214:215], v[14:15] op_sel_hi:[1,0,1]
	s_nop 0
	v_mov_b32_e32 v17, v5
	s_waitcnt vmcnt(1) lgkmcnt(1)
	v_pk_mul_f32 v[4:5], v[6:7], v[216:217] op_sel:[1,1] op_sel_hi:[0,1]
	v_pk_fma_f32 v[14:15], v[6:7], v[216:217], v[4:5] neg_lo:[0,0,1] neg_hi:[0,0,1]
	v_pk_fma_f32 v[4:5], v[6:7], v[216:217], v[4:5] op_sel_hi:[1,0,1]
	v_pk_add_f32 v[2:3], v[2:3], v[16:17]
	v_mov_b32_e32 v4, v219
	v_mov_b32_e32 v15, v5
	v_pk_mul_f32 v[4:5], v[8:9], v[4:5] op_sel:[1,0] op_sel_hi:[0,0]
	v_pk_fma_f32 v[6:7], v[8:9], v[218:219], v[4:5] neg_lo:[0,0,1] neg_hi:[0,0,1]
	v_pk_fma_f32 v[4:5], v[8:9], v[218:219], v[4:5] op_sel_hi:[1,0,1]
	v_pk_add_f32 v[2:3], v[2:3], v[14:15]
	v_mov_b32_e32 v7, v5
	s_waitcnt vmcnt(0) lgkmcnt(0)
	v_pk_mul_f32 v[4:5], v[10:11], v[220:221] op_sel:[1,1] op_sel_hi:[0,1]
	v_pk_add_f32 v[2:3], v[2:3], v[6:7]
	v_pk_fma_f32 v[6:7], v[10:11], v[220:221], v[4:5] neg_lo:[0,0,1] neg_hi:[0,0,1]
	v_pk_fma_f32 v[4:5], v[10:11], v[220:221], v[4:5] op_sel_hi:[1,0,1]
	s_nop 0
	v_mov_b32_e32 v4, v223
	v_mov_b32_e32 v7, v5
	v_pk_mul_f32 v[4:5], v[12:13], v[4:5] op_sel:[1,0] op_sel_hi:[0,0]
	v_pk_add_f32 v[2:3], v[2:3], v[6:7]
	v_pk_fma_f32 v[6:7], v[12:13], v[222:223], v[4:5] neg_lo:[0,0,1] neg_hi:[0,0,1]
	v_pk_fma_f32 v[4:5], v[12:13], v[222:223], v[4:5] op_sel_hi:[1,0,1]
	s_nop 0
	v_mov_b32_e32 v7, v5
	v_pk_add_f32 v[2:3], v[2:3], v[6:7]
	s_nop 0
	v_pk_add_f32 v[2:3], v[224:225], v[2:3] neg_lo:[0,1] neg_hi:[0,1]
	scratch_store_dwordx2 off, v[2:3], off offset:8
	s_and_saveexec_b64 s[0:1], vcc
	s_cbranch_execz .LBB39_253
; %bb.252:
	scratch_load_dwordx2 v[2:3], off, off
	v_mov_b32_e32 v4, 0
	v_mov_b32_e32 v5, v4
	scratch_store_dwordx2 off, v[4:5], off
	s_waitcnt vmcnt(1)
	ds_write_b64 v1, v[2:3]
.LBB39_253:
	s_or_b64 exec, exec, s[0:1]
	s_waitcnt lgkmcnt(0)
	; wave barrier
	scratch_load_dwordx4 v[0:3], off, off offset:8
	scratch_load_dwordx4 v[4:7], off, off offset:24
	;; [unrolled: 1-line block ×16, first 2 shown]
	scratch_load_dwordx2 v[222:223], off, off
	v_mov_b32_e32 v64, 0
	ds_read2_b64 v[66:69], v64 offset0:41 offset1:42
	ds_read2_b64 v[70:73], v64 offset0:43 offset1:44
	;; [unrolled: 1-line block ×14, first 2 shown]
	s_and_b64 vcc, exec, s[18:19]
	s_waitcnt vmcnt(16) lgkmcnt(13)
	v_mul_f32_e32 v65, v66, v1
	v_mul_f32_e32 v202, v68, v3
	v_fmac_f32_e32 v65, v67, v0
	s_waitcnt vmcnt(15) lgkmcnt(12)
	v_mul_f32_e32 v203, v70, v5
	v_fmac_f32_e32 v202, v69, v2
	v_add_f32_e32 v65, 0, v65
	v_mul_f32_e32 v204, v72, v7
	v_fmac_f32_e32 v203, v71, v4
	v_add_f32_e32 v65, v65, v202
	s_waitcnt vmcnt(14) lgkmcnt(11)
	v_mul_f32_e32 v205, v74, v9
	v_fmac_f32_e32 v204, v73, v6
	v_add_f32_e32 v65, v65, v203
	v_mul_f32_e32 v206, v76, v11
	v_fmac_f32_e32 v205, v75, v8
	v_add_f32_e32 v65, v65, v204
	;; [unrolled: 7-line block ×11, first 2 shown]
	v_fmac_f32_e32 v226, v113, v46
	v_add_f32_e32 v65, v65, v225
	s_waitcnt vmcnt(4) lgkmcnt(1)
	v_mul_f32_e32 v202, v114, v49
	v_add_f32_e32 v65, v65, v226
	v_fmac_f32_e32 v202, v115, v48
	v_add_f32_e32 v65, v65, v202
	v_mul_f32_e32 v202, v116, v51
	v_fmac_f32_e32 v202, v117, v50
	v_add_f32_e32 v65, v65, v202
	s_waitcnt vmcnt(3) lgkmcnt(0)
	v_mul_f32_e32 v202, v198, v53
	v_fmac_f32_e32 v202, v199, v52
	v_add_f32_e32 v65, v65, v202
	ds_read2_b64 v[202:205], v64 offset0:69 offset1:70
	v_mul_f32_e32 v206, v200, v55
	v_fmac_f32_e32 v206, v201, v54
	v_add_f32_e32 v65, v65, v206
	ds_read2_b64 v[206:209], v64 offset0:71 offset1:72
	s_waitcnt vmcnt(2) lgkmcnt(1)
	v_mul_f32_e32 v210, v202, v61
	v_fmac_f32_e32 v210, v203, v60
	v_add_f32_e32 v225, v65, v210
	scratch_load_dwordx4 v[210:213], off, off offset:264
	scratch_load_dwordx4 v[214:217], off, off offset:280
	;; [unrolled: 1-line block ×3, first 2 shown]
	scratch_load_dwordx2 v[230:231], off, off offset:312
	v_mul_f32_e32 v1, v67, v1
	v_fma_f32 v0, v66, v0, -v1
	v_mul_f32_e32 v1, v69, v3
	v_add_f32_e32 v0, 0, v0
	v_fma_f32 v1, v68, v2, -v1
	v_add_f32_e32 v0, v0, v1
	v_mul_f32_e32 v1, v71, v5
	v_fma_f32 v1, v70, v4, -v1
	v_add_f32_e32 v0, v0, v1
	v_mul_f32_e32 v1, v73, v7
	;; [unrolled: 3-line block ×28, first 2 shown]
	v_mul_f32_e32 v227, v204, v63
	v_fma_f32 v226, v204, v62, -v0
	s_waitcnt vmcnt(5) lgkmcnt(0)
	v_mul_f32_e32 v0, v207, v57
	v_mov_b32_e32 v16, v59
	v_fmac_f32_e32 v227, v205, v62
	v_mul_f32_e32 v229, v206, v57
	v_fma_f32 v228, v206, v56, -v0
	ds_read2_b64 v[0:3], v64 offset0:73 offset1:74
	ds_read2_b64 v[4:7], v64 offset0:75 offset1:76
	;; [unrolled: 1-line block ×3, first 2 shown]
	ds_read_b64 v[12:13], v64 offset:632
	v_pk_mul_f32 v[16:17], v[208:209], v[16:17] op_sel:[1,0] op_sel_hi:[0,0]
	v_fmac_f32_e32 v229, v207, v56
	v_pk_add_f32 v[14:15], v[224:225], v[226:227]
	v_pk_fma_f32 v[18:19], v[208:209], v[58:59], v[16:17] neg_lo:[0,0,1] neg_hi:[0,0,1]
	v_pk_fma_f32 v[16:17], v[208:209], v[58:59], v[16:17] op_sel_hi:[1,0,1]
	v_pk_add_f32 v[14:15], v[14:15], v[228:229]
	v_mov_b32_e32 v19, v17
	s_waitcnt vmcnt(3) lgkmcnt(3)
	v_pk_mul_f32 v[16:17], v[0:1], v[210:211] op_sel:[1,1] op_sel_hi:[0,1]
	v_pk_add_f32 v[14:15], v[14:15], v[18:19]
	v_pk_fma_f32 v[18:19], v[0:1], v[210:211], v[16:17] neg_lo:[0,0,1] neg_hi:[0,0,1]
	v_pk_fma_f32 v[0:1], v[0:1], v[210:211], v[16:17] op_sel_hi:[1,0,1]
	s_nop 0
	v_mov_b32_e32 v19, v1
	v_pk_add_f32 v[0:1], v[14:15], v[18:19]
	v_mov_b32_e32 v14, v213
	v_pk_mul_f32 v[14:15], v[2:3], v[14:15] op_sel:[1,0] op_sel_hi:[0,0]
	v_pk_fma_f32 v[16:17], v[2:3], v[212:213], v[14:15] neg_lo:[0,0,1] neg_hi:[0,0,1]
	v_pk_fma_f32 v[2:3], v[2:3], v[212:213], v[14:15] op_sel_hi:[1,0,1]
	s_nop 0
	v_mov_b32_e32 v17, v3
	s_waitcnt vmcnt(2) lgkmcnt(2)
	v_pk_mul_f32 v[2:3], v[4:5], v[214:215] op_sel:[1,1] op_sel_hi:[0,1]
	v_pk_fma_f32 v[14:15], v[4:5], v[214:215], v[2:3] neg_lo:[0,0,1] neg_hi:[0,0,1]
	v_pk_fma_f32 v[2:3], v[4:5], v[214:215], v[2:3] op_sel_hi:[1,0,1]
	v_pk_add_f32 v[0:1], v[0:1], v[16:17]
	v_mov_b32_e32 v2, v217
	v_mov_b32_e32 v15, v3
	v_pk_mul_f32 v[2:3], v[6:7], v[2:3] op_sel:[1,0] op_sel_hi:[0,0]
	v_pk_fma_f32 v[4:5], v[6:7], v[216:217], v[2:3] neg_lo:[0,0,1] neg_hi:[0,0,1]
	v_pk_fma_f32 v[2:3], v[6:7], v[216:217], v[2:3] op_sel_hi:[1,0,1]
	v_pk_add_f32 v[0:1], v[0:1], v[14:15]
	v_mov_b32_e32 v5, v3
	s_waitcnt vmcnt(1) lgkmcnt(1)
	v_pk_mul_f32 v[2:3], v[8:9], v[218:219] op_sel:[1,1] op_sel_hi:[0,1]
	v_pk_add_f32 v[0:1], v[0:1], v[4:5]
	v_pk_fma_f32 v[4:5], v[8:9], v[218:219], v[2:3] neg_lo:[0,0,1] neg_hi:[0,0,1]
	v_pk_fma_f32 v[2:3], v[8:9], v[218:219], v[2:3] op_sel_hi:[1,0,1]
	s_nop 0
	v_mov_b32_e32 v2, v221
	v_mov_b32_e32 v5, v3
	v_pk_mul_f32 v[2:3], v[10:11], v[2:3] op_sel:[1,0] op_sel_hi:[0,0]
	v_pk_add_f32 v[0:1], v[0:1], v[4:5]
	v_pk_fma_f32 v[4:5], v[10:11], v[220:221], v[2:3] neg_lo:[0,0,1] neg_hi:[0,0,1]
	v_pk_fma_f32 v[2:3], v[10:11], v[220:221], v[2:3] op_sel_hi:[1,0,1]
	s_nop 0
	v_mov_b32_e32 v5, v3
	s_waitcnt vmcnt(0) lgkmcnt(0)
	v_pk_mul_f32 v[2:3], v[12:13], v[230:231] op_sel:[1,1] op_sel_hi:[0,1]
	v_pk_add_f32 v[0:1], v[0:1], v[4:5]
	v_pk_fma_f32 v[4:5], v[12:13], v[230:231], v[2:3] neg_lo:[0,0,1] neg_hi:[0,0,1]
	v_pk_fma_f32 v[2:3], v[12:13], v[230:231], v[2:3] op_sel_hi:[1,0,1]
	s_nop 0
	v_mov_b32_e32 v5, v3
	v_pk_add_f32 v[0:1], v[0:1], v[4:5]
	s_nop 0
	v_pk_add_f32 v[0:1], v[222:223], v[0:1] neg_lo:[0,1] neg_hi:[0,1]
	scratch_store_dwordx2 off, v[0:1], off
	s_cbranch_vccz .LBB39_332
; %bb.254:
	global_load_dword v0, v64, s[16:17] offset:152
	s_waitcnt vmcnt(0)
	v_readfirstlane_b32 s0, v0
	s_add_i32 s0, s0, -1
	s_cmp_lg_u32 s0, 38
	s_cbranch_scc0 .LBB39_256
; %bb.255:
	s_lshl_b32 s0, s0, 3
	s_nop 0
	scratch_load_dwordx2 v[0:1], off, s0
	scratch_load_dwordx2 v[2:3], off, off offset:304
	s_waitcnt vmcnt(1)
	scratch_store_dwordx2 off, v[0:1], off offset:304
	s_waitcnt vmcnt(1)
	scratch_store_dwordx2 off, v[2:3], s0
.LBB39_256:
	v_mov_b32_e32 v0, 0
	global_load_dword v1, v0, s[16:17] offset:148
	s_waitcnt vmcnt(0)
	v_readfirstlane_b32 s0, v1
	s_add_i32 s0, s0, -1
	s_cmp_eq_u32 s0, 37
	s_cbranch_scc1 .LBB39_258
; %bb.257:
	s_lshl_b32 s0, s0, 3
	s_nop 0
	scratch_load_dwordx2 v[2:3], off, s0
	scratch_load_dwordx2 v[4:5], off, off offset:296
	s_waitcnt vmcnt(1)
	scratch_store_dwordx2 off, v[2:3], off offset:296
	s_waitcnt vmcnt(1)
	scratch_store_dwordx2 off, v[4:5], s0
.LBB39_258:
	global_load_dword v0, v0, s[16:17] offset:144
	s_waitcnt vmcnt(0)
	v_readfirstlane_b32 s0, v0
	s_add_i32 s0, s0, -1
	s_cmp_eq_u32 s0, 36
	s_cbranch_scc1 .LBB39_260
; %bb.259:
	s_lshl_b32 s0, s0, 3
	s_nop 0
	scratch_load_dwordx2 v[0:1], off, s0
	scratch_load_dwordx2 v[2:3], off, off offset:288
	s_waitcnt vmcnt(1)
	scratch_store_dwordx2 off, v[0:1], off offset:288
	s_waitcnt vmcnt(1)
	scratch_store_dwordx2 off, v[2:3], s0
.LBB39_260:
	v_mov_b32_e32 v0, 0
	global_load_dword v1, v0, s[16:17] offset:140
	s_waitcnt vmcnt(0)
	v_readfirstlane_b32 s0, v1
	s_add_i32 s0, s0, -1
	s_cmp_eq_u32 s0, 35
	s_cbranch_scc1 .LBB39_262
; %bb.261:
	s_lshl_b32 s0, s0, 3
	s_nop 0
	scratch_load_dwordx2 v[2:3], off, s0
	scratch_load_dwordx2 v[4:5], off, off offset:280
	s_waitcnt vmcnt(1)
	scratch_store_dwordx2 off, v[2:3], off offset:280
	s_waitcnt vmcnt(1)
	scratch_store_dwordx2 off, v[4:5], s0
.LBB39_262:
	global_load_dword v0, v0, s[16:17] offset:136
	s_waitcnt vmcnt(0)
	v_readfirstlane_b32 s0, v0
	s_add_i32 s0, s0, -1
	s_cmp_eq_u32 s0, 34
	s_cbranch_scc1 .LBB39_264
; %bb.263:
	s_lshl_b32 s0, s0, 3
	s_nop 0
	scratch_load_dwordx2 v[0:1], off, s0
	scratch_load_dwordx2 v[2:3], off, off offset:272
	s_waitcnt vmcnt(1)
	scratch_store_dwordx2 off, v[0:1], off offset:272
	s_waitcnt vmcnt(1)
	scratch_store_dwordx2 off, v[2:3], s0
.LBB39_264:
	;; [unrolled: 33-line block ×18, first 2 shown]
	v_mov_b32_e32 v0, 0
	global_load_dword v1, v0, s[16:17] offset:4
	s_waitcnt vmcnt(0)
	v_readfirstlane_b32 s0, v1
	s_add_i32 s0, s0, -1
	s_cmp_eq_u32 s0, 1
	s_cbranch_scc1 .LBB39_330
; %bb.329:
	s_lshl_b32 s0, s0, 3
	s_nop 0
	scratch_load_dwordx2 v[2:3], off, s0
	scratch_load_dwordx2 v[4:5], off, off offset:8
	s_waitcnt vmcnt(1)
	scratch_store_dwordx2 off, v[2:3], off offset:8
	s_waitcnt vmcnt(1)
	scratch_store_dwordx2 off, v[4:5], s0
.LBB39_330:
	global_load_dword v2, v0, s[16:17]
	s_nop 0
	scratch_load_dwordx2 v[0:1], off, off
	s_waitcnt vmcnt(1)
	v_readfirstlane_b32 s0, v2
	s_add_i32 s0, s0, -1
	s_cmp_eq_u32 s0, 0
	s_cbranch_scc1 .LBB39_332
; %bb.331:
	s_lshl_b32 s0, s0, 3
	s_nop 0
	scratch_load_dwordx2 v[2:3], off, s0
	s_waitcnt vmcnt(0)
	scratch_store_dwordx2 off, v[2:3], off
	scratch_store_dwordx2 off, v[0:1], s0
	scratch_load_dwordx2 v[0:1], off, off
.LBB39_332:
	s_nop 0
	scratch_load_dwordx4 v[4:7], off, off offset:8
	scratch_load_dwordx4 v[8:11], off, off offset:24
	;; [unrolled: 1-line block ×19, first 2 shown]
	scratch_load_dwordx2 v[2:3], off, off offset:312
	s_waitcnt vmcnt(20)
	global_store_dwordx2 v[118:119], v[0:1], off
	s_waitcnt vmcnt(20)
	global_store_dwordx2 v[120:121], v[4:5], off
	global_store_dwordx2 v[122:123], v[6:7], off
	s_waitcnt vmcnt(21)
	global_store_dwordx2 v[124:125], v[8:9], off
	;; [unrolled: 3-line block ×20, first 2 shown]
	s_endpgm
	.section	.rodata,"a",@progbits
	.p2align	6, 0x0
	.amdhsa_kernel _ZN9rocsolver6v33100L18getri_kernel_smallILi40E19rocblas_complex_numIfEPS3_EEvT1_iilPiilS6_bb
		.amdhsa_group_segment_fixed_size 644
		.amdhsa_private_segment_fixed_size 336
		.amdhsa_kernarg_size 60
		.amdhsa_user_sgpr_count 2
		.amdhsa_user_sgpr_dispatch_ptr 0
		.amdhsa_user_sgpr_queue_ptr 0
		.amdhsa_user_sgpr_kernarg_segment_ptr 1
		.amdhsa_user_sgpr_dispatch_id 0
		.amdhsa_user_sgpr_kernarg_preload_length 0
		.amdhsa_user_sgpr_kernarg_preload_offset 0
		.amdhsa_user_sgpr_private_segment_size 0
		.amdhsa_uses_dynamic_stack 0
		.amdhsa_enable_private_segment 1
		.amdhsa_system_sgpr_workgroup_id_x 1
		.amdhsa_system_sgpr_workgroup_id_y 0
		.amdhsa_system_sgpr_workgroup_id_z 0
		.amdhsa_system_sgpr_workgroup_info 0
		.amdhsa_system_vgpr_workitem_id 0
		.amdhsa_next_free_vgpr 232
		.amdhsa_next_free_sgpr 20
		.amdhsa_accum_offset 232
		.amdhsa_reserve_vcc 1
		.amdhsa_float_round_mode_32 0
		.amdhsa_float_round_mode_16_64 0
		.amdhsa_float_denorm_mode_32 3
		.amdhsa_float_denorm_mode_16_64 3
		.amdhsa_dx10_clamp 1
		.amdhsa_ieee_mode 1
		.amdhsa_fp16_overflow 0
		.amdhsa_tg_split 0
		.amdhsa_exception_fp_ieee_invalid_op 0
		.amdhsa_exception_fp_denorm_src 0
		.amdhsa_exception_fp_ieee_div_zero 0
		.amdhsa_exception_fp_ieee_overflow 0
		.amdhsa_exception_fp_ieee_underflow 0
		.amdhsa_exception_fp_ieee_inexact 0
		.amdhsa_exception_int_div_zero 0
	.end_amdhsa_kernel
	.section	.text._ZN9rocsolver6v33100L18getri_kernel_smallILi40E19rocblas_complex_numIfEPS3_EEvT1_iilPiilS6_bb,"axG",@progbits,_ZN9rocsolver6v33100L18getri_kernel_smallILi40E19rocblas_complex_numIfEPS3_EEvT1_iilPiilS6_bb,comdat
.Lfunc_end39:
	.size	_ZN9rocsolver6v33100L18getri_kernel_smallILi40E19rocblas_complex_numIfEPS3_EEvT1_iilPiilS6_bb, .Lfunc_end39-_ZN9rocsolver6v33100L18getri_kernel_smallILi40E19rocblas_complex_numIfEPS3_EEvT1_iilPiilS6_bb
                                        ; -- End function
	.set _ZN9rocsolver6v33100L18getri_kernel_smallILi40E19rocblas_complex_numIfEPS3_EEvT1_iilPiilS6_bb.num_vgpr, 232
	.set _ZN9rocsolver6v33100L18getri_kernel_smallILi40E19rocblas_complex_numIfEPS3_EEvT1_iilPiilS6_bb.num_agpr, 0
	.set _ZN9rocsolver6v33100L18getri_kernel_smallILi40E19rocblas_complex_numIfEPS3_EEvT1_iilPiilS6_bb.numbered_sgpr, 20
	.set _ZN9rocsolver6v33100L18getri_kernel_smallILi40E19rocblas_complex_numIfEPS3_EEvT1_iilPiilS6_bb.num_named_barrier, 0
	.set _ZN9rocsolver6v33100L18getri_kernel_smallILi40E19rocblas_complex_numIfEPS3_EEvT1_iilPiilS6_bb.private_seg_size, 336
	.set _ZN9rocsolver6v33100L18getri_kernel_smallILi40E19rocblas_complex_numIfEPS3_EEvT1_iilPiilS6_bb.uses_vcc, 1
	.set _ZN9rocsolver6v33100L18getri_kernel_smallILi40E19rocblas_complex_numIfEPS3_EEvT1_iilPiilS6_bb.uses_flat_scratch, 0
	.set _ZN9rocsolver6v33100L18getri_kernel_smallILi40E19rocblas_complex_numIfEPS3_EEvT1_iilPiilS6_bb.has_dyn_sized_stack, 0
	.set _ZN9rocsolver6v33100L18getri_kernel_smallILi40E19rocblas_complex_numIfEPS3_EEvT1_iilPiilS6_bb.has_recursion, 0
	.set _ZN9rocsolver6v33100L18getri_kernel_smallILi40E19rocblas_complex_numIfEPS3_EEvT1_iilPiilS6_bb.has_indirect_call, 0
	.section	.AMDGPU.csdata,"",@progbits
; Kernel info:
; codeLenInByte = 50656
; TotalNumSgprs: 26
; NumVgprs: 232
; NumAgprs: 0
; TotalNumVgprs: 232
; ScratchSize: 336
; MemoryBound: 0
; FloatMode: 240
; IeeeMode: 1
; LDSByteSize: 644 bytes/workgroup (compile time only)
; SGPRBlocks: 3
; VGPRBlocks: 28
; NumSGPRsForWavesPerEU: 26
; NumVGPRsForWavesPerEU: 232
; AccumOffset: 232
; Occupancy: 2
; WaveLimiterHint : 1
; COMPUTE_PGM_RSRC2:SCRATCH_EN: 1
; COMPUTE_PGM_RSRC2:USER_SGPR: 2
; COMPUTE_PGM_RSRC2:TRAP_HANDLER: 0
; COMPUTE_PGM_RSRC2:TGID_X_EN: 1
; COMPUTE_PGM_RSRC2:TGID_Y_EN: 0
; COMPUTE_PGM_RSRC2:TGID_Z_EN: 0
; COMPUTE_PGM_RSRC2:TIDIG_COMP_CNT: 0
; COMPUTE_PGM_RSRC3_GFX90A:ACCUM_OFFSET: 57
; COMPUTE_PGM_RSRC3_GFX90A:TG_SPLIT: 0
	.section	.text._ZN9rocsolver6v33100L18getri_kernel_smallILi41E19rocblas_complex_numIfEPS3_EEvT1_iilPiilS6_bb,"axG",@progbits,_ZN9rocsolver6v33100L18getri_kernel_smallILi41E19rocblas_complex_numIfEPS3_EEvT1_iilPiilS6_bb,comdat
	.globl	_ZN9rocsolver6v33100L18getri_kernel_smallILi41E19rocblas_complex_numIfEPS3_EEvT1_iilPiilS6_bb ; -- Begin function _ZN9rocsolver6v33100L18getri_kernel_smallILi41E19rocblas_complex_numIfEPS3_EEvT1_iilPiilS6_bb
	.p2align	8
	.type	_ZN9rocsolver6v33100L18getri_kernel_smallILi41E19rocblas_complex_numIfEPS3_EEvT1_iilPiilS6_bb,@function
_ZN9rocsolver6v33100L18getri_kernel_smallILi41E19rocblas_complex_numIfEPS3_EEvT1_iilPiilS6_bb: ; @_ZN9rocsolver6v33100L18getri_kernel_smallILi41E19rocblas_complex_numIfEPS3_EEvT1_iilPiilS6_bb
; %bb.0:
	v_cmp_gt_u32_e32 vcc, 41, v0
	s_and_saveexec_b64 s[4:5], vcc
	s_cbranch_execz .LBB40_178
; %bb.1:
	s_load_dword s8, s[0:1], 0x38
	s_load_dwordx4 s[12:15], s[0:1], 0x10
	s_load_dwordx4 s[4:7], s[0:1], 0x28
                                        ; implicit-def: $sgpr16_sgpr17
	s_waitcnt lgkmcnt(0)
	s_bitcmp1_b32 s8, 8
	s_cselect_b64 s[18:19], -1, 0
	s_ashr_i32 s3, s2, 31
	s_bfe_u32 s8, s8, 0x10008
	s_cmp_eq_u32 s8, 0
	s_cbranch_scc1 .LBB40_3
; %bb.2:
	s_load_dword s8, s[0:1], 0x20
	s_mul_i32 s9, s4, s3
	s_mul_hi_u32 s10, s4, s2
	s_mul_i32 s5, s5, s2
	s_add_i32 s10, s10, s9
	s_add_i32 s5, s10, s5
	s_mul_i32 s4, s4, s2
	s_waitcnt lgkmcnt(0)
	s_ashr_i32 s9, s8, 31
	s_lshl_b64 s[4:5], s[4:5], 2
	s_add_u32 s10, s14, s4
	s_addc_u32 s11, s15, s5
	s_lshl_b64 s[4:5], s[8:9], 2
	s_add_u32 s16, s10, s4
	s_addc_u32 s17, s11, s5
.LBB40_3:
	s_load_dwordx4 s[8:11], s[0:1], 0x0
	s_load_dword s4, s[0:1], 0x38
	s_mul_i32 s5, s12, s3
	s_mul_hi_u32 s14, s12, s2
	s_add_i32 s5, s14, s5
	s_waitcnt lgkmcnt(0)
	s_ashr_i32 s1, s10, 31
	s_mov_b32 s0, s10
	s_mul_i32 s10, s13, s2
	s_add_i32 s13, s5, s10
	s_mul_i32 s12, s12, s2
	s_lshl_b64 s[12:13], s[12:13], 3
	s_add_u32 s5, s8, s12
	s_addc_u32 s8, s9, s13
	s_lshl_b64 s[0:1], s[0:1], 3
	s_add_u32 s0, s5, s0
	s_addc_u32 s1, s8, s1
	s_add_i32 s5, s11, s11
	v_add_u32_e32 v6, s5, v0
	v_ashrrev_i32_e32 v7, 31, v6
	v_lshl_add_u64 v[124:125], v[6:7], 3, s[0:1]
	v_add_u32_e32 v6, s11, v6
	v_add_u32_e32 v8, s11, v6
	v_ashrrev_i32_e32 v9, 31, v8
	v_lshl_add_u64 v[128:129], v[8:9], 3, s[0:1]
	v_add_u32_e32 v8, s11, v8
	v_ashrrev_i32_e32 v9, 31, v8
	v_lshl_add_u64 v[130:131], v[8:9], 3, s[0:1]
	v_add_u32_e32 v8, s11, v8
	v_ashrrev_i32_e32 v9, 31, v8
	v_lshl_add_u64 v[132:133], v[8:9], 3, s[0:1]
	v_add_u32_e32 v8, s11, v8
	v_ashrrev_i32_e32 v9, 31, v8
	v_lshl_add_u64 v[134:135], v[8:9], 3, s[0:1]
	v_add_u32_e32 v8, s11, v8
	v_ashrrev_i32_e32 v9, 31, v8
	v_lshl_add_u64 v[136:137], v[8:9], 3, s[0:1]
	v_add_u32_e32 v8, s11, v8
	v_ashrrev_i32_e32 v9, 31, v8
	v_lshl_add_u64 v[138:139], v[8:9], 3, s[0:1]
	v_add_u32_e32 v8, s11, v8
	v_ashrrev_i32_e32 v9, 31, v8
	v_lshl_add_u64 v[140:141], v[8:9], 3, s[0:1]
	v_add_u32_e32 v8, s11, v8
	v_ashrrev_i32_e32 v9, 31, v8
	v_lshl_add_u64 v[142:143], v[8:9], 3, s[0:1]
	v_add_u32_e32 v8, s11, v8
	v_ashrrev_i32_e32 v9, 31, v8
	v_lshl_add_u64 v[144:145], v[8:9], 3, s[0:1]
	v_add_u32_e32 v8, s11, v8
	v_ashrrev_i32_e32 v9, 31, v8
	v_lshl_add_u64 v[146:147], v[8:9], 3, s[0:1]
	v_add_u32_e32 v8, s11, v8
	v_ashrrev_i32_e32 v9, 31, v8
	v_lshl_add_u64 v[148:149], v[8:9], 3, s[0:1]
	v_add_u32_e32 v8, s11, v8
	v_ashrrev_i32_e32 v9, 31, v8
	v_lshl_add_u64 v[150:151], v[8:9], 3, s[0:1]
	v_add_u32_e32 v8, s11, v8
	v_ashrrev_i32_e32 v9, 31, v8
	v_lshl_add_u64 v[152:153], v[8:9], 3, s[0:1]
	v_add_u32_e32 v8, s11, v8
	v_ashrrev_i32_e32 v9, 31, v8
	v_lshl_add_u64 v[154:155], v[8:9], 3, s[0:1]
	v_add_u32_e32 v8, s11, v8
	v_ashrrev_i32_e32 v9, 31, v8
	v_lshl_add_u64 v[156:157], v[8:9], 3, s[0:1]
	v_add_u32_e32 v8, s11, v8
	v_ashrrev_i32_e32 v9, 31, v8
	v_lshl_add_u64 v[158:159], v[8:9], 3, s[0:1]
	v_add_u32_e32 v8, s11, v8
	v_ashrrev_i32_e32 v9, 31, v8
	v_lshl_add_u64 v[160:161], v[8:9], 3, s[0:1]
	v_add_u32_e32 v8, s11, v8
	v_ashrrev_i32_e32 v9, 31, v8
	v_lshl_add_u64 v[162:163], v[8:9], 3, s[0:1]
	v_add_u32_e32 v8, s11, v8
	v_ashrrev_i32_e32 v9, 31, v8
	v_lshl_add_u64 v[164:165], v[8:9], 3, s[0:1]
	v_add_u32_e32 v8, s11, v8
	v_ashrrev_i32_e32 v9, 31, v8
	v_lshl_add_u64 v[166:167], v[8:9], 3, s[0:1]
	v_add_u32_e32 v8, s11, v8
	v_ashrrev_i32_e32 v9, 31, v8
	v_lshl_add_u64 v[168:169], v[8:9], 3, s[0:1]
	v_add_u32_e32 v8, s11, v8
	v_ashrrev_i32_e32 v9, 31, v8
	v_lshl_add_u64 v[170:171], v[8:9], 3, s[0:1]
	v_add_u32_e32 v8, s11, v8
	v_ashrrev_i32_e32 v9, 31, v8
	v_lshl_add_u64 v[172:173], v[8:9], 3, s[0:1]
	v_add_u32_e32 v8, s11, v8
	v_ashrrev_i32_e32 v9, 31, v8
	v_lshl_add_u64 v[174:175], v[8:9], 3, s[0:1]
	v_add_u32_e32 v8, s11, v8
	v_ashrrev_i32_e32 v9, 31, v8
	v_lshl_add_u64 v[176:177], v[8:9], 3, s[0:1]
	v_add_u32_e32 v8, s11, v8
	v_ashrrev_i32_e32 v9, 31, v8
	v_lshl_add_u64 v[178:179], v[8:9], 3, s[0:1]
	v_add_u32_e32 v8, s11, v8
	v_ashrrev_i32_e32 v9, 31, v8
	v_lshl_add_u64 v[180:181], v[8:9], 3, s[0:1]
	v_add_u32_e32 v8, s11, v8
	v_ashrrev_i32_e32 v9, 31, v8
	v_lshl_add_u64 v[182:183], v[8:9], 3, s[0:1]
	v_add_u32_e32 v8, s11, v8
	v_ashrrev_i32_e32 v9, 31, v8
	v_lshl_add_u64 v[184:185], v[8:9], 3, s[0:1]
	v_add_u32_e32 v8, s11, v8
	v_ashrrev_i32_e32 v9, 31, v8
	v_lshl_add_u64 v[186:187], v[8:9], 3, s[0:1]
	v_add_u32_e32 v8, s11, v8
	v_ashrrev_i32_e32 v9, 31, v8
	v_lshl_add_u64 v[188:189], v[8:9], 3, s[0:1]
	v_add_u32_e32 v8, s11, v8
	v_ashrrev_i32_e32 v9, 31, v8
	v_lshl_add_u64 v[190:191], v[8:9], 3, s[0:1]
	v_add_u32_e32 v8, s11, v8
	v_ashrrev_i32_e32 v9, 31, v8
	v_lshl_add_u64 v[192:193], v[8:9], 3, s[0:1]
	v_add_u32_e32 v8, s11, v8
	v_ashrrev_i32_e32 v9, 31, v8
	v_lshl_add_u64 v[194:195], v[8:9], 3, s[0:1]
	v_add_u32_e32 v8, s11, v8
	v_ashrrev_i32_e32 v9, 31, v8
	v_lshl_add_u64 v[196:197], v[8:9], 3, s[0:1]
	v_add_u32_e32 v8, s11, v8
	v_lshlrev_b32_e32 v2, 3, v0
	v_mov_b32_e32 v3, 0
	v_ashrrev_i32_e32 v9, 31, v8
	v_lshl_add_u64 v[120:121], s[0:1], 0, v[2:3]
	s_ashr_i32 s9, s11, 31
	s_mov_b32 s8, s11
	v_lshl_add_u64 v[198:199], v[8:9], 3, s[0:1]
	v_add_u32_e32 v8, s11, v8
	v_lshl_add_u64 v[122:123], s[8:9], 3, v[120:121]
	v_ashrrev_i32_e32 v7, 31, v6
	v_ashrrev_i32_e32 v9, 31, v8
	global_load_dwordx2 v[4:5], v2, s[0:1]
	v_lshl_add_u64 v[126:127], v[6:7], 3, s[0:1]
	global_load_dwordx2 v[6:7], v[122:123], off
	global_load_dwordx2 v[10:11], v[124:125], off
	;; [unrolled: 1-line block ×36, first 2 shown]
	v_lshl_add_u64 v[200:201], v[8:9], 3, s[0:1]
	global_load_dwordx2 v[80:81], v[194:195], off
	global_load_dwordx2 v[82:83], v[196:197], off
	;; [unrolled: 1-line block ×4, first 2 shown]
	s_bitcmp0_b32 s4, 0
	s_mov_b64 s[4:5], -1
	s_waitcnt vmcnt(39)
	scratch_store_dwordx4 off, v[4:7], off
	s_waitcnt vmcnt(38)
	scratch_store_dwordx4 off, v[10:13], off offset:16
	s_waitcnt vmcnt(37)
	scratch_store_dwordx4 off, v[14:17], off offset:32
	;; [unrolled: 2-line block ×19, first 2 shown]
	s_waitcnt vmcnt(20)
	scratch_store_dwordx2 off, v[8:9], off offset:320
	s_cbranch_scc1 .LBB40_176
; %bb.4:
	v_cmp_eq_u32_e64 s[0:1], 0, v0
	s_and_saveexec_b64 s[4:5], s[0:1]
; %bb.5:
	v_mov_b32_e32 v1, 0
	ds_write_b32 v1, v1 offset:328
; %bb.6:
	s_or_b64 exec, exec, s[4:5]
	s_waitcnt lgkmcnt(0)
	; wave barrier
	scratch_load_dwordx2 v[4:5], v2, off
	s_waitcnt vmcnt(0)
	v_cmp_eq_f32_e32 vcc, 0, v4
	v_cmp_eq_f32_e64 s[4:5], 0, v5
	s_and_b64 s[4:5], vcc, s[4:5]
	s_and_saveexec_b64 s[8:9], s[4:5]
	s_cbranch_execz .LBB40_10
; %bb.7:
	v_mov_b32_e32 v1, 0
	ds_read_b32 v4, v1 offset:328
	v_add_u32_e32 v3, 1, v0
	s_waitcnt lgkmcnt(0)
	v_readfirstlane_b32 s4, v4
	s_cmp_eq_u32 s4, 0
	s_cselect_b64 s[10:11], -1, 0
	v_cmp_gt_i32_e32 vcc, s4, v3
	s_or_b64 s[10:11], s[10:11], vcc
	s_and_b64 exec, exec, s[10:11]
	s_cbranch_execz .LBB40_10
; %bb.8:
	s_mov_b64 s[10:11], 0
	v_mov_b32_e32 v4, s4
.LBB40_9:                               ; =>This Inner Loop Header: Depth=1
	ds_cmpst_rtn_b32 v4, v1, v4, v3 offset:328
	s_waitcnt lgkmcnt(0)
	v_cmp_ne_u32_e32 vcc, 0, v4
	v_cmp_le_i32_e64 s[4:5], v4, v3
	s_and_b64 s[4:5], vcc, s[4:5]
	s_and_b64 s[4:5], exec, s[4:5]
	s_or_b64 s[10:11], s[4:5], s[10:11]
	s_andn2_b64 exec, exec, s[10:11]
	s_cbranch_execnz .LBB40_9
.LBB40_10:
	s_or_b64 exec, exec, s[8:9]
	v_mov_b32_e32 v3, 0
	; wave barrier
	ds_read_b32 v1, v3 offset:328
	s_and_saveexec_b64 s[4:5], s[0:1]
	s_cbranch_execz .LBB40_12
; %bb.11:
	s_lshl_b64 s[8:9], s[2:3], 2
	s_add_u32 s8, s6, s8
	s_addc_u32 s9, s7, s9
	s_waitcnt lgkmcnt(0)
	global_store_dword v3, v1, s[8:9]
.LBB40_12:
	s_or_b64 exec, exec, s[4:5]
	s_waitcnt lgkmcnt(0)
	v_cmp_ne_u32_e32 vcc, 0, v1
	s_mov_b64 s[4:5], 0
	s_cbranch_vccnz .LBB40_176
; %bb.13:
	v_mov_b32_e32 v3, v2
	scratch_load_dwordx2 v[4:5], v3, off
                                        ; implicit-def: $vgpr7
                                        ; implicit-def: $vgpr8
	s_waitcnt vmcnt(0)
	v_cmp_ngt_f32_e64 s[4:5], |v4|, |v5|
	s_and_saveexec_b64 s[8:9], s[4:5]
	s_xor_b64 s[4:5], exec, s[8:9]
	s_cbranch_execz .LBB40_15
; %bb.14:
	v_div_scale_f32 v1, s[8:9], v5, v5, v4
	v_rcp_f32_e32 v6, v1
	v_div_scale_f32 v7, vcc, v4, v5, v4
	v_fma_f32 v8, -v1, v6, 1.0
	v_fmac_f32_e32 v6, v8, v6
	v_mul_f32_e32 v8, v7, v6
	v_fma_f32 v9, -v1, v8, v7
	v_fmac_f32_e32 v8, v9, v6
	v_fma_f32 v1, -v1, v8, v7
	v_div_fmas_f32 v1, v1, v6, v8
	v_div_fixup_f32 v1, v1, v5, v4
	v_fmac_f32_e32 v5, v4, v1
	v_div_scale_f32 v4, s[8:9], v5, v5, -1.0
	v_rcp_f32_e32 v6, v4
	s_nop 0
	v_fma_f32 v7, -v4, v6, 1.0
	v_fmac_f32_e32 v6, v7, v6
	v_div_scale_f32 v7, vcc, -1.0, v5, -1.0
	v_mul_f32_e32 v8, v7, v6
	v_fma_f32 v9, -v4, v8, v7
	v_fmac_f32_e32 v8, v9, v6
	v_fma_f32 v4, -v4, v8, v7
	v_div_fmas_f32 v4, v4, v6, v8
	v_div_fixup_f32 v7, v4, v5, -1.0
	v_mul_f32_e32 v8, v1, v7
	v_xor_b32_e32 v6, 0x80000000, v8
                                        ; implicit-def: $vgpr4_vgpr5
.LBB40_15:
	s_andn2_saveexec_b64 s[4:5], s[4:5]
	s_cbranch_execz .LBB40_17
; %bb.16:
	v_div_scale_f32 v1, s[8:9], v4, v4, v5
	v_rcp_f32_e32 v6, v1
	v_div_scale_f32 v7, vcc, v5, v4, v5
	v_fma_f32 v8, -v1, v6, 1.0
	v_fmac_f32_e32 v6, v8, v6
	v_mul_f32_e32 v8, v7, v6
	v_fma_f32 v9, -v1, v8, v7
	v_fmac_f32_e32 v8, v9, v6
	v_fma_f32 v1, -v1, v8, v7
	v_div_fmas_f32 v1, v1, v6, v8
	v_div_fixup_f32 v1, v1, v4, v5
	v_fmac_f32_e32 v4, v5, v1
	v_div_scale_f32 v5, s[8:9], v4, v4, 1.0
	v_rcp_f32_e32 v6, v5
	s_nop 0
	v_fma_f32 v7, -v5, v6, 1.0
	v_fmac_f32_e32 v6, v7, v6
	v_div_scale_f32 v7, vcc, 1.0, v4, 1.0
	v_mul_f32_e32 v8, v7, v6
	v_fma_f32 v9, -v5, v8, v7
	v_fmac_f32_e32 v8, v9, v6
	v_fma_f32 v5, -v5, v8, v7
	v_div_fmas_f32 v5, v5, v6, v8
	v_div_fixup_f32 v6, v5, v4, 1.0
	v_xor_b32_e32 v8, 0x80000000, v6
	v_mul_f32_e64 v7, v1, -v6
.LBB40_17:
	s_or_b64 exec, exec, s[4:5]
	scratch_store_dwordx2 v3, v[6:7], off
	scratch_load_dwordx2 v[4:5], off, off offset:8
	v_xor_b32_e32 v9, 0x80000000, v7
	v_add_u32_e32 v1, 0x150, v2
	s_waitcnt vmcnt(0)
	ds_write2_b64 v2, v[8:9], v[4:5] offset1:42
	s_waitcnt lgkmcnt(0)
	; wave barrier
	s_and_saveexec_b64 s[4:5], s[0:1]
	s_cbranch_execz .LBB40_19
; %bb.18:
	scratch_load_dwordx2 v[4:5], v3, off
	ds_read_b64 v[6:7], v1
	v_mov_b32_e32 v8, 0
	ds_read_b64 v[8:9], v8 offset:8
	s_waitcnt vmcnt(0) lgkmcnt(1)
	v_pk_mul_f32 v[10:11], v[6:7], v[4:5] op_sel:[1,1] op_sel_hi:[0,1]
	v_pk_fma_f32 v[12:13], v[6:7], v[4:5], v[10:11] neg_lo:[0,0,1] neg_hi:[0,0,1]
	v_pk_fma_f32 v[4:5], v[6:7], v[4:5], v[10:11] op_sel_hi:[1,0,1]
	s_nop 0
	v_mov_b32_e32 v13, v5
	v_pk_add_f32 v[4:5], v[12:13], 0 op_sel_hi:[1,0]
	s_waitcnt lgkmcnt(0)
	v_pk_mul_f32 v[6:7], v[4:5], v[8:9] op_sel:[1,1] op_sel_hi:[0,1]
	v_pk_fma_f32 v[10:11], v[4:5], v[8:9], v[6:7] neg_lo:[0,0,1] neg_hi:[0,0,1]
	v_pk_fma_f32 v[4:5], v[4:5], v[8:9], v[6:7] op_sel_hi:[1,0,1]
	s_nop 0
	v_mov_b32_e32 v11, v5
	scratch_store_dwordx2 off, v[10:11], off offset:8
.LBB40_19:
	s_or_b64 exec, exec, s[4:5]
	; wave barrier
	scratch_load_dwordx2 v[4:5], off, off offset:16
	v_cmp_gt_u32_e32 vcc, 2, v0
	s_waitcnt vmcnt(0)
	ds_write_b64 v1, v[4:5]
	s_waitcnt lgkmcnt(0)
	; wave barrier
	s_and_saveexec_b64 s[4:5], vcc
	s_cbranch_execz .LBB40_23
; %bb.20:
	scratch_load_dwordx2 v[4:5], v3, off
	ds_read_b64 v[6:7], v1
	s_waitcnt vmcnt(0) lgkmcnt(0)
	v_pk_mul_f32 v[8:9], v[6:7], v[4:5] op_sel:[1,1] op_sel_hi:[0,1]
	v_pk_fma_f32 v[10:11], v[6:7], v[4:5], v[8:9] neg_lo:[0,0,1] neg_hi:[0,0,1]
	v_pk_fma_f32 v[4:5], v[6:7], v[4:5], v[8:9] op_sel_hi:[1,0,1]
	s_nop 0
	v_mov_b32_e32 v11, v5
	v_pk_add_f32 v[4:5], v[10:11], 0 op_sel_hi:[1,0]
	s_and_saveexec_b64 s[8:9], s[0:1]
	s_cbranch_execz .LBB40_22
; %bb.21:
	scratch_load_dwordx2 v[6:7], off, off offset:8
	v_mov_b32_e32 v3, 0
	ds_read_b64 v[8:9], v3 offset:344
	s_waitcnt vmcnt(0) lgkmcnt(0)
	v_pk_mul_f32 v[10:11], v[8:9], v[6:7] op_sel:[1,1] op_sel_hi:[0,1]
	v_pk_fma_f32 v[12:13], v[8:9], v[6:7], v[10:11] neg_lo:[0,0,1] neg_hi:[0,0,1]
	v_pk_fma_f32 v[6:7], v[8:9], v[6:7], v[10:11] op_sel_hi:[1,0,1]
	s_nop 0
	v_mov_b32_e32 v13, v7
	v_pk_add_f32 v[4:5], v[4:5], v[12:13]
.LBB40_22:
	s_or_b64 exec, exec, s[8:9]
	v_mov_b32_e32 v3, 0
	ds_read_b64 v[6:7], v3 offset:16
	s_waitcnt lgkmcnt(0)
	v_pk_mul_f32 v[8:9], v[4:5], v[6:7] op_sel:[1,1] op_sel_hi:[0,1]
	v_pk_fma_f32 v[10:11], v[4:5], v[6:7], v[8:9] neg_lo:[0,0,1] neg_hi:[0,0,1]
	v_pk_fma_f32 v[4:5], v[4:5], v[6:7], v[8:9] op_sel_hi:[1,0,1]
	s_nop 0
	v_mov_b32_e32 v11, v5
	scratch_store_dwordx2 off, v[10:11], off offset:16
.LBB40_23:
	s_or_b64 exec, exec, s[4:5]
	; wave barrier
	scratch_load_dwordx2 v[4:5], off, off offset:24
	v_cmp_gt_u32_e32 vcc, 3, v0
	v_add_u32_e32 v6, -1, v0
	s_waitcnt vmcnt(0)
	ds_write_b64 v1, v[4:5]
	s_waitcnt lgkmcnt(0)
	; wave barrier
	s_and_saveexec_b64 s[0:1], vcc
	s_cbranch_execz .LBB40_27
; %bb.24:
	v_mov_b32_e32 v4, 0
	v_add_u32_e32 v3, -1, v0
	v_add_u32_e32 v7, 0x150, v2
	v_mov_b32_e32 v8, v2
	s_mov_b64 s[4:5], 0
	v_mov_b32_e32 v5, v4
.LBB40_25:                              ; =>This Inner Loop Header: Depth=1
	scratch_load_dwordx2 v[10:11], v8, off
	ds_read_b64 v[12:13], v7
	v_add_u32_e32 v3, 1, v3
	v_cmp_lt_u32_e32 vcc, 1, v3
	v_add_u32_e32 v7, 8, v7
	v_add_u32_e32 v8, 8, v8
	s_or_b64 s[4:5], vcc, s[4:5]
	s_waitcnt vmcnt(0) lgkmcnt(0)
	v_pk_mul_f32 v[14:15], v[12:13], v[10:11] op_sel:[1,1] op_sel_hi:[0,1]
	v_pk_fma_f32 v[16:17], v[12:13], v[10:11], v[14:15] neg_lo:[0,0,1] neg_hi:[0,0,1]
	v_pk_fma_f32 v[10:11], v[12:13], v[10:11], v[14:15] op_sel_hi:[1,0,1]
	s_nop 0
	v_mov_b32_e32 v17, v11
	v_pk_add_f32 v[4:5], v[4:5], v[16:17]
	s_andn2_b64 exec, exec, s[4:5]
	s_cbranch_execnz .LBB40_25
; %bb.26:
	s_or_b64 exec, exec, s[4:5]
	v_mov_b32_e32 v3, 0
	ds_read_b64 v[8:9], v3 offset:24
	s_waitcnt lgkmcnt(0)
	v_pk_mul_f32 v[10:11], v[4:5], v[8:9] op_sel:[1,1] op_sel_hi:[0,1]
	v_pk_fma_f32 v[12:13], v[4:5], v[8:9], v[10:11] neg_lo:[0,0,1] neg_hi:[0,0,1]
	v_pk_fma_f32 v[4:5], v[4:5], v[8:9], v[10:11] op_sel_hi:[1,0,1]
	s_nop 0
	v_mov_b32_e32 v13, v5
	scratch_store_dwordx2 off, v[12:13], off offset:24
.LBB40_27:
	s_or_b64 exec, exec, s[0:1]
	; wave barrier
	scratch_load_dwordx2 v[4:5], off, off offset:32
	v_cmp_gt_u32_e32 vcc, 4, v0
	s_waitcnt vmcnt(0)
	ds_write_b64 v1, v[4:5]
	s_waitcnt lgkmcnt(0)
	; wave barrier
	s_and_saveexec_b64 s[0:1], vcc
	s_cbranch_execz .LBB40_31
; %bb.28:
	v_mov_b32_e32 v4, 0
	v_add_u32_e32 v3, -1, v0
	v_add_u32_e32 v7, 0x150, v2
	v_mov_b32_e32 v8, v2
	s_mov_b64 s[4:5], 0
	v_mov_b32_e32 v5, v4
.LBB40_29:                              ; =>This Inner Loop Header: Depth=1
	scratch_load_dwordx2 v[10:11], v8, off
	ds_read_b64 v[12:13], v7
	v_add_u32_e32 v3, 1, v3
	v_cmp_lt_u32_e32 vcc, 2, v3
	v_add_u32_e32 v7, 8, v7
	v_add_u32_e32 v8, 8, v8
	s_or_b64 s[4:5], vcc, s[4:5]
	s_waitcnt vmcnt(0) lgkmcnt(0)
	v_pk_mul_f32 v[14:15], v[12:13], v[10:11] op_sel:[1,1] op_sel_hi:[0,1]
	v_pk_fma_f32 v[16:17], v[12:13], v[10:11], v[14:15] neg_lo:[0,0,1] neg_hi:[0,0,1]
	v_pk_fma_f32 v[10:11], v[12:13], v[10:11], v[14:15] op_sel_hi:[1,0,1]
	s_nop 0
	v_mov_b32_e32 v17, v11
	v_pk_add_f32 v[4:5], v[4:5], v[16:17]
	s_andn2_b64 exec, exec, s[4:5]
	s_cbranch_execnz .LBB40_29
; %bb.30:
	s_or_b64 exec, exec, s[4:5]
	v_mov_b32_e32 v3, 0
	ds_read_b64 v[8:9], v3 offset:32
	s_waitcnt lgkmcnt(0)
	v_pk_mul_f32 v[10:11], v[4:5], v[8:9] op_sel:[1,1] op_sel_hi:[0,1]
	v_pk_fma_f32 v[12:13], v[4:5], v[8:9], v[10:11] neg_lo:[0,0,1] neg_hi:[0,0,1]
	v_pk_fma_f32 v[4:5], v[4:5], v[8:9], v[10:11] op_sel_hi:[1,0,1]
	s_nop 0
	v_mov_b32_e32 v13, v5
	scratch_store_dwordx2 off, v[12:13], off offset:32
.LBB40_31:
	s_or_b64 exec, exec, s[0:1]
	; wave barrier
	scratch_load_dwordx2 v[4:5], off, off offset:40
	v_cmp_gt_u32_e32 vcc, 5, v0
	s_waitcnt vmcnt(0)
	ds_write_b64 v1, v[4:5]
	s_waitcnt lgkmcnt(0)
	; wave barrier
	s_and_saveexec_b64 s[0:1], vcc
	s_cbranch_execz .LBB40_35
; %bb.32:
	v_mov_b32_e32 v4, 0
	v_add_u32_e32 v3, -1, v0
	v_add_u32_e32 v7, 0x150, v2
	v_mov_b32_e32 v8, v2
	s_mov_b64 s[4:5], 0
	v_mov_b32_e32 v5, v4
.LBB40_33:                              ; =>This Inner Loop Header: Depth=1
	scratch_load_dwordx2 v[10:11], v8, off
	ds_read_b64 v[12:13], v7
	v_add_u32_e32 v3, 1, v3
	v_cmp_lt_u32_e32 vcc, 3, v3
	v_add_u32_e32 v7, 8, v7
	v_add_u32_e32 v8, 8, v8
	s_or_b64 s[4:5], vcc, s[4:5]
	s_waitcnt vmcnt(0) lgkmcnt(0)
	v_pk_mul_f32 v[14:15], v[12:13], v[10:11] op_sel:[1,1] op_sel_hi:[0,1]
	v_pk_fma_f32 v[16:17], v[12:13], v[10:11], v[14:15] neg_lo:[0,0,1] neg_hi:[0,0,1]
	v_pk_fma_f32 v[10:11], v[12:13], v[10:11], v[14:15] op_sel_hi:[1,0,1]
	s_nop 0
	v_mov_b32_e32 v17, v11
	v_pk_add_f32 v[4:5], v[4:5], v[16:17]
	s_andn2_b64 exec, exec, s[4:5]
	s_cbranch_execnz .LBB40_33
; %bb.34:
	s_or_b64 exec, exec, s[4:5]
	v_mov_b32_e32 v3, 0
	ds_read_b64 v[8:9], v3 offset:40
	s_waitcnt lgkmcnt(0)
	v_pk_mul_f32 v[10:11], v[4:5], v[8:9] op_sel:[1,1] op_sel_hi:[0,1]
	v_pk_fma_f32 v[12:13], v[4:5], v[8:9], v[10:11] neg_lo:[0,0,1] neg_hi:[0,0,1]
	v_pk_fma_f32 v[4:5], v[4:5], v[8:9], v[10:11] op_sel_hi:[1,0,1]
	s_nop 0
	v_mov_b32_e32 v13, v5
	scratch_store_dwordx2 off, v[12:13], off offset:40
.LBB40_35:
	s_or_b64 exec, exec, s[0:1]
	; wave barrier
	scratch_load_dwordx2 v[4:5], off, off offset:48
	v_cmp_gt_u32_e32 vcc, 6, v0
	s_waitcnt vmcnt(0)
	ds_write_b64 v1, v[4:5]
	s_waitcnt lgkmcnt(0)
	; wave barrier
	s_and_saveexec_b64 s[0:1], vcc
	s_cbranch_execz .LBB40_39
; %bb.36:
	v_mov_b32_e32 v4, 0
	v_add_u32_e32 v3, -1, v0
	v_add_u32_e32 v7, 0x150, v2
	v_mov_b32_e32 v8, v2
	s_mov_b64 s[4:5], 0
	v_mov_b32_e32 v5, v4
.LBB40_37:                              ; =>This Inner Loop Header: Depth=1
	scratch_load_dwordx2 v[10:11], v8, off
	ds_read_b64 v[12:13], v7
	v_add_u32_e32 v3, 1, v3
	v_cmp_lt_u32_e32 vcc, 4, v3
	v_add_u32_e32 v7, 8, v7
	v_add_u32_e32 v8, 8, v8
	s_or_b64 s[4:5], vcc, s[4:5]
	s_waitcnt vmcnt(0) lgkmcnt(0)
	v_pk_mul_f32 v[14:15], v[12:13], v[10:11] op_sel:[1,1] op_sel_hi:[0,1]
	v_pk_fma_f32 v[16:17], v[12:13], v[10:11], v[14:15] neg_lo:[0,0,1] neg_hi:[0,0,1]
	v_pk_fma_f32 v[10:11], v[12:13], v[10:11], v[14:15] op_sel_hi:[1,0,1]
	s_nop 0
	v_mov_b32_e32 v17, v11
	v_pk_add_f32 v[4:5], v[4:5], v[16:17]
	s_andn2_b64 exec, exec, s[4:5]
	s_cbranch_execnz .LBB40_37
; %bb.38:
	s_or_b64 exec, exec, s[4:5]
	v_mov_b32_e32 v3, 0
	ds_read_b64 v[8:9], v3 offset:48
	s_waitcnt lgkmcnt(0)
	v_pk_mul_f32 v[10:11], v[4:5], v[8:9] op_sel:[1,1] op_sel_hi:[0,1]
	v_pk_fma_f32 v[12:13], v[4:5], v[8:9], v[10:11] neg_lo:[0,0,1] neg_hi:[0,0,1]
	v_pk_fma_f32 v[4:5], v[4:5], v[8:9], v[10:11] op_sel_hi:[1,0,1]
	s_nop 0
	v_mov_b32_e32 v13, v5
	scratch_store_dwordx2 off, v[12:13], off offset:48
.LBB40_39:
	s_or_b64 exec, exec, s[0:1]
	; wave barrier
	scratch_load_dwordx2 v[4:5], off, off offset:56
	v_cmp_gt_u32_e32 vcc, 7, v0
	s_waitcnt vmcnt(0)
	ds_write_b64 v1, v[4:5]
	s_waitcnt lgkmcnt(0)
	; wave barrier
	s_and_saveexec_b64 s[0:1], vcc
	s_cbranch_execz .LBB40_43
; %bb.40:
	v_mov_b32_e32 v4, 0
	v_add_u32_e32 v3, -1, v0
	v_add_u32_e32 v7, 0x150, v2
	v_mov_b32_e32 v8, v2
	s_mov_b64 s[4:5], 0
	v_mov_b32_e32 v5, v4
.LBB40_41:                              ; =>This Inner Loop Header: Depth=1
	scratch_load_dwordx2 v[10:11], v8, off
	ds_read_b64 v[12:13], v7
	v_add_u32_e32 v3, 1, v3
	v_cmp_lt_u32_e32 vcc, 5, v3
	v_add_u32_e32 v7, 8, v7
	v_add_u32_e32 v8, 8, v8
	s_or_b64 s[4:5], vcc, s[4:5]
	s_waitcnt vmcnt(0) lgkmcnt(0)
	v_pk_mul_f32 v[14:15], v[12:13], v[10:11] op_sel:[1,1] op_sel_hi:[0,1]
	v_pk_fma_f32 v[16:17], v[12:13], v[10:11], v[14:15] neg_lo:[0,0,1] neg_hi:[0,0,1]
	v_pk_fma_f32 v[10:11], v[12:13], v[10:11], v[14:15] op_sel_hi:[1,0,1]
	s_nop 0
	v_mov_b32_e32 v17, v11
	v_pk_add_f32 v[4:5], v[4:5], v[16:17]
	s_andn2_b64 exec, exec, s[4:5]
	s_cbranch_execnz .LBB40_41
; %bb.42:
	s_or_b64 exec, exec, s[4:5]
	v_mov_b32_e32 v3, 0
	ds_read_b64 v[8:9], v3 offset:56
	s_waitcnt lgkmcnt(0)
	v_pk_mul_f32 v[10:11], v[4:5], v[8:9] op_sel:[1,1] op_sel_hi:[0,1]
	v_pk_fma_f32 v[12:13], v[4:5], v[8:9], v[10:11] neg_lo:[0,0,1] neg_hi:[0,0,1]
	v_pk_fma_f32 v[4:5], v[4:5], v[8:9], v[10:11] op_sel_hi:[1,0,1]
	s_nop 0
	v_mov_b32_e32 v13, v5
	scratch_store_dwordx2 off, v[12:13], off offset:56
.LBB40_43:
	s_or_b64 exec, exec, s[0:1]
	; wave barrier
	scratch_load_dwordx2 v[4:5], off, off offset:64
	v_cmp_gt_u32_e32 vcc, 8, v0
	s_waitcnt vmcnt(0)
	ds_write_b64 v1, v[4:5]
	s_waitcnt lgkmcnt(0)
	; wave barrier
	s_and_saveexec_b64 s[0:1], vcc
	s_cbranch_execz .LBB40_47
; %bb.44:
	v_mov_b32_e32 v4, 0
	v_add_u32_e32 v3, -1, v0
	v_add_u32_e32 v7, 0x150, v2
	v_mov_b32_e32 v8, v2
	s_mov_b64 s[4:5], 0
	v_mov_b32_e32 v5, v4
.LBB40_45:                              ; =>This Inner Loop Header: Depth=1
	scratch_load_dwordx2 v[10:11], v8, off
	ds_read_b64 v[12:13], v7
	v_add_u32_e32 v3, 1, v3
	v_cmp_lt_u32_e32 vcc, 6, v3
	v_add_u32_e32 v7, 8, v7
	v_add_u32_e32 v8, 8, v8
	s_or_b64 s[4:5], vcc, s[4:5]
	s_waitcnt vmcnt(0) lgkmcnt(0)
	v_pk_mul_f32 v[14:15], v[12:13], v[10:11] op_sel:[1,1] op_sel_hi:[0,1]
	v_pk_fma_f32 v[16:17], v[12:13], v[10:11], v[14:15] neg_lo:[0,0,1] neg_hi:[0,0,1]
	v_pk_fma_f32 v[10:11], v[12:13], v[10:11], v[14:15] op_sel_hi:[1,0,1]
	s_nop 0
	v_mov_b32_e32 v17, v11
	v_pk_add_f32 v[4:5], v[4:5], v[16:17]
	s_andn2_b64 exec, exec, s[4:5]
	s_cbranch_execnz .LBB40_45
; %bb.46:
	s_or_b64 exec, exec, s[4:5]
	v_mov_b32_e32 v3, 0
	ds_read_b64 v[8:9], v3 offset:64
	s_waitcnt lgkmcnt(0)
	v_pk_mul_f32 v[10:11], v[4:5], v[8:9] op_sel:[1,1] op_sel_hi:[0,1]
	v_pk_fma_f32 v[12:13], v[4:5], v[8:9], v[10:11] neg_lo:[0,0,1] neg_hi:[0,0,1]
	v_pk_fma_f32 v[4:5], v[4:5], v[8:9], v[10:11] op_sel_hi:[1,0,1]
	s_nop 0
	v_mov_b32_e32 v13, v5
	scratch_store_dwordx2 off, v[12:13], off offset:64
.LBB40_47:
	s_or_b64 exec, exec, s[0:1]
	; wave barrier
	scratch_load_dwordx2 v[4:5], off, off offset:72
	v_cmp_gt_u32_e32 vcc, 9, v0
	s_waitcnt vmcnt(0)
	ds_write_b64 v1, v[4:5]
	s_waitcnt lgkmcnt(0)
	; wave barrier
	s_and_saveexec_b64 s[0:1], vcc
	s_cbranch_execz .LBB40_51
; %bb.48:
	v_mov_b32_e32 v4, 0
	v_add_u32_e32 v3, -1, v0
	v_add_u32_e32 v7, 0x150, v2
	v_mov_b32_e32 v8, v2
	s_mov_b64 s[4:5], 0
	v_mov_b32_e32 v5, v4
.LBB40_49:                              ; =>This Inner Loop Header: Depth=1
	scratch_load_dwordx2 v[10:11], v8, off
	ds_read_b64 v[12:13], v7
	v_add_u32_e32 v3, 1, v3
	v_cmp_lt_u32_e32 vcc, 7, v3
	v_add_u32_e32 v7, 8, v7
	v_add_u32_e32 v8, 8, v8
	s_or_b64 s[4:5], vcc, s[4:5]
	s_waitcnt vmcnt(0) lgkmcnt(0)
	v_pk_mul_f32 v[14:15], v[12:13], v[10:11] op_sel:[1,1] op_sel_hi:[0,1]
	v_pk_fma_f32 v[16:17], v[12:13], v[10:11], v[14:15] neg_lo:[0,0,1] neg_hi:[0,0,1]
	v_pk_fma_f32 v[10:11], v[12:13], v[10:11], v[14:15] op_sel_hi:[1,0,1]
	s_nop 0
	v_mov_b32_e32 v17, v11
	v_pk_add_f32 v[4:5], v[4:5], v[16:17]
	s_andn2_b64 exec, exec, s[4:5]
	s_cbranch_execnz .LBB40_49
; %bb.50:
	s_or_b64 exec, exec, s[4:5]
	v_mov_b32_e32 v3, 0
	ds_read_b64 v[8:9], v3 offset:72
	s_waitcnt lgkmcnt(0)
	v_pk_mul_f32 v[10:11], v[4:5], v[8:9] op_sel:[1,1] op_sel_hi:[0,1]
	v_pk_fma_f32 v[12:13], v[4:5], v[8:9], v[10:11] neg_lo:[0,0,1] neg_hi:[0,0,1]
	v_pk_fma_f32 v[4:5], v[4:5], v[8:9], v[10:11] op_sel_hi:[1,0,1]
	s_nop 0
	v_mov_b32_e32 v13, v5
	scratch_store_dwordx2 off, v[12:13], off offset:72
.LBB40_51:
	s_or_b64 exec, exec, s[0:1]
	; wave barrier
	scratch_load_dwordx2 v[4:5], off, off offset:80
	v_cmp_gt_u32_e32 vcc, 10, v0
	s_waitcnt vmcnt(0)
	ds_write_b64 v1, v[4:5]
	s_waitcnt lgkmcnt(0)
	; wave barrier
	s_and_saveexec_b64 s[0:1], vcc
	s_cbranch_execz .LBB40_55
; %bb.52:
	v_mov_b32_e32 v4, 0
	v_add_u32_e32 v3, -1, v0
	v_add_u32_e32 v7, 0x150, v2
	v_mov_b32_e32 v8, v2
	s_mov_b64 s[4:5], 0
	v_mov_b32_e32 v5, v4
.LBB40_53:                              ; =>This Inner Loop Header: Depth=1
	scratch_load_dwordx2 v[10:11], v8, off
	ds_read_b64 v[12:13], v7
	v_add_u32_e32 v3, 1, v3
	v_cmp_lt_u32_e32 vcc, 8, v3
	v_add_u32_e32 v7, 8, v7
	v_add_u32_e32 v8, 8, v8
	s_or_b64 s[4:5], vcc, s[4:5]
	s_waitcnt vmcnt(0) lgkmcnt(0)
	v_pk_mul_f32 v[14:15], v[12:13], v[10:11] op_sel:[1,1] op_sel_hi:[0,1]
	v_pk_fma_f32 v[16:17], v[12:13], v[10:11], v[14:15] neg_lo:[0,0,1] neg_hi:[0,0,1]
	v_pk_fma_f32 v[10:11], v[12:13], v[10:11], v[14:15] op_sel_hi:[1,0,1]
	s_nop 0
	v_mov_b32_e32 v17, v11
	v_pk_add_f32 v[4:5], v[4:5], v[16:17]
	s_andn2_b64 exec, exec, s[4:5]
	s_cbranch_execnz .LBB40_53
; %bb.54:
	s_or_b64 exec, exec, s[4:5]
	v_mov_b32_e32 v3, 0
	ds_read_b64 v[8:9], v3 offset:80
	s_waitcnt lgkmcnt(0)
	v_pk_mul_f32 v[10:11], v[4:5], v[8:9] op_sel:[1,1] op_sel_hi:[0,1]
	v_pk_fma_f32 v[12:13], v[4:5], v[8:9], v[10:11] neg_lo:[0,0,1] neg_hi:[0,0,1]
	v_pk_fma_f32 v[4:5], v[4:5], v[8:9], v[10:11] op_sel_hi:[1,0,1]
	s_nop 0
	v_mov_b32_e32 v13, v5
	scratch_store_dwordx2 off, v[12:13], off offset:80
.LBB40_55:
	s_or_b64 exec, exec, s[0:1]
	; wave barrier
	scratch_load_dwordx2 v[4:5], off, off offset:88
	v_cmp_gt_u32_e32 vcc, 11, v0
	s_waitcnt vmcnt(0)
	ds_write_b64 v1, v[4:5]
	s_waitcnt lgkmcnt(0)
	; wave barrier
	s_and_saveexec_b64 s[0:1], vcc
	s_cbranch_execz .LBB40_59
; %bb.56:
	v_mov_b32_e32 v4, 0
	v_add_u32_e32 v3, -1, v0
	v_add_u32_e32 v7, 0x150, v2
	v_mov_b32_e32 v8, v2
	s_mov_b64 s[4:5], 0
	v_mov_b32_e32 v5, v4
.LBB40_57:                              ; =>This Inner Loop Header: Depth=1
	scratch_load_dwordx2 v[10:11], v8, off
	ds_read_b64 v[12:13], v7
	v_add_u32_e32 v3, 1, v3
	v_cmp_lt_u32_e32 vcc, 9, v3
	v_add_u32_e32 v7, 8, v7
	v_add_u32_e32 v8, 8, v8
	s_or_b64 s[4:5], vcc, s[4:5]
	s_waitcnt vmcnt(0) lgkmcnt(0)
	v_pk_mul_f32 v[14:15], v[12:13], v[10:11] op_sel:[1,1] op_sel_hi:[0,1]
	v_pk_fma_f32 v[16:17], v[12:13], v[10:11], v[14:15] neg_lo:[0,0,1] neg_hi:[0,0,1]
	v_pk_fma_f32 v[10:11], v[12:13], v[10:11], v[14:15] op_sel_hi:[1,0,1]
	s_nop 0
	v_mov_b32_e32 v17, v11
	v_pk_add_f32 v[4:5], v[4:5], v[16:17]
	s_andn2_b64 exec, exec, s[4:5]
	s_cbranch_execnz .LBB40_57
; %bb.58:
	s_or_b64 exec, exec, s[4:5]
	v_mov_b32_e32 v3, 0
	ds_read_b64 v[8:9], v3 offset:88
	s_waitcnt lgkmcnt(0)
	v_pk_mul_f32 v[10:11], v[4:5], v[8:9] op_sel:[1,1] op_sel_hi:[0,1]
	v_pk_fma_f32 v[12:13], v[4:5], v[8:9], v[10:11] neg_lo:[0,0,1] neg_hi:[0,0,1]
	v_pk_fma_f32 v[4:5], v[4:5], v[8:9], v[10:11] op_sel_hi:[1,0,1]
	s_nop 0
	v_mov_b32_e32 v13, v5
	scratch_store_dwordx2 off, v[12:13], off offset:88
.LBB40_59:
	s_or_b64 exec, exec, s[0:1]
	; wave barrier
	scratch_load_dwordx2 v[4:5], off, off offset:96
	v_cmp_gt_u32_e32 vcc, 12, v0
	s_waitcnt vmcnt(0)
	ds_write_b64 v1, v[4:5]
	s_waitcnt lgkmcnt(0)
	; wave barrier
	s_and_saveexec_b64 s[0:1], vcc
	s_cbranch_execz .LBB40_63
; %bb.60:
	v_mov_b32_e32 v4, 0
	v_add_u32_e32 v3, -1, v0
	v_add_u32_e32 v7, 0x150, v2
	v_mov_b32_e32 v8, v2
	s_mov_b64 s[4:5], 0
	v_mov_b32_e32 v5, v4
.LBB40_61:                              ; =>This Inner Loop Header: Depth=1
	scratch_load_dwordx2 v[10:11], v8, off
	ds_read_b64 v[12:13], v7
	v_add_u32_e32 v3, 1, v3
	v_cmp_lt_u32_e32 vcc, 10, v3
	v_add_u32_e32 v7, 8, v7
	v_add_u32_e32 v8, 8, v8
	s_or_b64 s[4:5], vcc, s[4:5]
	s_waitcnt vmcnt(0) lgkmcnt(0)
	v_pk_mul_f32 v[14:15], v[12:13], v[10:11] op_sel:[1,1] op_sel_hi:[0,1]
	v_pk_fma_f32 v[16:17], v[12:13], v[10:11], v[14:15] neg_lo:[0,0,1] neg_hi:[0,0,1]
	v_pk_fma_f32 v[10:11], v[12:13], v[10:11], v[14:15] op_sel_hi:[1,0,1]
	s_nop 0
	v_mov_b32_e32 v17, v11
	v_pk_add_f32 v[4:5], v[4:5], v[16:17]
	s_andn2_b64 exec, exec, s[4:5]
	s_cbranch_execnz .LBB40_61
; %bb.62:
	s_or_b64 exec, exec, s[4:5]
	v_mov_b32_e32 v3, 0
	ds_read_b64 v[8:9], v3 offset:96
	s_waitcnt lgkmcnt(0)
	v_pk_mul_f32 v[10:11], v[4:5], v[8:9] op_sel:[1,1] op_sel_hi:[0,1]
	v_pk_fma_f32 v[12:13], v[4:5], v[8:9], v[10:11] neg_lo:[0,0,1] neg_hi:[0,0,1]
	v_pk_fma_f32 v[4:5], v[4:5], v[8:9], v[10:11] op_sel_hi:[1,0,1]
	s_nop 0
	v_mov_b32_e32 v13, v5
	scratch_store_dwordx2 off, v[12:13], off offset:96
.LBB40_63:
	s_or_b64 exec, exec, s[0:1]
	; wave barrier
	scratch_load_dwordx2 v[4:5], off, off offset:104
	v_cmp_gt_u32_e32 vcc, 13, v0
	s_waitcnt vmcnt(0)
	ds_write_b64 v1, v[4:5]
	s_waitcnt lgkmcnt(0)
	; wave barrier
	s_and_saveexec_b64 s[0:1], vcc
	s_cbranch_execz .LBB40_67
; %bb.64:
	v_mov_b32_e32 v4, 0
	v_add_u32_e32 v3, -1, v0
	v_add_u32_e32 v7, 0x150, v2
	v_mov_b32_e32 v8, v2
	s_mov_b64 s[4:5], 0
	v_mov_b32_e32 v5, v4
.LBB40_65:                              ; =>This Inner Loop Header: Depth=1
	scratch_load_dwordx2 v[10:11], v8, off
	ds_read_b64 v[12:13], v7
	v_add_u32_e32 v3, 1, v3
	v_cmp_lt_u32_e32 vcc, 11, v3
	v_add_u32_e32 v7, 8, v7
	v_add_u32_e32 v8, 8, v8
	s_or_b64 s[4:5], vcc, s[4:5]
	s_waitcnt vmcnt(0) lgkmcnt(0)
	v_pk_mul_f32 v[14:15], v[12:13], v[10:11] op_sel:[1,1] op_sel_hi:[0,1]
	v_pk_fma_f32 v[16:17], v[12:13], v[10:11], v[14:15] neg_lo:[0,0,1] neg_hi:[0,0,1]
	v_pk_fma_f32 v[10:11], v[12:13], v[10:11], v[14:15] op_sel_hi:[1,0,1]
	s_nop 0
	v_mov_b32_e32 v17, v11
	v_pk_add_f32 v[4:5], v[4:5], v[16:17]
	s_andn2_b64 exec, exec, s[4:5]
	s_cbranch_execnz .LBB40_65
; %bb.66:
	s_or_b64 exec, exec, s[4:5]
	v_mov_b32_e32 v3, 0
	ds_read_b64 v[8:9], v3 offset:104
	s_waitcnt lgkmcnt(0)
	v_pk_mul_f32 v[10:11], v[4:5], v[8:9] op_sel:[1,1] op_sel_hi:[0,1]
	v_pk_fma_f32 v[12:13], v[4:5], v[8:9], v[10:11] neg_lo:[0,0,1] neg_hi:[0,0,1]
	v_pk_fma_f32 v[4:5], v[4:5], v[8:9], v[10:11] op_sel_hi:[1,0,1]
	s_nop 0
	v_mov_b32_e32 v13, v5
	scratch_store_dwordx2 off, v[12:13], off offset:104
.LBB40_67:
	s_or_b64 exec, exec, s[0:1]
	; wave barrier
	scratch_load_dwordx2 v[4:5], off, off offset:112
	v_cmp_gt_u32_e32 vcc, 14, v0
	s_waitcnt vmcnt(0)
	ds_write_b64 v1, v[4:5]
	s_waitcnt lgkmcnt(0)
	; wave barrier
	s_and_saveexec_b64 s[0:1], vcc
	s_cbranch_execz .LBB40_71
; %bb.68:
	v_mov_b32_e32 v4, 0
	v_add_u32_e32 v3, -1, v0
	v_add_u32_e32 v7, 0x150, v2
	v_mov_b32_e32 v8, v2
	s_mov_b64 s[4:5], 0
	v_mov_b32_e32 v5, v4
.LBB40_69:                              ; =>This Inner Loop Header: Depth=1
	scratch_load_dwordx2 v[10:11], v8, off
	ds_read_b64 v[12:13], v7
	v_add_u32_e32 v3, 1, v3
	v_cmp_lt_u32_e32 vcc, 12, v3
	v_add_u32_e32 v7, 8, v7
	v_add_u32_e32 v8, 8, v8
	s_or_b64 s[4:5], vcc, s[4:5]
	s_waitcnt vmcnt(0) lgkmcnt(0)
	v_pk_mul_f32 v[14:15], v[12:13], v[10:11] op_sel:[1,1] op_sel_hi:[0,1]
	v_pk_fma_f32 v[16:17], v[12:13], v[10:11], v[14:15] neg_lo:[0,0,1] neg_hi:[0,0,1]
	v_pk_fma_f32 v[10:11], v[12:13], v[10:11], v[14:15] op_sel_hi:[1,0,1]
	s_nop 0
	v_mov_b32_e32 v17, v11
	v_pk_add_f32 v[4:5], v[4:5], v[16:17]
	s_andn2_b64 exec, exec, s[4:5]
	s_cbranch_execnz .LBB40_69
; %bb.70:
	s_or_b64 exec, exec, s[4:5]
	v_mov_b32_e32 v3, 0
	ds_read_b64 v[8:9], v3 offset:112
	s_waitcnt lgkmcnt(0)
	v_pk_mul_f32 v[10:11], v[4:5], v[8:9] op_sel:[1,1] op_sel_hi:[0,1]
	v_pk_fma_f32 v[12:13], v[4:5], v[8:9], v[10:11] neg_lo:[0,0,1] neg_hi:[0,0,1]
	v_pk_fma_f32 v[4:5], v[4:5], v[8:9], v[10:11] op_sel_hi:[1,0,1]
	s_nop 0
	v_mov_b32_e32 v13, v5
	scratch_store_dwordx2 off, v[12:13], off offset:112
.LBB40_71:
	s_or_b64 exec, exec, s[0:1]
	; wave barrier
	scratch_load_dwordx2 v[4:5], off, off offset:120
	v_cmp_gt_u32_e32 vcc, 15, v0
	s_waitcnt vmcnt(0)
	ds_write_b64 v1, v[4:5]
	s_waitcnt lgkmcnt(0)
	; wave barrier
	s_and_saveexec_b64 s[0:1], vcc
	s_cbranch_execz .LBB40_75
; %bb.72:
	v_mov_b32_e32 v4, 0
	v_add_u32_e32 v3, -1, v0
	v_add_u32_e32 v7, 0x150, v2
	v_mov_b32_e32 v8, v2
	s_mov_b64 s[4:5], 0
	v_mov_b32_e32 v5, v4
.LBB40_73:                              ; =>This Inner Loop Header: Depth=1
	scratch_load_dwordx2 v[10:11], v8, off
	ds_read_b64 v[12:13], v7
	v_add_u32_e32 v3, 1, v3
	v_cmp_lt_u32_e32 vcc, 13, v3
	v_add_u32_e32 v7, 8, v7
	v_add_u32_e32 v8, 8, v8
	s_or_b64 s[4:5], vcc, s[4:5]
	s_waitcnt vmcnt(0) lgkmcnt(0)
	v_pk_mul_f32 v[14:15], v[12:13], v[10:11] op_sel:[1,1] op_sel_hi:[0,1]
	v_pk_fma_f32 v[16:17], v[12:13], v[10:11], v[14:15] neg_lo:[0,0,1] neg_hi:[0,0,1]
	v_pk_fma_f32 v[10:11], v[12:13], v[10:11], v[14:15] op_sel_hi:[1,0,1]
	s_nop 0
	v_mov_b32_e32 v17, v11
	v_pk_add_f32 v[4:5], v[4:5], v[16:17]
	s_andn2_b64 exec, exec, s[4:5]
	s_cbranch_execnz .LBB40_73
; %bb.74:
	s_or_b64 exec, exec, s[4:5]
	v_mov_b32_e32 v3, 0
	ds_read_b64 v[8:9], v3 offset:120
	s_waitcnt lgkmcnt(0)
	v_pk_mul_f32 v[10:11], v[4:5], v[8:9] op_sel:[1,1] op_sel_hi:[0,1]
	v_pk_fma_f32 v[12:13], v[4:5], v[8:9], v[10:11] neg_lo:[0,0,1] neg_hi:[0,0,1]
	v_pk_fma_f32 v[4:5], v[4:5], v[8:9], v[10:11] op_sel_hi:[1,0,1]
	s_nop 0
	v_mov_b32_e32 v13, v5
	scratch_store_dwordx2 off, v[12:13], off offset:120
.LBB40_75:
	s_or_b64 exec, exec, s[0:1]
	; wave barrier
	scratch_load_dwordx2 v[4:5], off, off offset:128
	v_cmp_gt_u32_e32 vcc, 16, v0
	s_waitcnt vmcnt(0)
	ds_write_b64 v1, v[4:5]
	s_waitcnt lgkmcnt(0)
	; wave barrier
	s_and_saveexec_b64 s[0:1], vcc
	s_cbranch_execz .LBB40_79
; %bb.76:
	v_mov_b32_e32 v4, 0
	v_add_u32_e32 v3, -1, v0
	v_add_u32_e32 v7, 0x150, v2
	v_mov_b32_e32 v8, v2
	s_mov_b64 s[4:5], 0
	v_mov_b32_e32 v5, v4
.LBB40_77:                              ; =>This Inner Loop Header: Depth=1
	scratch_load_dwordx2 v[10:11], v8, off
	ds_read_b64 v[12:13], v7
	v_add_u32_e32 v3, 1, v3
	v_cmp_lt_u32_e32 vcc, 14, v3
	v_add_u32_e32 v7, 8, v7
	v_add_u32_e32 v8, 8, v8
	s_or_b64 s[4:5], vcc, s[4:5]
	s_waitcnt vmcnt(0) lgkmcnt(0)
	v_pk_mul_f32 v[14:15], v[12:13], v[10:11] op_sel:[1,1] op_sel_hi:[0,1]
	v_pk_fma_f32 v[16:17], v[12:13], v[10:11], v[14:15] neg_lo:[0,0,1] neg_hi:[0,0,1]
	v_pk_fma_f32 v[10:11], v[12:13], v[10:11], v[14:15] op_sel_hi:[1,0,1]
	s_nop 0
	v_mov_b32_e32 v17, v11
	v_pk_add_f32 v[4:5], v[4:5], v[16:17]
	s_andn2_b64 exec, exec, s[4:5]
	s_cbranch_execnz .LBB40_77
; %bb.78:
	s_or_b64 exec, exec, s[4:5]
	v_mov_b32_e32 v3, 0
	ds_read_b64 v[8:9], v3 offset:128
	s_waitcnt lgkmcnt(0)
	v_pk_mul_f32 v[10:11], v[4:5], v[8:9] op_sel:[1,1] op_sel_hi:[0,1]
	v_pk_fma_f32 v[12:13], v[4:5], v[8:9], v[10:11] neg_lo:[0,0,1] neg_hi:[0,0,1]
	v_pk_fma_f32 v[4:5], v[4:5], v[8:9], v[10:11] op_sel_hi:[1,0,1]
	s_nop 0
	v_mov_b32_e32 v13, v5
	scratch_store_dwordx2 off, v[12:13], off offset:128
.LBB40_79:
	s_or_b64 exec, exec, s[0:1]
	; wave barrier
	scratch_load_dwordx2 v[4:5], off, off offset:136
	v_cmp_gt_u32_e32 vcc, 17, v0
	s_waitcnt vmcnt(0)
	ds_write_b64 v1, v[4:5]
	s_waitcnt lgkmcnt(0)
	; wave barrier
	s_and_saveexec_b64 s[0:1], vcc
	s_cbranch_execz .LBB40_83
; %bb.80:
	v_mov_b32_e32 v4, 0
	v_add_u32_e32 v3, -1, v0
	v_add_u32_e32 v7, 0x150, v2
	v_mov_b32_e32 v8, v2
	s_mov_b64 s[4:5], 0
	v_mov_b32_e32 v5, v4
.LBB40_81:                              ; =>This Inner Loop Header: Depth=1
	scratch_load_dwordx2 v[10:11], v8, off
	ds_read_b64 v[12:13], v7
	v_add_u32_e32 v3, 1, v3
	v_cmp_lt_u32_e32 vcc, 15, v3
	v_add_u32_e32 v7, 8, v7
	v_add_u32_e32 v8, 8, v8
	s_or_b64 s[4:5], vcc, s[4:5]
	s_waitcnt vmcnt(0) lgkmcnt(0)
	v_pk_mul_f32 v[14:15], v[12:13], v[10:11] op_sel:[1,1] op_sel_hi:[0,1]
	v_pk_fma_f32 v[16:17], v[12:13], v[10:11], v[14:15] neg_lo:[0,0,1] neg_hi:[0,0,1]
	v_pk_fma_f32 v[10:11], v[12:13], v[10:11], v[14:15] op_sel_hi:[1,0,1]
	s_nop 0
	v_mov_b32_e32 v17, v11
	v_pk_add_f32 v[4:5], v[4:5], v[16:17]
	s_andn2_b64 exec, exec, s[4:5]
	s_cbranch_execnz .LBB40_81
; %bb.82:
	s_or_b64 exec, exec, s[4:5]
	v_mov_b32_e32 v3, 0
	ds_read_b64 v[8:9], v3 offset:136
	s_waitcnt lgkmcnt(0)
	v_pk_mul_f32 v[10:11], v[4:5], v[8:9] op_sel:[1,1] op_sel_hi:[0,1]
	v_pk_fma_f32 v[12:13], v[4:5], v[8:9], v[10:11] neg_lo:[0,0,1] neg_hi:[0,0,1]
	v_pk_fma_f32 v[4:5], v[4:5], v[8:9], v[10:11] op_sel_hi:[1,0,1]
	s_nop 0
	v_mov_b32_e32 v13, v5
	scratch_store_dwordx2 off, v[12:13], off offset:136
.LBB40_83:
	s_or_b64 exec, exec, s[0:1]
	; wave barrier
	scratch_load_dwordx2 v[4:5], off, off offset:144
	v_cmp_gt_u32_e32 vcc, 18, v0
	s_waitcnt vmcnt(0)
	ds_write_b64 v1, v[4:5]
	s_waitcnt lgkmcnt(0)
	; wave barrier
	s_and_saveexec_b64 s[0:1], vcc
	s_cbranch_execz .LBB40_87
; %bb.84:
	v_mov_b32_e32 v4, 0
	v_add_u32_e32 v3, -1, v0
	v_add_u32_e32 v7, 0x150, v2
	v_mov_b32_e32 v8, v2
	s_mov_b64 s[4:5], 0
	v_mov_b32_e32 v5, v4
.LBB40_85:                              ; =>This Inner Loop Header: Depth=1
	scratch_load_dwordx2 v[10:11], v8, off
	ds_read_b64 v[12:13], v7
	v_add_u32_e32 v3, 1, v3
	v_cmp_lt_u32_e32 vcc, 16, v3
	v_add_u32_e32 v7, 8, v7
	v_add_u32_e32 v8, 8, v8
	s_or_b64 s[4:5], vcc, s[4:5]
	s_waitcnt vmcnt(0) lgkmcnt(0)
	v_pk_mul_f32 v[14:15], v[12:13], v[10:11] op_sel:[1,1] op_sel_hi:[0,1]
	v_pk_fma_f32 v[16:17], v[12:13], v[10:11], v[14:15] neg_lo:[0,0,1] neg_hi:[0,0,1]
	v_pk_fma_f32 v[10:11], v[12:13], v[10:11], v[14:15] op_sel_hi:[1,0,1]
	s_nop 0
	v_mov_b32_e32 v17, v11
	v_pk_add_f32 v[4:5], v[4:5], v[16:17]
	s_andn2_b64 exec, exec, s[4:5]
	s_cbranch_execnz .LBB40_85
; %bb.86:
	s_or_b64 exec, exec, s[4:5]
	v_mov_b32_e32 v3, 0
	ds_read_b64 v[8:9], v3 offset:144
	s_waitcnt lgkmcnt(0)
	v_pk_mul_f32 v[10:11], v[4:5], v[8:9] op_sel:[1,1] op_sel_hi:[0,1]
	v_pk_fma_f32 v[12:13], v[4:5], v[8:9], v[10:11] neg_lo:[0,0,1] neg_hi:[0,0,1]
	v_pk_fma_f32 v[4:5], v[4:5], v[8:9], v[10:11] op_sel_hi:[1,0,1]
	s_nop 0
	v_mov_b32_e32 v13, v5
	scratch_store_dwordx2 off, v[12:13], off offset:144
.LBB40_87:
	s_or_b64 exec, exec, s[0:1]
	; wave barrier
	scratch_load_dwordx2 v[4:5], off, off offset:152
	v_cmp_gt_u32_e32 vcc, 19, v0
	s_waitcnt vmcnt(0)
	ds_write_b64 v1, v[4:5]
	s_waitcnt lgkmcnt(0)
	; wave barrier
	s_and_saveexec_b64 s[0:1], vcc
	s_cbranch_execz .LBB40_91
; %bb.88:
	v_mov_b32_e32 v4, 0
	v_add_u32_e32 v3, -1, v0
	v_add_u32_e32 v7, 0x150, v2
	v_mov_b32_e32 v8, v2
	s_mov_b64 s[4:5], 0
	v_mov_b32_e32 v5, v4
.LBB40_89:                              ; =>This Inner Loop Header: Depth=1
	scratch_load_dwordx2 v[10:11], v8, off
	ds_read_b64 v[12:13], v7
	v_add_u32_e32 v3, 1, v3
	v_cmp_lt_u32_e32 vcc, 17, v3
	v_add_u32_e32 v7, 8, v7
	v_add_u32_e32 v8, 8, v8
	s_or_b64 s[4:5], vcc, s[4:5]
	s_waitcnt vmcnt(0) lgkmcnt(0)
	v_pk_mul_f32 v[14:15], v[12:13], v[10:11] op_sel:[1,1] op_sel_hi:[0,1]
	v_pk_fma_f32 v[16:17], v[12:13], v[10:11], v[14:15] neg_lo:[0,0,1] neg_hi:[0,0,1]
	v_pk_fma_f32 v[10:11], v[12:13], v[10:11], v[14:15] op_sel_hi:[1,0,1]
	s_nop 0
	v_mov_b32_e32 v17, v11
	v_pk_add_f32 v[4:5], v[4:5], v[16:17]
	s_andn2_b64 exec, exec, s[4:5]
	s_cbranch_execnz .LBB40_89
; %bb.90:
	s_or_b64 exec, exec, s[4:5]
	v_mov_b32_e32 v3, 0
	ds_read_b64 v[8:9], v3 offset:152
	s_waitcnt lgkmcnt(0)
	v_pk_mul_f32 v[10:11], v[4:5], v[8:9] op_sel:[1,1] op_sel_hi:[0,1]
	v_pk_fma_f32 v[12:13], v[4:5], v[8:9], v[10:11] neg_lo:[0,0,1] neg_hi:[0,0,1]
	v_pk_fma_f32 v[4:5], v[4:5], v[8:9], v[10:11] op_sel_hi:[1,0,1]
	s_nop 0
	v_mov_b32_e32 v13, v5
	scratch_store_dwordx2 off, v[12:13], off offset:152
.LBB40_91:
	s_or_b64 exec, exec, s[0:1]
	; wave barrier
	scratch_load_dwordx2 v[4:5], off, off offset:160
	v_cmp_gt_u32_e32 vcc, 20, v0
	s_waitcnt vmcnt(0)
	ds_write_b64 v1, v[4:5]
	s_waitcnt lgkmcnt(0)
	; wave barrier
	s_and_saveexec_b64 s[0:1], vcc
	s_cbranch_execz .LBB40_95
; %bb.92:
	v_mov_b32_e32 v4, 0
	v_add_u32_e32 v3, -1, v0
	v_add_u32_e32 v7, 0x150, v2
	v_mov_b32_e32 v8, v2
	s_mov_b64 s[4:5], 0
	v_mov_b32_e32 v5, v4
.LBB40_93:                              ; =>This Inner Loop Header: Depth=1
	scratch_load_dwordx2 v[10:11], v8, off
	ds_read_b64 v[12:13], v7
	v_add_u32_e32 v3, 1, v3
	v_cmp_lt_u32_e32 vcc, 18, v3
	v_add_u32_e32 v7, 8, v7
	v_add_u32_e32 v8, 8, v8
	s_or_b64 s[4:5], vcc, s[4:5]
	s_waitcnt vmcnt(0) lgkmcnt(0)
	v_pk_mul_f32 v[14:15], v[12:13], v[10:11] op_sel:[1,1] op_sel_hi:[0,1]
	v_pk_fma_f32 v[16:17], v[12:13], v[10:11], v[14:15] neg_lo:[0,0,1] neg_hi:[0,0,1]
	v_pk_fma_f32 v[10:11], v[12:13], v[10:11], v[14:15] op_sel_hi:[1,0,1]
	s_nop 0
	v_mov_b32_e32 v17, v11
	v_pk_add_f32 v[4:5], v[4:5], v[16:17]
	s_andn2_b64 exec, exec, s[4:5]
	s_cbranch_execnz .LBB40_93
; %bb.94:
	s_or_b64 exec, exec, s[4:5]
	v_mov_b32_e32 v3, 0
	ds_read_b64 v[8:9], v3 offset:160
	s_waitcnt lgkmcnt(0)
	v_pk_mul_f32 v[10:11], v[4:5], v[8:9] op_sel:[1,1] op_sel_hi:[0,1]
	v_pk_fma_f32 v[12:13], v[4:5], v[8:9], v[10:11] neg_lo:[0,0,1] neg_hi:[0,0,1]
	v_pk_fma_f32 v[4:5], v[4:5], v[8:9], v[10:11] op_sel_hi:[1,0,1]
	s_nop 0
	v_mov_b32_e32 v13, v5
	scratch_store_dwordx2 off, v[12:13], off offset:160
.LBB40_95:
	s_or_b64 exec, exec, s[0:1]
	; wave barrier
	scratch_load_dwordx2 v[4:5], off, off offset:168
	v_cmp_gt_u32_e32 vcc, 21, v0
	s_waitcnt vmcnt(0)
	ds_write_b64 v1, v[4:5]
	s_waitcnt lgkmcnt(0)
	; wave barrier
	s_and_saveexec_b64 s[0:1], vcc
	s_cbranch_execz .LBB40_99
; %bb.96:
	v_mov_b32_e32 v4, 0
	v_add_u32_e32 v3, -1, v0
	v_add_u32_e32 v7, 0x150, v2
	v_mov_b32_e32 v8, v2
	s_mov_b64 s[4:5], 0
	v_mov_b32_e32 v5, v4
.LBB40_97:                              ; =>This Inner Loop Header: Depth=1
	scratch_load_dwordx2 v[10:11], v8, off
	ds_read_b64 v[12:13], v7
	v_add_u32_e32 v3, 1, v3
	v_cmp_lt_u32_e32 vcc, 19, v3
	v_add_u32_e32 v7, 8, v7
	v_add_u32_e32 v8, 8, v8
	s_or_b64 s[4:5], vcc, s[4:5]
	s_waitcnt vmcnt(0) lgkmcnt(0)
	v_pk_mul_f32 v[14:15], v[12:13], v[10:11] op_sel:[1,1] op_sel_hi:[0,1]
	v_pk_fma_f32 v[16:17], v[12:13], v[10:11], v[14:15] neg_lo:[0,0,1] neg_hi:[0,0,1]
	v_pk_fma_f32 v[10:11], v[12:13], v[10:11], v[14:15] op_sel_hi:[1,0,1]
	s_nop 0
	v_mov_b32_e32 v17, v11
	v_pk_add_f32 v[4:5], v[4:5], v[16:17]
	s_andn2_b64 exec, exec, s[4:5]
	s_cbranch_execnz .LBB40_97
; %bb.98:
	s_or_b64 exec, exec, s[4:5]
	v_mov_b32_e32 v3, 0
	ds_read_b64 v[8:9], v3 offset:168
	s_waitcnt lgkmcnt(0)
	v_pk_mul_f32 v[10:11], v[4:5], v[8:9] op_sel:[1,1] op_sel_hi:[0,1]
	v_pk_fma_f32 v[12:13], v[4:5], v[8:9], v[10:11] neg_lo:[0,0,1] neg_hi:[0,0,1]
	v_pk_fma_f32 v[4:5], v[4:5], v[8:9], v[10:11] op_sel_hi:[1,0,1]
	s_nop 0
	v_mov_b32_e32 v13, v5
	scratch_store_dwordx2 off, v[12:13], off offset:168
.LBB40_99:
	s_or_b64 exec, exec, s[0:1]
	; wave barrier
	scratch_load_dwordx2 v[4:5], off, off offset:176
	v_cmp_gt_u32_e32 vcc, 22, v0
	s_waitcnt vmcnt(0)
	ds_write_b64 v1, v[4:5]
	s_waitcnt lgkmcnt(0)
	; wave barrier
	s_and_saveexec_b64 s[0:1], vcc
	s_cbranch_execz .LBB40_103
; %bb.100:
	v_mov_b32_e32 v4, 0
	v_add_u32_e32 v3, -1, v0
	v_add_u32_e32 v7, 0x150, v2
	v_mov_b32_e32 v8, v2
	s_mov_b64 s[4:5], 0
	v_mov_b32_e32 v5, v4
.LBB40_101:                             ; =>This Inner Loop Header: Depth=1
	scratch_load_dwordx2 v[10:11], v8, off
	ds_read_b64 v[12:13], v7
	v_add_u32_e32 v3, 1, v3
	v_cmp_lt_u32_e32 vcc, 20, v3
	v_add_u32_e32 v7, 8, v7
	v_add_u32_e32 v8, 8, v8
	s_or_b64 s[4:5], vcc, s[4:5]
	s_waitcnt vmcnt(0) lgkmcnt(0)
	v_pk_mul_f32 v[14:15], v[12:13], v[10:11] op_sel:[1,1] op_sel_hi:[0,1]
	v_pk_fma_f32 v[16:17], v[12:13], v[10:11], v[14:15] neg_lo:[0,0,1] neg_hi:[0,0,1]
	v_pk_fma_f32 v[10:11], v[12:13], v[10:11], v[14:15] op_sel_hi:[1,0,1]
	s_nop 0
	v_mov_b32_e32 v17, v11
	v_pk_add_f32 v[4:5], v[4:5], v[16:17]
	s_andn2_b64 exec, exec, s[4:5]
	s_cbranch_execnz .LBB40_101
; %bb.102:
	s_or_b64 exec, exec, s[4:5]
	v_mov_b32_e32 v3, 0
	ds_read_b64 v[8:9], v3 offset:176
	s_waitcnt lgkmcnt(0)
	v_pk_mul_f32 v[10:11], v[4:5], v[8:9] op_sel:[1,1] op_sel_hi:[0,1]
	v_pk_fma_f32 v[12:13], v[4:5], v[8:9], v[10:11] neg_lo:[0,0,1] neg_hi:[0,0,1]
	v_pk_fma_f32 v[4:5], v[4:5], v[8:9], v[10:11] op_sel_hi:[1,0,1]
	s_nop 0
	v_mov_b32_e32 v13, v5
	scratch_store_dwordx2 off, v[12:13], off offset:176
.LBB40_103:
	s_or_b64 exec, exec, s[0:1]
	; wave barrier
	scratch_load_dwordx2 v[4:5], off, off offset:184
	v_cmp_gt_u32_e32 vcc, 23, v0
	s_waitcnt vmcnt(0)
	ds_write_b64 v1, v[4:5]
	s_waitcnt lgkmcnt(0)
	; wave barrier
	s_and_saveexec_b64 s[0:1], vcc
	s_cbranch_execz .LBB40_107
; %bb.104:
	v_mov_b32_e32 v4, 0
	v_add_u32_e32 v3, -1, v0
	v_add_u32_e32 v7, 0x150, v2
	v_mov_b32_e32 v8, v2
	s_mov_b64 s[4:5], 0
	v_mov_b32_e32 v5, v4
.LBB40_105:                             ; =>This Inner Loop Header: Depth=1
	scratch_load_dwordx2 v[10:11], v8, off
	ds_read_b64 v[12:13], v7
	v_add_u32_e32 v3, 1, v3
	v_cmp_lt_u32_e32 vcc, 21, v3
	v_add_u32_e32 v7, 8, v7
	v_add_u32_e32 v8, 8, v8
	s_or_b64 s[4:5], vcc, s[4:5]
	s_waitcnt vmcnt(0) lgkmcnt(0)
	v_pk_mul_f32 v[14:15], v[12:13], v[10:11] op_sel:[1,1] op_sel_hi:[0,1]
	v_pk_fma_f32 v[16:17], v[12:13], v[10:11], v[14:15] neg_lo:[0,0,1] neg_hi:[0,0,1]
	v_pk_fma_f32 v[10:11], v[12:13], v[10:11], v[14:15] op_sel_hi:[1,0,1]
	s_nop 0
	v_mov_b32_e32 v17, v11
	v_pk_add_f32 v[4:5], v[4:5], v[16:17]
	s_andn2_b64 exec, exec, s[4:5]
	s_cbranch_execnz .LBB40_105
; %bb.106:
	s_or_b64 exec, exec, s[4:5]
	v_mov_b32_e32 v3, 0
	ds_read_b64 v[8:9], v3 offset:184
	s_waitcnt lgkmcnt(0)
	v_pk_mul_f32 v[10:11], v[4:5], v[8:9] op_sel:[1,1] op_sel_hi:[0,1]
	v_pk_fma_f32 v[12:13], v[4:5], v[8:9], v[10:11] neg_lo:[0,0,1] neg_hi:[0,0,1]
	v_pk_fma_f32 v[4:5], v[4:5], v[8:9], v[10:11] op_sel_hi:[1,0,1]
	s_nop 0
	v_mov_b32_e32 v13, v5
	scratch_store_dwordx2 off, v[12:13], off offset:184
.LBB40_107:
	s_or_b64 exec, exec, s[0:1]
	; wave barrier
	scratch_load_dwordx2 v[4:5], off, off offset:192
	v_cmp_gt_u32_e32 vcc, 24, v0
	;; [unrolled: 46-line block ×17, first 2 shown]
	s_waitcnt vmcnt(0)
	ds_write_b64 v1, v[4:5]
	s_waitcnt lgkmcnt(0)
	; wave barrier
	s_and_saveexec_b64 s[0:1], vcc
	s_cbranch_execz .LBB40_171
; %bb.168:
	v_mov_b32_e32 v4, 0
	v_add_u32_e32 v3, -1, v0
	v_add_u32_e32 v7, 0x150, v2
	v_mov_b32_e32 v8, v2
	s_mov_b64 s[4:5], 0
	v_mov_b32_e32 v5, v4
.LBB40_169:                             ; =>This Inner Loop Header: Depth=1
	scratch_load_dwordx2 v[10:11], v8, off
	ds_read_b64 v[12:13], v7
	v_add_u32_e32 v3, 1, v3
	v_cmp_lt_u32_e32 vcc, 37, v3
	v_add_u32_e32 v7, 8, v7
	v_add_u32_e32 v8, 8, v8
	s_or_b64 s[4:5], vcc, s[4:5]
	s_waitcnt vmcnt(0) lgkmcnt(0)
	v_pk_mul_f32 v[14:15], v[12:13], v[10:11] op_sel:[1,1] op_sel_hi:[0,1]
	v_pk_fma_f32 v[16:17], v[12:13], v[10:11], v[14:15] neg_lo:[0,0,1] neg_hi:[0,0,1]
	v_pk_fma_f32 v[10:11], v[12:13], v[10:11], v[14:15] op_sel_hi:[1,0,1]
	s_nop 0
	v_mov_b32_e32 v17, v11
	v_pk_add_f32 v[4:5], v[4:5], v[16:17]
	s_andn2_b64 exec, exec, s[4:5]
	s_cbranch_execnz .LBB40_169
; %bb.170:
	s_or_b64 exec, exec, s[4:5]
	v_mov_b32_e32 v3, 0
	ds_read_b64 v[8:9], v3 offset:312
	s_waitcnt lgkmcnt(0)
	v_pk_mul_f32 v[10:11], v[4:5], v[8:9] op_sel:[1,1] op_sel_hi:[0,1]
	v_pk_fma_f32 v[12:13], v[4:5], v[8:9], v[10:11] neg_lo:[0,0,1] neg_hi:[0,0,1]
	v_pk_fma_f32 v[4:5], v[4:5], v[8:9], v[10:11] op_sel_hi:[1,0,1]
	s_nop 0
	v_mov_b32_e32 v13, v5
	scratch_store_dwordx2 off, v[12:13], off offset:312
.LBB40_171:
	s_or_b64 exec, exec, s[0:1]
	; wave barrier
	scratch_load_dwordx2 v[4:5], off, off offset:320
	v_cmp_ne_u32_e32 vcc, 40, v0
	s_waitcnt vmcnt(0)
	ds_write_b64 v1, v[4:5]
	s_waitcnt lgkmcnt(0)
	; wave barrier
	s_and_saveexec_b64 s[0:1], vcc
	s_cbranch_execz .LBB40_175
; %bb.172:
	v_add_u32_e32 v1, 0x150, v2
	v_mov_b32_e32 v4, v2
	v_mov_b32_e32 v2, 0
	s_mov_b64 s[4:5], 0
	v_mov_b32_e32 v3, v2
.LBB40_173:                             ; =>This Inner Loop Header: Depth=1
	scratch_load_dwordx2 v[8:9], v4, off
	ds_read_b64 v[10:11], v1
	v_add_u32_e32 v6, 1, v6
	v_cmp_lt_u32_e32 vcc, 38, v6
	v_add_u32_e32 v1, 8, v1
	v_add_u32_e32 v4, 8, v4
	s_or_b64 s[4:5], vcc, s[4:5]
	s_waitcnt vmcnt(0) lgkmcnt(0)
	v_pk_mul_f32 v[12:13], v[10:11], v[8:9] op_sel:[1,1] op_sel_hi:[0,1]
	v_pk_fma_f32 v[14:15], v[10:11], v[8:9], v[12:13] neg_lo:[0,0,1] neg_hi:[0,0,1]
	v_pk_fma_f32 v[8:9], v[10:11], v[8:9], v[12:13] op_sel_hi:[1,0,1]
	s_nop 0
	v_mov_b32_e32 v15, v9
	v_pk_add_f32 v[2:3], v[2:3], v[14:15]
	s_andn2_b64 exec, exec, s[4:5]
	s_cbranch_execnz .LBB40_173
; %bb.174:
	s_or_b64 exec, exec, s[4:5]
	v_mov_b32_e32 v1, 0
	ds_read_b64 v[4:5], v1 offset:320
	s_waitcnt lgkmcnt(0)
	v_pk_mul_f32 v[6:7], v[2:3], v[4:5] op_sel:[1,1] op_sel_hi:[0,1]
	v_pk_fma_f32 v[8:9], v[2:3], v[4:5], v[6:7] neg_lo:[0,0,1] neg_hi:[0,0,1]
	v_pk_fma_f32 v[2:3], v[2:3], v[4:5], v[6:7] op_sel_hi:[1,0,1]
	s_nop 0
	v_mov_b32_e32 v9, v3
	scratch_store_dwordx2 off, v[8:9], off offset:320
.LBB40_175:
	s_or_b64 exec, exec, s[0:1]
	s_mov_b64 s[4:5], -1
	; wave barrier
.LBB40_176:
	s_and_b64 vcc, exec, s[4:5]
	s_cbranch_vccz .LBB40_178
; %bb.177:
	s_lshl_b64 s[0:1], s[2:3], 2
	s_add_u32 s0, s6, s0
	s_addc_u32 s1, s7, s1
	v_mov_b32_e32 v1, 0
	global_load_dword v1, v1, s[0:1]
	s_waitcnt vmcnt(0)
	v_cmp_ne_u32_e32 vcc, 0, v1
	s_cbranch_vccz .LBB40_179
.LBB40_178:
	s_endpgm
.LBB40_179:
	v_mov_b32_e32 v1, 0x150
	v_lshl_add_u32 v1, v0, 3, v1
	v_cmp_eq_u32_e32 vcc, 40, v0
	s_and_saveexec_b64 s[0:1], vcc
	s_cbranch_execz .LBB40_181
; %bb.180:
	scratch_load_dwordx2 v[2:3], off, off offset:312
	v_mov_b32_e32 v4, 0
	v_mov_b32_e32 v5, v4
	scratch_store_dwordx2 off, v[4:5], off offset:312
	s_waitcnt vmcnt(1)
	ds_write_b64 v1, v[2:3]
.LBB40_181:
	s_or_b64 exec, exec, s[0:1]
	s_waitcnt lgkmcnt(0)
	; wave barrier
	scratch_load_dwordx2 v[4:5], off, off offset:320
	scratch_load_dwordx2 v[6:7], off, off offset:312
	v_mov_b32_e32 v2, 0
	ds_read_b64 v[8:9], v2 offset:656
	v_cmp_lt_u32_e32 vcc, 38, v0
	s_waitcnt vmcnt(1) lgkmcnt(0)
	v_pk_mul_f32 v[10:11], v[8:9], v[4:5] op_sel:[1,1] op_sel_hi:[0,1]
	v_pk_fma_f32 v[12:13], v[8:9], v[4:5], v[10:11] neg_lo:[0,0,1] neg_hi:[0,0,1]
	v_pk_fma_f32 v[4:5], v[8:9], v[4:5], v[10:11] op_sel_hi:[1,0,1]
	s_nop 0
	v_mov_b32_e32 v13, v5
	v_pk_add_f32 v[4:5], v[12:13], 0 op_sel_hi:[1,0]
	s_waitcnt vmcnt(0)
	v_pk_add_f32 v[4:5], v[6:7], v[4:5] neg_lo:[0,1] neg_hi:[0,1]
	scratch_store_dwordx2 off, v[4:5], off offset:312
	s_and_saveexec_b64 s[0:1], vcc
	s_cbranch_execz .LBB40_183
; %bb.182:
	scratch_load_dwordx2 v[4:5], off, off offset:304
	v_mov_b32_e32 v3, v2
	scratch_store_dwordx2 off, v[2:3], off offset:304
	s_waitcnt vmcnt(1)
	ds_write_b64 v1, v[4:5]
.LBB40_183:
	s_or_b64 exec, exec, s[0:1]
	s_waitcnt lgkmcnt(0)
	; wave barrier
	scratch_load_dwordx4 v[4:7], off, off offset:312
	scratch_load_dwordx2 v[12:13], off, off offset:304
	ds_read2_b64 v[8:11], v2 offset0:81 offset1:82
	v_cmp_lt_u32_e32 vcc, 37, v0
	s_waitcnt vmcnt(1) lgkmcnt(0)
	v_pk_mul_f32 v[2:3], v[8:9], v[4:5] op_sel:[1,1] op_sel_hi:[0,1]
	v_mov_b32_e32 v14, v7
	v_pk_fma_f32 v[16:17], v[8:9], v[4:5], v[2:3] neg_lo:[0,0,1] neg_hi:[0,0,1]
	v_pk_fma_f32 v[2:3], v[8:9], v[4:5], v[2:3] op_sel_hi:[1,0,1]
	v_pk_mul_f32 v[4:5], v[10:11], v[14:15] op_sel:[1,0] op_sel_hi:[0,0]
	v_mov_b32_e32 v17, v3
	v_pk_fma_f32 v[2:3], v[10:11], v[6:7], v[4:5] neg_lo:[0,0,1] neg_hi:[0,0,1]
	v_pk_fma_f32 v[4:5], v[10:11], v[6:7], v[4:5] op_sel_hi:[1,0,1]
	v_pk_add_f32 v[6:7], v[16:17], 0 op_sel_hi:[1,0]
	v_mov_b32_e32 v3, v5
	v_pk_add_f32 v[2:3], v[6:7], v[2:3]
	s_waitcnt vmcnt(0)
	v_pk_add_f32 v[2:3], v[12:13], v[2:3] neg_lo:[0,1] neg_hi:[0,1]
	scratch_store_dwordx2 off, v[2:3], off offset:304
	s_and_saveexec_b64 s[0:1], vcc
	s_cbranch_execz .LBB40_185
; %bb.184:
	scratch_load_dwordx2 v[2:3], off, off offset:296
	v_mov_b32_e32 v4, 0
	v_mov_b32_e32 v5, v4
	scratch_store_dwordx2 off, v[4:5], off offset:296
	s_waitcnt vmcnt(1)
	ds_write_b64 v1, v[2:3]
.LBB40_185:
	s_or_b64 exec, exec, s[0:1]
	s_waitcnt lgkmcnt(0)
	; wave barrier
	scratch_load_dwordx4 v[4:7], off, off offset:304
	scratch_load_dwordx2 v[12:13], off, off offset:320
	scratch_load_dwordx2 v[14:15], off, off offset:296
	v_mov_b32_e32 v2, 0
	ds_read_b128 v[8:11], v2 offset:640
	ds_read_b64 v[16:17], v2 offset:656
	v_cmp_lt_u32_e32 vcc, 36, v0
	s_waitcnt vmcnt(2) lgkmcnt(1)
	v_pk_mul_f32 v[18:19], v[8:9], v[4:5] op_sel:[1,1] op_sel_hi:[0,1]
	v_mov_b32_e32 v20, v7
	v_pk_fma_f32 v[24:25], v[8:9], v[4:5], v[18:19] neg_lo:[0,0,1] neg_hi:[0,0,1]
	v_pk_fma_f32 v[4:5], v[8:9], v[4:5], v[18:19] op_sel_hi:[1,0,1]
	v_pk_mul_f32 v[8:9], v[10:11], v[20:21] op_sel:[1,0] op_sel_hi:[0,0]
	s_waitcnt vmcnt(1) lgkmcnt(0)
	v_pk_mul_f32 v[22:23], v[16:17], v[12:13] op_sel:[1,1] op_sel_hi:[0,1]
	v_mov_b32_e32 v25, v5
	v_pk_fma_f32 v[4:5], v[10:11], v[6:7], v[8:9] neg_lo:[0,0,1] neg_hi:[0,0,1]
	v_pk_fma_f32 v[6:7], v[10:11], v[6:7], v[8:9] op_sel_hi:[1,0,1]
	v_pk_fma_f32 v[18:19], v[16:17], v[12:13], v[22:23] neg_lo:[0,0,1] neg_hi:[0,0,1]
	v_pk_fma_f32 v[12:13], v[16:17], v[12:13], v[22:23] op_sel_hi:[1,0,1]
	v_pk_add_f32 v[8:9], v[24:25], 0 op_sel_hi:[1,0]
	v_mov_b32_e32 v5, v7
	v_mov_b32_e32 v19, v13
	v_pk_add_f32 v[4:5], v[8:9], v[4:5]
	s_nop 0
	v_pk_add_f32 v[4:5], v[4:5], v[18:19]
	s_waitcnt vmcnt(0)
	v_pk_add_f32 v[4:5], v[14:15], v[4:5] neg_lo:[0,1] neg_hi:[0,1]
	scratch_store_dwordx2 off, v[4:5], off offset:296
	s_and_saveexec_b64 s[0:1], vcc
	s_cbranch_execz .LBB40_187
; %bb.186:
	scratch_load_dwordx2 v[4:5], off, off offset:288
	v_mov_b32_e32 v3, v2
	scratch_store_dwordx2 off, v[2:3], off offset:288
	s_waitcnt vmcnt(1)
	ds_write_b64 v1, v[4:5]
.LBB40_187:
	s_or_b64 exec, exec, s[0:1]
	s_waitcnt lgkmcnt(0)
	; wave barrier
	scratch_load_dwordx4 v[4:7], off, off offset:296
	scratch_load_dwordx4 v[8:11], off, off offset:312
	scratch_load_dwordx2 v[20:21], off, off offset:288
	ds_read2_b64 v[12:15], v2 offset0:79 offset1:80
	ds_read2_b64 v[16:19], v2 offset0:81 offset1:82
	v_cmp_lt_u32_e32 vcc, 35, v0
	s_waitcnt vmcnt(2) lgkmcnt(1)
	v_pk_mul_f32 v[2:3], v[12:13], v[4:5] op_sel:[1,1] op_sel_hi:[0,1]
	v_mov_b32_e32 v22, v7
	s_waitcnt vmcnt(1) lgkmcnt(0)
	v_pk_mul_f32 v[24:25], v[16:17], v[8:9] op_sel:[1,1] op_sel_hi:[0,1]
	v_mov_b32_e32 v26, v11
	v_pk_fma_f32 v[28:29], v[12:13], v[4:5], v[2:3] neg_lo:[0,0,1] neg_hi:[0,0,1]
	v_pk_fma_f32 v[2:3], v[12:13], v[4:5], v[2:3] op_sel_hi:[1,0,1]
	v_pk_mul_f32 v[4:5], v[14:15], v[22:23] op_sel:[1,0] op_sel_hi:[0,0]
	v_pk_fma_f32 v[12:13], v[16:17], v[8:9], v[24:25] neg_lo:[0,0,1] neg_hi:[0,0,1]
	v_pk_fma_f32 v[8:9], v[16:17], v[8:9], v[24:25] op_sel_hi:[1,0,1]
	v_pk_mul_f32 v[16:17], v[18:19], v[26:27] op_sel:[1,0] op_sel_hi:[0,0]
	v_mov_b32_e32 v29, v3
	v_pk_fma_f32 v[2:3], v[14:15], v[6:7], v[4:5] neg_lo:[0,0,1] neg_hi:[0,0,1]
	v_pk_fma_f32 v[4:5], v[14:15], v[6:7], v[4:5] op_sel_hi:[1,0,1]
	v_mov_b32_e32 v13, v9
	v_pk_fma_f32 v[6:7], v[18:19], v[10:11], v[16:17] neg_lo:[0,0,1] neg_hi:[0,0,1]
	v_pk_fma_f32 v[8:9], v[18:19], v[10:11], v[16:17] op_sel_hi:[1,0,1]
	v_pk_add_f32 v[10:11], v[28:29], 0 op_sel_hi:[1,0]
	v_mov_b32_e32 v3, v5
	v_pk_add_f32 v[2:3], v[10:11], v[2:3]
	v_mov_b32_e32 v7, v9
	v_pk_add_f32 v[2:3], v[2:3], v[12:13]
	s_nop 0
	v_pk_add_f32 v[2:3], v[2:3], v[6:7]
	s_waitcnt vmcnt(0)
	v_pk_add_f32 v[2:3], v[20:21], v[2:3] neg_lo:[0,1] neg_hi:[0,1]
	scratch_store_dwordx2 off, v[2:3], off offset:288
	s_and_saveexec_b64 s[0:1], vcc
	s_cbranch_execz .LBB40_189
; %bb.188:
	scratch_load_dwordx2 v[2:3], off, off offset:280
	v_mov_b32_e32 v4, 0
	v_mov_b32_e32 v5, v4
	scratch_store_dwordx2 off, v[4:5], off offset:280
	s_waitcnt vmcnt(1)
	ds_write_b64 v1, v[2:3]
.LBB40_189:
	s_or_b64 exec, exec, s[0:1]
	s_waitcnt lgkmcnt(0)
	; wave barrier
	scratch_load_dwordx4 v[4:7], off, off offset:288
	scratch_load_dwordx4 v[8:11], off, off offset:304
	scratch_load_dwordx2 v[20:21], off, off offset:320
	scratch_load_dwordx2 v[22:23], off, off offset:280
	v_mov_b32_e32 v2, 0
	ds_read_b128 v[12:15], v2 offset:624
	ds_read_b128 v[16:19], v2 offset:640
	ds_read_b64 v[24:25], v2 offset:656
	v_cmp_lt_u32_e32 vcc, 34, v0
	s_waitcnt vmcnt(3) lgkmcnt(2)
	v_pk_mul_f32 v[26:27], v[12:13], v[4:5] op_sel:[1,1] op_sel_hi:[0,1]
	v_mov_b32_e32 v28, v7
	v_pk_fma_f32 v[36:37], v[12:13], v[4:5], v[26:27] neg_lo:[0,0,1] neg_hi:[0,0,1]
	v_pk_fma_f32 v[4:5], v[12:13], v[4:5], v[26:27] op_sel_hi:[1,0,1]
	v_pk_mul_f32 v[12:13], v[14:15], v[28:29] op_sel:[1,0] op_sel_hi:[0,0]
	s_waitcnt vmcnt(2) lgkmcnt(1)
	v_pk_mul_f32 v[30:31], v[16:17], v[8:9] op_sel:[1,1] op_sel_hi:[0,1]
	v_mov_b32_e32 v32, v11
	v_mov_b32_e32 v37, v5
	v_pk_fma_f32 v[4:5], v[14:15], v[6:7], v[12:13] neg_lo:[0,0,1] neg_hi:[0,0,1]
	v_pk_fma_f32 v[6:7], v[14:15], v[6:7], v[12:13] op_sel_hi:[1,0,1]
	v_pk_fma_f32 v[26:27], v[16:17], v[8:9], v[30:31] neg_lo:[0,0,1] neg_hi:[0,0,1]
	v_pk_fma_f32 v[8:9], v[16:17], v[8:9], v[30:31] op_sel_hi:[1,0,1]
	v_pk_mul_f32 v[16:17], v[18:19], v[32:33] op_sel:[1,0] op_sel_hi:[0,0]
	v_pk_add_f32 v[12:13], v[36:37], 0 op_sel_hi:[1,0]
	v_mov_b32_e32 v5, v7
	s_waitcnt vmcnt(1) lgkmcnt(0)
	v_pk_mul_f32 v[34:35], v[24:25], v[20:21] op_sel:[1,1] op_sel_hi:[0,1]
	v_mov_b32_e32 v27, v9
	v_pk_fma_f32 v[8:9], v[18:19], v[10:11], v[16:17] neg_lo:[0,0,1] neg_hi:[0,0,1]
	v_pk_fma_f32 v[10:11], v[18:19], v[10:11], v[16:17] op_sel_hi:[1,0,1]
	v_pk_add_f32 v[4:5], v[12:13], v[4:5]
	v_pk_fma_f32 v[28:29], v[24:25], v[20:21], v[34:35] neg_lo:[0,0,1] neg_hi:[0,0,1]
	v_pk_fma_f32 v[20:21], v[24:25], v[20:21], v[34:35] op_sel_hi:[1,0,1]
	v_mov_b32_e32 v9, v11
	v_pk_add_f32 v[4:5], v[4:5], v[26:27]
	v_mov_b32_e32 v29, v21
	v_pk_add_f32 v[4:5], v[4:5], v[8:9]
	s_nop 0
	v_pk_add_f32 v[4:5], v[4:5], v[28:29]
	s_waitcnt vmcnt(0)
	v_pk_add_f32 v[4:5], v[22:23], v[4:5] neg_lo:[0,1] neg_hi:[0,1]
	scratch_store_dwordx2 off, v[4:5], off offset:280
	s_and_saveexec_b64 s[0:1], vcc
	s_cbranch_execz .LBB40_191
; %bb.190:
	scratch_load_dwordx2 v[4:5], off, off offset:272
	v_mov_b32_e32 v3, v2
	scratch_store_dwordx2 off, v[2:3], off offset:272
	s_waitcnt vmcnt(1)
	ds_write_b64 v1, v[4:5]
.LBB40_191:
	s_or_b64 exec, exec, s[0:1]
	s_waitcnt lgkmcnt(0)
	; wave barrier
	scratch_load_dwordx4 v[4:7], off, off offset:280
	scratch_load_dwordx4 v[8:11], off, off offset:296
	;; [unrolled: 1-line block ×3, first 2 shown]
	scratch_load_dwordx2 v[28:29], off, off offset:272
	ds_read2_b64 v[16:19], v2 offset0:77 offset1:78
	ds_read2_b64 v[20:23], v2 offset0:79 offset1:80
	;; [unrolled: 1-line block ×3, first 2 shown]
	v_cmp_lt_u32_e32 vcc, 33, v0
	s_waitcnt vmcnt(3) lgkmcnt(2)
	v_pk_mul_f32 v[2:3], v[16:17], v[4:5] op_sel:[1,1] op_sel_hi:[0,1]
	v_mov_b32_e32 v30, v7
	s_waitcnt vmcnt(2) lgkmcnt(1)
	v_pk_mul_f32 v[32:33], v[20:21], v[8:9] op_sel:[1,1] op_sel_hi:[0,1]
	v_mov_b32_e32 v34, v11
	;; [unrolled: 3-line block ×3, first 2 shown]
	v_pk_fma_f32 v[40:41], v[16:17], v[4:5], v[2:3] neg_lo:[0,0,1] neg_hi:[0,0,1]
	v_pk_fma_f32 v[2:3], v[16:17], v[4:5], v[2:3] op_sel_hi:[1,0,1]
	v_pk_mul_f32 v[4:5], v[18:19], v[30:31] op_sel:[1,0] op_sel_hi:[0,0]
	v_pk_fma_f32 v[16:17], v[20:21], v[8:9], v[32:33] neg_lo:[0,0,1] neg_hi:[0,0,1]
	v_pk_fma_f32 v[8:9], v[20:21], v[8:9], v[32:33] op_sel_hi:[1,0,1]
	v_pk_mul_f32 v[20:21], v[22:23], v[34:35] op_sel:[1,0] op_sel_hi:[0,0]
	;; [unrolled: 3-line block ×3, first 2 shown]
	v_mov_b32_e32 v41, v3
	v_pk_fma_f32 v[2:3], v[18:19], v[6:7], v[4:5] neg_lo:[0,0,1] neg_hi:[0,0,1]
	v_pk_fma_f32 v[4:5], v[18:19], v[6:7], v[4:5] op_sel_hi:[1,0,1]
	v_mov_b32_e32 v17, v9
	v_pk_fma_f32 v[6:7], v[22:23], v[10:11], v[20:21] neg_lo:[0,0,1] neg_hi:[0,0,1]
	v_pk_fma_f32 v[8:9], v[22:23], v[10:11], v[20:21] op_sel_hi:[1,0,1]
	;; [unrolled: 3-line block ×3, first 2 shown]
	v_pk_add_f32 v[14:15], v[40:41], 0 op_sel_hi:[1,0]
	v_mov_b32_e32 v3, v5
	v_pk_add_f32 v[2:3], v[14:15], v[2:3]
	v_mov_b32_e32 v7, v9
	v_pk_add_f32 v[2:3], v[2:3], v[16:17]
	;; [unrolled: 2-line block ×3, first 2 shown]
	s_nop 0
	v_pk_add_f32 v[2:3], v[2:3], v[30:31]
	s_nop 0
	v_pk_add_f32 v[2:3], v[2:3], v[10:11]
	s_waitcnt vmcnt(0)
	v_pk_add_f32 v[2:3], v[28:29], v[2:3] neg_lo:[0,1] neg_hi:[0,1]
	scratch_store_dwordx2 off, v[2:3], off offset:272
	s_and_saveexec_b64 s[0:1], vcc
	s_cbranch_execz .LBB40_193
; %bb.192:
	scratch_load_dwordx2 v[2:3], off, off offset:264
	v_mov_b32_e32 v4, 0
	v_mov_b32_e32 v5, v4
	scratch_store_dwordx2 off, v[4:5], off offset:264
	s_waitcnt vmcnt(1)
	ds_write_b64 v1, v[2:3]
.LBB40_193:
	s_or_b64 exec, exec, s[0:1]
	s_waitcnt lgkmcnt(0)
	; wave barrier
	scratch_load_dwordx4 v[4:7], off, off offset:272
	scratch_load_dwordx4 v[8:11], off, off offset:288
	;; [unrolled: 1-line block ×3, first 2 shown]
	scratch_load_dwordx2 v[28:29], off, off offset:320
	v_mov_b32_e32 v2, 0
	ds_read_b128 v[16:19], v2 offset:608
	ds_read_b128 v[20:23], v2 offset:624
	;; [unrolled: 1-line block ×3, first 2 shown]
	ds_read_b64 v[30:31], v2 offset:656
	v_cmp_lt_u32_e32 vcc, 32, v0
	s_waitcnt vmcnt(3) lgkmcnt(3)
	v_pk_mul_f32 v[32:33], v[16:17], v[4:5] op_sel:[1,1] op_sel_hi:[0,1]
	v_pk_fma_f32 v[34:35], v[16:17], v[4:5], v[32:33] neg_lo:[0,0,1] neg_hi:[0,0,1]
	v_pk_fma_f32 v[4:5], v[16:17], v[4:5], v[32:33] op_sel_hi:[1,0,1]
	v_mov_b32_e32 v16, v7
	v_pk_mul_f32 v[16:17], v[18:19], v[16:17] op_sel:[1,0] op_sel_hi:[0,0]
	v_pk_fma_f32 v[32:33], v[18:19], v[6:7], v[16:17] neg_lo:[0,0,1] neg_hi:[0,0,1]
	v_pk_fma_f32 v[6:7], v[18:19], v[6:7], v[16:17] op_sel_hi:[1,0,1]
	v_mov_b32_e32 v35, v5
	v_mov_b32_e32 v33, v7
	s_waitcnt vmcnt(2) lgkmcnt(2)
	v_pk_mul_f32 v[6:7], v[20:21], v[8:9] op_sel:[1,1] op_sel_hi:[0,1]
	v_pk_fma_f32 v[16:17], v[20:21], v[8:9], v[6:7] neg_lo:[0,0,1] neg_hi:[0,0,1]
	v_pk_fma_f32 v[6:7], v[20:21], v[8:9], v[6:7] op_sel_hi:[1,0,1]
	v_pk_add_f32 v[4:5], v[34:35], 0 op_sel_hi:[1,0]
	v_mov_b32_e32 v6, v11
	v_mov_b32_e32 v17, v7
	v_pk_mul_f32 v[6:7], v[22:23], v[6:7] op_sel:[1,0] op_sel_hi:[0,0]
	v_pk_add_f32 v[4:5], v[4:5], v[32:33]
	v_pk_fma_f32 v[8:9], v[22:23], v[10:11], v[6:7] neg_lo:[0,0,1] neg_hi:[0,0,1]
	v_pk_fma_f32 v[6:7], v[22:23], v[10:11], v[6:7] op_sel_hi:[1,0,1]
	v_pk_add_f32 v[4:5], v[4:5], v[16:17]
	v_mov_b32_e32 v9, v7
	s_waitcnt vmcnt(1) lgkmcnt(1)
	v_pk_mul_f32 v[6:7], v[24:25], v[12:13] op_sel:[1,1] op_sel_hi:[0,1]
	v_pk_add_f32 v[4:5], v[4:5], v[8:9]
	v_pk_fma_f32 v[8:9], v[24:25], v[12:13], v[6:7] neg_lo:[0,0,1] neg_hi:[0,0,1]
	v_pk_fma_f32 v[6:7], v[24:25], v[12:13], v[6:7] op_sel_hi:[1,0,1]
	s_nop 0
	v_mov_b32_e32 v6, v15
	v_mov_b32_e32 v9, v7
	v_pk_mul_f32 v[6:7], v[26:27], v[6:7] op_sel:[1,0] op_sel_hi:[0,0]
	v_pk_add_f32 v[4:5], v[4:5], v[8:9]
	v_pk_fma_f32 v[8:9], v[26:27], v[14:15], v[6:7] neg_lo:[0,0,1] neg_hi:[0,0,1]
	v_pk_fma_f32 v[6:7], v[26:27], v[14:15], v[6:7] op_sel_hi:[1,0,1]
	s_nop 0
	v_mov_b32_e32 v9, v7
	s_waitcnt vmcnt(0) lgkmcnt(0)
	v_pk_mul_f32 v[6:7], v[30:31], v[28:29] op_sel:[1,1] op_sel_hi:[0,1]
	v_pk_add_f32 v[4:5], v[4:5], v[8:9]
	v_pk_fma_f32 v[8:9], v[30:31], v[28:29], v[6:7] neg_lo:[0,0,1] neg_hi:[0,0,1]
	v_pk_fma_f32 v[6:7], v[30:31], v[28:29], v[6:7] op_sel_hi:[1,0,1]
	s_nop 0
	v_mov_b32_e32 v9, v7
	scratch_load_dwordx2 v[6:7], off, off offset:264
	v_pk_add_f32 v[4:5], v[4:5], v[8:9]
	s_waitcnt vmcnt(0)
	v_pk_add_f32 v[4:5], v[6:7], v[4:5] neg_lo:[0,1] neg_hi:[0,1]
	scratch_store_dwordx2 off, v[4:5], off offset:264
	s_and_saveexec_b64 s[0:1], vcc
	s_cbranch_execz .LBB40_195
; %bb.194:
	scratch_load_dwordx2 v[4:5], off, off offset:256
	v_mov_b32_e32 v3, v2
	scratch_store_dwordx2 off, v[2:3], off offset:256
	s_waitcnt vmcnt(1)
	ds_write_b64 v1, v[4:5]
.LBB40_195:
	s_or_b64 exec, exec, s[0:1]
	s_waitcnt lgkmcnt(0)
	; wave barrier
	scratch_load_dwordx4 v[4:7], off, off offset:264
	scratch_load_dwordx4 v[8:11], off, off offset:280
	;; [unrolled: 1-line block ×4, first 2 shown]
	ds_read2_b64 v[20:23], v2 offset0:75 offset1:76
	ds_read2_b64 v[24:27], v2 offset0:77 offset1:78
	;; [unrolled: 1-line block ×4, first 2 shown]
	v_cmp_lt_u32_e32 vcc, 31, v0
	s_waitcnt vmcnt(3) lgkmcnt(3)
	v_pk_mul_f32 v[2:3], v[20:21], v[4:5] op_sel:[1,1] op_sel_hi:[0,1]
	v_pk_fma_f32 v[36:37], v[20:21], v[4:5], v[2:3] neg_lo:[0,0,1] neg_hi:[0,0,1]
	v_pk_fma_f32 v[2:3], v[20:21], v[4:5], v[2:3] op_sel_hi:[1,0,1]
	v_mov_b32_e32 v4, v7
	v_pk_mul_f32 v[4:5], v[22:23], v[4:5] op_sel:[1,0] op_sel_hi:[0,0]
	v_pk_fma_f32 v[20:21], v[22:23], v[6:7], v[4:5] neg_lo:[0,0,1] neg_hi:[0,0,1]
	v_pk_fma_f32 v[4:5], v[22:23], v[6:7], v[4:5] op_sel_hi:[1,0,1]
	v_mov_b32_e32 v37, v3
	v_mov_b32_e32 v21, v5
	s_waitcnt vmcnt(2) lgkmcnt(2)
	v_pk_mul_f32 v[4:5], v[24:25], v[8:9] op_sel:[1,1] op_sel_hi:[0,1]
	v_pk_fma_f32 v[6:7], v[24:25], v[8:9], v[4:5] neg_lo:[0,0,1] neg_hi:[0,0,1]
	v_pk_fma_f32 v[4:5], v[24:25], v[8:9], v[4:5] op_sel_hi:[1,0,1]
	v_pk_add_f32 v[2:3], v[36:37], 0 op_sel_hi:[1,0]
	v_mov_b32_e32 v4, v11
	v_pk_add_f32 v[2:3], v[2:3], v[20:21]
	v_mov_b32_e32 v7, v5
	v_pk_mul_f32 v[4:5], v[26:27], v[4:5] op_sel:[1,0] op_sel_hi:[0,0]
	v_pk_add_f32 v[2:3], v[2:3], v[6:7]
	v_pk_fma_f32 v[6:7], v[26:27], v[10:11], v[4:5] neg_lo:[0,0,1] neg_hi:[0,0,1]
	v_pk_fma_f32 v[4:5], v[26:27], v[10:11], v[4:5] op_sel_hi:[1,0,1]
	s_nop 0
	v_mov_b32_e32 v7, v5
	s_waitcnt vmcnt(1) lgkmcnt(1)
	v_pk_mul_f32 v[4:5], v[28:29], v[12:13] op_sel:[1,1] op_sel_hi:[0,1]
	v_pk_add_f32 v[2:3], v[2:3], v[6:7]
	v_pk_fma_f32 v[6:7], v[28:29], v[12:13], v[4:5] neg_lo:[0,0,1] neg_hi:[0,0,1]
	v_pk_fma_f32 v[4:5], v[28:29], v[12:13], v[4:5] op_sel_hi:[1,0,1]
	s_nop 0
	v_mov_b32_e32 v4, v15
	v_mov_b32_e32 v7, v5
	v_pk_mul_f32 v[4:5], v[30:31], v[4:5] op_sel:[1,0] op_sel_hi:[0,0]
	v_pk_add_f32 v[2:3], v[2:3], v[6:7]
	v_pk_fma_f32 v[6:7], v[30:31], v[14:15], v[4:5] neg_lo:[0,0,1] neg_hi:[0,0,1]
	v_pk_fma_f32 v[4:5], v[30:31], v[14:15], v[4:5] op_sel_hi:[1,0,1]
	s_nop 0
	v_mov_b32_e32 v7, v5
	s_waitcnt vmcnt(0) lgkmcnt(0)
	v_pk_mul_f32 v[4:5], v[32:33], v[16:17] op_sel:[1,1] op_sel_hi:[0,1]
	v_pk_add_f32 v[2:3], v[2:3], v[6:7]
	v_pk_fma_f32 v[6:7], v[32:33], v[16:17], v[4:5] neg_lo:[0,0,1] neg_hi:[0,0,1]
	v_pk_fma_f32 v[4:5], v[32:33], v[16:17], v[4:5] op_sel_hi:[1,0,1]
	s_nop 0
	v_mov_b32_e32 v4, v19
	v_mov_b32_e32 v7, v5
	v_pk_mul_f32 v[4:5], v[34:35], v[4:5] op_sel:[1,0] op_sel_hi:[0,0]
	v_pk_add_f32 v[2:3], v[2:3], v[6:7]
	v_pk_fma_f32 v[6:7], v[34:35], v[18:19], v[4:5] neg_lo:[0,0,1] neg_hi:[0,0,1]
	v_pk_fma_f32 v[4:5], v[34:35], v[18:19], v[4:5] op_sel_hi:[1,0,1]
	s_nop 0
	v_mov_b32_e32 v7, v5
	scratch_load_dwordx2 v[4:5], off, off offset:256
	v_pk_add_f32 v[2:3], v[2:3], v[6:7]
	s_waitcnt vmcnt(0)
	v_pk_add_f32 v[2:3], v[4:5], v[2:3] neg_lo:[0,1] neg_hi:[0,1]
	scratch_store_dwordx2 off, v[2:3], off offset:256
	s_and_saveexec_b64 s[0:1], vcc
	s_cbranch_execz .LBB40_197
; %bb.196:
	scratch_load_dwordx2 v[2:3], off, off offset:248
	v_mov_b32_e32 v4, 0
	v_mov_b32_e32 v5, v4
	scratch_store_dwordx2 off, v[4:5], off offset:248
	s_waitcnt vmcnt(1)
	ds_write_b64 v1, v[2:3]
.LBB40_197:
	s_or_b64 exec, exec, s[0:1]
	v_mov_b32_e32 v2, 0
	s_waitcnt lgkmcnt(0)
	; wave barrier
	ds_read_b128 v[4:7], v2 offset:592
	ds_read_b128 v[8:11], v2 offset:608
	;; [unrolled: 1-line block ×4, first 2 shown]
	scratch_load_dwordx4 v[20:23], off, off offset:256
	scratch_load_dwordx4 v[24:27], off, off offset:272
	;; [unrolled: 1-line block ×4, first 2 shown]
	scratch_load_dwordx2 v[38:39], off, off offset:320
	v_cmp_lt_u32_e32 vcc, 30, v0
	s_waitcnt vmcnt(4) lgkmcnt(3)
	v_mul_f32_e32 v37, v4, v21
	v_mul_f32_e32 v3, v5, v21
	v_fmac_f32_e32 v37, v5, v20
	v_fma_f32 v36, v4, v20, -v3
	v_pk_add_f32 v[20:21], v[36:37], 0 op_sel_hi:[1,0]
	v_mov_b32_e32 v36, v23
	v_pk_mul_f32 v[36:37], v[6:7], v[36:37] op_sel:[1,0] op_sel_hi:[0,0]
	v_pk_fma_f32 v[40:41], v[6:7], v[22:23], v[36:37] neg_lo:[0,0,1] neg_hi:[0,0,1]
	v_pk_fma_f32 v[6:7], v[6:7], v[22:23], v[36:37] op_sel_hi:[1,0,1]
	ds_read_b64 v[4:5], v2 offset:656
	v_mov_b32_e32 v41, v7
	v_pk_add_f32 v[6:7], v[20:21], v[40:41]
	s_waitcnt vmcnt(3) lgkmcnt(3)
	v_pk_mul_f32 v[20:21], v[8:9], v[24:25] op_sel:[1,1] op_sel_hi:[0,1]
	v_pk_fma_f32 v[22:23], v[8:9], v[24:25], v[20:21] neg_lo:[0,0,1] neg_hi:[0,0,1]
	v_pk_fma_f32 v[8:9], v[8:9], v[24:25], v[20:21] op_sel_hi:[1,0,1]
	s_nop 0
	v_mov_b32_e32 v8, v27
	v_mov_b32_e32 v23, v9
	v_pk_mul_f32 v[8:9], v[10:11], v[8:9] op_sel:[1,0] op_sel_hi:[0,0]
	v_pk_fma_f32 v[20:21], v[10:11], v[26:27], v[8:9] neg_lo:[0,0,1] neg_hi:[0,0,1]
	v_pk_fma_f32 v[8:9], v[10:11], v[26:27], v[8:9] op_sel_hi:[1,0,1]
	v_pk_add_f32 v[6:7], v[6:7], v[22:23]
	v_mov_b32_e32 v21, v9
	s_waitcnt vmcnt(2) lgkmcnt(2)
	v_pk_mul_f32 v[8:9], v[12:13], v[28:29] op_sel:[1,1] op_sel_hi:[0,1]
	v_pk_fma_f32 v[10:11], v[12:13], v[28:29], v[8:9] neg_lo:[0,0,1] neg_hi:[0,0,1]
	v_pk_fma_f32 v[8:9], v[12:13], v[28:29], v[8:9] op_sel_hi:[1,0,1]
	v_pk_add_f32 v[6:7], v[6:7], v[20:21]
	v_mov_b32_e32 v8, v31
	v_mov_b32_e32 v11, v9
	v_pk_mul_f32 v[8:9], v[14:15], v[8:9] op_sel:[1,0] op_sel_hi:[0,0]
	v_pk_add_f32 v[6:7], v[6:7], v[10:11]
	v_pk_fma_f32 v[10:11], v[14:15], v[30:31], v[8:9] neg_lo:[0,0,1] neg_hi:[0,0,1]
	v_pk_fma_f32 v[8:9], v[14:15], v[30:31], v[8:9] op_sel_hi:[1,0,1]
	s_nop 0
	v_mov_b32_e32 v11, v9
	s_waitcnt vmcnt(1) lgkmcnt(1)
	v_pk_mul_f32 v[8:9], v[16:17], v[32:33] op_sel:[1,1] op_sel_hi:[0,1]
	v_pk_add_f32 v[6:7], v[6:7], v[10:11]
	v_pk_fma_f32 v[10:11], v[16:17], v[32:33], v[8:9] neg_lo:[0,0,1] neg_hi:[0,0,1]
	v_pk_fma_f32 v[8:9], v[16:17], v[32:33], v[8:9] op_sel_hi:[1,0,1]
	s_nop 0
	v_mov_b32_e32 v8, v35
	v_mov_b32_e32 v11, v9
	v_pk_mul_f32 v[8:9], v[18:19], v[8:9] op_sel:[1,0] op_sel_hi:[0,0]
	v_pk_add_f32 v[6:7], v[6:7], v[10:11]
	v_pk_fma_f32 v[10:11], v[18:19], v[34:35], v[8:9] neg_lo:[0,0,1] neg_hi:[0,0,1]
	v_pk_fma_f32 v[8:9], v[18:19], v[34:35], v[8:9] op_sel_hi:[1,0,1]
	s_nop 0
	v_mov_b32_e32 v11, v9
	s_waitcnt vmcnt(0) lgkmcnt(0)
	v_pk_mul_f32 v[8:9], v[4:5], v[38:39] op_sel:[1,1] op_sel_hi:[0,1]
	v_pk_add_f32 v[6:7], v[6:7], v[10:11]
	v_pk_fma_f32 v[10:11], v[4:5], v[38:39], v[8:9] neg_lo:[0,0,1] neg_hi:[0,0,1]
	v_pk_fma_f32 v[4:5], v[4:5], v[38:39], v[8:9] op_sel_hi:[1,0,1]
	s_nop 0
	v_mov_b32_e32 v11, v5
	v_pk_add_f32 v[4:5], v[6:7], v[10:11]
	scratch_load_dwordx2 v[6:7], off, off offset:248
	s_waitcnt vmcnt(0)
	v_pk_add_f32 v[4:5], v[6:7], v[4:5] neg_lo:[0,1] neg_hi:[0,1]
	scratch_store_dwordx2 off, v[4:5], off offset:248
	s_and_saveexec_b64 s[0:1], vcc
	s_cbranch_execz .LBB40_199
; %bb.198:
	scratch_load_dwordx2 v[4:5], off, off offset:240
	v_mov_b32_e32 v3, v2
	scratch_store_dwordx2 off, v[2:3], off offset:240
	s_waitcnt vmcnt(1)
	ds_write_b64 v1, v[4:5]
.LBB40_199:
	s_or_b64 exec, exec, s[0:1]
	s_waitcnt lgkmcnt(0)
	; wave barrier
	scratch_load_dwordx4 v[8:11], off, off offset:248
	ds_read2_b64 v[4:7], v2 offset0:73 offset1:74
	scratch_load_dwordx4 v[12:15], off, off offset:264
	scratch_load_dwordx4 v[16:19], off, off offset:280
	;; [unrolled: 1-line block ×4, first 2 shown]
	v_cmp_lt_u32_e32 vcc, 29, v0
	s_waitcnt vmcnt(4) lgkmcnt(0)
	v_mul_f32_e32 v3, v5, v9
	v_mul_f32_e32 v37, v4, v9
	;; [unrolled: 1-line block ×3, first 2 shown]
	v_fma_f32 v36, v4, v8, -v3
	v_mul_f32_e32 v3, v7, v11
	v_fmac_f32_e32 v37, v5, v8
	v_fmac_f32_e32 v39, v7, v10
	v_fma_f32 v38, v6, v10, -v3
	ds_read2_b64 v[4:7], v2 offset0:75 offset1:76
	ds_read2_b64 v[8:11], v2 offset0:77 offset1:78
	;; [unrolled: 1-line block ×4, first 2 shown]
	v_pk_add_f32 v[2:3], v[36:37], 0 op_sel_hi:[1,0]
	s_waitcnt vmcnt(3) lgkmcnt(3)
	v_pk_mul_f32 v[36:37], v[4:5], v[12:13] op_sel:[1,1] op_sel_hi:[0,1]
	v_pk_add_f32 v[2:3], v[2:3], v[38:39]
	v_pk_fma_f32 v[38:39], v[4:5], v[12:13], v[36:37] neg_lo:[0,0,1] neg_hi:[0,0,1]
	v_pk_fma_f32 v[4:5], v[4:5], v[12:13], v[36:37] op_sel_hi:[1,0,1]
	s_nop 0
	v_mov_b32_e32 v4, v15
	v_mov_b32_e32 v39, v5
	v_pk_mul_f32 v[4:5], v[6:7], v[4:5] op_sel:[1,0] op_sel_hi:[0,0]
	v_pk_fma_f32 v[12:13], v[6:7], v[14:15], v[4:5] neg_lo:[0,0,1] neg_hi:[0,0,1]
	v_pk_fma_f32 v[4:5], v[6:7], v[14:15], v[4:5] op_sel_hi:[1,0,1]
	v_pk_add_f32 v[2:3], v[2:3], v[38:39]
	v_mov_b32_e32 v13, v5
	s_waitcnt vmcnt(2) lgkmcnt(2)
	v_pk_mul_f32 v[4:5], v[8:9], v[16:17] op_sel:[1,1] op_sel_hi:[0,1]
	v_pk_fma_f32 v[6:7], v[8:9], v[16:17], v[4:5] neg_lo:[0,0,1] neg_hi:[0,0,1]
	v_pk_fma_f32 v[4:5], v[8:9], v[16:17], v[4:5] op_sel_hi:[1,0,1]
	v_pk_add_f32 v[2:3], v[2:3], v[12:13]
	v_mov_b32_e32 v4, v19
	v_mov_b32_e32 v7, v5
	v_pk_mul_f32 v[4:5], v[10:11], v[4:5] op_sel:[1,0] op_sel_hi:[0,0]
	v_pk_add_f32 v[2:3], v[2:3], v[6:7]
	v_pk_fma_f32 v[6:7], v[10:11], v[18:19], v[4:5] neg_lo:[0,0,1] neg_hi:[0,0,1]
	v_pk_fma_f32 v[4:5], v[10:11], v[18:19], v[4:5] op_sel_hi:[1,0,1]
	s_nop 0
	v_mov_b32_e32 v7, v5
	s_waitcnt vmcnt(1) lgkmcnt(1)
	v_pk_mul_f32 v[4:5], v[28:29], v[20:21] op_sel:[1,1] op_sel_hi:[0,1]
	v_pk_add_f32 v[2:3], v[2:3], v[6:7]
	v_pk_fma_f32 v[6:7], v[28:29], v[20:21], v[4:5] neg_lo:[0,0,1] neg_hi:[0,0,1]
	v_pk_fma_f32 v[4:5], v[28:29], v[20:21], v[4:5] op_sel_hi:[1,0,1]
	s_nop 0
	v_mov_b32_e32 v4, v23
	v_mov_b32_e32 v7, v5
	v_pk_mul_f32 v[4:5], v[30:31], v[4:5] op_sel:[1,0] op_sel_hi:[0,0]
	v_pk_add_f32 v[2:3], v[2:3], v[6:7]
	v_pk_fma_f32 v[6:7], v[30:31], v[22:23], v[4:5] neg_lo:[0,0,1] neg_hi:[0,0,1]
	v_pk_fma_f32 v[4:5], v[30:31], v[22:23], v[4:5] op_sel_hi:[1,0,1]
	s_nop 0
	v_mov_b32_e32 v7, v5
	s_waitcnt vmcnt(0) lgkmcnt(0)
	v_pk_mul_f32 v[4:5], v[32:33], v[24:25] op_sel:[1,1] op_sel_hi:[0,1]
	v_pk_add_f32 v[2:3], v[2:3], v[6:7]
	v_pk_fma_f32 v[6:7], v[32:33], v[24:25], v[4:5] neg_lo:[0,0,1] neg_hi:[0,0,1]
	v_pk_fma_f32 v[4:5], v[32:33], v[24:25], v[4:5] op_sel_hi:[1,0,1]
	s_nop 0
	v_mov_b32_e32 v4, v27
	v_mov_b32_e32 v7, v5
	v_pk_mul_f32 v[4:5], v[34:35], v[4:5] op_sel:[1,0] op_sel_hi:[0,0]
	v_pk_add_f32 v[2:3], v[2:3], v[6:7]
	v_pk_fma_f32 v[6:7], v[34:35], v[26:27], v[4:5] neg_lo:[0,0,1] neg_hi:[0,0,1]
	v_pk_fma_f32 v[4:5], v[34:35], v[26:27], v[4:5] op_sel_hi:[1,0,1]
	s_nop 0
	v_mov_b32_e32 v7, v5
	scratch_load_dwordx2 v[4:5], off, off offset:240
	v_pk_add_f32 v[2:3], v[2:3], v[6:7]
	s_waitcnt vmcnt(0)
	v_pk_add_f32 v[2:3], v[4:5], v[2:3] neg_lo:[0,1] neg_hi:[0,1]
	scratch_store_dwordx2 off, v[2:3], off offset:240
	s_and_saveexec_b64 s[0:1], vcc
	s_cbranch_execz .LBB40_201
; %bb.200:
	scratch_load_dwordx2 v[2:3], off, off offset:232
	v_mov_b32_e32 v4, 0
	v_mov_b32_e32 v5, v4
	scratch_store_dwordx2 off, v[4:5], off offset:232
	s_waitcnt vmcnt(1)
	ds_write_b64 v1, v[2:3]
.LBB40_201:
	s_or_b64 exec, exec, s[0:1]
	v_mov_b32_e32 v2, 0
	s_waitcnt lgkmcnt(0)
	; wave barrier
	ds_read_b128 v[4:7], v2 offset:576
	ds_read_b128 v[8:11], v2 offset:592
	;; [unrolled: 1-line block ×4, first 2 shown]
	scratch_load_dwordx4 v[20:23], off, off offset:240
	scratch_load_dwordx4 v[24:27], off, off offset:256
	;; [unrolled: 1-line block ×5, first 2 shown]
	scratch_load_dwordx2 v[46:47], off, off offset:320
	v_cmp_lt_u32_e32 vcc, 28, v0
	s_waitcnt vmcnt(5) lgkmcnt(3)
	v_mul_f32_e32 v3, v4, v21
	v_fmac_f32_e32 v3, v5, v20
	v_add_f32_e32 v41, 0, v3
	v_mul_f32_e32 v3, v5, v21
	v_fma_f32 v3, v4, v20, -v3
	v_mul_f32_e32 v43, v6, v23
	v_add_f32_e32 v40, 0, v3
	v_mul_f32_e32 v3, v7, v23
	v_fmac_f32_e32 v43, v7, v22
	v_fma_f32 v42, v6, v22, -v3
	s_waitcnt vmcnt(4)
	v_mov_b32_e32 v22, v27
	s_waitcnt lgkmcnt(2)
	v_mul_f32_e32 v45, v8, v25
	v_mul_f32_e32 v3, v9, v25
	v_pk_mul_f32 v[22:23], v[10:11], v[22:23] op_sel:[1,0] op_sel_hi:[0,0]
	v_fmac_f32_e32 v45, v9, v24
	v_fma_f32 v44, v8, v24, -v3
	v_pk_add_f32 v[20:21], v[40:41], v[42:43]
	v_pk_fma_f32 v[24:25], v[10:11], v[26:27], v[22:23] neg_lo:[0,0,1] neg_hi:[0,0,1]
	v_pk_fma_f32 v[10:11], v[10:11], v[26:27], v[22:23] op_sel_hi:[1,0,1]
	v_pk_add_f32 v[20:21], v[20:21], v[44:45]
	v_mov_b32_e32 v25, v11
	v_pk_add_f32 v[10:11], v[20:21], v[24:25]
	s_waitcnt vmcnt(3) lgkmcnt(1)
	v_pk_mul_f32 v[20:21], v[12:13], v[28:29] op_sel:[1,1] op_sel_hi:[0,1]
	v_pk_fma_f32 v[22:23], v[12:13], v[28:29], v[20:21] neg_lo:[0,0,1] neg_hi:[0,0,1]
	v_pk_fma_f32 v[12:13], v[12:13], v[28:29], v[20:21] op_sel_hi:[1,0,1]
	ds_read_b128 v[4:7], v2 offset:640
	ds_read_b64 v[8:9], v2 offset:656
	v_mov_b32_e32 v12, v31
	v_mov_b32_e32 v23, v13
	v_pk_mul_f32 v[12:13], v[14:15], v[12:13] op_sel:[1,0] op_sel_hi:[0,0]
	v_pk_fma_f32 v[20:21], v[14:15], v[30:31], v[12:13] neg_lo:[0,0,1] neg_hi:[0,0,1]
	v_pk_fma_f32 v[12:13], v[14:15], v[30:31], v[12:13] op_sel_hi:[1,0,1]
	v_pk_add_f32 v[10:11], v[10:11], v[22:23]
	v_mov_b32_e32 v21, v13
	s_waitcnt vmcnt(2) lgkmcnt(2)
	v_pk_mul_f32 v[12:13], v[16:17], v[32:33] op_sel:[1,1] op_sel_hi:[0,1]
	v_pk_fma_f32 v[14:15], v[16:17], v[32:33], v[12:13] neg_lo:[0,0,1] neg_hi:[0,0,1]
	v_pk_fma_f32 v[12:13], v[16:17], v[32:33], v[12:13] op_sel_hi:[1,0,1]
	v_pk_add_f32 v[10:11], v[10:11], v[20:21]
	v_mov_b32_e32 v12, v35
	v_mov_b32_e32 v15, v13
	v_pk_mul_f32 v[12:13], v[18:19], v[12:13] op_sel:[1,0] op_sel_hi:[0,0]
	v_pk_add_f32 v[10:11], v[10:11], v[14:15]
	v_pk_fma_f32 v[14:15], v[18:19], v[34:35], v[12:13] neg_lo:[0,0,1] neg_hi:[0,0,1]
	v_pk_fma_f32 v[12:13], v[18:19], v[34:35], v[12:13] op_sel_hi:[1,0,1]
	s_nop 0
	v_mov_b32_e32 v15, v13
	s_waitcnt vmcnt(1) lgkmcnt(1)
	v_pk_mul_f32 v[12:13], v[4:5], v[36:37] op_sel:[1,1] op_sel_hi:[0,1]
	v_pk_add_f32 v[10:11], v[10:11], v[14:15]
	v_pk_fma_f32 v[14:15], v[4:5], v[36:37], v[12:13] neg_lo:[0,0,1] neg_hi:[0,0,1]
	v_pk_fma_f32 v[4:5], v[4:5], v[36:37], v[12:13] op_sel_hi:[1,0,1]
	s_nop 0
	v_mov_b32_e32 v15, v5
	v_pk_add_f32 v[4:5], v[10:11], v[14:15]
	v_mov_b32_e32 v10, v39
	v_pk_mul_f32 v[10:11], v[6:7], v[10:11] op_sel:[1,0] op_sel_hi:[0,0]
	v_pk_fma_f32 v[12:13], v[6:7], v[38:39], v[10:11] neg_lo:[0,0,1] neg_hi:[0,0,1]
	v_pk_fma_f32 v[6:7], v[6:7], v[38:39], v[10:11] op_sel_hi:[1,0,1]
	s_nop 0
	v_mov_b32_e32 v13, v7
	s_waitcnt vmcnt(0) lgkmcnt(0)
	v_pk_mul_f32 v[6:7], v[8:9], v[46:47] op_sel:[1,1] op_sel_hi:[0,1]
	v_pk_fma_f32 v[10:11], v[8:9], v[46:47], v[6:7] neg_lo:[0,0,1] neg_hi:[0,0,1]
	v_pk_fma_f32 v[6:7], v[8:9], v[46:47], v[6:7] op_sel_hi:[1,0,1]
	v_pk_add_f32 v[4:5], v[4:5], v[12:13]
	v_mov_b32_e32 v11, v7
	scratch_load_dwordx2 v[6:7], off, off offset:232
	v_pk_add_f32 v[4:5], v[4:5], v[10:11]
	s_waitcnt vmcnt(0)
	v_pk_add_f32 v[4:5], v[6:7], v[4:5] neg_lo:[0,1] neg_hi:[0,1]
	scratch_store_dwordx2 off, v[4:5], off offset:232
	s_and_saveexec_b64 s[0:1], vcc
	s_cbranch_execz .LBB40_203
; %bb.202:
	scratch_load_dwordx2 v[4:5], off, off offset:224
	v_mov_b32_e32 v3, v2
	scratch_store_dwordx2 off, v[2:3], off offset:224
	s_waitcnt vmcnt(1)
	ds_write_b64 v1, v[4:5]
.LBB40_203:
	s_or_b64 exec, exec, s[0:1]
	s_waitcnt lgkmcnt(0)
	; wave barrier
	scratch_load_dwordx4 v[8:11], off, off offset:232
	scratch_load_dwordx4 v[16:19], off, off offset:248
	ds_read2_b64 v[4:7], v2 offset0:71 offset1:72
	v_cmp_lt_u32_e32 vcc, 27, v0
	s_waitcnt vmcnt(1) lgkmcnt(0)
	v_mul_f32_e32 v3, v4, v9
	v_fmac_f32_e32 v3, v5, v8
	v_mul_f32_e32 v12, v6, v11
	v_add_f32_e32 v3, 0, v3
	v_fmac_f32_e32 v12, v7, v10
	v_add_f32_e32 v37, v3, v12
	ds_read2_b64 v[12:15], v2 offset0:73 offset1:74
	scratch_load_dwordx4 v[20:23], off, off offset:264
	scratch_load_dwordx4 v[24:27], off, off offset:280
	;; [unrolled: 1-line block ×4, first 2 shown]
	v_mul_f32_e32 v3, v5, v9
	v_fma_f32 v3, v4, v8, -v3
	v_mul_f32_e32 v4, v7, v11
	v_add_f32_e32 v3, 0, v3
	v_fma_f32 v4, v6, v10, -v4
	v_add_f32_e32 v36, v3, v4
	s_waitcnt vmcnt(4) lgkmcnt(0)
	v_mul_f32_e32 v3, v13, v17
	v_mul_f32_e32 v39, v12, v17
	;; [unrolled: 1-line block ×3, first 2 shown]
	v_fma_f32 v38, v12, v16, -v3
	v_mul_f32_e32 v3, v15, v19
	v_fmac_f32_e32 v39, v13, v16
	v_fmac_f32_e32 v41, v15, v18
	v_fma_f32 v40, v14, v18, -v3
	ds_read2_b64 v[4:7], v2 offset0:75 offset1:76
	ds_read2_b64 v[8:11], v2 offset0:77 offset1:78
	;; [unrolled: 1-line block ×4, first 2 shown]
	v_pk_add_f32 v[2:3], v[36:37], v[38:39]
	s_waitcnt vmcnt(3) lgkmcnt(3)
	v_pk_mul_f32 v[36:37], v[4:5], v[20:21] op_sel:[1,1] op_sel_hi:[0,1]
	v_pk_fma_f32 v[38:39], v[4:5], v[20:21], v[36:37] neg_lo:[0,0,1] neg_hi:[0,0,1]
	v_pk_fma_f32 v[4:5], v[4:5], v[20:21], v[36:37] op_sel_hi:[1,0,1]
	v_pk_add_f32 v[2:3], v[2:3], v[40:41]
	v_mov_b32_e32 v4, v23
	v_mov_b32_e32 v39, v5
	v_pk_mul_f32 v[4:5], v[6:7], v[4:5] op_sel:[1,0] op_sel_hi:[0,0]
	v_pk_fma_f32 v[20:21], v[6:7], v[22:23], v[4:5] neg_lo:[0,0,1] neg_hi:[0,0,1]
	v_pk_fma_f32 v[4:5], v[6:7], v[22:23], v[4:5] op_sel_hi:[1,0,1]
	v_pk_add_f32 v[2:3], v[2:3], v[38:39]
	v_mov_b32_e32 v21, v5
	s_waitcnt vmcnt(2) lgkmcnt(2)
	v_pk_mul_f32 v[4:5], v[8:9], v[24:25] op_sel:[1,1] op_sel_hi:[0,1]
	v_pk_fma_f32 v[6:7], v[8:9], v[24:25], v[4:5] neg_lo:[0,0,1] neg_hi:[0,0,1]
	v_pk_fma_f32 v[4:5], v[8:9], v[24:25], v[4:5] op_sel_hi:[1,0,1]
	v_pk_add_f32 v[2:3], v[2:3], v[20:21]
	v_mov_b32_e32 v4, v27
	v_mov_b32_e32 v7, v5
	v_pk_mul_f32 v[4:5], v[10:11], v[4:5] op_sel:[1,0] op_sel_hi:[0,0]
	v_pk_add_f32 v[2:3], v[2:3], v[6:7]
	v_pk_fma_f32 v[6:7], v[10:11], v[26:27], v[4:5] neg_lo:[0,0,1] neg_hi:[0,0,1]
	v_pk_fma_f32 v[4:5], v[10:11], v[26:27], v[4:5] op_sel_hi:[1,0,1]
	s_nop 0
	v_mov_b32_e32 v7, v5
	s_waitcnt vmcnt(1) lgkmcnt(1)
	v_pk_mul_f32 v[4:5], v[12:13], v[28:29] op_sel:[1,1] op_sel_hi:[0,1]
	v_pk_add_f32 v[2:3], v[2:3], v[6:7]
	v_pk_fma_f32 v[6:7], v[12:13], v[28:29], v[4:5] neg_lo:[0,0,1] neg_hi:[0,0,1]
	v_pk_fma_f32 v[4:5], v[12:13], v[28:29], v[4:5] op_sel_hi:[1,0,1]
	s_nop 0
	v_mov_b32_e32 v4, v31
	v_mov_b32_e32 v7, v5
	v_pk_mul_f32 v[4:5], v[14:15], v[4:5] op_sel:[1,0] op_sel_hi:[0,0]
	v_pk_add_f32 v[2:3], v[2:3], v[6:7]
	v_pk_fma_f32 v[6:7], v[14:15], v[30:31], v[4:5] neg_lo:[0,0,1] neg_hi:[0,0,1]
	v_pk_fma_f32 v[4:5], v[14:15], v[30:31], v[4:5] op_sel_hi:[1,0,1]
	s_nop 0
	v_mov_b32_e32 v7, v5
	s_waitcnt vmcnt(0) lgkmcnt(0)
	v_pk_mul_f32 v[4:5], v[16:17], v[32:33] op_sel:[1,1] op_sel_hi:[0,1]
	v_pk_add_f32 v[2:3], v[2:3], v[6:7]
	v_pk_fma_f32 v[6:7], v[16:17], v[32:33], v[4:5] neg_lo:[0,0,1] neg_hi:[0,0,1]
	v_pk_fma_f32 v[4:5], v[16:17], v[32:33], v[4:5] op_sel_hi:[1,0,1]
	s_nop 0
	v_mov_b32_e32 v4, v35
	v_mov_b32_e32 v7, v5
	v_pk_mul_f32 v[4:5], v[18:19], v[4:5] op_sel:[1,0] op_sel_hi:[0,0]
	v_pk_add_f32 v[2:3], v[2:3], v[6:7]
	v_pk_fma_f32 v[6:7], v[18:19], v[34:35], v[4:5] neg_lo:[0,0,1] neg_hi:[0,0,1]
	v_pk_fma_f32 v[4:5], v[18:19], v[34:35], v[4:5] op_sel_hi:[1,0,1]
	s_nop 0
	v_mov_b32_e32 v7, v5
	scratch_load_dwordx2 v[4:5], off, off offset:224
	v_pk_add_f32 v[2:3], v[2:3], v[6:7]
	s_waitcnt vmcnt(0)
	v_pk_add_f32 v[2:3], v[4:5], v[2:3] neg_lo:[0,1] neg_hi:[0,1]
	scratch_store_dwordx2 off, v[2:3], off offset:224
	s_and_saveexec_b64 s[0:1], vcc
	s_cbranch_execz .LBB40_205
; %bb.204:
	scratch_load_dwordx2 v[2:3], off, off offset:216
	v_mov_b32_e32 v4, 0
	v_mov_b32_e32 v5, v4
	scratch_store_dwordx2 off, v[4:5], off offset:216
	s_waitcnt vmcnt(1)
	ds_write_b64 v1, v[2:3]
.LBB40_205:
	s_or_b64 exec, exec, s[0:1]
	s_waitcnt lgkmcnt(0)
	; wave barrier
	scratch_load_dwordx4 v[4:7], off, off offset:224
	scratch_load_dwordx4 v[8:11], off, off offset:240
	scratch_load_dwordx4 v[12:15], off, off offset:256
	scratch_load_dwordx4 v[16:19], off, off offset:272
	scratch_load_dwordx4 v[20:23], off, off offset:288
	scratch_load_dwordx4 v[24:27], off, off offset:304
	scratch_load_dwordx2 v[52:53], off, off offset:320
	scratch_load_dwordx2 v[54:55], off, off offset:216
	v_mov_b32_e32 v2, 0
	ds_read_b128 v[28:31], v2 offset:560
	ds_read_b128 v[32:35], v2 offset:576
	;; [unrolled: 1-line block ×6, first 2 shown]
	ds_read_b64 v[56:57], v2 offset:656
	v_cmp_lt_u32_e32 vcc, 26, v0
	s_waitcnt vmcnt(7) lgkmcnt(6)
	v_mul_f32_e32 v63, v30, v7
	v_mul_f32_e32 v3, v28, v5
	s_waitcnt vmcnt(5) lgkmcnt(4)
	v_mul_f32_e32 v61, v36, v13
	v_mul_f32_e32 v5, v29, v5
	v_mov_b32_e32 v62, v15
	s_waitcnt vmcnt(2) lgkmcnt(1)
	v_pk_mul_f32 v[72:73], v[48:49], v[24:25] op_sel:[1,1] op_sel_hi:[0,1]
	v_fmac_f32_e32 v63, v31, v6
	v_mul_f32_e32 v7, v31, v7
	v_mul_f32_e32 v13, v37, v13
	v_fmac_f32_e32 v3, v29, v4
	v_fmac_f32_e32 v61, v37, v12
	v_fma_f32 v37, v28, v4, -v5
	v_pk_mul_f32 v[4:5], v[38:39], v[62:63] op_sel:[1,0] op_sel_hi:[0,0]
	v_pk_fma_f32 v[28:29], v[48:49], v[24:25], v[72:73] neg_lo:[0,0,1] neg_hi:[0,0,1]
	v_pk_fma_f32 v[24:25], v[48:49], v[24:25], v[72:73] op_sel_hi:[1,0,1]
	v_mul_f32_e32 v67, v32, v9
	v_mul_f32_e32 v9, v33, v9
	v_fma_f32 v71, v30, v6, -v7
	v_fma_f32 v60, v36, v12, -v13
	v_add_f32_e32 v3, 0, v3
	v_add_f32_e32 v24, 0, v37
	v_pk_fma_f32 v[36:37], v[38:39], v[14:15], v[4:5] neg_lo:[0,0,1] neg_hi:[0,0,1]
	v_pk_fma_f32 v[4:5], v[38:39], v[14:15], v[4:5] op_sel_hi:[1,0,1]
	v_mul_f32_e32 v59, v34, v11
	v_mul_f32_e32 v11, v35, v11
	v_fmac_f32_e32 v67, v33, v8
	v_fma_f32 v75, v32, v8, -v9
	v_add_f32_e32 v3, v3, v63
	v_add_f32_e32 v4, v24, v71
	v_fmac_f32_e32 v59, v35, v10
	v_fma_f32 v58, v34, v10, -v11
	v_mov_b32_e32 v37, v5
	v_add_f32_e32 v5, v3, v67
	v_add_f32_e32 v4, v4, v75
	v_pk_mul_f32 v[64:65], v[40:41], v[16:17] op_sel:[1,1] op_sel_hi:[0,1]
	v_mov_b32_e32 v66, v19
	v_pk_add_f32 v[4:5], v[4:5], v[58:59]
	v_pk_fma_f32 v[6:7], v[40:41], v[16:17], v[64:65] neg_lo:[0,0,1] neg_hi:[0,0,1]
	v_pk_fma_f32 v[8:9], v[40:41], v[16:17], v[64:65] op_sel_hi:[1,0,1]
	v_pk_mul_f32 v[10:11], v[42:43], v[66:67] op_sel:[1,0] op_sel_hi:[0,0]
	v_pk_add_f32 v[4:5], v[4:5], v[60:61]
	v_pk_mul_f32 v[68:69], v[44:45], v[20:21] op_sel:[1,1] op_sel_hi:[0,1]
	v_mov_b32_e32 v70, v23
	v_mov_b32_e32 v7, v9
	v_pk_fma_f32 v[8:9], v[42:43], v[18:19], v[10:11] neg_lo:[0,0,1] neg_hi:[0,0,1]
	v_pk_fma_f32 v[10:11], v[42:43], v[18:19], v[10:11] op_sel_hi:[1,0,1]
	v_pk_add_f32 v[4:5], v[4:5], v[36:37]
	v_pk_fma_f32 v[12:13], v[44:45], v[20:21], v[68:69] neg_lo:[0,0,1] neg_hi:[0,0,1]
	v_pk_fma_f32 v[16:17], v[44:45], v[20:21], v[68:69] op_sel_hi:[1,0,1]
	v_pk_mul_f32 v[20:21], v[46:47], v[70:71] op_sel:[1,0] op_sel_hi:[0,0]
	v_mov_b32_e32 v9, v11
	v_pk_add_f32 v[4:5], v[4:5], v[6:7]
	v_mov_b32_e32 v74, v27
	v_mov_b32_e32 v13, v17
	v_pk_fma_f32 v[14:15], v[46:47], v[22:23], v[20:21] neg_lo:[0,0,1] neg_hi:[0,0,1]
	v_pk_fma_f32 v[16:17], v[46:47], v[22:23], v[20:21] op_sel_hi:[1,0,1]
	v_pk_add_f32 v[4:5], v[4:5], v[8:9]
	v_pk_mul_f32 v[30:31], v[50:51], v[74:75] op_sel:[1,0] op_sel_hi:[0,0]
	v_mov_b32_e32 v15, v17
	v_pk_add_f32 v[4:5], v[4:5], v[12:13]
	s_waitcnt vmcnt(1) lgkmcnt(0)
	v_pk_mul_f32 v[76:77], v[56:57], v[52:53] op_sel:[1,1] op_sel_hi:[0,1]
	v_mov_b32_e32 v29, v25
	v_pk_fma_f32 v[18:19], v[50:51], v[26:27], v[30:31] neg_lo:[0,0,1] neg_hi:[0,0,1]
	v_pk_fma_f32 v[20:21], v[50:51], v[26:27], v[30:31] op_sel_hi:[1,0,1]
	v_pk_add_f32 v[4:5], v[4:5], v[14:15]
	v_pk_fma_f32 v[32:33], v[56:57], v[52:53], v[76:77] neg_lo:[0,0,1] neg_hi:[0,0,1]
	v_pk_fma_f32 v[34:35], v[56:57], v[52:53], v[76:77] op_sel_hi:[1,0,1]
	v_mov_b32_e32 v19, v21
	v_pk_add_f32 v[4:5], v[4:5], v[28:29]
	v_mov_b32_e32 v33, v35
	v_pk_add_f32 v[4:5], v[4:5], v[18:19]
	s_nop 0
	v_pk_add_f32 v[4:5], v[4:5], v[32:33]
	s_waitcnt vmcnt(0)
	v_pk_add_f32 v[4:5], v[54:55], v[4:5] neg_lo:[0,1] neg_hi:[0,1]
	scratch_store_dwordx2 off, v[4:5], off offset:216
	s_and_saveexec_b64 s[0:1], vcc
	s_cbranch_execz .LBB40_207
; %bb.206:
	scratch_load_dwordx2 v[4:5], off, off offset:208
	v_mov_b32_e32 v3, v2
	scratch_store_dwordx2 off, v[2:3], off offset:208
	s_waitcnt vmcnt(1)
	ds_write_b64 v1, v[4:5]
.LBB40_207:
	s_or_b64 exec, exec, s[0:1]
	s_waitcnt lgkmcnt(0)
	; wave barrier
	scratch_load_dwordx4 v[4:7], off, off offset:216
	scratch_load_dwordx4 v[8:11], off, off offset:232
	;; [unrolled: 1-line block ×7, first 2 shown]
	ds_read2_b64 v[32:35], v2 offset0:69 offset1:70
	ds_read2_b64 v[36:39], v2 offset0:71 offset1:72
	;; [unrolled: 1-line block ×6, first 2 shown]
	scratch_load_dwordx2 v[60:61], off, off offset:208
	ds_read2_b64 v[56:59], v2 offset0:81 offset1:82
	v_cmp_lt_u32_e32 vcc, 25, v0
	s_waitcnt vmcnt(7) lgkmcnt(6)
	v_mul_f32_e32 v67, v32, v5
	v_mul_f32_e32 v71, v34, v7
	s_waitcnt vmcnt(6) lgkmcnt(5)
	v_mul_f32_e32 v75, v36, v9
	v_mul_f32_e32 v79, v38, v11
	;; [unrolled: 3-line block ×3, first 2 shown]
	v_mul_f32_e32 v2, v33, v5
	v_mul_f32_e32 v5, v35, v7
	;; [unrolled: 1-line block ×6, first 2 shown]
	s_waitcnt vmcnt(4) lgkmcnt(3)
	v_pk_mul_f32 v[64:65], v[44:45], v[16:17] op_sel:[1,1] op_sel_hi:[0,1]
	v_mov_b32_e32 v66, v19
	s_waitcnt vmcnt(3) lgkmcnt(2)
	v_pk_mul_f32 v[68:69], v[48:49], v[20:21] op_sel:[1,1] op_sel_hi:[0,1]
	v_mov_b32_e32 v70, v23
	s_waitcnt vmcnt(1) lgkmcnt(0)
	v_pk_mul_f32 v[76:77], v[56:57], v[28:29] op_sel:[1,1] op_sel_hi:[0,1]
	v_fmac_f32_e32 v67, v33, v4
	v_fmac_f32_e32 v71, v35, v6
	;; [unrolled: 1-line block ×6, first 2 shown]
	v_fma_f32 v37, v32, v4, -v2
	v_fma_f32 v39, v34, v6, -v5
	;; [unrolled: 1-line block ×6, first 2 shown]
	v_pk_fma_f32 v[4:5], v[44:45], v[16:17], v[64:65] neg_lo:[0,0,1] neg_hi:[0,0,1]
	v_pk_fma_f32 v[6:7], v[44:45], v[16:17], v[64:65] op_sel_hi:[1,0,1]
	v_pk_mul_f32 v[8:9], v[46:47], v[66:67] op_sel:[1,0] op_sel_hi:[0,0]
	v_pk_fma_f32 v[10:11], v[48:49], v[20:21], v[68:69] neg_lo:[0,0,1] neg_hi:[0,0,1]
	v_pk_fma_f32 v[12:13], v[48:49], v[20:21], v[68:69] op_sel_hi:[1,0,1]
	v_pk_mul_f32 v[14:15], v[50:51], v[70:71] op_sel:[1,0] op_sel_hi:[0,0]
	v_pk_fma_f32 v[32:33], v[56:57], v[28:29], v[76:77] neg_lo:[0,0,1] neg_hi:[0,0,1]
	v_pk_fma_f32 v[28:29], v[56:57], v[28:29], v[76:77] op_sel_hi:[1,0,1]
	v_add_f32_e32 v37, 0, v37
	v_add_f32_e32 v28, 0, v67
	v_mov_b32_e32 v5, v7
	v_pk_fma_f32 v[6:7], v[46:47], v[18:19], v[8:9] neg_lo:[0,0,1] neg_hi:[0,0,1]
	v_pk_fma_f32 v[8:9], v[46:47], v[18:19], v[8:9] op_sel_hi:[1,0,1]
	v_mov_b32_e32 v11, v13
	v_pk_fma_f32 v[12:13], v[50:51], v[22:23], v[14:15] neg_lo:[0,0,1] neg_hi:[0,0,1]
	v_pk_fma_f32 v[14:15], v[50:51], v[22:23], v[14:15] op_sel_hi:[1,0,1]
	v_add_f32_e32 v8, v28, v71
	v_add_f32_e32 v14, v37, v39
	;; [unrolled: 1-line block ×4, first 2 shown]
	v_mov_b32_e32 v7, v9
	v_add_f32_e32 v9, v8, v79
	v_add_f32_e32 v8, v14, v38
	v_pk_add_f32 v[2:3], v[8:9], v[2:3]
	v_pk_mul_f32 v[72:73], v[52:53], v[24:25] op_sel:[1,1] op_sel_hi:[0,1]
	v_pk_add_f32 v[2:3], v[2:3], v[62:63]
	v_mov_b32_e32 v74, v27
	v_pk_add_f32 v[2:3], v[2:3], v[4:5]
	v_pk_fma_f32 v[16:17], v[52:53], v[24:25], v[72:73] neg_lo:[0,0,1] neg_hi:[0,0,1]
	v_pk_add_f32 v[2:3], v[2:3], v[6:7]
	v_pk_fma_f32 v[20:21], v[52:53], v[24:25], v[72:73] op_sel_hi:[1,0,1]
	v_pk_mul_f32 v[24:25], v[54:55], v[74:75] op_sel:[1,0] op_sel_hi:[0,0]
	v_mov_b32_e32 v13, v15
	v_pk_add_f32 v[2:3], v[2:3], v[10:11]
	v_mov_b32_e32 v78, v31
	v_mov_b32_e32 v17, v21
	v_pk_fma_f32 v[18:19], v[54:55], v[26:27], v[24:25] neg_lo:[0,0,1] neg_hi:[0,0,1]
	v_pk_fma_f32 v[20:21], v[54:55], v[26:27], v[24:25] op_sel_hi:[1,0,1]
	v_pk_add_f32 v[2:3], v[2:3], v[12:13]
	v_pk_mul_f32 v[34:35], v[58:59], v[78:79] op_sel:[1,0] op_sel_hi:[0,0]
	v_mov_b32_e32 v19, v21
	v_pk_add_f32 v[2:3], v[2:3], v[16:17]
	v_mov_b32_e32 v33, v29
	v_pk_fma_f32 v[22:23], v[58:59], v[30:31], v[34:35] neg_lo:[0,0,1] neg_hi:[0,0,1]
	v_pk_fma_f32 v[24:25], v[58:59], v[30:31], v[34:35] op_sel_hi:[1,0,1]
	v_pk_add_f32 v[2:3], v[2:3], v[18:19]
	v_mov_b32_e32 v23, v25
	v_pk_add_f32 v[2:3], v[2:3], v[32:33]
	s_nop 0
	v_pk_add_f32 v[2:3], v[2:3], v[22:23]
	s_waitcnt vmcnt(0)
	v_pk_add_f32 v[2:3], v[60:61], v[2:3] neg_lo:[0,1] neg_hi:[0,1]
	scratch_store_dwordx2 off, v[2:3], off offset:208
	s_and_saveexec_b64 s[0:1], vcc
	s_cbranch_execz .LBB40_209
; %bb.208:
	scratch_load_dwordx2 v[2:3], off, off offset:200
	v_mov_b32_e32 v4, 0
	v_mov_b32_e32 v5, v4
	scratch_store_dwordx2 off, v[4:5], off offset:200
	s_waitcnt vmcnt(1)
	ds_write_b64 v1, v[2:3]
.LBB40_209:
	s_or_b64 exec, exec, s[0:1]
	s_waitcnt lgkmcnt(0)
	; wave barrier
	scratch_load_dwordx4 v[4:7], off, off offset:208
	scratch_load_dwordx4 v[8:11], off, off offset:224
	;; [unrolled: 1-line block ×7, first 2 shown]
	scratch_load_dwordx2 v[60:61], off, off offset:320
	scratch_load_dwordx2 v[62:63], off, off offset:200
	v_mov_b32_e32 v2, 0
	ds_read_b128 v[32:35], v2 offset:544
	ds_read_b128 v[36:39], v2 offset:560
	;; [unrolled: 1-line block ×7, first 2 shown]
	ds_read_b64 v[64:65], v2 offset:656
	v_cmp_lt_u32_e32 vcc, 24, v0
	s_waitcnt vmcnt(8) lgkmcnt(7)
	v_mul_f32_e32 v71, v34, v7
	v_mul_f32_e32 v3, v32, v5
	s_waitcnt vmcnt(7) lgkmcnt(6)
	v_mul_f32_e32 v75, v36, v9
	s_waitcnt vmcnt(6) lgkmcnt(5)
	v_mul_f32_e32 v83, v40, v13
	v_mul_f32_e32 v67, v42, v15
	;; [unrolled: 1-line block ×5, first 2 shown]
	s_waitcnt vmcnt(5)
	v_mov_b32_e32 v70, v19
	s_waitcnt vmcnt(3) lgkmcnt(2)
	v_pk_mul_f32 v[76:77], v[52:53], v[24:25] op_sel:[1,1] op_sel_hi:[0,1]
	s_waitcnt vmcnt(2) lgkmcnt(1)
	v_pk_mul_f32 v[80:81], v[56:57], v[28:29] op_sel:[1,1] op_sel_hi:[0,1]
	v_fmac_f32_e32 v71, v35, v6
	v_mul_f32_e32 v7, v35, v7
	v_mul_f32_e32 v9, v37, v9
	v_fmac_f32_e32 v3, v33, v4
	v_fmac_f32_e32 v75, v37, v8
	;; [unrolled: 1-line block ×4, first 2 shown]
	v_fma_f32 v32, v32, v4, -v5
	v_fma_f32 v37, v40, v12, -v13
	;; [unrolled: 1-line block ×3, first 2 shown]
	v_pk_mul_f32 v[4:5], v[46:47], v[70:71] op_sel:[1,0] op_sel_hi:[0,0]
	v_pk_fma_f32 v[12:13], v[52:53], v[24:25], v[76:77] neg_lo:[0,0,1] neg_hi:[0,0,1]
	v_pk_fma_f32 v[14:15], v[52:53], v[24:25], v[76:77] op_sel_hi:[1,0,1]
	v_pk_fma_f32 v[24:25], v[56:57], v[28:29], v[80:81] op_sel_hi:[1,0,1]
	v_fma_f32 v34, v34, v6, -v7
	v_add_f32_e32 v3, 0, v3
	v_add_f32_e32 v24, 0, v32
	v_pk_fma_f32 v[32:33], v[46:47], v[18:19], v[4:5] neg_lo:[0,0,1] neg_hi:[0,0,1]
	v_pk_fma_f32 v[4:5], v[46:47], v[18:19], v[4:5] op_sel_hi:[1,0,1]
	v_mul_f32_e32 v79, v38, v11
	v_mul_f32_e32 v11, v39, v11
	v_fma_f32 v35, v36, v8, -v9
	v_add_f32_e32 v3, v3, v71
	v_add_f32_e32 v4, v24, v34
	v_fmac_f32_e32 v79, v39, v10
	v_fma_f32 v36, v38, v10, -v11
	v_add_f32_e32 v3, v3, v75
	v_add_f32_e32 v4, v4, v35
	;; [unrolled: 1-line block ×4, first 2 shown]
	v_mul_f32_e32 v69, v44, v17
	v_mul_f32_e32 v17, v45, v17
	v_mov_b32_e32 v33, v5
	v_add_f32_e32 v5, v3, v83
	v_add_f32_e32 v4, v4, v37
	v_pk_mul_f32 v[72:73], v[48:49], v[20:21] op_sel:[1,1] op_sel_hi:[0,1]
	v_mov_b32_e32 v74, v23
	v_fmac_f32_e32 v69, v45, v16
	v_fma_f32 v68, v44, v16, -v17
	v_pk_add_f32 v[4:5], v[4:5], v[66:67]
	v_pk_fma_f32 v[6:7], v[48:49], v[20:21], v[72:73] neg_lo:[0,0,1] neg_hi:[0,0,1]
	v_pk_fma_f32 v[8:9], v[48:49], v[20:21], v[72:73] op_sel_hi:[1,0,1]
	v_pk_mul_f32 v[10:11], v[50:51], v[74:75] op_sel:[1,0] op_sel_hi:[0,0]
	v_pk_add_f32 v[4:5], v[4:5], v[68:69]
	v_mov_b32_e32 v78, v27
	v_mov_b32_e32 v7, v9
	v_pk_fma_f32 v[8:9], v[50:51], v[22:23], v[10:11] neg_lo:[0,0,1] neg_hi:[0,0,1]
	v_pk_fma_f32 v[10:11], v[50:51], v[22:23], v[10:11] op_sel_hi:[1,0,1]
	v_pk_add_f32 v[4:5], v[4:5], v[32:33]
	v_pk_mul_f32 v[16:17], v[54:55], v[78:79] op_sel:[1,0] op_sel_hi:[0,0]
	v_mov_b32_e32 v9, v11
	v_pk_add_f32 v[4:5], v[4:5], v[6:7]
	v_mov_b32_e32 v82, v31
	v_mov_b32_e32 v13, v15
	v_pk_fma_f32 v[14:15], v[54:55], v[26:27], v[16:17] neg_lo:[0,0,1] neg_hi:[0,0,1]
	v_pk_fma_f32 v[16:17], v[54:55], v[26:27], v[16:17] op_sel_hi:[1,0,1]
	v_pk_add_f32 v[4:5], v[4:5], v[8:9]
	v_pk_fma_f32 v[20:21], v[56:57], v[28:29], v[80:81] neg_lo:[0,0,1] neg_hi:[0,0,1]
	v_pk_mul_f32 v[28:29], v[58:59], v[82:83] op_sel:[1,0] op_sel_hi:[0,0]
	v_mov_b32_e32 v15, v17
	v_pk_add_f32 v[4:5], v[4:5], v[12:13]
	v_mov_b32_e32 v21, v25
	v_pk_add_f32 v[4:5], v[4:5], v[14:15]
	v_pk_fma_f32 v[6:7], v[58:59], v[30:31], v[28:29] neg_lo:[0,0,1] neg_hi:[0,0,1]
	v_pk_fma_f32 v[8:9], v[58:59], v[30:31], v[28:29] op_sel_hi:[1,0,1]
	v_pk_add_f32 v[4:5], v[4:5], v[20:21]
	v_mov_b32_e32 v7, v9
	v_pk_add_f32 v[4:5], v[4:5], v[6:7]
	s_waitcnt vmcnt(1) lgkmcnt(0)
	v_pk_mul_f32 v[6:7], v[64:65], v[60:61] op_sel:[1,1] op_sel_hi:[0,1]
	v_pk_fma_f32 v[8:9], v[64:65], v[60:61], v[6:7] neg_lo:[0,0,1] neg_hi:[0,0,1]
	v_pk_fma_f32 v[6:7], v[64:65], v[60:61], v[6:7] op_sel_hi:[1,0,1]
	s_nop 0
	v_mov_b32_e32 v9, v7
	v_pk_add_f32 v[4:5], v[4:5], v[8:9]
	s_waitcnt vmcnt(0)
	v_pk_add_f32 v[4:5], v[62:63], v[4:5] neg_lo:[0,1] neg_hi:[0,1]
	scratch_store_dwordx2 off, v[4:5], off offset:200
	s_and_saveexec_b64 s[0:1], vcc
	s_cbranch_execz .LBB40_211
; %bb.210:
	scratch_load_dwordx2 v[4:5], off, off offset:192
	v_mov_b32_e32 v3, v2
	scratch_store_dwordx2 off, v[2:3], off offset:192
	s_waitcnt vmcnt(1)
	ds_write_b64 v1, v[4:5]
.LBB40_211:
	s_or_b64 exec, exec, s[0:1]
	s_waitcnt lgkmcnt(0)
	; wave barrier
	scratch_load_dwordx4 v[4:7], off, off offset:200
	scratch_load_dwordx4 v[8:11], off, off offset:216
	;; [unrolled: 1-line block ×7, first 2 shown]
	ds_read2_b64 v[32:35], v2 offset0:67 offset1:68
	ds_read2_b64 v[36:39], v2 offset0:69 offset1:70
	;; [unrolled: 1-line block ×4, first 2 shown]
	scratch_load_dwordx4 v[48:51], off, off offset:312
	ds_read2_b64 v[52:55], v2 offset0:75 offset1:76
	ds_read2_b64 v[56:59], v2 offset0:77 offset1:78
	;; [unrolled: 1-line block ×4, first 2 shown]
	scratch_load_dwordx2 v[2:3], off, off offset:192
	v_cmp_lt_u32_e32 vcc, 23, v0
	s_waitcnt vmcnt(8) lgkmcnt(7)
	v_mul_f32_e32 v75, v32, v5
	v_mul_f32_e32 v79, v34, v7
	s_waitcnt vmcnt(7) lgkmcnt(6)
	v_mul_f32_e32 v83, v36, v9
	v_mul_f32_e32 v84, v38, v11
	;; [unrolled: 3-line block ×3, first 2 shown]
	v_mul_f32_e32 v5, v33, v5
	v_mul_f32_e32 v7, v35, v7
	;; [unrolled: 1-line block ×6, first 2 shown]
	s_waitcnt vmcnt(4) lgkmcnt(3)
	v_pk_mul_f32 v[72:73], v[52:53], v[20:21] op_sel:[1,1] op_sel_hi:[0,1]
	v_mov_b32_e32 v74, v23
	s_waitcnt vmcnt(3) lgkmcnt(2)
	v_pk_mul_f32 v[76:77], v[56:57], v[24:25] op_sel:[1,1] op_sel_hi:[0,1]
	v_mov_b32_e32 v78, v27
	v_fmac_f32_e32 v75, v33, v4
	v_fmac_f32_e32 v79, v35, v6
	;; [unrolled: 1-line block ×6, first 2 shown]
	v_fma_f32 v32, v32, v4, -v5
	v_fma_f32 v33, v34, v6, -v7
	;; [unrolled: 1-line block ×6, first 2 shown]
	v_pk_fma_f32 v[4:5], v[52:53], v[20:21], v[72:73] neg_lo:[0,0,1] neg_hi:[0,0,1]
	v_pk_fma_f32 v[6:7], v[52:53], v[20:21], v[72:73] op_sel_hi:[1,0,1]
	v_pk_mul_f32 v[8:9], v[54:55], v[74:75] op_sel:[1,0] op_sel_hi:[0,0]
	v_pk_fma_f32 v[10:11], v[56:57], v[24:25], v[76:77] neg_lo:[0,0,1] neg_hi:[0,0,1]
	v_pk_fma_f32 v[12:13], v[56:57], v[24:25], v[76:77] op_sel_hi:[1,0,1]
	v_pk_mul_f32 v[14:15], v[58:59], v[78:79] op_sel:[1,0] op_sel_hi:[0,0]
	v_add_f32_e32 v24, 0, v75
	v_add_f32_e32 v25, 0, v32
	v_mov_b32_e32 v5, v7
	v_pk_fma_f32 v[6:7], v[54:55], v[22:23], v[8:9] neg_lo:[0,0,1] neg_hi:[0,0,1]
	v_pk_fma_f32 v[8:9], v[54:55], v[22:23], v[8:9] op_sel_hi:[1,0,1]
	v_mov_b32_e32 v11, v13
	v_pk_fma_f32 v[12:13], v[58:59], v[26:27], v[14:15] neg_lo:[0,0,1] neg_hi:[0,0,1]
	v_pk_fma_f32 v[14:15], v[58:59], v[26:27], v[14:15] op_sel_hi:[1,0,1]
	v_add_f32_e32 v8, v24, v79
	v_add_f32_e32 v14, v25, v33
	v_mov_b32_e32 v7, v9
	v_add_f32_e32 v8, v8, v83
	v_add_f32_e32 v9, v14, v34
	;; [unrolled: 1-line block ×4, first 2 shown]
	v_mul_f32_e32 v69, v44, v17
	v_mul_f32_e32 v17, v45, v17
	v_add_f32_e32 v8, v8, v85
	v_add_f32_e32 v14, v9, v36
	v_mul_f32_e32 v71, v46, v19
	v_mul_f32_e32 v19, v47, v19
	v_fmac_f32_e32 v69, v45, v16
	v_fma_f32 v68, v44, v16, -v17
	v_add_f32_e32 v9, v8, v86
	v_add_f32_e32 v8, v14, v37
	v_fmac_f32_e32 v71, v47, v18
	v_fma_f32 v70, v46, v18, -v19
	v_pk_add_f32 v[8:9], v[8:9], v[68:69]
	s_waitcnt vmcnt(2) lgkmcnt(1)
	v_pk_mul_f32 v[80:81], v[60:61], v[28:29] op_sel:[1,1] op_sel_hi:[0,1]
	v_mov_b32_e32 v82, v31
	v_pk_add_f32 v[8:9], v[8:9], v[70:71]
	v_pk_fma_f32 v[16:17], v[60:61], v[28:29], v[80:81] neg_lo:[0,0,1] neg_hi:[0,0,1]
	v_pk_fma_f32 v[18:19], v[60:61], v[28:29], v[80:81] op_sel_hi:[1,0,1]
	v_pk_mul_f32 v[20:21], v[62:63], v[82:83] op_sel:[1,0] op_sel_hi:[0,0]
	v_pk_add_f32 v[4:5], v[8:9], v[4:5]
	v_mov_b32_e32 v17, v19
	v_pk_fma_f32 v[18:19], v[62:63], v[30:31], v[20:21] neg_lo:[0,0,1] neg_hi:[0,0,1]
	v_pk_add_f32 v[4:5], v[4:5], v[6:7]
	v_pk_fma_f32 v[6:7], v[62:63], v[30:31], v[20:21] op_sel_hi:[1,0,1]
	v_mov_b32_e32 v13, v15
	v_pk_add_f32 v[4:5], v[4:5], v[10:11]
	v_mov_b32_e32 v19, v7
	s_waitcnt vmcnt(1) lgkmcnt(0)
	v_pk_mul_f32 v[6:7], v[64:65], v[48:49] op_sel:[1,1] op_sel_hi:[0,1]
	v_pk_add_f32 v[4:5], v[4:5], v[12:13]
	v_pk_fma_f32 v[8:9], v[64:65], v[48:49], v[6:7] neg_lo:[0,0,1] neg_hi:[0,0,1]
	v_pk_fma_f32 v[6:7], v[64:65], v[48:49], v[6:7] op_sel_hi:[1,0,1]
	v_pk_add_f32 v[4:5], v[4:5], v[16:17]
	v_mov_b32_e32 v6, v51
	v_pk_add_f32 v[4:5], v[4:5], v[18:19]
	v_mov_b32_e32 v9, v7
	v_pk_mul_f32 v[6:7], v[66:67], v[6:7] op_sel:[1,0] op_sel_hi:[0,0]
	v_pk_add_f32 v[4:5], v[4:5], v[8:9]
	v_pk_fma_f32 v[8:9], v[66:67], v[50:51], v[6:7] neg_lo:[0,0,1] neg_hi:[0,0,1]
	v_pk_fma_f32 v[6:7], v[66:67], v[50:51], v[6:7] op_sel_hi:[1,0,1]
	s_nop 0
	v_mov_b32_e32 v9, v7
	v_pk_add_f32 v[4:5], v[4:5], v[8:9]
	s_waitcnt vmcnt(0)
	v_pk_add_f32 v[2:3], v[2:3], v[4:5] neg_lo:[0,1] neg_hi:[0,1]
	scratch_store_dwordx2 off, v[2:3], off offset:192
	s_and_saveexec_b64 s[0:1], vcc
	s_cbranch_execz .LBB40_213
; %bb.212:
	scratch_load_dwordx2 v[2:3], off, off offset:184
	v_mov_b32_e32 v4, 0
	v_mov_b32_e32 v5, v4
	scratch_store_dwordx2 off, v[4:5], off offset:184
	s_waitcnt vmcnt(1)
	ds_write_b64 v1, v[2:3]
.LBB40_213:
	s_or_b64 exec, exec, s[0:1]
	v_mov_b32_e32 v2, 0
	s_waitcnt lgkmcnt(0)
	; wave barrier
	ds_read_b128 v[4:7], v2 offset:528
	ds_read_b128 v[8:11], v2 offset:544
	;; [unrolled: 1-line block ×4, first 2 shown]
	scratch_load_dwordx4 v[20:23], off, off offset:192
	scratch_load_dwordx4 v[40:43], off, off offset:256
	v_cmp_lt_u32_e32 vcc, 22, v0
	s_waitcnt vmcnt(1) lgkmcnt(3)
	v_mul_f32_e32 v3, v4, v21
	v_fmac_f32_e32 v3, v5, v20
	v_mul_f32_e32 v24, v6, v23
	v_add_f32_e32 v3, 0, v3
	v_fmac_f32_e32 v24, v7, v22
	v_add_f32_e32 v3, v3, v24
	scratch_load_dwordx4 v[24:27], off, off offset:208
	s_waitcnt vmcnt(0) lgkmcnt(2)
	v_mul_f32_e32 v28, v8, v25
	v_fmac_f32_e32 v28, v9, v24
	v_add_f32_e32 v3, v3, v28
	v_mul_f32_e32 v28, v10, v27
	v_fmac_f32_e32 v28, v11, v26
	v_add_f32_e32 v3, v3, v28
	scratch_load_dwordx4 v[28:31], off, off offset:224
	s_waitcnt vmcnt(0) lgkmcnt(1)
	v_mul_f32_e32 v32, v12, v29
	v_fmac_f32_e32 v32, v13, v28
	v_add_f32_e32 v3, v3, v32
	v_mul_f32_e32 v32, v14, v31
	v_fmac_f32_e32 v32, v15, v30
	v_add_f32_e32 v3, v3, v32
	scratch_load_dwordx4 v[32:35], off, off offset:240
	s_waitcnt vmcnt(0) lgkmcnt(0)
	v_mul_f32_e32 v36, v16, v33
	v_fmac_f32_e32 v36, v17, v32
	v_add_f32_e32 v57, v3, v36
	ds_read_b128 v[36:39], v2 offset:592
	scratch_load_dwordx4 v[44:47], off, off offset:272
	scratch_load_dwordx4 v[48:51], off, off offset:288
	;; [unrolled: 1-line block ×3, first 2 shown]
	scratch_load_dwordx2 v[62:63], off, off offset:320
	v_mul_f32_e32 v3, v5, v21
	v_fma_f32 v3, v4, v20, -v3
	v_mul_f32_e32 v4, v7, v23
	v_add_f32_e32 v3, 0, v3
	v_fma_f32 v4, v6, v22, -v4
	v_add_f32_e32 v3, v3, v4
	v_mul_f32_e32 v4, v9, v25
	v_fma_f32 v4, v8, v24, -v4
	v_add_f32_e32 v3, v3, v4
	v_mul_f32_e32 v4, v11, v27
	v_fma_f32 v4, v10, v26, -v4
	v_add_f32_e32 v3, v3, v4
	v_mul_f32_e32 v4, v13, v29
	v_fma_f32 v4, v12, v28, -v4
	v_add_f32_e32 v3, v3, v4
	v_mul_f32_e32 v4, v15, v31
	v_fma_f32 v4, v14, v30, -v4
	v_add_f32_e32 v3, v3, v4
	v_mul_f32_e32 v4, v17, v33
	v_fma_f32 v4, v16, v32, -v4
	v_mul_f32_e32 v59, v18, v35
	v_add_f32_e32 v56, v3, v4
	v_mul_f32_e32 v3, v19, v35
	v_mov_b32_e32 v20, v43
	v_fmac_f32_e32 v59, v19, v34
	s_waitcnt lgkmcnt(0)
	v_mul_f32_e32 v61, v36, v41
	v_fma_f32 v58, v18, v34, -v3
	v_mul_f32_e32 v3, v37, v41
	ds_read_b128 v[4:7], v2 offset:608
	ds_read_b128 v[8:11], v2 offset:624
	;; [unrolled: 1-line block ×3, first 2 shown]
	ds_read_b64 v[16:17], v2 offset:656
	v_pk_mul_f32 v[20:21], v[38:39], v[20:21] op_sel:[1,0] op_sel_hi:[0,0]
	v_fmac_f32_e32 v61, v37, v40
	v_fma_f32 v60, v36, v40, -v3
	v_pk_add_f32 v[18:19], v[56:57], v[58:59]
	v_pk_fma_f32 v[22:23], v[38:39], v[42:43], v[20:21] neg_lo:[0,0,1] neg_hi:[0,0,1]
	v_pk_fma_f32 v[20:21], v[38:39], v[42:43], v[20:21] op_sel_hi:[1,0,1]
	v_pk_add_f32 v[18:19], v[18:19], v[60:61]
	v_mov_b32_e32 v23, v21
	v_pk_add_f32 v[18:19], v[18:19], v[22:23]
	s_waitcnt vmcnt(3) lgkmcnt(3)
	v_pk_mul_f32 v[20:21], v[4:5], v[44:45] op_sel:[1,1] op_sel_hi:[0,1]
	v_pk_fma_f32 v[22:23], v[4:5], v[44:45], v[20:21] neg_lo:[0,0,1] neg_hi:[0,0,1]
	v_pk_fma_f32 v[4:5], v[4:5], v[44:45], v[20:21] op_sel_hi:[1,0,1]
	s_nop 0
	v_mov_b32_e32 v23, v5
	v_pk_add_f32 v[4:5], v[18:19], v[22:23]
	v_mov_b32_e32 v18, v47
	v_pk_mul_f32 v[18:19], v[6:7], v[18:19] op_sel:[1,0] op_sel_hi:[0,0]
	v_pk_fma_f32 v[20:21], v[6:7], v[46:47], v[18:19] neg_lo:[0,0,1] neg_hi:[0,0,1]
	v_pk_fma_f32 v[6:7], v[6:7], v[46:47], v[18:19] op_sel_hi:[1,0,1]
	s_nop 0
	v_mov_b32_e32 v21, v7
	s_waitcnt vmcnt(2) lgkmcnt(2)
	v_pk_mul_f32 v[6:7], v[8:9], v[48:49] op_sel:[1,1] op_sel_hi:[0,1]
	v_pk_fma_f32 v[18:19], v[8:9], v[48:49], v[6:7] neg_lo:[0,0,1] neg_hi:[0,0,1]
	v_pk_fma_f32 v[6:7], v[8:9], v[48:49], v[6:7] op_sel_hi:[1,0,1]
	v_pk_add_f32 v[4:5], v[4:5], v[20:21]
	v_mov_b32_e32 v6, v51
	v_mov_b32_e32 v19, v7
	v_pk_mul_f32 v[6:7], v[10:11], v[6:7] op_sel:[1,0] op_sel_hi:[0,0]
	v_pk_fma_f32 v[8:9], v[10:11], v[50:51], v[6:7] neg_lo:[0,0,1] neg_hi:[0,0,1]
	v_pk_fma_f32 v[6:7], v[10:11], v[50:51], v[6:7] op_sel_hi:[1,0,1]
	v_pk_add_f32 v[4:5], v[4:5], v[18:19]
	v_mov_b32_e32 v9, v7
	s_waitcnt vmcnt(1) lgkmcnt(1)
	v_pk_mul_f32 v[6:7], v[12:13], v[52:53] op_sel:[1,1] op_sel_hi:[0,1]
	v_pk_add_f32 v[4:5], v[4:5], v[8:9]
	v_pk_fma_f32 v[8:9], v[12:13], v[52:53], v[6:7] neg_lo:[0,0,1] neg_hi:[0,0,1]
	v_pk_fma_f32 v[6:7], v[12:13], v[52:53], v[6:7] op_sel_hi:[1,0,1]
	s_nop 0
	v_mov_b32_e32 v6, v55
	v_mov_b32_e32 v9, v7
	v_pk_mul_f32 v[6:7], v[14:15], v[6:7] op_sel:[1,0] op_sel_hi:[0,0]
	v_pk_add_f32 v[4:5], v[4:5], v[8:9]
	v_pk_fma_f32 v[8:9], v[14:15], v[54:55], v[6:7] neg_lo:[0,0,1] neg_hi:[0,0,1]
	v_pk_fma_f32 v[6:7], v[14:15], v[54:55], v[6:7] op_sel_hi:[1,0,1]
	s_nop 0
	v_mov_b32_e32 v9, v7
	s_waitcnt vmcnt(0) lgkmcnt(0)
	v_pk_mul_f32 v[6:7], v[16:17], v[62:63] op_sel:[1,1] op_sel_hi:[0,1]
	v_pk_add_f32 v[4:5], v[4:5], v[8:9]
	v_pk_fma_f32 v[8:9], v[16:17], v[62:63], v[6:7] neg_lo:[0,0,1] neg_hi:[0,0,1]
	v_pk_fma_f32 v[6:7], v[16:17], v[62:63], v[6:7] op_sel_hi:[1,0,1]
	s_nop 0
	v_mov_b32_e32 v9, v7
	scratch_load_dwordx2 v[6:7], off, off offset:184
	v_pk_add_f32 v[4:5], v[4:5], v[8:9]
	s_waitcnt vmcnt(0)
	v_pk_add_f32 v[4:5], v[6:7], v[4:5] neg_lo:[0,1] neg_hi:[0,1]
	scratch_store_dwordx2 off, v[4:5], off offset:184
	s_and_saveexec_b64 s[0:1], vcc
	s_cbranch_execz .LBB40_215
; %bb.214:
	scratch_load_dwordx2 v[4:5], off, off offset:176
	v_mov_b32_e32 v3, v2
	scratch_store_dwordx2 off, v[2:3], off offset:176
	s_waitcnt vmcnt(1)
	ds_write_b64 v1, v[4:5]
.LBB40_215:
	s_or_b64 exec, exec, s[0:1]
	s_waitcnt lgkmcnt(0)
	; wave barrier
	scratch_load_dwordx4 v[8:11], off, off offset:184
	scratch_load_dwordx4 v[16:19], off, off offset:200
	;; [unrolled: 1-line block ×4, first 2 shown]
	ds_read2_b64 v[4:7], v2 offset0:65 offset1:66
	scratch_load_dwordx4 v[40:43], off, off offset:248
	v_cmp_lt_u32_e32 vcc, 21, v0
	s_waitcnt vmcnt(4) lgkmcnt(0)
	v_mul_f32_e32 v3, v4, v9
	v_fmac_f32_e32 v3, v5, v8
	v_mul_f32_e32 v12, v6, v11
	v_add_f32_e32 v3, 0, v3
	v_fmac_f32_e32 v12, v7, v10
	v_add_f32_e32 v3, v3, v12
	ds_read2_b64 v[12:15], v2 offset0:67 offset1:68
	s_waitcnt vmcnt(3) lgkmcnt(0)
	v_mul_f32_e32 v20, v12, v17
	v_fmac_f32_e32 v20, v13, v16
	v_add_f32_e32 v3, v3, v20
	v_mul_f32_e32 v20, v14, v19
	v_fmac_f32_e32 v20, v15, v18
	v_add_f32_e32 v3, v3, v20
	ds_read2_b64 v[20:23], v2 offset0:69 offset1:70
	s_waitcnt vmcnt(2) lgkmcnt(0)
	v_mul_f32_e32 v28, v20, v25
	v_fmac_f32_e32 v28, v21, v24
	v_add_f32_e32 v3, v3, v28
	v_mul_f32_e32 v28, v22, v27
	;; [unrolled: 8-line block ×3, first 2 shown]
	v_fmac_f32_e32 v36, v31, v34
	v_add_f32_e32 v61, v3, v36
	ds_read2_b64 v[36:39], v2 offset0:73 offset1:74
	scratch_load_dwordx4 v[44:47], off, off offset:264
	scratch_load_dwordx4 v[48:51], off, off offset:280
	;; [unrolled: 1-line block ×4, first 2 shown]
	v_mul_f32_e32 v3, v5, v9
	v_fma_f32 v3, v4, v8, -v3
	v_mul_f32_e32 v4, v7, v11
	v_add_f32_e32 v3, 0, v3
	v_fma_f32 v4, v6, v10, -v4
	v_add_f32_e32 v3, v3, v4
	v_mul_f32_e32 v4, v13, v17
	v_fma_f32 v4, v12, v16, -v4
	v_add_f32_e32 v3, v3, v4
	v_mul_f32_e32 v4, v15, v19
	;; [unrolled: 3-line block ×6, first 2 shown]
	v_fma_f32 v4, v30, v34, -v4
	v_add_f32_e32 v60, v3, v4
	ds_read2_b64 v[4:7], v2 offset0:75 offset1:76
	ds_read2_b64 v[8:11], v2 offset0:77 offset1:78
	;; [unrolled: 1-line block ×4, first 2 shown]
	s_waitcnt vmcnt(4) lgkmcnt(4)
	v_mul_f32_e32 v63, v36, v41
	v_mul_f32_e32 v3, v37, v41
	v_fmac_f32_e32 v63, v37, v40
	v_mul_f32_e32 v65, v38, v43
	v_fma_f32 v62, v36, v40, -v3
	v_mul_f32_e32 v3, v39, v43
	v_fmac_f32_e32 v65, v39, v42
	v_fma_f32 v64, v38, v42, -v3
	v_pk_add_f32 v[2:3], v[60:61], v[62:63]
	s_waitcnt vmcnt(3) lgkmcnt(3)
	v_pk_mul_f32 v[20:21], v[4:5], v[44:45] op_sel:[1,1] op_sel_hi:[0,1]
	v_pk_fma_f32 v[22:23], v[4:5], v[44:45], v[20:21] neg_lo:[0,0,1] neg_hi:[0,0,1]
	v_pk_fma_f32 v[4:5], v[4:5], v[44:45], v[20:21] op_sel_hi:[1,0,1]
	v_pk_add_f32 v[2:3], v[2:3], v[64:65]
	v_mov_b32_e32 v4, v47
	v_mov_b32_e32 v23, v5
	v_pk_mul_f32 v[4:5], v[6:7], v[4:5] op_sel:[1,0] op_sel_hi:[0,0]
	v_pk_fma_f32 v[20:21], v[6:7], v[46:47], v[4:5] neg_lo:[0,0,1] neg_hi:[0,0,1]
	v_pk_fma_f32 v[4:5], v[6:7], v[46:47], v[4:5] op_sel_hi:[1,0,1]
	v_pk_add_f32 v[2:3], v[2:3], v[22:23]
	v_mov_b32_e32 v21, v5
	s_waitcnt vmcnt(2) lgkmcnt(2)
	v_pk_mul_f32 v[4:5], v[8:9], v[48:49] op_sel:[1,1] op_sel_hi:[0,1]
	v_pk_fma_f32 v[6:7], v[8:9], v[48:49], v[4:5] neg_lo:[0,0,1] neg_hi:[0,0,1]
	v_pk_fma_f32 v[4:5], v[8:9], v[48:49], v[4:5] op_sel_hi:[1,0,1]
	v_pk_add_f32 v[2:3], v[2:3], v[20:21]
	v_mov_b32_e32 v4, v51
	v_mov_b32_e32 v7, v5
	v_pk_mul_f32 v[4:5], v[10:11], v[4:5] op_sel:[1,0] op_sel_hi:[0,0]
	v_pk_add_f32 v[2:3], v[2:3], v[6:7]
	v_pk_fma_f32 v[6:7], v[10:11], v[50:51], v[4:5] neg_lo:[0,0,1] neg_hi:[0,0,1]
	v_pk_fma_f32 v[4:5], v[10:11], v[50:51], v[4:5] op_sel_hi:[1,0,1]
	s_nop 0
	v_mov_b32_e32 v7, v5
	s_waitcnt vmcnt(1) lgkmcnt(1)
	v_pk_mul_f32 v[4:5], v[12:13], v[52:53] op_sel:[1,1] op_sel_hi:[0,1]
	v_pk_add_f32 v[2:3], v[2:3], v[6:7]
	v_pk_fma_f32 v[6:7], v[12:13], v[52:53], v[4:5] neg_lo:[0,0,1] neg_hi:[0,0,1]
	v_pk_fma_f32 v[4:5], v[12:13], v[52:53], v[4:5] op_sel_hi:[1,0,1]
	s_nop 0
	v_mov_b32_e32 v4, v55
	v_mov_b32_e32 v7, v5
	v_pk_mul_f32 v[4:5], v[14:15], v[4:5] op_sel:[1,0] op_sel_hi:[0,0]
	v_pk_add_f32 v[2:3], v[2:3], v[6:7]
	v_pk_fma_f32 v[6:7], v[14:15], v[54:55], v[4:5] neg_lo:[0,0,1] neg_hi:[0,0,1]
	v_pk_fma_f32 v[4:5], v[14:15], v[54:55], v[4:5] op_sel_hi:[1,0,1]
	s_nop 0
	v_mov_b32_e32 v7, v5
	s_waitcnt vmcnt(0) lgkmcnt(0)
	v_pk_mul_f32 v[4:5], v[16:17], v[56:57] op_sel:[1,1] op_sel_hi:[0,1]
	v_pk_add_f32 v[2:3], v[2:3], v[6:7]
	v_pk_fma_f32 v[6:7], v[16:17], v[56:57], v[4:5] neg_lo:[0,0,1] neg_hi:[0,0,1]
	v_pk_fma_f32 v[4:5], v[16:17], v[56:57], v[4:5] op_sel_hi:[1,0,1]
	s_nop 0
	v_mov_b32_e32 v4, v59
	v_mov_b32_e32 v7, v5
	v_pk_mul_f32 v[4:5], v[18:19], v[4:5] op_sel:[1,0] op_sel_hi:[0,0]
	v_pk_add_f32 v[2:3], v[2:3], v[6:7]
	v_pk_fma_f32 v[6:7], v[18:19], v[58:59], v[4:5] neg_lo:[0,0,1] neg_hi:[0,0,1]
	v_pk_fma_f32 v[4:5], v[18:19], v[58:59], v[4:5] op_sel_hi:[1,0,1]
	s_nop 0
	v_mov_b32_e32 v7, v5
	scratch_load_dwordx2 v[4:5], off, off offset:176
	v_pk_add_f32 v[2:3], v[2:3], v[6:7]
	s_waitcnt vmcnt(0)
	v_pk_add_f32 v[2:3], v[4:5], v[2:3] neg_lo:[0,1] neg_hi:[0,1]
	scratch_store_dwordx2 off, v[2:3], off offset:176
	s_and_saveexec_b64 s[0:1], vcc
	s_cbranch_execz .LBB40_217
; %bb.216:
	scratch_load_dwordx2 v[2:3], off, off offset:168
	v_mov_b32_e32 v4, 0
	v_mov_b32_e32 v5, v4
	scratch_store_dwordx2 off, v[4:5], off offset:168
	s_waitcnt vmcnt(1)
	ds_write_b64 v1, v[2:3]
.LBB40_217:
	s_or_b64 exec, exec, s[0:1]
	v_mov_b32_e32 v2, 0
	s_waitcnt lgkmcnt(0)
	; wave barrier
	ds_read_b128 v[4:7], v2 offset:512
	ds_read_b128 v[8:11], v2 offset:528
	;; [unrolled: 1-line block ×4, first 2 shown]
	scratch_load_dwordx4 v[20:23], off, off offset:176
	scratch_load_dwordx4 v[40:43], off, off offset:240
	v_cmp_lt_u32_e32 vcc, 20, v0
	scratch_load_dwordx4 v[48:51], off, off offset:256
	s_waitcnt vmcnt(2) lgkmcnt(3)
	v_mul_f32_e32 v3, v4, v21
	v_fmac_f32_e32 v3, v5, v20
	v_mul_f32_e32 v24, v6, v23
	v_add_f32_e32 v3, 0, v3
	v_fmac_f32_e32 v24, v7, v22
	v_add_f32_e32 v3, v3, v24
	scratch_load_dwordx4 v[24:27], off, off offset:192
	s_waitcnt vmcnt(0) lgkmcnt(2)
	v_mul_f32_e32 v28, v8, v25
	v_fmac_f32_e32 v28, v9, v24
	v_add_f32_e32 v3, v3, v28
	v_mul_f32_e32 v28, v10, v27
	v_fmac_f32_e32 v28, v11, v26
	v_add_f32_e32 v3, v3, v28
	scratch_load_dwordx4 v[28:31], off, off offset:208
	s_waitcnt vmcnt(0) lgkmcnt(1)
	v_mul_f32_e32 v32, v12, v29
	v_fmac_f32_e32 v32, v13, v28
	v_add_f32_e32 v3, v3, v32
	v_mul_f32_e32 v32, v14, v31
	;; [unrolled: 8-line block ×3, first 2 shown]
	v_fmac_f32_e32 v36, v19, v34
	v_add_f32_e32 v3, v3, v36
	ds_read_b128 v[36:39], v2 offset:576
	s_waitcnt lgkmcnt(0)
	v_mul_f32_e32 v44, v36, v41
	v_fmac_f32_e32 v44, v37, v40
	v_add_f32_e32 v65, v3, v44
	ds_read_b128 v[44:47], v2 offset:592
	scratch_load_dwordx4 v[52:55], off, off offset:272
	scratch_load_dwordx4 v[56:59], off, off offset:288
	scratch_load_dwordx4 v[60:63], off, off offset:304
	scratch_load_dwordx2 v[70:71], off, off offset:320
	v_mul_f32_e32 v3, v5, v21
	v_fma_f32 v3, v4, v20, -v3
	v_mul_f32_e32 v4, v7, v23
	v_add_f32_e32 v3, 0, v3
	v_fma_f32 v4, v6, v22, -v4
	v_add_f32_e32 v3, v3, v4
	v_mul_f32_e32 v4, v9, v25
	v_fma_f32 v4, v8, v24, -v4
	v_add_f32_e32 v3, v3, v4
	v_mul_f32_e32 v4, v11, v27
	;; [unrolled: 3-line block ×7, first 2 shown]
	v_fma_f32 v4, v36, v40, -v4
	v_mul_f32_e32 v67, v38, v43
	v_add_f32_e32 v64, v3, v4
	v_mul_f32_e32 v3, v39, v43
	v_mov_b32_e32 v20, v51
	v_fmac_f32_e32 v67, v39, v42
	s_waitcnt lgkmcnt(0)
	v_mul_f32_e32 v69, v44, v49
	v_fma_f32 v66, v38, v42, -v3
	v_mul_f32_e32 v3, v45, v49
	ds_read_b128 v[4:7], v2 offset:608
	ds_read_b128 v[8:11], v2 offset:624
	;; [unrolled: 1-line block ×3, first 2 shown]
	ds_read_b64 v[16:17], v2 offset:656
	v_pk_mul_f32 v[20:21], v[46:47], v[20:21] op_sel:[1,0] op_sel_hi:[0,0]
	v_fmac_f32_e32 v69, v45, v48
	v_fma_f32 v68, v44, v48, -v3
	v_pk_add_f32 v[18:19], v[64:65], v[66:67]
	v_pk_fma_f32 v[22:23], v[46:47], v[50:51], v[20:21] neg_lo:[0,0,1] neg_hi:[0,0,1]
	v_pk_fma_f32 v[20:21], v[46:47], v[50:51], v[20:21] op_sel_hi:[1,0,1]
	v_pk_add_f32 v[18:19], v[18:19], v[68:69]
	v_mov_b32_e32 v23, v21
	v_pk_add_f32 v[18:19], v[18:19], v[22:23]
	s_waitcnt vmcnt(3) lgkmcnt(3)
	v_pk_mul_f32 v[20:21], v[4:5], v[52:53] op_sel:[1,1] op_sel_hi:[0,1]
	v_pk_fma_f32 v[22:23], v[4:5], v[52:53], v[20:21] neg_lo:[0,0,1] neg_hi:[0,0,1]
	v_pk_fma_f32 v[4:5], v[4:5], v[52:53], v[20:21] op_sel_hi:[1,0,1]
	s_nop 0
	v_mov_b32_e32 v23, v5
	v_pk_add_f32 v[4:5], v[18:19], v[22:23]
	v_mov_b32_e32 v18, v55
	v_pk_mul_f32 v[18:19], v[6:7], v[18:19] op_sel:[1,0] op_sel_hi:[0,0]
	v_pk_fma_f32 v[20:21], v[6:7], v[54:55], v[18:19] neg_lo:[0,0,1] neg_hi:[0,0,1]
	v_pk_fma_f32 v[6:7], v[6:7], v[54:55], v[18:19] op_sel_hi:[1,0,1]
	s_nop 0
	v_mov_b32_e32 v21, v7
	s_waitcnt vmcnt(2) lgkmcnt(2)
	v_pk_mul_f32 v[6:7], v[8:9], v[56:57] op_sel:[1,1] op_sel_hi:[0,1]
	v_pk_fma_f32 v[18:19], v[8:9], v[56:57], v[6:7] neg_lo:[0,0,1] neg_hi:[0,0,1]
	v_pk_fma_f32 v[6:7], v[8:9], v[56:57], v[6:7] op_sel_hi:[1,0,1]
	v_pk_add_f32 v[4:5], v[4:5], v[20:21]
	v_mov_b32_e32 v6, v59
	v_mov_b32_e32 v19, v7
	v_pk_mul_f32 v[6:7], v[10:11], v[6:7] op_sel:[1,0] op_sel_hi:[0,0]
	v_pk_fma_f32 v[8:9], v[10:11], v[58:59], v[6:7] neg_lo:[0,0,1] neg_hi:[0,0,1]
	v_pk_fma_f32 v[6:7], v[10:11], v[58:59], v[6:7] op_sel_hi:[1,0,1]
	v_pk_add_f32 v[4:5], v[4:5], v[18:19]
	v_mov_b32_e32 v9, v7
	s_waitcnt vmcnt(1) lgkmcnt(1)
	v_pk_mul_f32 v[6:7], v[12:13], v[60:61] op_sel:[1,1] op_sel_hi:[0,1]
	v_pk_add_f32 v[4:5], v[4:5], v[8:9]
	v_pk_fma_f32 v[8:9], v[12:13], v[60:61], v[6:7] neg_lo:[0,0,1] neg_hi:[0,0,1]
	v_pk_fma_f32 v[6:7], v[12:13], v[60:61], v[6:7] op_sel_hi:[1,0,1]
	s_nop 0
	v_mov_b32_e32 v6, v63
	v_mov_b32_e32 v9, v7
	v_pk_mul_f32 v[6:7], v[14:15], v[6:7] op_sel:[1,0] op_sel_hi:[0,0]
	v_pk_add_f32 v[4:5], v[4:5], v[8:9]
	v_pk_fma_f32 v[8:9], v[14:15], v[62:63], v[6:7] neg_lo:[0,0,1] neg_hi:[0,0,1]
	v_pk_fma_f32 v[6:7], v[14:15], v[62:63], v[6:7] op_sel_hi:[1,0,1]
	s_nop 0
	v_mov_b32_e32 v9, v7
	s_waitcnt vmcnt(0) lgkmcnt(0)
	v_pk_mul_f32 v[6:7], v[16:17], v[70:71] op_sel:[1,1] op_sel_hi:[0,1]
	v_pk_add_f32 v[4:5], v[4:5], v[8:9]
	v_pk_fma_f32 v[8:9], v[16:17], v[70:71], v[6:7] neg_lo:[0,0,1] neg_hi:[0,0,1]
	v_pk_fma_f32 v[6:7], v[16:17], v[70:71], v[6:7] op_sel_hi:[1,0,1]
	s_nop 0
	v_mov_b32_e32 v9, v7
	scratch_load_dwordx2 v[6:7], off, off offset:168
	v_pk_add_f32 v[4:5], v[4:5], v[8:9]
	s_waitcnt vmcnt(0)
	v_pk_add_f32 v[4:5], v[6:7], v[4:5] neg_lo:[0,1] neg_hi:[0,1]
	scratch_store_dwordx2 off, v[4:5], off offset:168
	s_and_saveexec_b64 s[0:1], vcc
	s_cbranch_execz .LBB40_219
; %bb.218:
	scratch_load_dwordx2 v[4:5], off, off offset:160
	v_mov_b32_e32 v3, v2
	scratch_store_dwordx2 off, v[2:3], off offset:160
	s_waitcnt vmcnt(1)
	ds_write_b64 v1, v[4:5]
.LBB40_219:
	s_or_b64 exec, exec, s[0:1]
	s_waitcnt lgkmcnt(0)
	; wave barrier
	scratch_load_dwordx4 v[8:11], off, off offset:168
	scratch_load_dwordx4 v[16:19], off, off offset:184
	;; [unrolled: 1-line block ×6, first 2 shown]
	ds_read2_b64 v[4:7], v2 offset0:63 offset1:64
	v_cmp_lt_u32_e32 vcc, 19, v0
	s_waitcnt vmcnt(5) lgkmcnt(0)
	v_mul_f32_e32 v3, v4, v9
	v_fmac_f32_e32 v3, v5, v8
	v_mul_f32_e32 v12, v6, v11
	v_add_f32_e32 v3, 0, v3
	v_fmac_f32_e32 v12, v7, v10
	v_add_f32_e32 v3, v3, v12
	ds_read2_b64 v[12:15], v2 offset0:65 offset1:66
	s_waitcnt vmcnt(4) lgkmcnt(0)
	v_mul_f32_e32 v20, v12, v17
	v_fmac_f32_e32 v20, v13, v16
	v_add_f32_e32 v3, v3, v20
	v_mul_f32_e32 v20, v14, v19
	v_fmac_f32_e32 v20, v15, v18
	v_add_f32_e32 v3, v3, v20
	ds_read2_b64 v[20:23], v2 offset0:67 offset1:68
	s_waitcnt vmcnt(3) lgkmcnt(0)
	v_mul_f32_e32 v28, v20, v25
	v_fmac_f32_e32 v28, v21, v24
	v_add_f32_e32 v3, v3, v28
	v_mul_f32_e32 v28, v22, v27
	;; [unrolled: 8-line block ×4, first 2 shown]
	v_fmac_f32_e32 v44, v39, v42
	v_add_f32_e32 v69, v3, v44
	ds_read2_b64 v[44:47], v2 offset0:73 offset1:74
	scratch_load_dwordx4 v[52:55], off, off offset:264
	scratch_load_dwordx4 v[56:59], off, off offset:280
	;; [unrolled: 1-line block ×4, first 2 shown]
	v_mul_f32_e32 v3, v5, v9
	v_fma_f32 v3, v4, v8, -v3
	v_mul_f32_e32 v4, v7, v11
	v_add_f32_e32 v3, 0, v3
	v_fma_f32 v4, v6, v10, -v4
	v_add_f32_e32 v3, v3, v4
	v_mul_f32_e32 v4, v13, v17
	v_fma_f32 v4, v12, v16, -v4
	v_add_f32_e32 v3, v3, v4
	v_mul_f32_e32 v4, v15, v19
	;; [unrolled: 3-line block ×8, first 2 shown]
	v_fma_f32 v4, v38, v42, -v4
	v_add_f32_e32 v68, v3, v4
	ds_read2_b64 v[4:7], v2 offset0:75 offset1:76
	ds_read2_b64 v[8:11], v2 offset0:77 offset1:78
	;; [unrolled: 1-line block ×4, first 2 shown]
	s_waitcnt vmcnt(4) lgkmcnt(4)
	v_mul_f32_e32 v71, v44, v49
	v_mul_f32_e32 v3, v45, v49
	v_fmac_f32_e32 v71, v45, v48
	v_mul_f32_e32 v73, v46, v51
	v_fma_f32 v70, v44, v48, -v3
	v_mul_f32_e32 v3, v47, v51
	v_fmac_f32_e32 v73, v47, v50
	v_fma_f32 v72, v46, v50, -v3
	v_pk_add_f32 v[2:3], v[68:69], v[70:71]
	s_waitcnt vmcnt(3) lgkmcnt(3)
	v_pk_mul_f32 v[20:21], v[4:5], v[52:53] op_sel:[1,1] op_sel_hi:[0,1]
	v_pk_fma_f32 v[22:23], v[4:5], v[52:53], v[20:21] neg_lo:[0,0,1] neg_hi:[0,0,1]
	v_pk_fma_f32 v[4:5], v[4:5], v[52:53], v[20:21] op_sel_hi:[1,0,1]
	v_pk_add_f32 v[2:3], v[2:3], v[72:73]
	v_mov_b32_e32 v4, v55
	v_mov_b32_e32 v23, v5
	v_pk_mul_f32 v[4:5], v[6:7], v[4:5] op_sel:[1,0] op_sel_hi:[0,0]
	v_pk_fma_f32 v[20:21], v[6:7], v[54:55], v[4:5] neg_lo:[0,0,1] neg_hi:[0,0,1]
	v_pk_fma_f32 v[4:5], v[6:7], v[54:55], v[4:5] op_sel_hi:[1,0,1]
	v_pk_add_f32 v[2:3], v[2:3], v[22:23]
	v_mov_b32_e32 v21, v5
	s_waitcnt vmcnt(2) lgkmcnt(2)
	v_pk_mul_f32 v[4:5], v[8:9], v[56:57] op_sel:[1,1] op_sel_hi:[0,1]
	v_pk_fma_f32 v[6:7], v[8:9], v[56:57], v[4:5] neg_lo:[0,0,1] neg_hi:[0,0,1]
	v_pk_fma_f32 v[4:5], v[8:9], v[56:57], v[4:5] op_sel_hi:[1,0,1]
	v_pk_add_f32 v[2:3], v[2:3], v[20:21]
	v_mov_b32_e32 v4, v59
	v_mov_b32_e32 v7, v5
	v_pk_mul_f32 v[4:5], v[10:11], v[4:5] op_sel:[1,0] op_sel_hi:[0,0]
	v_pk_add_f32 v[2:3], v[2:3], v[6:7]
	v_pk_fma_f32 v[6:7], v[10:11], v[58:59], v[4:5] neg_lo:[0,0,1] neg_hi:[0,0,1]
	v_pk_fma_f32 v[4:5], v[10:11], v[58:59], v[4:5] op_sel_hi:[1,0,1]
	s_nop 0
	v_mov_b32_e32 v7, v5
	s_waitcnt vmcnt(1) lgkmcnt(1)
	v_pk_mul_f32 v[4:5], v[12:13], v[60:61] op_sel:[1,1] op_sel_hi:[0,1]
	v_pk_add_f32 v[2:3], v[2:3], v[6:7]
	v_pk_fma_f32 v[6:7], v[12:13], v[60:61], v[4:5] neg_lo:[0,0,1] neg_hi:[0,0,1]
	v_pk_fma_f32 v[4:5], v[12:13], v[60:61], v[4:5] op_sel_hi:[1,0,1]
	s_nop 0
	v_mov_b32_e32 v4, v63
	v_mov_b32_e32 v7, v5
	v_pk_mul_f32 v[4:5], v[14:15], v[4:5] op_sel:[1,0] op_sel_hi:[0,0]
	v_pk_add_f32 v[2:3], v[2:3], v[6:7]
	v_pk_fma_f32 v[6:7], v[14:15], v[62:63], v[4:5] neg_lo:[0,0,1] neg_hi:[0,0,1]
	v_pk_fma_f32 v[4:5], v[14:15], v[62:63], v[4:5] op_sel_hi:[1,0,1]
	s_nop 0
	v_mov_b32_e32 v7, v5
	s_waitcnt vmcnt(0) lgkmcnt(0)
	v_pk_mul_f32 v[4:5], v[16:17], v[64:65] op_sel:[1,1] op_sel_hi:[0,1]
	v_pk_add_f32 v[2:3], v[2:3], v[6:7]
	v_pk_fma_f32 v[6:7], v[16:17], v[64:65], v[4:5] neg_lo:[0,0,1] neg_hi:[0,0,1]
	v_pk_fma_f32 v[4:5], v[16:17], v[64:65], v[4:5] op_sel_hi:[1,0,1]
	s_nop 0
	v_mov_b32_e32 v4, v67
	v_mov_b32_e32 v7, v5
	v_pk_mul_f32 v[4:5], v[18:19], v[4:5] op_sel:[1,0] op_sel_hi:[0,0]
	v_pk_add_f32 v[2:3], v[2:3], v[6:7]
	v_pk_fma_f32 v[6:7], v[18:19], v[66:67], v[4:5] neg_lo:[0,0,1] neg_hi:[0,0,1]
	v_pk_fma_f32 v[4:5], v[18:19], v[66:67], v[4:5] op_sel_hi:[1,0,1]
	s_nop 0
	v_mov_b32_e32 v7, v5
	scratch_load_dwordx2 v[4:5], off, off offset:160
	v_pk_add_f32 v[2:3], v[2:3], v[6:7]
	s_waitcnt vmcnt(0)
	v_pk_add_f32 v[2:3], v[4:5], v[2:3] neg_lo:[0,1] neg_hi:[0,1]
	scratch_store_dwordx2 off, v[2:3], off offset:160
	s_and_saveexec_b64 s[0:1], vcc
	s_cbranch_execz .LBB40_221
; %bb.220:
	scratch_load_dwordx2 v[2:3], off, off offset:152
	v_mov_b32_e32 v4, 0
	v_mov_b32_e32 v5, v4
	scratch_store_dwordx2 off, v[4:5], off offset:152
	s_waitcnt vmcnt(1)
	ds_write_b64 v1, v[2:3]
.LBB40_221:
	s_or_b64 exec, exec, s[0:1]
	v_mov_b32_e32 v2, 0
	s_waitcnt lgkmcnt(0)
	; wave barrier
	ds_read_b128 v[4:7], v2 offset:496
	ds_read_b128 v[8:11], v2 offset:512
	;; [unrolled: 1-line block ×4, first 2 shown]
	scratch_load_dwordx4 v[20:23], off, off offset:160
	scratch_load_dwordx4 v[40:43], off, off offset:224
	v_cmp_lt_u32_e32 vcc, 18, v0
	scratch_load_dwordx4 v[48:51], off, off offset:240
	scratch_load_dwordx4 v[56:59], off, off offset:256
	s_waitcnt vmcnt(3) lgkmcnt(3)
	v_mul_f32_e32 v3, v4, v21
	v_fmac_f32_e32 v3, v5, v20
	v_mul_f32_e32 v24, v6, v23
	v_add_f32_e32 v3, 0, v3
	v_fmac_f32_e32 v24, v7, v22
	v_add_f32_e32 v3, v3, v24
	scratch_load_dwordx4 v[24:27], off, off offset:176
	s_waitcnt vmcnt(0) lgkmcnt(2)
	v_mul_f32_e32 v28, v8, v25
	v_fmac_f32_e32 v28, v9, v24
	v_add_f32_e32 v3, v3, v28
	v_mul_f32_e32 v28, v10, v27
	v_fmac_f32_e32 v28, v11, v26
	v_add_f32_e32 v3, v3, v28
	scratch_load_dwordx4 v[28:31], off, off offset:192
	s_waitcnt vmcnt(0) lgkmcnt(1)
	v_mul_f32_e32 v32, v12, v29
	v_fmac_f32_e32 v32, v13, v28
	v_add_f32_e32 v3, v3, v32
	v_mul_f32_e32 v32, v14, v31
	;; [unrolled: 8-line block ×3, first 2 shown]
	v_fmac_f32_e32 v36, v19, v34
	v_add_f32_e32 v3, v3, v36
	ds_read_b128 v[36:39], v2 offset:560
	s_waitcnt lgkmcnt(0)
	v_mul_f32_e32 v44, v36, v41
	v_fmac_f32_e32 v44, v37, v40
	v_add_f32_e32 v3, v3, v44
	v_mul_f32_e32 v44, v38, v43
	v_fmac_f32_e32 v44, v39, v42
	v_add_f32_e32 v3, v3, v44
	ds_read_b128 v[44:47], v2 offset:576
	s_waitcnt lgkmcnt(0)
	v_mul_f32_e32 v52, v44, v49
	v_fmac_f32_e32 v52, v45, v48
	v_add_f32_e32 v73, v3, v52
	ds_read_b128 v[52:55], v2 offset:592
	scratch_load_dwordx4 v[60:63], off, off offset:272
	scratch_load_dwordx4 v[64:67], off, off offset:288
	;; [unrolled: 1-line block ×3, first 2 shown]
	scratch_load_dwordx2 v[78:79], off, off offset:320
	v_mul_f32_e32 v3, v5, v21
	v_fma_f32 v3, v4, v20, -v3
	v_mul_f32_e32 v4, v7, v23
	v_add_f32_e32 v3, 0, v3
	v_fma_f32 v4, v6, v22, -v4
	v_add_f32_e32 v3, v3, v4
	v_mul_f32_e32 v4, v9, v25
	v_fma_f32 v4, v8, v24, -v4
	v_add_f32_e32 v3, v3, v4
	v_mul_f32_e32 v4, v11, v27
	;; [unrolled: 3-line block ×9, first 2 shown]
	v_fma_f32 v4, v44, v48, -v4
	v_mul_f32_e32 v75, v46, v51
	v_add_f32_e32 v72, v3, v4
	v_mul_f32_e32 v3, v47, v51
	v_mov_b32_e32 v20, v59
	v_fmac_f32_e32 v75, v47, v50
	s_waitcnt lgkmcnt(0)
	v_mul_f32_e32 v77, v52, v57
	v_fma_f32 v74, v46, v50, -v3
	v_mul_f32_e32 v3, v53, v57
	ds_read_b128 v[4:7], v2 offset:608
	ds_read_b128 v[8:11], v2 offset:624
	;; [unrolled: 1-line block ×3, first 2 shown]
	ds_read_b64 v[16:17], v2 offset:656
	v_pk_mul_f32 v[20:21], v[54:55], v[20:21] op_sel:[1,0] op_sel_hi:[0,0]
	v_fmac_f32_e32 v77, v53, v56
	v_fma_f32 v76, v52, v56, -v3
	v_pk_add_f32 v[18:19], v[72:73], v[74:75]
	v_pk_fma_f32 v[22:23], v[54:55], v[58:59], v[20:21] neg_lo:[0,0,1] neg_hi:[0,0,1]
	v_pk_fma_f32 v[20:21], v[54:55], v[58:59], v[20:21] op_sel_hi:[1,0,1]
	v_pk_add_f32 v[18:19], v[18:19], v[76:77]
	v_mov_b32_e32 v23, v21
	v_pk_add_f32 v[18:19], v[18:19], v[22:23]
	s_waitcnt vmcnt(3) lgkmcnt(3)
	v_pk_mul_f32 v[20:21], v[4:5], v[60:61] op_sel:[1,1] op_sel_hi:[0,1]
	v_pk_fma_f32 v[22:23], v[4:5], v[60:61], v[20:21] neg_lo:[0,0,1] neg_hi:[0,0,1]
	v_pk_fma_f32 v[4:5], v[4:5], v[60:61], v[20:21] op_sel_hi:[1,0,1]
	s_nop 0
	v_mov_b32_e32 v23, v5
	v_pk_add_f32 v[4:5], v[18:19], v[22:23]
	v_mov_b32_e32 v18, v63
	v_pk_mul_f32 v[18:19], v[6:7], v[18:19] op_sel:[1,0] op_sel_hi:[0,0]
	v_pk_fma_f32 v[20:21], v[6:7], v[62:63], v[18:19] neg_lo:[0,0,1] neg_hi:[0,0,1]
	v_pk_fma_f32 v[6:7], v[6:7], v[62:63], v[18:19] op_sel_hi:[1,0,1]
	s_nop 0
	v_mov_b32_e32 v21, v7
	s_waitcnt vmcnt(2) lgkmcnt(2)
	v_pk_mul_f32 v[6:7], v[8:9], v[64:65] op_sel:[1,1] op_sel_hi:[0,1]
	v_pk_fma_f32 v[18:19], v[8:9], v[64:65], v[6:7] neg_lo:[0,0,1] neg_hi:[0,0,1]
	v_pk_fma_f32 v[6:7], v[8:9], v[64:65], v[6:7] op_sel_hi:[1,0,1]
	v_pk_add_f32 v[4:5], v[4:5], v[20:21]
	v_mov_b32_e32 v6, v67
	v_mov_b32_e32 v19, v7
	v_pk_mul_f32 v[6:7], v[10:11], v[6:7] op_sel:[1,0] op_sel_hi:[0,0]
	v_pk_fma_f32 v[8:9], v[10:11], v[66:67], v[6:7] neg_lo:[0,0,1] neg_hi:[0,0,1]
	v_pk_fma_f32 v[6:7], v[10:11], v[66:67], v[6:7] op_sel_hi:[1,0,1]
	v_pk_add_f32 v[4:5], v[4:5], v[18:19]
	v_mov_b32_e32 v9, v7
	s_waitcnt vmcnt(1) lgkmcnt(1)
	v_pk_mul_f32 v[6:7], v[12:13], v[68:69] op_sel:[1,1] op_sel_hi:[0,1]
	v_pk_add_f32 v[4:5], v[4:5], v[8:9]
	v_pk_fma_f32 v[8:9], v[12:13], v[68:69], v[6:7] neg_lo:[0,0,1] neg_hi:[0,0,1]
	v_pk_fma_f32 v[6:7], v[12:13], v[68:69], v[6:7] op_sel_hi:[1,0,1]
	s_nop 0
	v_mov_b32_e32 v6, v71
	v_mov_b32_e32 v9, v7
	v_pk_mul_f32 v[6:7], v[14:15], v[6:7] op_sel:[1,0] op_sel_hi:[0,0]
	v_pk_add_f32 v[4:5], v[4:5], v[8:9]
	v_pk_fma_f32 v[8:9], v[14:15], v[70:71], v[6:7] neg_lo:[0,0,1] neg_hi:[0,0,1]
	v_pk_fma_f32 v[6:7], v[14:15], v[70:71], v[6:7] op_sel_hi:[1,0,1]
	s_nop 0
	v_mov_b32_e32 v9, v7
	s_waitcnt vmcnt(0) lgkmcnt(0)
	v_pk_mul_f32 v[6:7], v[16:17], v[78:79] op_sel:[1,1] op_sel_hi:[0,1]
	v_pk_add_f32 v[4:5], v[4:5], v[8:9]
	v_pk_fma_f32 v[8:9], v[16:17], v[78:79], v[6:7] neg_lo:[0,0,1] neg_hi:[0,0,1]
	v_pk_fma_f32 v[6:7], v[16:17], v[78:79], v[6:7] op_sel_hi:[1,0,1]
	s_nop 0
	v_mov_b32_e32 v9, v7
	scratch_load_dwordx2 v[6:7], off, off offset:152
	v_pk_add_f32 v[4:5], v[4:5], v[8:9]
	s_waitcnt vmcnt(0)
	v_pk_add_f32 v[4:5], v[6:7], v[4:5] neg_lo:[0,1] neg_hi:[0,1]
	scratch_store_dwordx2 off, v[4:5], off offset:152
	s_and_saveexec_b64 s[0:1], vcc
	s_cbranch_execz .LBB40_223
; %bb.222:
	scratch_load_dwordx2 v[4:5], off, off offset:144
	v_mov_b32_e32 v3, v2
	scratch_store_dwordx2 off, v[2:3], off offset:144
	s_waitcnt vmcnt(1)
	ds_write_b64 v1, v[4:5]
.LBB40_223:
	s_or_b64 exec, exec, s[0:1]
	s_waitcnt lgkmcnt(0)
	; wave barrier
	scratch_load_dwordx4 v[8:11], off, off offset:152
	scratch_load_dwordx4 v[16:19], off, off offset:168
	;; [unrolled: 1-line block ×6, first 2 shown]
	ds_read2_b64 v[4:7], v2 offset0:61 offset1:62
	scratch_load_dwordx4 v[56:59], off, off offset:248
	v_cmp_lt_u32_e32 vcc, 17, v0
	s_waitcnt vmcnt(6) lgkmcnt(0)
	v_mul_f32_e32 v3, v4, v9
	v_fmac_f32_e32 v3, v5, v8
	v_mul_f32_e32 v12, v6, v11
	v_add_f32_e32 v3, 0, v3
	v_fmac_f32_e32 v12, v7, v10
	v_add_f32_e32 v3, v3, v12
	ds_read2_b64 v[12:15], v2 offset0:63 offset1:64
	s_waitcnt vmcnt(5) lgkmcnt(0)
	v_mul_f32_e32 v20, v12, v17
	v_fmac_f32_e32 v20, v13, v16
	v_add_f32_e32 v3, v3, v20
	v_mul_f32_e32 v20, v14, v19
	v_fmac_f32_e32 v20, v15, v18
	v_add_f32_e32 v3, v3, v20
	ds_read2_b64 v[20:23], v2 offset0:65 offset1:66
	s_waitcnt vmcnt(4) lgkmcnt(0)
	v_mul_f32_e32 v28, v20, v25
	v_fmac_f32_e32 v28, v21, v24
	v_add_f32_e32 v3, v3, v28
	v_mul_f32_e32 v28, v22, v27
	;; [unrolled: 8-line block ×5, first 2 shown]
	v_fmac_f32_e32 v52, v47, v50
	v_add_f32_e32 v77, v3, v52
	ds_read2_b64 v[52:55], v2 offset0:73 offset1:74
	scratch_load_dwordx4 v[60:63], off, off offset:264
	scratch_load_dwordx4 v[64:67], off, off offset:280
	;; [unrolled: 1-line block ×4, first 2 shown]
	v_mul_f32_e32 v3, v5, v9
	v_fma_f32 v3, v4, v8, -v3
	v_mul_f32_e32 v4, v7, v11
	v_add_f32_e32 v3, 0, v3
	v_fma_f32 v4, v6, v10, -v4
	v_add_f32_e32 v3, v3, v4
	v_mul_f32_e32 v4, v13, v17
	v_fma_f32 v4, v12, v16, -v4
	v_add_f32_e32 v3, v3, v4
	v_mul_f32_e32 v4, v15, v19
	;; [unrolled: 3-line block ×10, first 2 shown]
	v_fma_f32 v4, v46, v50, -v4
	v_add_f32_e32 v76, v3, v4
	ds_read2_b64 v[4:7], v2 offset0:75 offset1:76
	ds_read2_b64 v[8:11], v2 offset0:77 offset1:78
	;; [unrolled: 1-line block ×4, first 2 shown]
	s_waitcnt vmcnt(4) lgkmcnt(4)
	v_mul_f32_e32 v79, v52, v57
	v_mul_f32_e32 v3, v53, v57
	v_fmac_f32_e32 v79, v53, v56
	v_mul_f32_e32 v81, v54, v59
	v_fma_f32 v78, v52, v56, -v3
	v_mul_f32_e32 v3, v55, v59
	v_fmac_f32_e32 v81, v55, v58
	v_fma_f32 v80, v54, v58, -v3
	v_pk_add_f32 v[2:3], v[76:77], v[78:79]
	s_waitcnt vmcnt(3) lgkmcnt(3)
	v_pk_mul_f32 v[20:21], v[4:5], v[60:61] op_sel:[1,1] op_sel_hi:[0,1]
	v_pk_fma_f32 v[22:23], v[4:5], v[60:61], v[20:21] neg_lo:[0,0,1] neg_hi:[0,0,1]
	v_pk_fma_f32 v[4:5], v[4:5], v[60:61], v[20:21] op_sel_hi:[1,0,1]
	v_pk_add_f32 v[2:3], v[2:3], v[80:81]
	v_mov_b32_e32 v4, v63
	v_mov_b32_e32 v23, v5
	v_pk_mul_f32 v[4:5], v[6:7], v[4:5] op_sel:[1,0] op_sel_hi:[0,0]
	v_pk_fma_f32 v[20:21], v[6:7], v[62:63], v[4:5] neg_lo:[0,0,1] neg_hi:[0,0,1]
	v_pk_fma_f32 v[4:5], v[6:7], v[62:63], v[4:5] op_sel_hi:[1,0,1]
	v_pk_add_f32 v[2:3], v[2:3], v[22:23]
	v_mov_b32_e32 v21, v5
	s_waitcnt vmcnt(2) lgkmcnt(2)
	v_pk_mul_f32 v[4:5], v[8:9], v[64:65] op_sel:[1,1] op_sel_hi:[0,1]
	v_pk_fma_f32 v[6:7], v[8:9], v[64:65], v[4:5] neg_lo:[0,0,1] neg_hi:[0,0,1]
	v_pk_fma_f32 v[4:5], v[8:9], v[64:65], v[4:5] op_sel_hi:[1,0,1]
	v_pk_add_f32 v[2:3], v[2:3], v[20:21]
	v_mov_b32_e32 v4, v67
	v_mov_b32_e32 v7, v5
	v_pk_mul_f32 v[4:5], v[10:11], v[4:5] op_sel:[1,0] op_sel_hi:[0,0]
	v_pk_add_f32 v[2:3], v[2:3], v[6:7]
	v_pk_fma_f32 v[6:7], v[10:11], v[66:67], v[4:5] neg_lo:[0,0,1] neg_hi:[0,0,1]
	v_pk_fma_f32 v[4:5], v[10:11], v[66:67], v[4:5] op_sel_hi:[1,0,1]
	s_nop 0
	v_mov_b32_e32 v7, v5
	s_waitcnt vmcnt(1) lgkmcnt(1)
	v_pk_mul_f32 v[4:5], v[12:13], v[68:69] op_sel:[1,1] op_sel_hi:[0,1]
	v_pk_add_f32 v[2:3], v[2:3], v[6:7]
	v_pk_fma_f32 v[6:7], v[12:13], v[68:69], v[4:5] neg_lo:[0,0,1] neg_hi:[0,0,1]
	v_pk_fma_f32 v[4:5], v[12:13], v[68:69], v[4:5] op_sel_hi:[1,0,1]
	s_nop 0
	v_mov_b32_e32 v4, v71
	v_mov_b32_e32 v7, v5
	v_pk_mul_f32 v[4:5], v[14:15], v[4:5] op_sel:[1,0] op_sel_hi:[0,0]
	v_pk_add_f32 v[2:3], v[2:3], v[6:7]
	v_pk_fma_f32 v[6:7], v[14:15], v[70:71], v[4:5] neg_lo:[0,0,1] neg_hi:[0,0,1]
	v_pk_fma_f32 v[4:5], v[14:15], v[70:71], v[4:5] op_sel_hi:[1,0,1]
	s_nop 0
	v_mov_b32_e32 v7, v5
	s_waitcnt vmcnt(0) lgkmcnt(0)
	v_pk_mul_f32 v[4:5], v[16:17], v[72:73] op_sel:[1,1] op_sel_hi:[0,1]
	v_pk_add_f32 v[2:3], v[2:3], v[6:7]
	v_pk_fma_f32 v[6:7], v[16:17], v[72:73], v[4:5] neg_lo:[0,0,1] neg_hi:[0,0,1]
	v_pk_fma_f32 v[4:5], v[16:17], v[72:73], v[4:5] op_sel_hi:[1,0,1]
	s_nop 0
	v_mov_b32_e32 v4, v75
	v_mov_b32_e32 v7, v5
	v_pk_mul_f32 v[4:5], v[18:19], v[4:5] op_sel:[1,0] op_sel_hi:[0,0]
	v_pk_add_f32 v[2:3], v[2:3], v[6:7]
	v_pk_fma_f32 v[6:7], v[18:19], v[74:75], v[4:5] neg_lo:[0,0,1] neg_hi:[0,0,1]
	v_pk_fma_f32 v[4:5], v[18:19], v[74:75], v[4:5] op_sel_hi:[1,0,1]
	s_nop 0
	v_mov_b32_e32 v7, v5
	scratch_load_dwordx2 v[4:5], off, off offset:144
	v_pk_add_f32 v[2:3], v[2:3], v[6:7]
	s_waitcnt vmcnt(0)
	v_pk_add_f32 v[2:3], v[4:5], v[2:3] neg_lo:[0,1] neg_hi:[0,1]
	scratch_store_dwordx2 off, v[2:3], off offset:144
	s_and_saveexec_b64 s[0:1], vcc
	s_cbranch_execz .LBB40_225
; %bb.224:
	scratch_load_dwordx2 v[2:3], off, off offset:136
	v_mov_b32_e32 v4, 0
	v_mov_b32_e32 v5, v4
	scratch_store_dwordx2 off, v[4:5], off offset:136
	s_waitcnt vmcnt(1)
	ds_write_b64 v1, v[2:3]
.LBB40_225:
	s_or_b64 exec, exec, s[0:1]
	v_mov_b32_e32 v38, 0
	s_waitcnt lgkmcnt(0)
	; wave barrier
	ds_read_b128 v[2:5], v38 offset:480
	ds_read_b128 v[6:9], v38 offset:496
	;; [unrolled: 1-line block ×4, first 2 shown]
	scratch_load_dwordx4 v[18:21], off, off offset:144
	scratch_load_dwordx4 v[40:43], off, off offset:208
	v_cmp_lt_u32_e32 vcc, 16, v0
	scratch_load_dwordx4 v[48:51], off, off offset:224
	scratch_load_dwordx4 v[56:59], off, off offset:240
	;; [unrolled: 1-line block ×3, first 2 shown]
	s_waitcnt vmcnt(4) lgkmcnt(3)
	v_mul_f32_e32 v22, v2, v19
	v_fmac_f32_e32 v22, v3, v18
	v_mul_f32_e32 v23, v4, v21
	v_add_f32_e32 v22, 0, v22
	v_fmac_f32_e32 v23, v5, v20
	v_add_f32_e32 v26, v22, v23
	scratch_load_dwordx4 v[22:25], off, off offset:160
	v_mul_f32_e32 v3, v3, v19
	v_fma_f32 v2, v2, v18, -v3
	v_mul_f32_e32 v3, v5, v21
	v_add_f32_e32 v2, 0, v2
	v_fma_f32 v3, v4, v20, -v3
	v_add_f32_e32 v2, v2, v3
	s_waitcnt vmcnt(1)
	v_mov_b32_e32 v18, v67
	s_waitcnt vmcnt(0) lgkmcnt(2)
	v_mul_f32_e32 v27, v6, v23
	v_fmac_f32_e32 v27, v7, v22
	v_add_f32_e32 v26, v26, v27
	v_mul_f32_e32 v27, v8, v25
	v_fmac_f32_e32 v27, v9, v24
	v_add_f32_e32 v30, v26, v27
	scratch_load_dwordx4 v[26:29], off, off offset:176
	v_mul_f32_e32 v3, v7, v23
	v_fma_f32 v3, v6, v22, -v3
	v_add_f32_e32 v2, v2, v3
	v_mul_f32_e32 v3, v9, v25
	v_fma_f32 v3, v8, v24, -v3
	v_add_f32_e32 v2, v2, v3
	s_waitcnt vmcnt(0) lgkmcnt(1)
	v_mul_f32_e32 v31, v10, v27
	v_fmac_f32_e32 v31, v11, v26
	v_add_f32_e32 v30, v30, v31
	v_mul_f32_e32 v31, v12, v29
	v_fmac_f32_e32 v31, v13, v28
	v_add_f32_e32 v34, v30, v31
	scratch_load_dwordx4 v[30:33], off, off offset:192
	v_mul_f32_e32 v3, v11, v27
	v_fma_f32 v3, v10, v26, -v3
	v_add_f32_e32 v2, v2, v3
	v_mul_f32_e32 v3, v13, v29
	v_fma_f32 v3, v12, v28, -v3
	v_add_f32_e32 v2, v2, v3
	s_waitcnt vmcnt(0) lgkmcnt(0)
	v_mul_f32_e32 v35, v14, v31
	v_fmac_f32_e32 v35, v15, v30
	v_add_f32_e32 v34, v34, v35
	v_mul_f32_e32 v35, v16, v33
	v_fmac_f32_e32 v35, v17, v32
	v_add_f32_e32 v39, v34, v35
	ds_read_b128 v[34:37], v38 offset:544
	v_mul_f32_e32 v3, v15, v31
	v_fma_f32 v3, v14, v30, -v3
	v_add_f32_e32 v2, v2, v3
	v_mul_f32_e32 v3, v17, v33
	s_waitcnt lgkmcnt(0)
	v_mul_f32_e32 v44, v34, v41
	v_fmac_f32_e32 v44, v35, v40
	v_add_f32_e32 v39, v39, v44
	v_mul_f32_e32 v44, v36, v43
	v_fmac_f32_e32 v44, v37, v42
	v_add_f32_e32 v39, v39, v44
	ds_read_b128 v[44:47], v38 offset:560
	v_fma_f32 v3, v16, v32, -v3
	v_add_f32_e32 v2, v2, v3
	v_mul_f32_e32 v3, v35, v41
	v_fma_f32 v3, v34, v40, -v3
	s_waitcnt lgkmcnt(0)
	v_mul_f32_e32 v52, v44, v49
	v_fmac_f32_e32 v52, v45, v48
	v_add_f32_e32 v39, v39, v52
	v_mul_f32_e32 v52, v46, v51
	v_fmac_f32_e32 v52, v47, v50
	v_add_f32_e32 v39, v39, v52
	ds_read_b128 v[52:55], v38 offset:576
	v_add_f32_e32 v2, v2, v3
	v_mul_f32_e32 v3, v37, v43
	v_fma_f32 v3, v36, v42, -v3
	v_add_f32_e32 v2, v2, v3
	s_waitcnt lgkmcnt(0)
	v_mul_f32_e32 v60, v52, v57
	v_fmac_f32_e32 v60, v53, v56
	v_add_f32_e32 v81, v39, v60
	ds_read_b128 v[60:63], v38 offset:592
	scratch_load_dwordx4 v[68:71], off, off offset:272
	scratch_load_dwordx4 v[72:75], off, off offset:288
	;; [unrolled: 1-line block ×3, first 2 shown]
	scratch_load_dwordx2 v[86:87], off, off offset:320
	v_mul_f32_e32 v3, v45, v49
	v_fma_f32 v3, v44, v48, -v3
	v_add_f32_e32 v2, v2, v3
	v_mul_f32_e32 v3, v47, v51
	v_fma_f32 v3, v46, v50, -v3
	v_add_f32_e32 v2, v2, v3
	;; [unrolled: 3-line block ×3, first 2 shown]
	v_mul_f32_e32 v2, v55, v59
	v_mul_f32_e32 v83, v54, v59
	v_fma_f32 v82, v54, v58, -v2
	s_waitcnt lgkmcnt(0)
	v_mul_f32_e32 v2, v61, v65
	v_fmac_f32_e32 v83, v55, v58
	v_mul_f32_e32 v85, v60, v65
	v_fma_f32 v84, v60, v64, -v2
	ds_read_b128 v[2:5], v38 offset:608
	ds_read_b128 v[6:9], v38 offset:624
	;; [unrolled: 1-line block ×3, first 2 shown]
	ds_read_b64 v[14:15], v38 offset:656
	v_pk_mul_f32 v[18:19], v[62:63], v[18:19] op_sel:[1,0] op_sel_hi:[0,0]
	v_fmac_f32_e32 v85, v61, v64
	v_pk_add_f32 v[16:17], v[80:81], v[82:83]
	v_pk_fma_f32 v[20:21], v[62:63], v[66:67], v[18:19] neg_lo:[0,0,1] neg_hi:[0,0,1]
	v_pk_fma_f32 v[18:19], v[62:63], v[66:67], v[18:19] op_sel_hi:[1,0,1]
	v_pk_add_f32 v[16:17], v[16:17], v[84:85]
	v_mov_b32_e32 v21, v19
	v_pk_add_f32 v[16:17], v[16:17], v[20:21]
	s_waitcnt vmcnt(3) lgkmcnt(3)
	v_pk_mul_f32 v[18:19], v[2:3], v[68:69] op_sel:[1,1] op_sel_hi:[0,1]
	v_pk_fma_f32 v[20:21], v[2:3], v[68:69], v[18:19] neg_lo:[0,0,1] neg_hi:[0,0,1]
	v_pk_fma_f32 v[2:3], v[2:3], v[68:69], v[18:19] op_sel_hi:[1,0,1]
	s_nop 0
	v_mov_b32_e32 v21, v3
	v_pk_add_f32 v[2:3], v[16:17], v[20:21]
	v_mov_b32_e32 v16, v71
	v_pk_mul_f32 v[16:17], v[4:5], v[16:17] op_sel:[1,0] op_sel_hi:[0,0]
	v_pk_fma_f32 v[18:19], v[4:5], v[70:71], v[16:17] neg_lo:[0,0,1] neg_hi:[0,0,1]
	v_pk_fma_f32 v[4:5], v[4:5], v[70:71], v[16:17] op_sel_hi:[1,0,1]
	s_nop 0
	v_mov_b32_e32 v19, v5
	s_waitcnt vmcnt(2) lgkmcnt(2)
	v_pk_mul_f32 v[4:5], v[6:7], v[72:73] op_sel:[1,1] op_sel_hi:[0,1]
	v_pk_fma_f32 v[16:17], v[6:7], v[72:73], v[4:5] neg_lo:[0,0,1] neg_hi:[0,0,1]
	v_pk_fma_f32 v[4:5], v[6:7], v[72:73], v[4:5] op_sel_hi:[1,0,1]
	v_pk_add_f32 v[2:3], v[2:3], v[18:19]
	v_mov_b32_e32 v4, v75
	v_mov_b32_e32 v17, v5
	v_pk_mul_f32 v[4:5], v[8:9], v[4:5] op_sel:[1,0] op_sel_hi:[0,0]
	v_pk_fma_f32 v[6:7], v[8:9], v[74:75], v[4:5] neg_lo:[0,0,1] neg_hi:[0,0,1]
	v_pk_fma_f32 v[4:5], v[8:9], v[74:75], v[4:5] op_sel_hi:[1,0,1]
	v_pk_add_f32 v[2:3], v[2:3], v[16:17]
	v_mov_b32_e32 v7, v5
	s_waitcnt vmcnt(1) lgkmcnt(1)
	v_pk_mul_f32 v[4:5], v[10:11], v[76:77] op_sel:[1,1] op_sel_hi:[0,1]
	v_pk_add_f32 v[2:3], v[2:3], v[6:7]
	v_pk_fma_f32 v[6:7], v[10:11], v[76:77], v[4:5] neg_lo:[0,0,1] neg_hi:[0,0,1]
	v_pk_fma_f32 v[4:5], v[10:11], v[76:77], v[4:5] op_sel_hi:[1,0,1]
	s_nop 0
	v_mov_b32_e32 v4, v79
	v_mov_b32_e32 v7, v5
	v_pk_mul_f32 v[4:5], v[12:13], v[4:5] op_sel:[1,0] op_sel_hi:[0,0]
	v_pk_add_f32 v[2:3], v[2:3], v[6:7]
	v_pk_fma_f32 v[6:7], v[12:13], v[78:79], v[4:5] neg_lo:[0,0,1] neg_hi:[0,0,1]
	v_pk_fma_f32 v[4:5], v[12:13], v[78:79], v[4:5] op_sel_hi:[1,0,1]
	s_nop 0
	v_mov_b32_e32 v7, v5
	s_waitcnt vmcnt(0) lgkmcnt(0)
	v_pk_mul_f32 v[4:5], v[14:15], v[86:87] op_sel:[1,1] op_sel_hi:[0,1]
	v_pk_add_f32 v[2:3], v[2:3], v[6:7]
	v_pk_fma_f32 v[6:7], v[14:15], v[86:87], v[4:5] neg_lo:[0,0,1] neg_hi:[0,0,1]
	v_pk_fma_f32 v[4:5], v[14:15], v[86:87], v[4:5] op_sel_hi:[1,0,1]
	s_nop 0
	v_mov_b32_e32 v7, v5
	scratch_load_dwordx2 v[4:5], off, off offset:136
	v_pk_add_f32 v[2:3], v[2:3], v[6:7]
	s_waitcnt vmcnt(0)
	v_pk_add_f32 v[2:3], v[4:5], v[2:3] neg_lo:[0,1] neg_hi:[0,1]
	scratch_store_dwordx2 off, v[2:3], off offset:136
	s_and_saveexec_b64 s[0:1], vcc
	s_cbranch_execz .LBB40_227
; %bb.226:
	scratch_load_dwordx2 v[2:3], off, off offset:128
	v_mov_b32_e32 v39, v38
	scratch_store_dwordx2 off, v[38:39], off offset:128
	s_waitcnt vmcnt(1)
	ds_write_b64 v1, v[2:3]
.LBB40_227:
	s_or_b64 exec, exec, s[0:1]
	s_waitcnt lgkmcnt(0)
	; wave barrier
	scratch_load_dwordx4 v[2:5], off, off offset:136
	scratch_load_dwordx4 v[14:17], off, off offset:152
	;; [unrolled: 1-line block ×8, first 2 shown]
	ds_read2_b64 v[48:51], v38 offset0:59 offset1:60
	ds_read2_b64 v[52:55], v38 offset0:61 offset1:62
	ds_read2_b64 v[56:59], v38 offset0:63 offset1:64
	ds_read2_b64 v[60:63], v38 offset0:65 offset1:66
	ds_read2_b64 v[64:67], v38 offset0:67 offset1:68
	ds_read2_b64 v[68:71], v38 offset0:69 offset1:70
	ds_read2_b64 v[72:75], v38 offset0:71 offset1:72
	ds_read2_b64 v[76:79], v38 offset0:73 offset1:74
	scratch_load_dwordx4 v[80:83], off, off offset:264
	scratch_load_dwordx4 v[26:29], off, off offset:280
	;; [unrolled: 1-line block ×4, first 2 shown]
	scratch_load_dwordx2 v[84:85], off, off offset:128
	v_cmp_lt_u32_e32 vcc, 15, v0
	s_waitcnt vmcnt(12) lgkmcnt(7)
	v_mul_f32_e32 v39, v48, v3
	v_mul_f32_e32 v86, v50, v5
	;; [unrolled: 1-line block ×3, first 2 shown]
	v_fmac_f32_e32 v39, v49, v2
	s_waitcnt vmcnt(8) lgkmcnt(3)
	v_mul_f32_e32 v95, v64, v19
	v_mul_f32_e32 v19, v65, v19
	;; [unrolled: 1-line block ×4, first 2 shown]
	v_fmac_f32_e32 v86, v51, v4
	v_fmac_f32_e32 v95, v65, v18
	v_fma_f32 v2, v48, v2, -v3
	v_fma_f32 v18, v64, v18, -v19
	v_add_f32_e32 v19, 0, v39
	v_mul_f32_e32 v90, v54, v17
	v_fmac_f32_e32 v88, v53, v14
	v_fma_f32 v3, v50, v4, -v5
	v_add_f32_e32 v2, 0, v2
	v_add_f32_e32 v19, v19, v86
	v_mul_f32_e32 v91, v56, v31
	v_fmac_f32_e32 v90, v55, v16
	v_add_f32_e32 v2, v2, v3
	v_add_f32_e32 v3, v19, v88
	v_mul_f32_e32 v92, v58, v33
	v_fmac_f32_e32 v91, v57, v30
	v_add_f32_e32 v3, v3, v90
	v_mul_f32_e32 v93, v60, v41
	v_fmac_f32_e32 v92, v59, v32
	;; [unrolled: 3-line block ×4, first 2 shown]
	v_add_f32_e32 v3, v3, v93
	v_mul_f32_e32 v96, v66, v21
	v_mul_f32_e32 v17, v55, v17
	v_fma_f32 v4, v52, v14, -v15
	v_add_f32_e32 v3, v3, v94
	s_waitcnt vmcnt(7) lgkmcnt(2)
	v_mul_f32_e32 v97, v68, v23
	v_mul_f32_e32 v31, v57, v31
	v_fmac_f32_e32 v96, v67, v20
	v_fma_f32 v5, v54, v16, -v17
	v_add_f32_e32 v2, v2, v4
	v_add_f32_e32 v3, v3, v95
	v_mul_f32_e32 v98, v70, v25
	v_mul_f32_e32 v33, v59, v33
	v_fmac_f32_e32 v97, v69, v22
	v_fma_f32 v14, v56, v30, -v31
	v_add_f32_e32 v2, v2, v5
	v_add_f32_e32 v3, v3, v96
	s_waitcnt vmcnt(6) lgkmcnt(1)
	v_mul_f32_e32 v99, v72, v35
	v_mul_f32_e32 v41, v61, v41
	v_fmac_f32_e32 v98, v71, v24
	v_fma_f32 v15, v58, v32, -v33
	v_add_f32_e32 v2, v2, v14
	v_add_f32_e32 v3, v3, v97
	v_mul_f32_e32 v100, v74, v37
	v_mul_f32_e32 v43, v63, v43
	v_fmac_f32_e32 v99, v73, v34
	v_fma_f32 v16, v60, v40, -v41
	v_add_f32_e32 v2, v2, v15
	v_add_f32_e32 v3, v3, v98
	v_fmac_f32_e32 v100, v75, v36
	v_fma_f32 v17, v62, v42, -v43
	v_add_f32_e32 v2, v2, v16
	v_add_f32_e32 v3, v3, v99
	;; [unrolled: 1-line block ×4, first 2 shown]
	v_mul_f32_e32 v3, v67, v21
	v_add_f32_e32 v2, v2, v18
	v_fma_f32 v3, v66, v20, -v3
	v_add_f32_e32 v2, v2, v3
	v_mul_f32_e32 v3, v69, v23
	v_fma_f32 v3, v68, v22, -v3
	v_add_f32_e32 v2, v2, v3
	v_mul_f32_e32 v3, v71, v25
	;; [unrolled: 3-line block ×4, first 2 shown]
	v_fma_f32 v3, v74, v36, -v3
	v_add_f32_e32 v30, v2, v3
	s_waitcnt vmcnt(5) lgkmcnt(0)
	v_mul_f32_e32 v2, v77, v45
	v_fma_f32 v86, v76, v44, -v2
	v_mul_f32_e32 v2, v79, v47
	v_fma_f32 v88, v78, v46, -v2
	ds_read2_b64 v[2:5], v38 offset0:75 offset1:76
	ds_read2_b64 v[14:17], v38 offset0:77 offset1:78
	;; [unrolled: 1-line block ×4, first 2 shown]
	v_mul_f32_e32 v87, v76, v45
	v_mul_f32_e32 v89, v78, v47
	v_fmac_f32_e32 v87, v77, v44
	s_waitcnt vmcnt(4) lgkmcnt(3)
	v_pk_mul_f32 v[32:33], v[2:3], v[80:81] op_sel:[1,1] op_sel_hi:[0,1]
	v_fmac_f32_e32 v89, v79, v46
	v_pk_add_f32 v[30:31], v[30:31], v[86:87]
	v_pk_fma_f32 v[34:35], v[2:3], v[80:81], v[32:33] neg_lo:[0,0,1] neg_hi:[0,0,1]
	v_pk_fma_f32 v[2:3], v[2:3], v[80:81], v[32:33] op_sel_hi:[1,0,1]
	v_pk_add_f32 v[30:31], v[30:31], v[88:89]
	v_mov_b32_e32 v35, v3
	v_pk_add_f32 v[2:3], v[30:31], v[34:35]
	v_mov_b32_e32 v30, v83
	v_pk_mul_f32 v[30:31], v[4:5], v[30:31] op_sel:[1,0] op_sel_hi:[0,0]
	v_pk_fma_f32 v[32:33], v[4:5], v[82:83], v[30:31] neg_lo:[0,0,1] neg_hi:[0,0,1]
	v_pk_fma_f32 v[4:5], v[4:5], v[82:83], v[30:31] op_sel_hi:[1,0,1]
	s_nop 0
	v_mov_b32_e32 v33, v5
	s_waitcnt vmcnt(3) lgkmcnt(2)
	v_pk_mul_f32 v[4:5], v[14:15], v[26:27] op_sel:[1,1] op_sel_hi:[0,1]
	v_pk_fma_f32 v[30:31], v[14:15], v[26:27], v[4:5] neg_lo:[0,0,1] neg_hi:[0,0,1]
	v_pk_fma_f32 v[4:5], v[14:15], v[26:27], v[4:5] op_sel_hi:[1,0,1]
	v_pk_add_f32 v[2:3], v[2:3], v[32:33]
	v_mov_b32_e32 v4, v29
	v_mov_b32_e32 v31, v5
	v_pk_mul_f32 v[4:5], v[16:17], v[4:5] op_sel:[1,0] op_sel_hi:[0,0]
	v_pk_fma_f32 v[14:15], v[16:17], v[28:29], v[4:5] neg_lo:[0,0,1] neg_hi:[0,0,1]
	v_pk_fma_f32 v[4:5], v[16:17], v[28:29], v[4:5] op_sel_hi:[1,0,1]
	v_pk_add_f32 v[2:3], v[2:3], v[30:31]
	v_mov_b32_e32 v15, v5
	s_waitcnt vmcnt(2) lgkmcnt(1)
	v_pk_mul_f32 v[4:5], v[18:19], v[10:11] op_sel:[1,1] op_sel_hi:[0,1]
	v_pk_add_f32 v[2:3], v[2:3], v[14:15]
	v_pk_fma_f32 v[14:15], v[18:19], v[10:11], v[4:5] neg_lo:[0,0,1] neg_hi:[0,0,1]
	v_pk_fma_f32 v[4:5], v[18:19], v[10:11], v[4:5] op_sel_hi:[1,0,1]
	s_nop 0
	v_mov_b32_e32 v4, v13
	v_mov_b32_e32 v15, v5
	v_pk_mul_f32 v[4:5], v[20:21], v[4:5] op_sel:[1,0] op_sel_hi:[0,0]
	v_pk_fma_f32 v[10:11], v[20:21], v[12:13], v[4:5] neg_lo:[0,0,1] neg_hi:[0,0,1]
	v_pk_fma_f32 v[4:5], v[20:21], v[12:13], v[4:5] op_sel_hi:[1,0,1]
	v_pk_add_f32 v[2:3], v[2:3], v[14:15]
	v_mov_b32_e32 v11, v5
	s_waitcnt vmcnt(1) lgkmcnt(0)
	v_pk_mul_f32 v[4:5], v[22:23], v[6:7] op_sel:[1,1] op_sel_hi:[0,1]
	v_pk_add_f32 v[2:3], v[2:3], v[10:11]
	v_pk_fma_f32 v[10:11], v[22:23], v[6:7], v[4:5] neg_lo:[0,0,1] neg_hi:[0,0,1]
	v_pk_fma_f32 v[4:5], v[22:23], v[6:7], v[4:5] op_sel_hi:[1,0,1]
	s_nop 0
	v_mov_b32_e32 v4, v9
	v_mov_b32_e32 v11, v5
	v_pk_mul_f32 v[4:5], v[24:25], v[4:5] op_sel:[1,0] op_sel_hi:[0,0]
	v_pk_fma_f32 v[6:7], v[24:25], v[8:9], v[4:5] neg_lo:[0,0,1] neg_hi:[0,0,1]
	v_pk_fma_f32 v[4:5], v[24:25], v[8:9], v[4:5] op_sel_hi:[1,0,1]
	v_pk_add_f32 v[2:3], v[2:3], v[10:11]
	v_mov_b32_e32 v7, v5
	v_pk_add_f32 v[2:3], v[2:3], v[6:7]
	s_waitcnt vmcnt(0)
	v_pk_add_f32 v[2:3], v[84:85], v[2:3] neg_lo:[0,1] neg_hi:[0,1]
	scratch_store_dwordx2 off, v[2:3], off offset:128
	s_and_saveexec_b64 s[0:1], vcc
	s_cbranch_execz .LBB40_229
; %bb.228:
	scratch_load_dwordx2 v[2:3], off, off offset:120
	v_mov_b32_e32 v4, 0
	v_mov_b32_e32 v5, v4
	scratch_store_dwordx2 off, v[4:5], off offset:120
	s_waitcnt vmcnt(1)
	ds_write_b64 v1, v[2:3]
.LBB40_229:
	s_or_b64 exec, exec, s[0:1]
	s_waitcnt lgkmcnt(0)
	; wave barrier
	scratch_load_dwordx4 v[10:13], off, off offset:128
	scratch_load_dwordx4 v[26:29], off, off offset:144
	;; [unrolled: 1-line block ×12, first 2 shown]
	scratch_load_dwordx2 v[50:51], off, off offset:320
	scratch_load_dwordx2 v[56:57], off, off offset:120
	v_mov_b32_e32 v58, 0
	ds_read_b128 v[52:55], v58 offset:464
	ds_read_b128 v[60:63], v58 offset:480
	;; [unrolled: 1-line block ×10, first 2 shown]
	v_cmp_lt_u32_e32 vcc, 14, v0
	s_waitcnt vmcnt(13) lgkmcnt(9)
	v_mul_f32_e32 v59, v52, v11
	v_mul_f32_e32 v96, v54, v13
	v_fmac_f32_e32 v59, v53, v10
	s_waitcnt vmcnt(10) lgkmcnt(6)
	v_mul_f32_e32 v103, v68, v7
	v_mul_f32_e32 v7, v69, v7
	;; [unrolled: 1-line block ×3, first 2 shown]
	v_fmac_f32_e32 v96, v55, v12
	v_fmac_f32_e32 v103, v69, v6
	v_fma_f32 v6, v68, v6, -v7
	v_add_f32_e32 v7, 0, v59
	v_mul_f32_e32 v100, v62, v29
	v_fmac_f32_e32 v98, v61, v26
	v_add_f32_e32 v7, v7, v96
	v_mul_f32_e32 v101, v64, v39
	v_fmac_f32_e32 v100, v63, v28
	;; [unrolled: 3-line block ×3, first 2 shown]
	v_add_f32_e32 v7, v7, v100
	v_fmac_f32_e32 v102, v67, v40
	v_add_f32_e32 v7, v7, v101
	v_mul_f32_e32 v104, v70, v9
	v_add_f32_e32 v7, v7, v102
	s_waitcnt vmcnt(9) lgkmcnt(5)
	v_mul_f32_e32 v105, v72, v15
	v_fmac_f32_e32 v104, v71, v8
	v_add_f32_e32 v7, v7, v103
	v_mul_f32_e32 v106, v74, v17
	v_mul_f32_e32 v11, v53, v11
	v_fmac_f32_e32 v105, v73, v14
	v_add_f32_e32 v7, v7, v104
	s_waitcnt vmcnt(8) lgkmcnt(4)
	v_mul_f32_e32 v107, v76, v23
	v_mul_f32_e32 v13, v55, v13
	v_fmac_f32_e32 v106, v75, v16
	v_fma_f32 v10, v52, v10, -v11
	v_add_f32_e32 v7, v7, v105
	v_mul_f32_e32 v108, v78, v25
	v_mul_f32_e32 v27, v61, v27
	v_fmac_f32_e32 v107, v77, v22
	v_fma_f32 v11, v54, v12, -v13
	v_add_f32_e32 v10, 0, v10
	v_add_f32_e32 v7, v7, v106
	s_waitcnt vmcnt(7) lgkmcnt(3)
	v_mul_f32_e32 v109, v80, v31
	v_mul_f32_e32 v29, v63, v29
	v_fmac_f32_e32 v108, v79, v24
	v_fma_f32 v12, v60, v26, -v27
	v_add_f32_e32 v10, v10, v11
	v_add_f32_e32 v7, v7, v107
	v_mul_f32_e32 v110, v82, v33
	v_mul_f32_e32 v39, v65, v39
	v_fmac_f32_e32 v109, v81, v30
	v_fma_f32 v13, v62, v28, -v29
	v_add_f32_e32 v10, v10, v12
	v_add_f32_e32 v7, v7, v108
	s_waitcnt vmcnt(6) lgkmcnt(2)
	v_mul_f32_e32 v111, v84, v43
	v_mul_f32_e32 v41, v67, v41
	v_fmac_f32_e32 v110, v83, v32
	v_fma_f32 v26, v64, v38, -v39
	v_add_f32_e32 v10, v10, v13
	v_add_f32_e32 v7, v7, v109
	v_fmac_f32_e32 v111, v85, v42
	v_fma_f32 v27, v66, v40, -v41
	v_add_f32_e32 v10, v10, v26
	v_add_f32_e32 v7, v7, v110
	;; [unrolled: 1-line block ×4, first 2 shown]
	v_mul_f32_e32 v7, v71, v9
	v_add_f32_e32 v6, v10, v6
	v_fma_f32 v7, v70, v8, -v7
	v_add_f32_e32 v6, v6, v7
	v_mul_f32_e32 v7, v73, v15
	v_fma_f32 v7, v72, v14, -v7
	v_add_f32_e32 v6, v6, v7
	v_mul_f32_e32 v7, v75, v17
	;; [unrolled: 3-line block ×7, first 2 shown]
	v_fma_f32 v7, v84, v42, -v7
	v_mul_f32_e32 v97, v86, v45
	v_add_f32_e32 v26, v6, v7
	v_mul_f32_e32 v6, v87, v45
	s_waitcnt vmcnt(5)
	v_mov_b32_e32 v22, v49
	s_waitcnt lgkmcnt(1)
	v_mul_f32_e32 v99, v88, v47
	v_fmac_f32_e32 v97, v87, v44
	v_fma_f32 v96, v86, v44, -v6
	v_mul_f32_e32 v6, v89, v47
	v_pk_mul_f32 v[22:23], v[90:91], v[22:23] op_sel:[1,0] op_sel_hi:[0,0]
	v_fmac_f32_e32 v99, v89, v46
	v_fma_f32 v98, v88, v46, -v6
	v_pk_add_f32 v[16:17], v[26:27], v[96:97]
	v_pk_fma_f32 v[24:25], v[90:91], v[48:49], v[22:23] neg_lo:[0,0,1] neg_hi:[0,0,1]
	v_pk_fma_f32 v[22:23], v[90:91], v[48:49], v[22:23] op_sel_hi:[1,0,1]
	v_pk_add_f32 v[16:17], v[16:17], v[98:99]
	v_mov_b32_e32 v25, v23
	s_waitcnt vmcnt(4) lgkmcnt(0)
	v_pk_mul_f32 v[22:23], v[92:93], v[34:35] op_sel:[1,1] op_sel_hi:[0,1]
	v_pk_add_f32 v[16:17], v[16:17], v[24:25]
	v_pk_fma_f32 v[24:25], v[92:93], v[34:35], v[22:23] neg_lo:[0,0,1] neg_hi:[0,0,1]
	v_pk_fma_f32 v[22:23], v[92:93], v[34:35], v[22:23] op_sel_hi:[1,0,1]
	ds_read_b128 v[6:9], v58 offset:624
	ds_read_b128 v[10:13], v58 offset:640
	ds_read_b64 v[14:15], v58 offset:656
	v_mov_b32_e32 v22, v37
	v_mov_b32_e32 v25, v23
	v_pk_mul_f32 v[22:23], v[94:95], v[22:23] op_sel:[1,0] op_sel_hi:[0,0]
	v_pk_add_f32 v[16:17], v[16:17], v[24:25]
	v_pk_fma_f32 v[24:25], v[94:95], v[36:37], v[22:23] neg_lo:[0,0,1] neg_hi:[0,0,1]
	v_pk_fma_f32 v[22:23], v[94:95], v[36:37], v[22:23] op_sel_hi:[1,0,1]
	s_nop 0
	v_mov_b32_e32 v25, v23
	s_waitcnt vmcnt(3) lgkmcnt(2)
	v_pk_mul_f32 v[22:23], v[6:7], v[18:19] op_sel:[1,1] op_sel_hi:[0,1]
	v_pk_add_f32 v[16:17], v[16:17], v[24:25]
	v_pk_fma_f32 v[24:25], v[6:7], v[18:19], v[22:23] neg_lo:[0,0,1] neg_hi:[0,0,1]
	v_pk_fma_f32 v[6:7], v[6:7], v[18:19], v[22:23] op_sel_hi:[1,0,1]
	s_nop 0
	v_mov_b32_e32 v25, v7
	v_pk_add_f32 v[6:7], v[16:17], v[24:25]
	v_mov_b32_e32 v16, v21
	v_pk_mul_f32 v[16:17], v[8:9], v[16:17] op_sel:[1,0] op_sel_hi:[0,0]
	v_pk_fma_f32 v[18:19], v[8:9], v[20:21], v[16:17] neg_lo:[0,0,1] neg_hi:[0,0,1]
	v_pk_fma_f32 v[8:9], v[8:9], v[20:21], v[16:17] op_sel_hi:[1,0,1]
	s_nop 0
	v_mov_b32_e32 v19, v9
	s_waitcnt vmcnt(2) lgkmcnt(1)
	v_pk_mul_f32 v[8:9], v[10:11], v[2:3] op_sel:[1,1] op_sel_hi:[0,1]
	v_pk_fma_f32 v[16:17], v[10:11], v[2:3], v[8:9] neg_lo:[0,0,1] neg_hi:[0,0,1]
	v_pk_fma_f32 v[2:3], v[10:11], v[2:3], v[8:9] op_sel_hi:[1,0,1]
	v_pk_add_f32 v[6:7], v[6:7], v[18:19]
	v_mov_b32_e32 v17, v3
	v_pk_add_f32 v[2:3], v[6:7], v[16:17]
	v_mov_b32_e32 v6, v5
	v_pk_mul_f32 v[6:7], v[12:13], v[6:7] op_sel:[1,0] op_sel_hi:[0,0]
	v_pk_fma_f32 v[8:9], v[12:13], v[4:5], v[6:7] neg_lo:[0,0,1] neg_hi:[0,0,1]
	v_pk_fma_f32 v[4:5], v[12:13], v[4:5], v[6:7] op_sel_hi:[1,0,1]
	s_nop 0
	v_mov_b32_e32 v9, v5
	s_waitcnt vmcnt(1) lgkmcnt(0)
	v_pk_mul_f32 v[4:5], v[14:15], v[50:51] op_sel:[1,1] op_sel_hi:[0,1]
	v_pk_fma_f32 v[6:7], v[14:15], v[50:51], v[4:5] neg_lo:[0,0,1] neg_hi:[0,0,1]
	v_pk_fma_f32 v[4:5], v[14:15], v[50:51], v[4:5] op_sel_hi:[1,0,1]
	v_pk_add_f32 v[2:3], v[2:3], v[8:9]
	v_mov_b32_e32 v7, v5
	v_pk_add_f32 v[2:3], v[2:3], v[6:7]
	s_waitcnt vmcnt(0)
	v_pk_add_f32 v[2:3], v[56:57], v[2:3] neg_lo:[0,1] neg_hi:[0,1]
	scratch_store_dwordx2 off, v[2:3], off offset:120
	s_and_saveexec_b64 s[0:1], vcc
	s_cbranch_execz .LBB40_231
; %bb.230:
	scratch_load_dwordx2 v[2:3], off, off offset:112
	v_mov_b32_e32 v59, v58
	scratch_store_dwordx2 off, v[58:59], off offset:112
	s_waitcnt vmcnt(1)
	ds_write_b64 v1, v[2:3]
.LBB40_231:
	s_or_b64 exec, exec, s[0:1]
	s_waitcnt lgkmcnt(0)
	; wave barrier
	scratch_load_dwordx4 v[2:5], off, off offset:120
	scratch_load_dwordx4 v[18:21], off, off offset:136
	;; [unrolled: 1-line block ×9, first 2 shown]
	ds_read2_b64 v[60:63], v58 offset0:57 offset1:58
	ds_read2_b64 v[64:67], v58 offset0:59 offset1:60
	ds_read2_b64 v[68:71], v58 offset0:61 offset1:62
	ds_read2_b64 v[72:75], v58 offset0:63 offset1:64
	ds_read2_b64 v[76:79], v58 offset0:65 offset1:66
	ds_read2_b64 v[80:83], v58 offset0:67 offset1:68
	ds_read2_b64 v[84:87], v58 offset0:69 offset1:70
	ds_read2_b64 v[54:57], v58 offset0:71 offset1:72
	scratch_load_dwordx4 v[50:53], off, off offset:264
	scratch_load_dwordx4 v[34:37], off, off offset:280
	;; [unrolled: 1-line block ×4, first 2 shown]
	ds_read2_b64 v[88:91], v58 offset0:73 offset1:74
	ds_read2_b64 v[92:95], v58 offset0:75 offset1:76
	scratch_load_dwordx2 v[96:97], off, off offset:112
	v_cmp_lt_u32_e32 vcc, 13, v0
	s_waitcnt vmcnt(13) lgkmcnt(9)
	v_mul_f32_e32 v59, v60, v3
	v_mul_f32_e32 v98, v62, v5
	;; [unrolled: 1-line block ×3, first 2 shown]
	s_waitcnt vmcnt(10) lgkmcnt(6)
	v_mul_f32_e32 v105, v72, v7
	v_mul_f32_e32 v7, v73, v7
	v_fmac_f32_e32 v59, v61, v2
	v_mul_f32_e32 v100, v64, v19
	v_mul_f32_e32 v5, v63, v5
	v_fmac_f32_e32 v98, v63, v4
	v_fmac_f32_e32 v105, v73, v6
	v_fma_f32 v2, v60, v2, -v3
	v_fma_f32 v6, v72, v6, -v7
	v_add_f32_e32 v7, 0, v59
	v_mul_f32_e32 v102, v66, v21
	v_fmac_f32_e32 v100, v65, v18
	v_fma_f32 v3, v62, v4, -v5
	v_add_f32_e32 v2, 0, v2
	v_add_f32_e32 v7, v7, v98
	v_mul_f32_e32 v103, v68, v39
	v_fmac_f32_e32 v102, v67, v20
	v_add_f32_e32 v2, v2, v3
	v_add_f32_e32 v3, v7, v100
	v_mul_f32_e32 v104, v70, v41
	v_fmac_f32_e32 v103, v69, v38
	v_add_f32_e32 v3, v3, v102
	v_fmac_f32_e32 v104, v71, v40
	v_add_f32_e32 v3, v3, v103
	v_mul_f32_e32 v106, v74, v9
	v_add_f32_e32 v3, v3, v104
	s_waitcnt vmcnt(9) lgkmcnt(5)
	v_mul_f32_e32 v107, v76, v15
	v_fmac_f32_e32 v106, v75, v8
	v_add_f32_e32 v3, v3, v105
	v_mul_f32_e32 v108, v78, v17
	v_fmac_f32_e32 v107, v77, v14
	v_add_f32_e32 v3, v3, v106
	s_waitcnt vmcnt(8) lgkmcnt(4)
	v_mul_f32_e32 v109, v80, v23
	v_fmac_f32_e32 v108, v79, v16
	v_add_f32_e32 v3, v3, v107
	v_mul_f32_e32 v110, v82, v25
	v_fmac_f32_e32 v109, v81, v22
	v_add_f32_e32 v3, v3, v108
	s_waitcnt vmcnt(7) lgkmcnt(3)
	v_mul_f32_e32 v111, v84, v31
	v_mul_f32_e32 v19, v65, v19
	v_fmac_f32_e32 v110, v83, v24
	v_add_f32_e32 v3, v3, v109
	v_mul_f32_e32 v112, v86, v33
	v_mul_f32_e32 v21, v67, v21
	v_fmac_f32_e32 v111, v85, v30
	v_fma_f32 v4, v64, v18, -v19
	v_add_f32_e32 v3, v3, v110
	s_waitcnt vmcnt(6) lgkmcnt(2)
	v_mul_f32_e32 v113, v54, v43
	v_mul_f32_e32 v39, v69, v39
	v_fmac_f32_e32 v112, v87, v32
	v_fma_f32 v5, v66, v20, -v21
	v_add_f32_e32 v2, v2, v4
	v_add_f32_e32 v3, v3, v111
	v_mul_f32_e32 v114, v56, v45
	v_mul_f32_e32 v41, v71, v41
	v_fmac_f32_e32 v113, v55, v42
	v_fma_f32 v18, v68, v38, -v39
	v_add_f32_e32 v2, v2, v5
	v_add_f32_e32 v3, v3, v112
	v_fmac_f32_e32 v114, v57, v44
	v_fma_f32 v19, v70, v40, -v41
	v_add_f32_e32 v2, v2, v18
	v_add_f32_e32 v3, v3, v113
	;; [unrolled: 1-line block ×4, first 2 shown]
	v_mul_f32_e32 v3, v75, v9
	v_add_f32_e32 v2, v2, v6
	v_fma_f32 v3, v74, v8, -v3
	v_add_f32_e32 v2, v2, v3
	v_mul_f32_e32 v3, v77, v15
	v_fma_f32 v3, v76, v14, -v3
	v_add_f32_e32 v2, v2, v3
	v_mul_f32_e32 v3, v79, v17
	;; [unrolled: 3-line block ×8, first 2 shown]
	v_fma_f32 v3, v56, v44, -v3
	s_waitcnt vmcnt(5) lgkmcnt(1)
	v_mul_f32_e32 v99, v88, v47
	v_add_f32_e32 v18, v2, v3
	v_mul_f32_e32 v2, v89, v47
	s_waitcnt vmcnt(4) lgkmcnt(0)
	v_pk_mul_f32 v[20:21], v[92:93], v[50:51] op_sel:[1,1] op_sel_hi:[0,1]
	v_mul_f32_e32 v101, v90, v49
	v_fmac_f32_e32 v99, v89, v46
	v_fma_f32 v98, v88, v46, -v2
	v_mul_f32_e32 v2, v91, v49
	v_pk_fma_f32 v[22:23], v[92:93], v[50:51], v[20:21] neg_lo:[0,0,1] neg_hi:[0,0,1]
	v_pk_fma_f32 v[20:21], v[92:93], v[50:51], v[20:21] op_sel_hi:[1,0,1]
	v_fmac_f32_e32 v101, v91, v48
	v_fma_f32 v100, v90, v48, -v2
	ds_read2_b64 v[2:5], v58 offset0:77 offset1:78
	ds_read2_b64 v[6:9], v58 offset0:79 offset1:80
	;; [unrolled: 1-line block ×3, first 2 shown]
	v_pk_add_f32 v[18:19], v[18:19], v[98:99]
	v_mov_b32_e32 v20, v53
	v_pk_add_f32 v[18:19], v[18:19], v[100:101]
	v_mov_b32_e32 v23, v21
	v_pk_mul_f32 v[20:21], v[94:95], v[20:21] op_sel:[1,0] op_sel_hi:[0,0]
	v_pk_add_f32 v[18:19], v[18:19], v[22:23]
	v_pk_fma_f32 v[22:23], v[94:95], v[52:53], v[20:21] neg_lo:[0,0,1] neg_hi:[0,0,1]
	v_pk_fma_f32 v[20:21], v[94:95], v[52:53], v[20:21] op_sel_hi:[1,0,1]
	s_nop 0
	v_mov_b32_e32 v23, v21
	s_waitcnt vmcnt(3) lgkmcnt(2)
	v_pk_mul_f32 v[20:21], v[2:3], v[34:35] op_sel:[1,1] op_sel_hi:[0,1]
	v_pk_add_f32 v[18:19], v[18:19], v[22:23]
	v_pk_fma_f32 v[22:23], v[2:3], v[34:35], v[20:21] neg_lo:[0,0,1] neg_hi:[0,0,1]
	v_pk_fma_f32 v[2:3], v[2:3], v[34:35], v[20:21] op_sel_hi:[1,0,1]
	s_nop 0
	v_mov_b32_e32 v23, v3
	v_pk_add_f32 v[2:3], v[18:19], v[22:23]
	v_mov_b32_e32 v18, v37
	v_pk_mul_f32 v[18:19], v[4:5], v[18:19] op_sel:[1,0] op_sel_hi:[0,0]
	v_pk_fma_f32 v[20:21], v[4:5], v[36:37], v[18:19] neg_lo:[0,0,1] neg_hi:[0,0,1]
	v_pk_fma_f32 v[4:5], v[4:5], v[36:37], v[18:19] op_sel_hi:[1,0,1]
	s_nop 0
	v_mov_b32_e32 v21, v5
	s_waitcnt vmcnt(2) lgkmcnt(1)
	v_pk_mul_f32 v[4:5], v[6:7], v[26:27] op_sel:[1,1] op_sel_hi:[0,1]
	v_pk_fma_f32 v[18:19], v[6:7], v[26:27], v[4:5] neg_lo:[0,0,1] neg_hi:[0,0,1]
	v_pk_fma_f32 v[4:5], v[6:7], v[26:27], v[4:5] op_sel_hi:[1,0,1]
	v_pk_add_f32 v[2:3], v[2:3], v[20:21]
	v_mov_b32_e32 v4, v29
	v_mov_b32_e32 v19, v5
	v_pk_mul_f32 v[4:5], v[8:9], v[4:5] op_sel:[1,0] op_sel_hi:[0,0]
	v_pk_fma_f32 v[6:7], v[8:9], v[28:29], v[4:5] neg_lo:[0,0,1] neg_hi:[0,0,1]
	v_pk_fma_f32 v[4:5], v[8:9], v[28:29], v[4:5] op_sel_hi:[1,0,1]
	v_pk_add_f32 v[2:3], v[2:3], v[18:19]
	v_mov_b32_e32 v7, v5
	s_waitcnt vmcnt(1) lgkmcnt(0)
	v_pk_mul_f32 v[4:5], v[14:15], v[10:11] op_sel:[1,1] op_sel_hi:[0,1]
	v_pk_add_f32 v[2:3], v[2:3], v[6:7]
	v_pk_fma_f32 v[6:7], v[14:15], v[10:11], v[4:5] neg_lo:[0,0,1] neg_hi:[0,0,1]
	v_pk_fma_f32 v[4:5], v[14:15], v[10:11], v[4:5] op_sel_hi:[1,0,1]
	s_nop 0
	v_mov_b32_e32 v4, v13
	v_mov_b32_e32 v7, v5
	v_pk_mul_f32 v[4:5], v[16:17], v[4:5] op_sel:[1,0] op_sel_hi:[0,0]
	v_pk_add_f32 v[2:3], v[2:3], v[6:7]
	v_pk_fma_f32 v[6:7], v[16:17], v[12:13], v[4:5] neg_lo:[0,0,1] neg_hi:[0,0,1]
	v_pk_fma_f32 v[4:5], v[16:17], v[12:13], v[4:5] op_sel_hi:[1,0,1]
	s_nop 0
	v_mov_b32_e32 v7, v5
	v_pk_add_f32 v[2:3], v[2:3], v[6:7]
	s_waitcnt vmcnt(0)
	v_pk_add_f32 v[2:3], v[96:97], v[2:3] neg_lo:[0,1] neg_hi:[0,1]
	scratch_store_dwordx2 off, v[2:3], off offset:112
	s_and_saveexec_b64 s[0:1], vcc
	s_cbranch_execz .LBB40_233
; %bb.232:
	scratch_load_dwordx2 v[2:3], off, off offset:104
	v_mov_b32_e32 v4, 0
	v_mov_b32_e32 v5, v4
	scratch_store_dwordx2 off, v[4:5], off offset:104
	s_waitcnt vmcnt(1)
	ds_write_b64 v1, v[2:3]
.LBB40_233:
	s_or_b64 exec, exec, s[0:1]
	s_waitcnt lgkmcnt(0)
	; wave barrier
	scratch_load_dwordx4 v[18:21], off, off offset:112
	scratch_load_dwordx4 v[30:33], off, off offset:128
	;; [unrolled: 1-line block ×13, first 2 shown]
	scratch_load_dwordx2 v[54:55], off, off offset:320
	scratch_load_dwordx2 v[80:81], off, off offset:104
	v_mov_b32_e32 v82, 0
	ds_read_b128 v[56:59], v82 offset:448
	ds_read_b128 v[60:63], v82 offset:464
	;; [unrolled: 1-line block ×10, first 2 shown]
	v_cmp_lt_u32_e32 vcc, 12, v0
	s_waitcnt vmcnt(14) lgkmcnt(9)
	v_mul_f32_e32 v83, v56, v19
	v_mul_f32_e32 v100, v58, v21
	s_waitcnt vmcnt(12) lgkmcnt(7)
	v_mul_f32_e32 v105, v64, v3
	v_mul_f32_e32 v3, v65, v3
	v_fmac_f32_e32 v83, v57, v18
	v_mul_f32_e32 v102, v60, v31
	v_fmac_f32_e32 v100, v59, v20
	v_fmac_f32_e32 v105, v65, v2
	v_fma_f32 v2, v64, v2, -v3
	v_add_f32_e32 v3, 0, v83
	v_mul_f32_e32 v104, v62, v33
	v_fmac_f32_e32 v102, v61, v30
	v_add_f32_e32 v3, v3, v100
	v_fmac_f32_e32 v104, v63, v32
	v_add_f32_e32 v3, v3, v102
	v_mul_f32_e32 v106, v66, v5
	v_add_f32_e32 v3, v3, v104
	s_waitcnt vmcnt(11) lgkmcnt(6)
	v_mul_f32_e32 v107, v68, v7
	v_fmac_f32_e32 v106, v67, v4
	v_add_f32_e32 v3, v3, v105
	v_mul_f32_e32 v108, v70, v9
	v_fmac_f32_e32 v107, v69, v6
	v_add_f32_e32 v3, v3, v106
	s_waitcnt vmcnt(10) lgkmcnt(5)
	v_mul_f32_e32 v109, v72, v15
	v_fmac_f32_e32 v108, v71, v8
	v_add_f32_e32 v3, v3, v107
	v_mul_f32_e32 v110, v74, v17
	v_fmac_f32_e32 v109, v73, v14
	;; [unrolled: 7-line block ×3, first 2 shown]
	v_add_f32_e32 v3, v3, v110
	s_waitcnt vmcnt(8) lgkmcnt(3)
	v_mul_f32_e32 v113, v84, v35
	v_mul_f32_e32 v19, v57, v19
	v_fmac_f32_e32 v112, v79, v24
	v_add_f32_e32 v3, v3, v111
	v_mul_f32_e32 v114, v86, v37
	v_mul_f32_e32 v21, v59, v21
	v_fmac_f32_e32 v113, v85, v34
	v_fma_f32 v18, v56, v18, -v19
	v_add_f32_e32 v3, v3, v112
	s_waitcnt vmcnt(7) lgkmcnt(2)
	v_mul_f32_e32 v115, v88, v39
	v_mul_f32_e32 v31, v61, v31
	v_fmac_f32_e32 v114, v87, v36
	v_fma_f32 v19, v58, v20, -v21
	v_add_f32_e32 v18, 0, v18
	v_add_f32_e32 v3, v3, v113
	v_mul_f32_e32 v116, v90, v41
	v_mul_f32_e32 v33, v63, v33
	v_fmac_f32_e32 v115, v89, v38
	v_fma_f32 v20, v60, v30, -v31
	v_add_f32_e32 v18, v18, v19
	v_add_f32_e32 v3, v3, v114
	s_waitcnt vmcnt(6) lgkmcnt(1)
	v_mul_f32_e32 v117, v92, v51
	v_fmac_f32_e32 v116, v91, v40
	v_fma_f32 v21, v62, v32, -v33
	v_add_f32_e32 v18, v18, v20
	v_add_f32_e32 v3, v3, v115
	v_mul_f32_e32 v5, v67, v5
	v_fmac_f32_e32 v117, v93, v50
	v_add_f32_e32 v18, v18, v21
	v_add_f32_e32 v3, v3, v116
	;; [unrolled: 1-line block ×4, first 2 shown]
	v_fma_f32 v3, v66, v4, -v5
	v_add_f32_e32 v2, v2, v3
	v_mul_f32_e32 v3, v69, v7
	v_fma_f32 v3, v68, v6, -v3
	v_add_f32_e32 v2, v2, v3
	v_mul_f32_e32 v3, v71, v9
	;; [unrolled: 3-line block ×12, first 2 shown]
	v_mul_f32_e32 v101, v94, v53
	v_fma_f32 v100, v94, v52, -v2
	s_waitcnt vmcnt(5) lgkmcnt(0)
	v_mul_f32_e32 v2, v97, v47
	v_mov_b32_e32 v22, v49
	v_mul_f32_e32 v103, v96, v47
	v_fmac_f32_e32 v101, v95, v52
	v_fma_f32 v102, v96, v46, -v2
	ds_read_b128 v[2:5], v82 offset:608
	ds_read_b128 v[6:9], v82 offset:624
	;; [unrolled: 1-line block ×3, first 2 shown]
	ds_read_b64 v[20:21], v82 offset:656
	v_pk_mul_f32 v[22:23], v[98:99], v[22:23] op_sel:[1,0] op_sel_hi:[0,0]
	v_fmac_f32_e32 v103, v97, v46
	v_pk_add_f32 v[18:19], v[18:19], v[100:101]
	v_pk_fma_f32 v[24:25], v[98:99], v[48:49], v[22:23] neg_lo:[0,0,1] neg_hi:[0,0,1]
	v_pk_fma_f32 v[22:23], v[98:99], v[48:49], v[22:23] op_sel_hi:[1,0,1]
	v_pk_add_f32 v[18:19], v[18:19], v[102:103]
	v_mov_b32_e32 v25, v23
	s_waitcnt vmcnt(4) lgkmcnt(3)
	v_pk_mul_f32 v[22:23], v[2:3], v[42:43] op_sel:[1,1] op_sel_hi:[0,1]
	v_pk_add_f32 v[18:19], v[18:19], v[24:25]
	v_pk_fma_f32 v[24:25], v[2:3], v[42:43], v[22:23] neg_lo:[0,0,1] neg_hi:[0,0,1]
	v_pk_fma_f32 v[2:3], v[2:3], v[42:43], v[22:23] op_sel_hi:[1,0,1]
	s_nop 0
	v_mov_b32_e32 v25, v3
	v_pk_add_f32 v[2:3], v[18:19], v[24:25]
	v_mov_b32_e32 v18, v45
	v_pk_mul_f32 v[18:19], v[4:5], v[18:19] op_sel:[1,0] op_sel_hi:[0,0]
	v_pk_fma_f32 v[22:23], v[4:5], v[44:45], v[18:19] neg_lo:[0,0,1] neg_hi:[0,0,1]
	v_pk_fma_f32 v[4:5], v[4:5], v[44:45], v[18:19] op_sel_hi:[1,0,1]
	s_nop 0
	v_mov_b32_e32 v23, v5
	s_waitcnt vmcnt(3) lgkmcnt(2)
	v_pk_mul_f32 v[4:5], v[6:7], v[26:27] op_sel:[1,1] op_sel_hi:[0,1]
	v_pk_fma_f32 v[18:19], v[6:7], v[26:27], v[4:5] neg_lo:[0,0,1] neg_hi:[0,0,1]
	v_pk_fma_f32 v[4:5], v[6:7], v[26:27], v[4:5] op_sel_hi:[1,0,1]
	v_pk_add_f32 v[2:3], v[2:3], v[22:23]
	v_mov_b32_e32 v4, v29
	v_mov_b32_e32 v19, v5
	v_pk_mul_f32 v[4:5], v[8:9], v[4:5] op_sel:[1,0] op_sel_hi:[0,0]
	v_pk_fma_f32 v[6:7], v[8:9], v[28:29], v[4:5] neg_lo:[0,0,1] neg_hi:[0,0,1]
	v_pk_fma_f32 v[4:5], v[8:9], v[28:29], v[4:5] op_sel_hi:[1,0,1]
	v_pk_add_f32 v[2:3], v[2:3], v[18:19]
	v_mov_b32_e32 v7, v5
	s_waitcnt vmcnt(2) lgkmcnt(1)
	v_pk_mul_f32 v[4:5], v[14:15], v[10:11] op_sel:[1,1] op_sel_hi:[0,1]
	v_pk_add_f32 v[2:3], v[2:3], v[6:7]
	v_pk_fma_f32 v[6:7], v[14:15], v[10:11], v[4:5] neg_lo:[0,0,1] neg_hi:[0,0,1]
	v_pk_fma_f32 v[4:5], v[14:15], v[10:11], v[4:5] op_sel_hi:[1,0,1]
	s_nop 0
	v_mov_b32_e32 v4, v13
	v_mov_b32_e32 v7, v5
	v_pk_mul_f32 v[4:5], v[16:17], v[4:5] op_sel:[1,0] op_sel_hi:[0,0]
	v_pk_add_f32 v[2:3], v[2:3], v[6:7]
	v_pk_fma_f32 v[6:7], v[16:17], v[12:13], v[4:5] neg_lo:[0,0,1] neg_hi:[0,0,1]
	v_pk_fma_f32 v[4:5], v[16:17], v[12:13], v[4:5] op_sel_hi:[1,0,1]
	s_nop 0
	v_mov_b32_e32 v7, v5
	s_waitcnt vmcnt(1) lgkmcnt(0)
	v_pk_mul_f32 v[4:5], v[20:21], v[54:55] op_sel:[1,1] op_sel_hi:[0,1]
	v_pk_add_f32 v[2:3], v[2:3], v[6:7]
	v_pk_fma_f32 v[6:7], v[20:21], v[54:55], v[4:5] neg_lo:[0,0,1] neg_hi:[0,0,1]
	v_pk_fma_f32 v[4:5], v[20:21], v[54:55], v[4:5] op_sel_hi:[1,0,1]
	s_nop 0
	v_mov_b32_e32 v7, v5
	v_pk_add_f32 v[2:3], v[2:3], v[6:7]
	s_waitcnt vmcnt(0)
	v_pk_add_f32 v[2:3], v[80:81], v[2:3] neg_lo:[0,1] neg_hi:[0,1]
	scratch_store_dwordx2 off, v[2:3], off offset:104
	s_and_saveexec_b64 s[0:1], vcc
	s_cbranch_execz .LBB40_235
; %bb.234:
	scratch_load_dwordx2 v[2:3], off, off offset:96
	v_mov_b32_e32 v83, v82
	scratch_store_dwordx2 off, v[82:83], off offset:96
	s_waitcnt vmcnt(1)
	ds_write_b64 v1, v[2:3]
.LBB40_235:
	s_or_b64 exec, exec, s[0:1]
	s_waitcnt lgkmcnt(0)
	; wave barrier
	scratch_load_dwordx4 v[10:13], off, off offset:104
	scratch_load_dwordx4 v[26:29], off, off offset:120
	;; [unrolled: 1-line block ×10, first 2 shown]
	ds_read2_b64 v[84:87], v82 offset0:55 offset1:56
	ds_read2_b64 v[88:91], v82 offset0:57 offset1:58
	;; [unrolled: 1-line block ×10, first 2 shown]
	scratch_load_dwordx4 v[54:57], off, off offset:264
	scratch_load_dwordx4 v[46:49], off, off offset:280
	;; [unrolled: 1-line block ×4, first 2 shown]
	scratch_load_dwordx2 v[100:101], off, off offset:96
	v_cmp_lt_u32_e32 vcc, 11, v0
	s_waitcnt vmcnt(14) lgkmcnt(9)
	v_mul_f32_e32 v83, v84, v11
	v_mul_f32_e32 v102, v86, v13
	s_waitcnt vmcnt(12) lgkmcnt(7)
	v_mul_f32_e32 v107, v92, v3
	v_mul_f32_e32 v3, v93, v3
	v_fmac_f32_e32 v83, v85, v10
	v_mul_f32_e32 v104, v88, v27
	v_fmac_f32_e32 v102, v87, v12
	v_fmac_f32_e32 v107, v93, v2
	v_fma_f32 v2, v92, v2, -v3
	v_add_f32_e32 v3, 0, v83
	v_mul_f32_e32 v106, v90, v29
	v_fmac_f32_e32 v104, v89, v26
	v_add_f32_e32 v3, v3, v102
	v_fmac_f32_e32 v106, v91, v28
	v_add_f32_e32 v3, v3, v104
	v_mul_f32_e32 v108, v94, v5
	v_add_f32_e32 v3, v3, v106
	s_waitcnt vmcnt(11) lgkmcnt(6)
	v_mul_f32_e32 v109, v96, v7
	v_fmac_f32_e32 v108, v95, v4
	v_add_f32_e32 v3, v3, v107
	v_mul_f32_e32 v110, v98, v9
	v_fmac_f32_e32 v109, v97, v6
	v_add_f32_e32 v3, v3, v108
	s_waitcnt vmcnt(10) lgkmcnt(5)
	v_mul_f32_e32 v111, v78, v15
	v_fmac_f32_e32 v110, v99, v8
	v_add_f32_e32 v3, v3, v109
	v_mul_f32_e32 v112, v80, v17
	v_fmac_f32_e32 v111, v79, v14
	;; [unrolled: 7-line block ×4, first 2 shown]
	v_add_f32_e32 v3, v3, v114
	s_waitcnt vmcnt(7) lgkmcnt(2)
	v_mul_f32_e32 v117, v66, v39
	v_mul_f32_e32 v11, v85, v11
	v_fmac_f32_e32 v116, v73, v32
	v_add_f32_e32 v3, v3, v115
	v_mul_f32_e32 v118, v68, v41
	v_mul_f32_e32 v13, v87, v13
	v_fmac_f32_e32 v117, v67, v38
	v_fma_f32 v10, v84, v10, -v11
	v_add_f32_e32 v3, v3, v116
	s_waitcnt vmcnt(6) lgkmcnt(1)
	v_mul_f32_e32 v119, v62, v43
	v_mul_f32_e32 v27, v89, v27
	v_fmac_f32_e32 v118, v69, v40
	v_fma_f32 v11, v86, v12, -v13
	v_add_f32_e32 v10, 0, v10
	v_add_f32_e32 v3, v3, v117
	v_mul_f32_e32 v202, v64, v45
	v_mul_f32_e32 v29, v91, v29
	v_fmac_f32_e32 v119, v63, v42
	v_fma_f32 v12, v88, v26, -v27
	v_add_f32_e32 v10, v10, v11
	v_add_f32_e32 v3, v3, v118
	v_fmac_f32_e32 v202, v65, v44
	v_fma_f32 v13, v90, v28, -v29
	v_add_f32_e32 v10, v10, v12
	v_add_f32_e32 v3, v3, v119
	v_add_f32_e32 v10, v10, v13
	v_add_f32_e32 v27, v3, v202
	v_mul_f32_e32 v3, v95, v5
	v_add_f32_e32 v2, v10, v2
	v_fma_f32 v3, v94, v4, -v3
	v_add_f32_e32 v2, v2, v3
	v_mul_f32_e32 v3, v97, v7
	v_fma_f32 v3, v96, v6, -v3
	v_add_f32_e32 v2, v2, v3
	v_mul_f32_e32 v3, v99, v9
	v_fma_f32 v3, v98, v8, -v3
	v_add_f32_e32 v2, v2, v3
	v_mul_f32_e32 v3, v79, v15
	v_fma_f32 v3, v78, v14, -v3
	v_add_f32_e32 v2, v2, v3
	v_mul_f32_e32 v3, v81, v17
	v_fma_f32 v3, v80, v16, -v3
	v_add_f32_e32 v2, v2, v3
	v_mul_f32_e32 v3, v75, v23
	v_fma_f32 v3, v74, v22, -v3
	v_add_f32_e32 v2, v2, v3
	v_mul_f32_e32 v3, v77, v25
	v_fma_f32 v3, v76, v24, -v3
	v_add_f32_e32 v2, v2, v3
	v_mul_f32_e32 v3, v71, v31
	v_fma_f32 v3, v70, v30, -v3
	v_add_f32_e32 v2, v2, v3
	v_mul_f32_e32 v3, v73, v33
	v_fma_f32 v3, v72, v32, -v3
	v_add_f32_e32 v2, v2, v3
	v_mul_f32_e32 v3, v67, v39
	v_fma_f32 v3, v66, v38, -v3
	v_add_f32_e32 v2, v2, v3
	v_mul_f32_e32 v3, v69, v41
	v_fma_f32 v3, v68, v40, -v3
	v_add_f32_e32 v2, v2, v3
	v_mul_f32_e32 v3, v63, v43
	v_fma_f32 v3, v62, v42, -v3
	v_add_f32_e32 v2, v2, v3
	v_mul_f32_e32 v3, v65, v45
	v_fma_f32 v3, v64, v44, -v3
	v_add_f32_e32 v26, v2, v3
	s_waitcnt vmcnt(5) lgkmcnt(0)
	v_mul_f32_e32 v2, v59, v51
	v_fma_f32 v102, v58, v50, -v2
	v_mul_f32_e32 v2, v61, v53
	v_fma_f32 v104, v60, v52, -v2
	ds_read2_b64 v[2:5], v82 offset0:75 offset1:76
	ds_read2_b64 v[6:9], v82 offset0:77 offset1:78
	;; [unrolled: 1-line block ×4, first 2 shown]
	v_mul_f32_e32 v103, v58, v51
	v_mul_f32_e32 v105, v60, v53
	v_fmac_f32_e32 v103, v59, v50
	s_waitcnt vmcnt(4) lgkmcnt(3)
	v_pk_mul_f32 v[24:25], v[2:3], v[54:55] op_sel:[1,1] op_sel_hi:[0,1]
	v_fmac_f32_e32 v105, v61, v52
	v_pk_add_f32 v[22:23], v[26:27], v[102:103]
	v_pk_fma_f32 v[26:27], v[2:3], v[54:55], v[24:25] neg_lo:[0,0,1] neg_hi:[0,0,1]
	v_pk_fma_f32 v[2:3], v[2:3], v[54:55], v[24:25] op_sel_hi:[1,0,1]
	v_pk_add_f32 v[22:23], v[22:23], v[104:105]
	v_mov_b32_e32 v27, v3
	v_pk_add_f32 v[2:3], v[22:23], v[26:27]
	v_mov_b32_e32 v22, v57
	v_pk_mul_f32 v[22:23], v[4:5], v[22:23] op_sel:[1,0] op_sel_hi:[0,0]
	v_pk_fma_f32 v[24:25], v[4:5], v[56:57], v[22:23] neg_lo:[0,0,1] neg_hi:[0,0,1]
	v_pk_fma_f32 v[4:5], v[4:5], v[56:57], v[22:23] op_sel_hi:[1,0,1]
	s_nop 0
	v_mov_b32_e32 v25, v5
	s_waitcnt vmcnt(3) lgkmcnt(2)
	v_pk_mul_f32 v[4:5], v[6:7], v[46:47] op_sel:[1,1] op_sel_hi:[0,1]
	v_pk_fma_f32 v[22:23], v[6:7], v[46:47], v[4:5] neg_lo:[0,0,1] neg_hi:[0,0,1]
	v_pk_fma_f32 v[4:5], v[6:7], v[46:47], v[4:5] op_sel_hi:[1,0,1]
	v_pk_add_f32 v[2:3], v[2:3], v[24:25]
	v_mov_b32_e32 v4, v49
	v_mov_b32_e32 v23, v5
	v_pk_mul_f32 v[4:5], v[8:9], v[4:5] op_sel:[1,0] op_sel_hi:[0,0]
	v_pk_fma_f32 v[6:7], v[8:9], v[48:49], v[4:5] neg_lo:[0,0,1] neg_hi:[0,0,1]
	v_pk_fma_f32 v[4:5], v[8:9], v[48:49], v[4:5] op_sel_hi:[1,0,1]
	v_pk_add_f32 v[2:3], v[2:3], v[22:23]
	v_mov_b32_e32 v7, v5
	s_waitcnt vmcnt(2) lgkmcnt(1)
	v_pk_mul_f32 v[4:5], v[10:11], v[34:35] op_sel:[1,1] op_sel_hi:[0,1]
	v_pk_add_f32 v[2:3], v[2:3], v[6:7]
	v_pk_fma_f32 v[6:7], v[10:11], v[34:35], v[4:5] neg_lo:[0,0,1] neg_hi:[0,0,1]
	v_pk_fma_f32 v[4:5], v[10:11], v[34:35], v[4:5] op_sel_hi:[1,0,1]
	s_nop 0
	v_mov_b32_e32 v4, v37
	v_mov_b32_e32 v7, v5
	v_pk_mul_f32 v[4:5], v[12:13], v[4:5] op_sel:[1,0] op_sel_hi:[0,0]
	v_pk_add_f32 v[2:3], v[2:3], v[6:7]
	v_pk_fma_f32 v[6:7], v[12:13], v[36:37], v[4:5] neg_lo:[0,0,1] neg_hi:[0,0,1]
	v_pk_fma_f32 v[4:5], v[12:13], v[36:37], v[4:5] op_sel_hi:[1,0,1]
	s_nop 0
	v_mov_b32_e32 v7, v5
	s_waitcnt vmcnt(1) lgkmcnt(0)
	v_pk_mul_f32 v[4:5], v[14:15], v[18:19] op_sel:[1,1] op_sel_hi:[0,1]
	v_pk_add_f32 v[2:3], v[2:3], v[6:7]
	v_pk_fma_f32 v[6:7], v[14:15], v[18:19], v[4:5] neg_lo:[0,0,1] neg_hi:[0,0,1]
	v_pk_fma_f32 v[4:5], v[14:15], v[18:19], v[4:5] op_sel_hi:[1,0,1]
	s_nop 0
	v_mov_b32_e32 v4, v21
	v_mov_b32_e32 v7, v5
	v_pk_mul_f32 v[4:5], v[16:17], v[4:5] op_sel:[1,0] op_sel_hi:[0,0]
	v_pk_add_f32 v[2:3], v[2:3], v[6:7]
	v_pk_fma_f32 v[6:7], v[16:17], v[20:21], v[4:5] neg_lo:[0,0,1] neg_hi:[0,0,1]
	v_pk_fma_f32 v[4:5], v[16:17], v[20:21], v[4:5] op_sel_hi:[1,0,1]
	s_nop 0
	v_mov_b32_e32 v7, v5
	v_pk_add_f32 v[2:3], v[2:3], v[6:7]
	s_waitcnt vmcnt(0)
	v_pk_add_f32 v[2:3], v[100:101], v[2:3] neg_lo:[0,1] neg_hi:[0,1]
	scratch_store_dwordx2 off, v[2:3], off offset:96
	s_and_saveexec_b64 s[0:1], vcc
	s_cbranch_execz .LBB40_237
; %bb.236:
	scratch_load_dwordx2 v[2:3], off, off offset:88
	v_mov_b32_e32 v4, 0
	v_mov_b32_e32 v5, v4
	scratch_store_dwordx2 off, v[4:5], off offset:88
	s_waitcnt vmcnt(1)
	ds_write_b64 v1, v[2:3]
.LBB40_237:
	s_or_b64 exec, exec, s[0:1]
	s_waitcnt lgkmcnt(0)
	; wave barrier
	scratch_load_dwordx4 v[26:29], off, off offset:96
	scratch_load_dwordx4 v[2:5], off, off offset:112
	;; [unrolled: 1-line block ×14, first 2 shown]
	scratch_load_dwordx2 v[58:59], off, off offset:320
	scratch_load_dwordx2 v[100:101], off, off offset:88
	v_mov_b32_e32 v102, 0
	ds_read_b128 v[60:63], v102 offset:432
	ds_read_b128 v[64:67], v102 offset:448
	ds_read_b128 v[68:71], v102 offset:464
	ds_read_b128 v[72:75], v102 offset:480
	ds_read_b128 v[76:79], v102 offset:496
	ds_read_b128 v[80:83], v102 offset:512
	ds_read_b128 v[84:87], v102 offset:528
	ds_read_b128 v[88:91], v102 offset:544
	ds_read_b128 v[92:95], v102 offset:560
	ds_read_b128 v[96:99], v102 offset:576
	ds_read_b128 v[104:107], v102 offset:592
	ds_read_b128 v[108:111], v102 offset:608
	v_cmp_lt_u32_e32 vcc, 10, v0
	s_waitcnt vmcnt(15) lgkmcnt(11)
	v_mul_f32_e32 v103, v60, v27
	v_mul_f32_e32 v112, v62, v29
	s_waitcnt vmcnt(14) lgkmcnt(10)
	v_mul_f32_e32 v114, v64, v3
	v_mul_f32_e32 v3, v65, v3
	v_fmac_f32_e32 v103, v61, v26
	v_fmac_f32_e32 v112, v63, v28
	v_fmac_f32_e32 v114, v65, v2
	v_fma_f32 v2, v64, v2, -v3
	v_add_f32_e32 v3, 0, v103
	v_mul_f32_e32 v116, v66, v5
	v_add_f32_e32 v3, v3, v112
	s_waitcnt vmcnt(13) lgkmcnt(9)
	v_mul_f32_e32 v117, v68, v7
	v_fmac_f32_e32 v116, v67, v4
	v_add_f32_e32 v3, v3, v114
	v_mul_f32_e32 v118, v70, v9
	v_fmac_f32_e32 v117, v69, v6
	v_add_f32_e32 v3, v3, v116
	s_waitcnt vmcnt(12) lgkmcnt(8)
	v_mul_f32_e32 v119, v72, v11
	v_fmac_f32_e32 v118, v71, v8
	v_add_f32_e32 v3, v3, v117
	v_mul_f32_e32 v202, v74, v13
	v_fmac_f32_e32 v119, v73, v10
	;; [unrolled: 7-line block ×6, first 2 shown]
	v_add_f32_e32 v3, v3, v208
	s_waitcnt vmcnt(7) lgkmcnt(3)
	v_mul_f32_e32 v211, v92, v43
	v_fmac_f32_e32 v210, v91, v40
	v_add_f32_e32 v3, v3, v209
	v_mul_f32_e32 v212, v94, v45
	v_mul_f32_e32 v27, v61, v27
	v_fmac_f32_e32 v211, v93, v42
	v_add_f32_e32 v3, v3, v210
	s_waitcnt vmcnt(6) lgkmcnt(2)
	v_mul_f32_e32 v213, v96, v51
	v_mul_f32_e32 v29, v63, v29
	v_fmac_f32_e32 v212, v95, v44
	v_fma_f32 v26, v60, v26, -v27
	v_add_f32_e32 v3, v3, v211
	v_fmac_f32_e32 v213, v97, v50
	v_fma_f32 v27, v62, v28, -v29
	v_add_f32_e32 v26, 0, v26
	v_add_f32_e32 v3, v3, v212
	;; [unrolled: 1-line block ×4, first 2 shown]
	v_mul_f32_e32 v3, v67, v5
	v_add_f32_e32 v2, v26, v2
	v_fma_f32 v3, v66, v4, -v3
	v_add_f32_e32 v2, v2, v3
	v_mul_f32_e32 v3, v69, v7
	v_fma_f32 v3, v68, v6, -v3
	v_add_f32_e32 v2, v2, v3
	v_mul_f32_e32 v3, v71, v9
	;; [unrolled: 3-line block ×15, first 2 shown]
	v_fma_f32 v3, v96, v50, -v3
	v_mul_f32_e32 v113, v98, v53
	v_add_f32_e32 v26, v2, v3
	v_mul_f32_e32 v2, v99, v53
	s_waitcnt vmcnt(5)
	v_mov_b32_e32 v14, v57
	s_waitcnt lgkmcnt(1)
	v_mul_f32_e32 v115, v104, v55
	v_fmac_f32_e32 v113, v99, v52
	v_fma_f32 v112, v98, v52, -v2
	v_mul_f32_e32 v2, v105, v55
	v_pk_mul_f32 v[14:15], v[106:107], v[14:15] op_sel:[1,0] op_sel_hi:[0,0]
	v_fmac_f32_e32 v115, v105, v54
	v_fma_f32 v114, v104, v54, -v2
	v_pk_add_f32 v[12:13], v[26:27], v[112:113]
	v_pk_fma_f32 v[16:17], v[106:107], v[56:57], v[14:15] neg_lo:[0,0,1] neg_hi:[0,0,1]
	v_pk_fma_f32 v[14:15], v[106:107], v[56:57], v[14:15] op_sel_hi:[1,0,1]
	v_pk_add_f32 v[12:13], v[12:13], v[114:115]
	v_mov_b32_e32 v17, v15
	s_waitcnt vmcnt(4) lgkmcnt(0)
	v_pk_mul_f32 v[14:15], v[108:109], v[46:47] op_sel:[1,1] op_sel_hi:[0,1]
	v_pk_add_f32 v[12:13], v[12:13], v[16:17]
	v_pk_fma_f32 v[16:17], v[108:109], v[46:47], v[14:15] neg_lo:[0,0,1] neg_hi:[0,0,1]
	v_pk_fma_f32 v[14:15], v[108:109], v[46:47], v[14:15] op_sel_hi:[1,0,1]
	ds_read_b128 v[2:5], v102 offset:624
	ds_read_b128 v[6:9], v102 offset:640
	ds_read_b64 v[10:11], v102 offset:656
	v_mov_b32_e32 v14, v49
	v_mov_b32_e32 v17, v15
	v_pk_mul_f32 v[14:15], v[110:111], v[14:15] op_sel:[1,0] op_sel_hi:[0,0]
	v_pk_add_f32 v[12:13], v[12:13], v[16:17]
	v_pk_fma_f32 v[16:17], v[110:111], v[48:49], v[14:15] neg_lo:[0,0,1] neg_hi:[0,0,1]
	v_pk_fma_f32 v[14:15], v[110:111], v[48:49], v[14:15] op_sel_hi:[1,0,1]
	s_nop 0
	v_mov_b32_e32 v17, v15
	s_waitcnt vmcnt(3) lgkmcnt(2)
	v_pk_mul_f32 v[14:15], v[2:3], v[34:35] op_sel:[1,1] op_sel_hi:[0,1]
	v_pk_add_f32 v[12:13], v[12:13], v[16:17]
	v_pk_fma_f32 v[16:17], v[2:3], v[34:35], v[14:15] neg_lo:[0,0,1] neg_hi:[0,0,1]
	v_pk_fma_f32 v[2:3], v[2:3], v[34:35], v[14:15] op_sel_hi:[1,0,1]
	s_nop 0
	v_mov_b32_e32 v17, v3
	v_pk_add_f32 v[2:3], v[12:13], v[16:17]
	v_mov_b32_e32 v12, v37
	v_pk_mul_f32 v[12:13], v[4:5], v[12:13] op_sel:[1,0] op_sel_hi:[0,0]
	v_pk_fma_f32 v[14:15], v[4:5], v[36:37], v[12:13] neg_lo:[0,0,1] neg_hi:[0,0,1]
	v_pk_fma_f32 v[4:5], v[4:5], v[36:37], v[12:13] op_sel_hi:[1,0,1]
	s_nop 0
	v_mov_b32_e32 v15, v5
	s_waitcnt vmcnt(2) lgkmcnt(1)
	v_pk_mul_f32 v[4:5], v[6:7], v[18:19] op_sel:[1,1] op_sel_hi:[0,1]
	v_pk_fma_f32 v[12:13], v[6:7], v[18:19], v[4:5] neg_lo:[0,0,1] neg_hi:[0,0,1]
	v_pk_fma_f32 v[4:5], v[6:7], v[18:19], v[4:5] op_sel_hi:[1,0,1]
	v_pk_add_f32 v[2:3], v[2:3], v[14:15]
	v_mov_b32_e32 v4, v21
	v_mov_b32_e32 v13, v5
	v_pk_mul_f32 v[4:5], v[8:9], v[4:5] op_sel:[1,0] op_sel_hi:[0,0]
	v_pk_fma_f32 v[6:7], v[8:9], v[20:21], v[4:5] neg_lo:[0,0,1] neg_hi:[0,0,1]
	v_pk_fma_f32 v[4:5], v[8:9], v[20:21], v[4:5] op_sel_hi:[1,0,1]
	v_pk_add_f32 v[2:3], v[2:3], v[12:13]
	v_mov_b32_e32 v7, v5
	s_waitcnt vmcnt(1) lgkmcnt(0)
	v_pk_mul_f32 v[4:5], v[10:11], v[58:59] op_sel:[1,1] op_sel_hi:[0,1]
	v_pk_add_f32 v[2:3], v[2:3], v[6:7]
	v_pk_fma_f32 v[6:7], v[10:11], v[58:59], v[4:5] neg_lo:[0,0,1] neg_hi:[0,0,1]
	v_pk_fma_f32 v[4:5], v[10:11], v[58:59], v[4:5] op_sel_hi:[1,0,1]
	s_nop 0
	v_mov_b32_e32 v7, v5
	v_pk_add_f32 v[2:3], v[2:3], v[6:7]
	s_waitcnt vmcnt(0)
	v_pk_add_f32 v[2:3], v[100:101], v[2:3] neg_lo:[0,1] neg_hi:[0,1]
	scratch_store_dwordx2 off, v[2:3], off offset:88
	s_and_saveexec_b64 s[0:1], vcc
	s_cbranch_execz .LBB40_239
; %bb.238:
	scratch_load_dwordx2 v[2:3], off, off offset:80
	v_mov_b32_e32 v103, v102
	scratch_store_dwordx2 off, v[102:103], off offset:80
	s_waitcnt vmcnt(1)
	ds_write_b64 v1, v[2:3]
.LBB40_239:
	s_or_b64 exec, exec, s[0:1]
	s_waitcnt lgkmcnt(0)
	; wave barrier
	scratch_load_dwordx4 v[18:21], off, off offset:88
	scratch_load_dwordx4 v[2:5], off, off offset:104
	;; [unrolled: 1-line block ×11, first 2 shown]
	ds_read2_b64 v[104:107], v102 offset0:53 offset1:54
	ds_read2_b64 v[98:101], v102 offset0:55 offset1:56
	ds_read2_b64 v[94:97], v102 offset0:57 offset1:58
	ds_read2_b64 v[90:93], v102 offset0:59 offset1:60
	ds_read2_b64 v[86:89], v102 offset0:61 offset1:62
	ds_read2_b64 v[82:85], v102 offset0:63 offset1:64
	ds_read2_b64 v[74:77], v102 offset0:65 offset1:66
	ds_read2_b64 v[70:73], v102 offset0:67 offset1:68
	ds_read2_b64 v[66:69], v102 offset0:69 offset1:70
	ds_read2_b64 v[62:65], v102 offset0:71 offset1:72
	scratch_load_dwordx4 v[58:61], off, off offset:264
	scratch_load_dwordx4 v[50:53], off, off offset:280
	;; [unrolled: 1-line block ×4, first 2 shown]
	ds_read2_b64 v[78:81], v102 offset0:73 offset1:74
	ds_read2_b64 v[108:111], v102 offset0:75 offset1:76
	scratch_load_dwordx2 v[112:113], off, off offset:80
	v_cmp_lt_u32_e32 vcc, 9, v0
	s_waitcnt vmcnt(15) lgkmcnt(11)
	v_mul_f32_e32 v103, v104, v19
	v_mul_f32_e32 v114, v106, v21
	s_waitcnt vmcnt(14) lgkmcnt(10)
	v_mul_f32_e32 v116, v98, v3
	v_mul_f32_e32 v3, v99, v3
	v_fmac_f32_e32 v103, v105, v18
	v_fmac_f32_e32 v114, v107, v20
	;; [unrolled: 1-line block ×3, first 2 shown]
	v_fma_f32 v2, v98, v2, -v3
	v_add_f32_e32 v3, 0, v103
	v_mul_f32_e32 v118, v100, v5
	v_add_f32_e32 v3, v3, v114
	s_waitcnt vmcnt(13) lgkmcnt(9)
	v_mul_f32_e32 v119, v94, v7
	v_fmac_f32_e32 v118, v101, v4
	v_add_f32_e32 v3, v3, v116
	v_mul_f32_e32 v202, v96, v9
	v_fmac_f32_e32 v119, v95, v6
	v_add_f32_e32 v3, v3, v118
	s_waitcnt vmcnt(12) lgkmcnt(8)
	v_mul_f32_e32 v203, v90, v11
	v_fmac_f32_e32 v202, v97, v8
	v_add_f32_e32 v3, v3, v119
	v_mul_f32_e32 v204, v92, v13
	v_fmac_f32_e32 v203, v91, v10
	;; [unrolled: 7-line block ×7, first 2 shown]
	v_add_f32_e32 v3, v3, v212
	s_waitcnt vmcnt(6) lgkmcnt(2)
	v_mul_f32_e32 v215, v62, v47
	v_mul_f32_e32 v19, v105, v19
	v_fmac_f32_e32 v214, v69, v44
	v_add_f32_e32 v3, v3, v213
	v_mul_f32_e32 v216, v64, v49
	v_mul_f32_e32 v21, v107, v21
	v_fmac_f32_e32 v215, v63, v46
	v_fma_f32 v18, v104, v18, -v19
	v_add_f32_e32 v3, v3, v214
	v_fmac_f32_e32 v216, v65, v48
	v_fma_f32 v19, v106, v20, -v21
	v_add_f32_e32 v18, 0, v18
	v_add_f32_e32 v3, v3, v215
	;; [unrolled: 1-line block ×4, first 2 shown]
	v_mul_f32_e32 v3, v101, v5
	v_add_f32_e32 v2, v18, v2
	v_fma_f32 v3, v100, v4, -v3
	v_add_f32_e32 v2, v2, v3
	v_mul_f32_e32 v3, v95, v7
	v_fma_f32 v3, v94, v6, -v3
	v_add_f32_e32 v2, v2, v3
	v_mul_f32_e32 v3, v97, v9
	;; [unrolled: 3-line block ×16, first 2 shown]
	v_fma_f32 v3, v64, v48, -v3
	s_waitcnt vmcnt(5) lgkmcnt(1)
	v_mul_f32_e32 v115, v78, v55
	v_add_f32_e32 v18, v2, v3
	v_mul_f32_e32 v2, v79, v55
	v_fmac_f32_e32 v115, v79, v54
	v_fma_f32 v114, v78, v54, -v2
	s_waitcnt vmcnt(4) lgkmcnt(0)
	v_pk_mul_f32 v[16:17], v[108:109], v[58:59] op_sel:[1,1] op_sel_hi:[0,1]
	v_mul_f32_e32 v117, v80, v57
	v_mul_f32_e32 v2, v81, v57
	v_pk_add_f32 v[14:15], v[18:19], v[114:115]
	v_pk_fma_f32 v[18:19], v[108:109], v[58:59], v[16:17] neg_lo:[0,0,1] neg_hi:[0,0,1]
	v_pk_fma_f32 v[16:17], v[108:109], v[58:59], v[16:17] op_sel_hi:[1,0,1]
	v_fmac_f32_e32 v117, v81, v56
	v_fma_f32 v116, v80, v56, -v2
	ds_read2_b64 v[2:5], v102 offset0:77 offset1:78
	ds_read2_b64 v[6:9], v102 offset0:79 offset1:80
	ds_read2_b64 v[10:13], v102 offset0:81 offset1:82
	v_mov_b32_e32 v16, v61
	v_pk_add_f32 v[14:15], v[14:15], v[116:117]
	v_mov_b32_e32 v19, v17
	v_pk_mul_f32 v[16:17], v[110:111], v[16:17] op_sel:[1,0] op_sel_hi:[0,0]
	v_pk_add_f32 v[14:15], v[14:15], v[18:19]
	v_pk_fma_f32 v[18:19], v[110:111], v[60:61], v[16:17] neg_lo:[0,0,1] neg_hi:[0,0,1]
	v_pk_fma_f32 v[16:17], v[110:111], v[60:61], v[16:17] op_sel_hi:[1,0,1]
	s_nop 0
	v_mov_b32_e32 v19, v17
	s_waitcnt vmcnt(3) lgkmcnt(2)
	v_pk_mul_f32 v[16:17], v[2:3], v[50:51] op_sel:[1,1] op_sel_hi:[0,1]
	v_pk_add_f32 v[14:15], v[14:15], v[18:19]
	v_pk_fma_f32 v[18:19], v[2:3], v[50:51], v[16:17] neg_lo:[0,0,1] neg_hi:[0,0,1]
	v_pk_fma_f32 v[2:3], v[2:3], v[50:51], v[16:17] op_sel_hi:[1,0,1]
	s_nop 0
	v_mov_b32_e32 v19, v3
	v_pk_add_f32 v[2:3], v[14:15], v[18:19]
	v_mov_b32_e32 v14, v53
	v_pk_mul_f32 v[14:15], v[4:5], v[14:15] op_sel:[1,0] op_sel_hi:[0,0]
	v_pk_fma_f32 v[16:17], v[4:5], v[52:53], v[14:15] neg_lo:[0,0,1] neg_hi:[0,0,1]
	v_pk_fma_f32 v[4:5], v[4:5], v[52:53], v[14:15] op_sel_hi:[1,0,1]
	s_nop 0
	v_mov_b32_e32 v17, v5
	s_waitcnt vmcnt(2) lgkmcnt(1)
	v_pk_mul_f32 v[4:5], v[6:7], v[38:39] op_sel:[1,1] op_sel_hi:[0,1]
	v_pk_fma_f32 v[14:15], v[6:7], v[38:39], v[4:5] neg_lo:[0,0,1] neg_hi:[0,0,1]
	v_pk_fma_f32 v[4:5], v[6:7], v[38:39], v[4:5] op_sel_hi:[1,0,1]
	v_pk_add_f32 v[2:3], v[2:3], v[16:17]
	v_mov_b32_e32 v4, v41
	v_mov_b32_e32 v15, v5
	v_pk_mul_f32 v[4:5], v[8:9], v[4:5] op_sel:[1,0] op_sel_hi:[0,0]
	v_pk_fma_f32 v[6:7], v[8:9], v[40:41], v[4:5] neg_lo:[0,0,1] neg_hi:[0,0,1]
	v_pk_fma_f32 v[4:5], v[8:9], v[40:41], v[4:5] op_sel_hi:[1,0,1]
	v_pk_add_f32 v[2:3], v[2:3], v[14:15]
	v_mov_b32_e32 v7, v5
	s_waitcnt vmcnt(1) lgkmcnt(0)
	v_pk_mul_f32 v[4:5], v[10:11], v[26:27] op_sel:[1,1] op_sel_hi:[0,1]
	v_pk_add_f32 v[2:3], v[2:3], v[6:7]
	v_pk_fma_f32 v[6:7], v[10:11], v[26:27], v[4:5] neg_lo:[0,0,1] neg_hi:[0,0,1]
	v_pk_fma_f32 v[4:5], v[10:11], v[26:27], v[4:5] op_sel_hi:[1,0,1]
	s_nop 0
	v_mov_b32_e32 v4, v29
	v_mov_b32_e32 v7, v5
	v_pk_mul_f32 v[4:5], v[12:13], v[4:5] op_sel:[1,0] op_sel_hi:[0,0]
	v_pk_add_f32 v[2:3], v[2:3], v[6:7]
	v_pk_fma_f32 v[6:7], v[12:13], v[28:29], v[4:5] neg_lo:[0,0,1] neg_hi:[0,0,1]
	v_pk_fma_f32 v[4:5], v[12:13], v[28:29], v[4:5] op_sel_hi:[1,0,1]
	s_nop 0
	v_mov_b32_e32 v7, v5
	v_pk_add_f32 v[2:3], v[2:3], v[6:7]
	s_waitcnt vmcnt(0)
	v_pk_add_f32 v[2:3], v[112:113], v[2:3] neg_lo:[0,1] neg_hi:[0,1]
	scratch_store_dwordx2 off, v[2:3], off offset:80
	s_and_saveexec_b64 s[0:1], vcc
	s_cbranch_execz .LBB40_241
; %bb.240:
	scratch_load_dwordx2 v[2:3], off, off offset:72
	v_mov_b32_e32 v4, 0
	v_mov_b32_e32 v5, v4
	scratch_store_dwordx2 off, v[4:5], off offset:72
	s_waitcnt vmcnt(1)
	ds_write_b64 v1, v[2:3]
.LBB40_241:
	s_or_b64 exec, exec, s[0:1]
	s_waitcnt lgkmcnt(0)
	; wave barrier
	scratch_load_dwordx4 v[2:5], off, off offset:80
	scratch_load_dwordx4 v[6:9], off, off offset:96
	;; [unrolled: 1-line block ×15, first 2 shown]
	scratch_load_dwordx2 v[62:63], off, off offset:320
	scratch_load_dwordx2 v[112:113], off, off offset:72
	v_mov_b32_e32 v114, 0
	ds_read_b128 v[64:67], v114 offset:416
	ds_read_b128 v[68:71], v114 offset:432
	ds_read_b128 v[72:75], v114 offset:448
	ds_read_b128 v[76:79], v114 offset:464
	ds_read_b128 v[80:83], v114 offset:480
	ds_read_b128 v[84:87], v114 offset:496
	ds_read_b128 v[88:91], v114 offset:512
	ds_read_b128 v[92:95], v114 offset:528
	ds_read_b128 v[96:99], v114 offset:544
	ds_read_b128 v[100:103], v114 offset:560
	ds_read_b128 v[104:107], v114 offset:576
	ds_read_b128 v[108:111], v114 offset:592
	v_cmp_lt_u32_e32 vcc, 8, v0
	s_waitcnt vmcnt(16) lgkmcnt(11)
	v_mul_f32_e32 v115, v64, v3
	v_mul_f32_e32 v116, v66, v5
	;; [unrolled: 1-line block ×3, first 2 shown]
	v_fmac_f32_e32 v115, v65, v2
	s_waitcnt vmcnt(15) lgkmcnt(10)
	v_mul_f32_e32 v118, v68, v7
	v_fmac_f32_e32 v116, v67, v4
	v_fma_f32 v2, v64, v2, -v3
	v_add_f32_e32 v3, 0, v115
	v_mul_f32_e32 v202, v70, v9
	v_fmac_f32_e32 v118, v69, v6
	v_add_f32_e32 v3, v3, v116
	s_waitcnt vmcnt(14) lgkmcnt(9)
	v_mul_f32_e32 v203, v72, v11
	v_fmac_f32_e32 v202, v71, v8
	v_add_f32_e32 v3, v3, v118
	v_mul_f32_e32 v204, v74, v13
	v_fmac_f32_e32 v203, v73, v10
	v_add_f32_e32 v3, v3, v202
	s_waitcnt vmcnt(13) lgkmcnt(8)
	v_mul_f32_e32 v205, v76, v15
	v_fmac_f32_e32 v204, v75, v12
	;; [unrolled: 7-line block ×9, first 2 shown]
	v_add_f32_e32 v3, v3, v217
	v_mul_f32_e32 v5, v67, v5
	v_fmac_f32_e32 v219, v105, v58
	v_add_f32_e32 v3, v3, v218
	v_add_f32_e32 v2, 0, v2
	;; [unrolled: 1-line block ×3, first 2 shown]
	v_fma_f32 v3, v66, v4, -v5
	v_add_f32_e32 v2, v2, v3
	v_mul_f32_e32 v3, v69, v7
	v_fma_f32 v3, v68, v6, -v3
	v_add_f32_e32 v2, v2, v3
	v_mul_f32_e32 v3, v71, v9
	;; [unrolled: 3-line block ×20, first 2 shown]
	v_mul_f32_e32 v117, v106, v61
	v_fma_f32 v116, v106, v60, -v2
	s_waitcnt vmcnt(5) lgkmcnt(0)
	v_mul_f32_e32 v2, v109, v55
	v_mov_b32_e32 v18, v57
	v_mul_f32_e32 v119, v108, v55
	v_fmac_f32_e32 v117, v107, v60
	v_fma_f32 v118, v108, v54, -v2
	ds_read_b128 v[2:5], v114 offset:608
	ds_read_b128 v[6:9], v114 offset:624
	;; [unrolled: 1-line block ×3, first 2 shown]
	ds_read_b64 v[14:15], v114 offset:656
	v_pk_mul_f32 v[18:19], v[110:111], v[18:19] op_sel:[1,0] op_sel_hi:[0,0]
	v_fmac_f32_e32 v119, v109, v54
	v_pk_add_f32 v[16:17], v[64:65], v[116:117]
	v_pk_fma_f32 v[20:21], v[110:111], v[56:57], v[18:19] neg_lo:[0,0,1] neg_hi:[0,0,1]
	v_pk_fma_f32 v[18:19], v[110:111], v[56:57], v[18:19] op_sel_hi:[1,0,1]
	v_pk_add_f32 v[16:17], v[16:17], v[118:119]
	v_mov_b32_e32 v21, v19
	s_waitcnt vmcnt(4) lgkmcnt(3)
	v_pk_mul_f32 v[18:19], v[2:3], v[50:51] op_sel:[1,1] op_sel_hi:[0,1]
	v_pk_add_f32 v[16:17], v[16:17], v[20:21]
	v_pk_fma_f32 v[20:21], v[2:3], v[50:51], v[18:19] neg_lo:[0,0,1] neg_hi:[0,0,1]
	v_pk_fma_f32 v[2:3], v[2:3], v[50:51], v[18:19] op_sel_hi:[1,0,1]
	s_nop 0
	v_mov_b32_e32 v21, v3
	v_pk_add_f32 v[2:3], v[16:17], v[20:21]
	v_mov_b32_e32 v16, v53
	v_pk_mul_f32 v[16:17], v[4:5], v[16:17] op_sel:[1,0] op_sel_hi:[0,0]
	v_pk_fma_f32 v[18:19], v[4:5], v[52:53], v[16:17] neg_lo:[0,0,1] neg_hi:[0,0,1]
	v_pk_fma_f32 v[4:5], v[4:5], v[52:53], v[16:17] op_sel_hi:[1,0,1]
	s_nop 0
	v_mov_b32_e32 v19, v5
	s_waitcnt vmcnt(3) lgkmcnt(2)
	v_pk_mul_f32 v[4:5], v[6:7], v[38:39] op_sel:[1,1] op_sel_hi:[0,1]
	v_pk_fma_f32 v[16:17], v[6:7], v[38:39], v[4:5] neg_lo:[0,0,1] neg_hi:[0,0,1]
	v_pk_fma_f32 v[4:5], v[6:7], v[38:39], v[4:5] op_sel_hi:[1,0,1]
	v_pk_add_f32 v[2:3], v[2:3], v[18:19]
	v_mov_b32_e32 v4, v41
	v_mov_b32_e32 v17, v5
	v_pk_mul_f32 v[4:5], v[8:9], v[4:5] op_sel:[1,0] op_sel_hi:[0,0]
	v_pk_fma_f32 v[6:7], v[8:9], v[40:41], v[4:5] neg_lo:[0,0,1] neg_hi:[0,0,1]
	v_pk_fma_f32 v[4:5], v[8:9], v[40:41], v[4:5] op_sel_hi:[1,0,1]
	v_pk_add_f32 v[2:3], v[2:3], v[16:17]
	v_mov_b32_e32 v7, v5
	s_waitcnt vmcnt(2) lgkmcnt(1)
	v_pk_mul_f32 v[4:5], v[10:11], v[26:27] op_sel:[1,1] op_sel_hi:[0,1]
	v_pk_add_f32 v[2:3], v[2:3], v[6:7]
	v_pk_fma_f32 v[6:7], v[10:11], v[26:27], v[4:5] neg_lo:[0,0,1] neg_hi:[0,0,1]
	v_pk_fma_f32 v[4:5], v[10:11], v[26:27], v[4:5] op_sel_hi:[1,0,1]
	s_nop 0
	v_mov_b32_e32 v4, v29
	v_mov_b32_e32 v7, v5
	v_pk_mul_f32 v[4:5], v[12:13], v[4:5] op_sel:[1,0] op_sel_hi:[0,0]
	v_pk_add_f32 v[2:3], v[2:3], v[6:7]
	v_pk_fma_f32 v[6:7], v[12:13], v[28:29], v[4:5] neg_lo:[0,0,1] neg_hi:[0,0,1]
	v_pk_fma_f32 v[4:5], v[12:13], v[28:29], v[4:5] op_sel_hi:[1,0,1]
	s_nop 0
	v_mov_b32_e32 v7, v5
	s_waitcnt vmcnt(1) lgkmcnt(0)
	v_pk_mul_f32 v[4:5], v[14:15], v[62:63] op_sel:[1,1] op_sel_hi:[0,1]
	v_pk_add_f32 v[2:3], v[2:3], v[6:7]
	v_pk_fma_f32 v[6:7], v[14:15], v[62:63], v[4:5] neg_lo:[0,0,1] neg_hi:[0,0,1]
	v_pk_fma_f32 v[4:5], v[14:15], v[62:63], v[4:5] op_sel_hi:[1,0,1]
	s_nop 0
	v_mov_b32_e32 v7, v5
	v_pk_add_f32 v[2:3], v[2:3], v[6:7]
	s_waitcnt vmcnt(0)
	v_pk_add_f32 v[2:3], v[112:113], v[2:3] neg_lo:[0,1] neg_hi:[0,1]
	scratch_store_dwordx2 off, v[2:3], off offset:72
	s_and_saveexec_b64 s[0:1], vcc
	s_cbranch_execz .LBB40_243
; %bb.242:
	scratch_load_dwordx2 v[2:3], off, off offset:64
	v_mov_b32_e32 v115, v114
	scratch_store_dwordx2 off, v[114:115], off offset:64
	s_waitcnt vmcnt(1)
	ds_write_b64 v1, v[2:3]
.LBB40_243:
	s_or_b64 exec, exec, s[0:1]
	s_waitcnt lgkmcnt(0)
	; wave barrier
	scratch_load_dwordx4 v[2:5], off, off offset:72
	scratch_load_dwordx4 v[6:9], off, off offset:88
	;; [unrolled: 1-line block ×12, first 2 shown]
	ds_read2_b64 v[110:113], v114 offset0:51 offset1:52
	ds_read2_b64 v[106:109], v114 offset0:53 offset1:54
	;; [unrolled: 1-line block ×12, first 2 shown]
	scratch_load_dwordx4 v[62:65], off, off offset:264
	scratch_load_dwordx4 v[54:57], off, off offset:280
	;; [unrolled: 1-line block ×4, first 2 shown]
	scratch_load_dwordx2 v[116:117], off, off offset:64
	v_cmp_lt_u32_e32 vcc, 7, v0
	s_waitcnt vmcnt(16) lgkmcnt(11)
	v_mul_f32_e32 v115, v110, v3
	v_mul_f32_e32 v118, v112, v5
	;; [unrolled: 1-line block ×3, first 2 shown]
	v_fmac_f32_e32 v115, v111, v2
	s_waitcnt vmcnt(15) lgkmcnt(10)
	v_mul_f32_e32 v202, v106, v7
	v_fmac_f32_e32 v118, v113, v4
	v_fma_f32 v2, v110, v2, -v3
	v_add_f32_e32 v3, 0, v115
	v_mul_f32_e32 v204, v108, v9
	v_fmac_f32_e32 v202, v107, v6
	v_add_f32_e32 v3, v3, v118
	s_waitcnt vmcnt(14) lgkmcnt(9)
	v_mul_f32_e32 v205, v102, v11
	v_fmac_f32_e32 v204, v109, v8
	v_add_f32_e32 v3, v3, v202
	v_mul_f32_e32 v206, v104, v13
	v_fmac_f32_e32 v205, v103, v10
	v_add_f32_e32 v3, v3, v204
	s_waitcnt vmcnt(13) lgkmcnt(8)
	v_mul_f32_e32 v207, v98, v15
	v_fmac_f32_e32 v206, v105, v12
	;; [unrolled: 7-line block ×9, first 2 shown]
	v_add_f32_e32 v3, v3, v219
	v_mul_f32_e32 v222, v72, v53
	v_fmac_f32_e32 v221, v71, v50
	v_add_f32_e32 v3, v3, v220
	v_fmac_f32_e32 v222, v73, v52
	v_add_f32_e32 v3, v3, v221
	v_add_f32_e32 v111, v3, v222
	v_mul_f32_e32 v3, v113, v5
	v_add_f32_e32 v2, 0, v2
	v_fma_f32 v3, v112, v4, -v3
	v_add_f32_e32 v2, v2, v3
	v_mul_f32_e32 v3, v107, v7
	v_fma_f32 v3, v106, v6, -v3
	v_add_f32_e32 v2, v2, v3
	v_mul_f32_e32 v3, v109, v9
	;; [unrolled: 3-line block ×20, first 2 shown]
	v_fma_f32 v3, v72, v52, -v3
	v_add_f32_e32 v110, v2, v3
	s_waitcnt vmcnt(5) lgkmcnt(0)
	v_mul_f32_e32 v2, v67, v59
	v_fma_f32 v118, v66, v58, -v2
	v_mul_f32_e32 v2, v69, v61
	v_fma_f32 v202, v68, v60, -v2
	ds_read2_b64 v[2:5], v114 offset0:75 offset1:76
	ds_read2_b64 v[6:9], v114 offset0:77 offset1:78
	;; [unrolled: 1-line block ×4, first 2 shown]
	v_mul_f32_e32 v119, v66, v59
	v_mul_f32_e32 v203, v68, v61
	v_fmac_f32_e32 v119, v67, v58
	s_waitcnt vmcnt(4) lgkmcnt(3)
	v_pk_mul_f32 v[20:21], v[2:3], v[62:63] op_sel:[1,1] op_sel_hi:[0,1]
	v_fmac_f32_e32 v203, v69, v60
	v_pk_add_f32 v[18:19], v[110:111], v[118:119]
	v_pk_fma_f32 v[22:23], v[2:3], v[62:63], v[20:21] neg_lo:[0,0,1] neg_hi:[0,0,1]
	v_pk_fma_f32 v[2:3], v[2:3], v[62:63], v[20:21] op_sel_hi:[1,0,1]
	v_pk_add_f32 v[18:19], v[18:19], v[202:203]
	v_mov_b32_e32 v23, v3
	v_pk_add_f32 v[2:3], v[18:19], v[22:23]
	v_mov_b32_e32 v18, v65
	v_pk_mul_f32 v[18:19], v[4:5], v[18:19] op_sel:[1,0] op_sel_hi:[0,0]
	v_pk_fma_f32 v[20:21], v[4:5], v[64:65], v[18:19] neg_lo:[0,0,1] neg_hi:[0,0,1]
	v_pk_fma_f32 v[4:5], v[4:5], v[64:65], v[18:19] op_sel_hi:[1,0,1]
	s_nop 0
	v_mov_b32_e32 v21, v5
	s_waitcnt vmcnt(3) lgkmcnt(2)
	v_pk_mul_f32 v[4:5], v[6:7], v[54:55] op_sel:[1,1] op_sel_hi:[0,1]
	v_pk_fma_f32 v[18:19], v[6:7], v[54:55], v[4:5] neg_lo:[0,0,1] neg_hi:[0,0,1]
	v_pk_fma_f32 v[4:5], v[6:7], v[54:55], v[4:5] op_sel_hi:[1,0,1]
	v_pk_add_f32 v[2:3], v[2:3], v[20:21]
	v_mov_b32_e32 v4, v57
	v_mov_b32_e32 v19, v5
	v_pk_mul_f32 v[4:5], v[8:9], v[4:5] op_sel:[1,0] op_sel_hi:[0,0]
	v_pk_fma_f32 v[6:7], v[8:9], v[56:57], v[4:5] neg_lo:[0,0,1] neg_hi:[0,0,1]
	v_pk_fma_f32 v[4:5], v[8:9], v[56:57], v[4:5] op_sel_hi:[1,0,1]
	v_pk_add_f32 v[2:3], v[2:3], v[18:19]
	v_mov_b32_e32 v7, v5
	s_waitcnt vmcnt(2) lgkmcnt(1)
	v_pk_mul_f32 v[4:5], v[10:11], v[42:43] op_sel:[1,1] op_sel_hi:[0,1]
	v_pk_add_f32 v[2:3], v[2:3], v[6:7]
	v_pk_fma_f32 v[6:7], v[10:11], v[42:43], v[4:5] neg_lo:[0,0,1] neg_hi:[0,0,1]
	v_pk_fma_f32 v[4:5], v[10:11], v[42:43], v[4:5] op_sel_hi:[1,0,1]
	s_nop 0
	v_mov_b32_e32 v4, v45
	v_mov_b32_e32 v7, v5
	v_pk_mul_f32 v[4:5], v[12:13], v[4:5] op_sel:[1,0] op_sel_hi:[0,0]
	v_pk_add_f32 v[2:3], v[2:3], v[6:7]
	v_pk_fma_f32 v[6:7], v[12:13], v[44:45], v[4:5] neg_lo:[0,0,1] neg_hi:[0,0,1]
	v_pk_fma_f32 v[4:5], v[12:13], v[44:45], v[4:5] op_sel_hi:[1,0,1]
	s_nop 0
	v_mov_b32_e32 v7, v5
	s_waitcnt vmcnt(1) lgkmcnt(0)
	v_pk_mul_f32 v[4:5], v[14:15], v[34:35] op_sel:[1,1] op_sel_hi:[0,1]
	v_pk_add_f32 v[2:3], v[2:3], v[6:7]
	v_pk_fma_f32 v[6:7], v[14:15], v[34:35], v[4:5] neg_lo:[0,0,1] neg_hi:[0,0,1]
	v_pk_fma_f32 v[4:5], v[14:15], v[34:35], v[4:5] op_sel_hi:[1,0,1]
	s_nop 0
	v_mov_b32_e32 v4, v37
	v_mov_b32_e32 v7, v5
	v_pk_mul_f32 v[4:5], v[16:17], v[4:5] op_sel:[1,0] op_sel_hi:[0,0]
	v_pk_add_f32 v[2:3], v[2:3], v[6:7]
	v_pk_fma_f32 v[6:7], v[16:17], v[36:37], v[4:5] neg_lo:[0,0,1] neg_hi:[0,0,1]
	v_pk_fma_f32 v[4:5], v[16:17], v[36:37], v[4:5] op_sel_hi:[1,0,1]
	s_nop 0
	v_mov_b32_e32 v7, v5
	v_pk_add_f32 v[2:3], v[2:3], v[6:7]
	s_waitcnt vmcnt(0)
	v_pk_add_f32 v[2:3], v[116:117], v[2:3] neg_lo:[0,1] neg_hi:[0,1]
	scratch_store_dwordx2 off, v[2:3], off offset:64
	s_and_saveexec_b64 s[0:1], vcc
	s_cbranch_execz .LBB40_245
; %bb.244:
	scratch_load_dwordx2 v[2:3], off, off offset:56
	v_mov_b32_e32 v4, 0
	v_mov_b32_e32 v5, v4
	scratch_store_dwordx2 off, v[4:5], off offset:56
	s_waitcnt vmcnt(1)
	ds_write_b64 v1, v[2:3]
.LBB40_245:
	s_or_b64 exec, exec, s[0:1]
	s_waitcnt lgkmcnt(0)
	; wave barrier
	scratch_load_dwordx4 v[2:5], off, off offset:64
	scratch_load_dwordx4 v[6:9], off, off offset:80
	;; [unrolled: 1-line block ×13, first 2 shown]
	v_mov_b32_e32 v106, 0
	scratch_load_dwordx2 v[206:207], off, off offset:56
	ds_read_b128 v[54:57], v106 offset:400
	ds_read_b128 v[58:61], v106 offset:416
	;; [unrolled: 1-line block ×14, first 2 shown]
	v_cmp_lt_u32_e32 vcc, 6, v0
	s_waitcnt vmcnt(13) lgkmcnt(13)
	v_mul_f32_e32 v107, v54, v3
	v_mul_f32_e32 v112, v56, v5
	v_fmac_f32_e32 v107, v55, v2
	s_waitcnt vmcnt(12) lgkmcnt(12)
	v_mul_f32_e32 v113, v58, v7
	v_fmac_f32_e32 v112, v57, v4
	v_add_f32_e32 v107, 0, v107
	v_mul_f32_e32 v114, v60, v9
	v_fmac_f32_e32 v113, v59, v6
	v_add_f32_e32 v107, v107, v112
	s_waitcnt vmcnt(11) lgkmcnt(11)
	v_mul_f32_e32 v115, v62, v11
	v_fmac_f32_e32 v114, v61, v8
	v_add_f32_e32 v107, v107, v113
	v_mul_f32_e32 v116, v64, v13
	v_fmac_f32_e32 v115, v63, v10
	v_add_f32_e32 v107, v107, v114
	;; [unrolled: 7-line block ×8, first 2 shown]
	s_waitcnt vmcnt(4) lgkmcnt(4)
	v_mul_f32_e32 v215, v90, v39
	v_fmac_f32_e32 v214, v89, v36
	v_add_f32_e32 v107, v107, v213
	v_fmac_f32_e32 v215, v91, v38
	v_add_f32_e32 v107, v107, v214
	v_add_f32_e32 v107, v107, v215
	scratch_load_dwordx4 v[112:115], off, off offset:272
	scratch_load_dwordx4 v[116:119], off, off offset:288
	;; [unrolled: 1-line block ×3, first 2 shown]
	scratch_load_dwordx2 v[214:215], off, off offset:320
	v_mul_f32_e32 v3, v55, v3
	v_fma_f32 v2, v54, v2, -v3
	v_mul_f32_e32 v3, v57, v5
	v_add_f32_e32 v2, 0, v2
	v_fma_f32 v3, v56, v4, -v3
	v_add_f32_e32 v2, v2, v3
	v_mul_f32_e32 v3, v59, v7
	v_fma_f32 v3, v58, v6, -v3
	v_add_f32_e32 v2, v2, v3
	v_mul_f32_e32 v3, v61, v9
	;; [unrolled: 3-line block ×18, first 2 shown]
	v_fma_f32 v3, v92, v40, -v3
	v_add_f32_e32 v2, v2, v3
	s_waitcnt vmcnt(7) lgkmcnt(3)
	v_mul_f32_e32 v3, v95, v43
	v_fma_f32 v3, v94, v42, -v3
	v_mul_f32_e32 v216, v92, v41
	v_add_f32_e32 v2, v2, v3
	v_mul_f32_e32 v3, v97, v45
	v_mul_f32_e32 v217, v94, v43
	v_fmac_f32_e32 v216, v93, v40
	v_fma_f32 v3, v96, v44, -v3
	v_mul_f32_e32 v218, v96, v45
	v_fmac_f32_e32 v217, v95, v42
	v_add_f32_e32 v107, v107, v216
	v_add_f32_e32 v2, v2, v3
	s_waitcnt vmcnt(6) lgkmcnt(2)
	v_mul_f32_e32 v3, v99, v47
	v_mul_f32_e32 v219, v98, v47
	v_fmac_f32_e32 v218, v97, v44
	v_add_f32_e32 v107, v107, v217
	v_fma_f32 v3, v98, v46, -v3
	v_mul_f32_e32 v209, v100, v49
	v_fmac_f32_e32 v219, v99, v46
	v_add_f32_e32 v107, v107, v218
	v_add_f32_e32 v212, v2, v3
	v_mul_f32_e32 v2, v101, v49
	s_waitcnt vmcnt(5)
	v_mov_b32_e32 v14, v53
	s_waitcnt lgkmcnt(1)
	v_mul_f32_e32 v211, v102, v51
	v_fmac_f32_e32 v209, v101, v48
	v_add_f32_e32 v213, v107, v219
	v_fma_f32 v208, v100, v48, -v2
	v_mul_f32_e32 v2, v103, v51
	v_pk_mul_f32 v[14:15], v[104:105], v[14:15] op_sel:[1,0] op_sel_hi:[0,0]
	v_fmac_f32_e32 v211, v103, v50
	v_fma_f32 v210, v102, v50, -v2
	v_pk_add_f32 v[12:13], v[212:213], v[208:209]
	v_pk_fma_f32 v[16:17], v[104:105], v[52:53], v[14:15] neg_lo:[0,0,1] neg_hi:[0,0,1]
	v_pk_fma_f32 v[14:15], v[104:105], v[52:53], v[14:15] op_sel_hi:[1,0,1]
	v_pk_add_f32 v[12:13], v[12:13], v[210:211]
	v_mov_b32_e32 v17, v15
	s_waitcnt vmcnt(3) lgkmcnt(0)
	v_pk_mul_f32 v[14:15], v[108:109], v[112:113] op_sel:[1,1] op_sel_hi:[0,1]
	v_pk_add_f32 v[12:13], v[12:13], v[16:17]
	v_pk_fma_f32 v[16:17], v[108:109], v[112:113], v[14:15] neg_lo:[0,0,1] neg_hi:[0,0,1]
	v_pk_fma_f32 v[14:15], v[108:109], v[112:113], v[14:15] op_sel_hi:[1,0,1]
	ds_read_b128 v[2:5], v106 offset:624
	ds_read_b128 v[6:9], v106 offset:640
	ds_read_b64 v[10:11], v106 offset:656
	v_mov_b32_e32 v14, v115
	v_mov_b32_e32 v17, v15
	v_pk_mul_f32 v[14:15], v[110:111], v[14:15] op_sel:[1,0] op_sel_hi:[0,0]
	v_pk_add_f32 v[12:13], v[12:13], v[16:17]
	v_pk_fma_f32 v[16:17], v[110:111], v[114:115], v[14:15] neg_lo:[0,0,1] neg_hi:[0,0,1]
	v_pk_fma_f32 v[14:15], v[110:111], v[114:115], v[14:15] op_sel_hi:[1,0,1]
	s_nop 0
	v_mov_b32_e32 v17, v15
	s_waitcnt vmcnt(2) lgkmcnt(2)
	v_pk_mul_f32 v[14:15], v[2:3], v[116:117] op_sel:[1,1] op_sel_hi:[0,1]
	v_pk_add_f32 v[12:13], v[12:13], v[16:17]
	v_pk_fma_f32 v[16:17], v[2:3], v[116:117], v[14:15] neg_lo:[0,0,1] neg_hi:[0,0,1]
	v_pk_fma_f32 v[2:3], v[2:3], v[116:117], v[14:15] op_sel_hi:[1,0,1]
	s_nop 0
	v_mov_b32_e32 v17, v3
	v_pk_add_f32 v[2:3], v[12:13], v[16:17]
	v_mov_b32_e32 v12, v119
	v_pk_mul_f32 v[12:13], v[4:5], v[12:13] op_sel:[1,0] op_sel_hi:[0,0]
	v_pk_fma_f32 v[14:15], v[4:5], v[118:119], v[12:13] neg_lo:[0,0,1] neg_hi:[0,0,1]
	v_pk_fma_f32 v[4:5], v[4:5], v[118:119], v[12:13] op_sel_hi:[1,0,1]
	s_nop 0
	v_mov_b32_e32 v15, v5
	s_waitcnt vmcnt(1) lgkmcnt(1)
	v_pk_mul_f32 v[4:5], v[6:7], v[202:203] op_sel:[1,1] op_sel_hi:[0,1]
	v_pk_fma_f32 v[12:13], v[6:7], v[202:203], v[4:5] neg_lo:[0,0,1] neg_hi:[0,0,1]
	v_pk_fma_f32 v[4:5], v[6:7], v[202:203], v[4:5] op_sel_hi:[1,0,1]
	v_pk_add_f32 v[2:3], v[2:3], v[14:15]
	v_mov_b32_e32 v4, v205
	v_mov_b32_e32 v13, v5
	v_pk_mul_f32 v[4:5], v[8:9], v[4:5] op_sel:[1,0] op_sel_hi:[0,0]
	v_pk_fma_f32 v[6:7], v[8:9], v[204:205], v[4:5] neg_lo:[0,0,1] neg_hi:[0,0,1]
	v_pk_fma_f32 v[4:5], v[8:9], v[204:205], v[4:5] op_sel_hi:[1,0,1]
	v_pk_add_f32 v[2:3], v[2:3], v[12:13]
	v_mov_b32_e32 v7, v5
	s_waitcnt vmcnt(0) lgkmcnt(0)
	v_pk_mul_f32 v[4:5], v[10:11], v[214:215] op_sel:[1,1] op_sel_hi:[0,1]
	v_pk_add_f32 v[2:3], v[2:3], v[6:7]
	v_pk_fma_f32 v[6:7], v[10:11], v[214:215], v[4:5] neg_lo:[0,0,1] neg_hi:[0,0,1]
	v_pk_fma_f32 v[4:5], v[10:11], v[214:215], v[4:5] op_sel_hi:[1,0,1]
	s_nop 0
	v_mov_b32_e32 v7, v5
	v_pk_add_f32 v[2:3], v[2:3], v[6:7]
	s_nop 0
	v_pk_add_f32 v[2:3], v[206:207], v[2:3] neg_lo:[0,1] neg_hi:[0,1]
	scratch_store_dwordx2 off, v[2:3], off offset:56
	s_and_saveexec_b64 s[0:1], vcc
	s_cbranch_execz .LBB40_247
; %bb.246:
	scratch_load_dwordx2 v[2:3], off, off offset:48
	v_mov_b32_e32 v107, v106
	scratch_store_dwordx2 off, v[106:107], off offset:48
	s_waitcnt vmcnt(1)
	ds_write_b64 v1, v[2:3]
.LBB40_247:
	s_or_b64 exec, exec, s[0:1]
	s_waitcnt lgkmcnt(0)
	; wave barrier
	scratch_load_dwordx4 v[2:5], off, off offset:56
	scratch_load_dwordx4 v[6:9], off, off offset:72
	;; [unrolled: 1-line block ×13, first 2 shown]
	ds_read2_b64 v[102:105], v106 offset0:49 offset1:50
	ds_read2_b64 v[98:101], v106 offset0:51 offset1:52
	;; [unrolled: 1-line block ×14, first 2 shown]
	scratch_load_dwordx2 v[210:211], off, off offset:48
	v_cmp_lt_u32_e32 vcc, 5, v0
	s_waitcnt vmcnt(13) lgkmcnt(13)
	v_mul_f32_e32 v107, v102, v3
	v_mul_f32_e32 v112, v104, v5
	v_fmac_f32_e32 v107, v103, v2
	s_waitcnt vmcnt(12) lgkmcnt(12)
	v_mul_f32_e32 v113, v98, v7
	v_fmac_f32_e32 v112, v105, v4
	v_add_f32_e32 v107, 0, v107
	v_mul_f32_e32 v114, v100, v9
	v_fmac_f32_e32 v113, v99, v6
	v_add_f32_e32 v107, v107, v112
	s_waitcnt vmcnt(11) lgkmcnt(11)
	v_mul_f32_e32 v115, v94, v11
	v_fmac_f32_e32 v114, v101, v8
	v_add_f32_e32 v107, v107, v113
	v_mul_f32_e32 v116, v96, v13
	v_fmac_f32_e32 v115, v95, v10
	v_add_f32_e32 v107, v107, v114
	;; [unrolled: 7-line block ×7, first 2 shown]
	s_waitcnt vmcnt(5) lgkmcnt(5)
	v_mul_f32_e32 v209, v70, v35
	v_fmac_f32_e32 v208, v77, v32
	v_add_f32_e32 v107, v107, v207
	v_fmac_f32_e32 v209, v71, v34
	v_add_f32_e32 v107, v107, v208
	v_add_f32_e32 v107, v107, v209
	scratch_load_dwordx4 v[112:115], off, off offset:264
	scratch_load_dwordx4 v[116:119], off, off offset:280
	;; [unrolled: 1-line block ×4, first 2 shown]
	v_mul_f32_e32 v3, v103, v3
	v_fma_f32 v2, v102, v2, -v3
	v_mul_f32_e32 v3, v105, v5
	v_add_f32_e32 v2, 0, v2
	v_fma_f32 v3, v104, v4, -v3
	v_add_f32_e32 v2, v2, v3
	v_mul_f32_e32 v3, v99, v7
	v_fma_f32 v3, v98, v6, -v3
	v_add_f32_e32 v2, v2, v3
	v_mul_f32_e32 v3, v101, v9
	;; [unrolled: 3-line block ×16, first 2 shown]
	v_fma_f32 v3, v72, v36, -v3
	v_add_f32_e32 v2, v2, v3
	s_waitcnt vmcnt(8) lgkmcnt(4)
	v_mul_f32_e32 v3, v67, v39
	v_fma_f32 v3, v66, v38, -v3
	v_add_f32_e32 v2, v2, v3
	v_mul_f32_e32 v3, v69, v41
	v_fma_f32 v3, v68, v40, -v3
	v_add_f32_e32 v2, v2, v3
	s_waitcnt vmcnt(7) lgkmcnt(3)
	v_mul_f32_e32 v3, v63, v43
	v_mul_f32_e32 v212, v72, v37
	v_fma_f32 v3, v62, v42, -v3
	v_mul_f32_e32 v214, v66, v39
	v_fmac_f32_e32 v212, v73, v36
	v_add_f32_e32 v2, v2, v3
	v_mul_f32_e32 v3, v65, v45
	v_mul_f32_e32 v216, v68, v41
	v_fmac_f32_e32 v214, v67, v38
	v_add_f32_e32 v107, v107, v212
	v_fma_f32 v3, v64, v44, -v3
	v_mul_f32_e32 v217, v62, v43
	v_fmac_f32_e32 v216, v69, v40
	v_add_f32_e32 v107, v107, v214
	v_add_f32_e32 v2, v2, v3
	s_waitcnt vmcnt(6) lgkmcnt(2)
	v_mul_f32_e32 v3, v59, v47
	v_mul_f32_e32 v218, v64, v45
	v_fmac_f32_e32 v217, v63, v42
	v_add_f32_e32 v107, v107, v216
	v_fma_f32 v3, v58, v46, -v3
	v_mul_f32_e32 v219, v58, v47
	v_fmac_f32_e32 v218, v65, v44
	v_add_f32_e32 v107, v107, v217
	v_add_f32_e32 v2, v2, v3
	v_mul_f32_e32 v3, v61, v49
	v_mul_f32_e32 v220, v60, v49
	v_fmac_f32_e32 v219, v59, v46
	v_add_f32_e32 v107, v107, v218
	v_fma_f32 v3, v60, v48, -v3
	s_waitcnt vmcnt(5) lgkmcnt(1)
	v_mul_f32_e32 v213, v54, v51
	v_fmac_f32_e32 v220, v61, v48
	v_add_f32_e32 v107, v107, v219
	v_add_f32_e32 v216, v2, v3
	v_mul_f32_e32 v2, v55, v51
	s_waitcnt vmcnt(3) lgkmcnt(0)
	v_pk_mul_f32 v[16:17], v[108:109], v[112:113] op_sel:[1,1] op_sel_hi:[0,1]
	v_mul_f32_e32 v215, v56, v53
	v_fmac_f32_e32 v213, v55, v50
	v_add_f32_e32 v217, v107, v220
	v_fma_f32 v212, v54, v50, -v2
	v_mul_f32_e32 v2, v57, v53
	v_pk_fma_f32 v[18:19], v[108:109], v[112:113], v[16:17] neg_lo:[0,0,1] neg_hi:[0,0,1]
	v_pk_fma_f32 v[16:17], v[108:109], v[112:113], v[16:17] op_sel_hi:[1,0,1]
	v_fmac_f32_e32 v215, v57, v52
	v_fma_f32 v214, v56, v52, -v2
	ds_read2_b64 v[2:5], v106 offset0:77 offset1:78
	ds_read2_b64 v[6:9], v106 offset0:79 offset1:80
	;; [unrolled: 1-line block ×3, first 2 shown]
	v_pk_add_f32 v[14:15], v[216:217], v[212:213]
	v_mov_b32_e32 v16, v115
	v_pk_add_f32 v[14:15], v[14:15], v[214:215]
	v_mov_b32_e32 v19, v17
	v_pk_mul_f32 v[16:17], v[110:111], v[16:17] op_sel:[1,0] op_sel_hi:[0,0]
	v_pk_add_f32 v[14:15], v[14:15], v[18:19]
	v_pk_fma_f32 v[18:19], v[110:111], v[114:115], v[16:17] neg_lo:[0,0,1] neg_hi:[0,0,1]
	v_pk_fma_f32 v[16:17], v[110:111], v[114:115], v[16:17] op_sel_hi:[1,0,1]
	s_nop 0
	v_mov_b32_e32 v19, v17
	s_waitcnt vmcnt(2) lgkmcnt(2)
	v_pk_mul_f32 v[16:17], v[2:3], v[116:117] op_sel:[1,1] op_sel_hi:[0,1]
	v_pk_add_f32 v[14:15], v[14:15], v[18:19]
	v_pk_fma_f32 v[18:19], v[2:3], v[116:117], v[16:17] neg_lo:[0,0,1] neg_hi:[0,0,1]
	v_pk_fma_f32 v[2:3], v[2:3], v[116:117], v[16:17] op_sel_hi:[1,0,1]
	s_nop 0
	v_mov_b32_e32 v19, v3
	v_pk_add_f32 v[2:3], v[14:15], v[18:19]
	v_mov_b32_e32 v14, v119
	v_pk_mul_f32 v[14:15], v[4:5], v[14:15] op_sel:[1,0] op_sel_hi:[0,0]
	v_pk_fma_f32 v[16:17], v[4:5], v[118:119], v[14:15] neg_lo:[0,0,1] neg_hi:[0,0,1]
	v_pk_fma_f32 v[4:5], v[4:5], v[118:119], v[14:15] op_sel_hi:[1,0,1]
	s_nop 0
	v_mov_b32_e32 v17, v5
	s_waitcnt vmcnt(1) lgkmcnt(1)
	v_pk_mul_f32 v[4:5], v[6:7], v[202:203] op_sel:[1,1] op_sel_hi:[0,1]
	v_pk_fma_f32 v[14:15], v[6:7], v[202:203], v[4:5] neg_lo:[0,0,1] neg_hi:[0,0,1]
	v_pk_fma_f32 v[4:5], v[6:7], v[202:203], v[4:5] op_sel_hi:[1,0,1]
	v_pk_add_f32 v[2:3], v[2:3], v[16:17]
	v_mov_b32_e32 v4, v205
	v_mov_b32_e32 v15, v5
	v_pk_mul_f32 v[4:5], v[8:9], v[4:5] op_sel:[1,0] op_sel_hi:[0,0]
	v_pk_fma_f32 v[6:7], v[8:9], v[204:205], v[4:5] neg_lo:[0,0,1] neg_hi:[0,0,1]
	v_pk_fma_f32 v[4:5], v[8:9], v[204:205], v[4:5] op_sel_hi:[1,0,1]
	v_pk_add_f32 v[2:3], v[2:3], v[14:15]
	v_mov_b32_e32 v7, v5
	s_waitcnt vmcnt(0) lgkmcnt(0)
	v_pk_mul_f32 v[4:5], v[10:11], v[206:207] op_sel:[1,1] op_sel_hi:[0,1]
	v_pk_add_f32 v[2:3], v[2:3], v[6:7]
	v_pk_fma_f32 v[6:7], v[10:11], v[206:207], v[4:5] neg_lo:[0,0,1] neg_hi:[0,0,1]
	v_pk_fma_f32 v[4:5], v[10:11], v[206:207], v[4:5] op_sel_hi:[1,0,1]
	s_nop 0
	v_mov_b32_e32 v4, v209
	v_mov_b32_e32 v7, v5
	v_pk_mul_f32 v[4:5], v[12:13], v[4:5] op_sel:[1,0] op_sel_hi:[0,0]
	v_pk_add_f32 v[2:3], v[2:3], v[6:7]
	v_pk_fma_f32 v[6:7], v[12:13], v[208:209], v[4:5] neg_lo:[0,0,1] neg_hi:[0,0,1]
	v_pk_fma_f32 v[4:5], v[12:13], v[208:209], v[4:5] op_sel_hi:[1,0,1]
	s_nop 0
	v_mov_b32_e32 v7, v5
	v_pk_add_f32 v[2:3], v[2:3], v[6:7]
	s_nop 0
	v_pk_add_f32 v[2:3], v[210:211], v[2:3] neg_lo:[0,1] neg_hi:[0,1]
	scratch_store_dwordx2 off, v[2:3], off offset:48
	s_and_saveexec_b64 s[0:1], vcc
	s_cbranch_execz .LBB40_249
; %bb.248:
	scratch_load_dwordx2 v[2:3], off, off offset:40
	v_mov_b32_e32 v4, 0
	v_mov_b32_e32 v5, v4
	scratch_store_dwordx2 off, v[4:5], off offset:40
	s_waitcnt vmcnt(1)
	ds_write_b64 v1, v[2:3]
.LBB40_249:
	s_or_b64 exec, exec, s[0:1]
	s_waitcnt lgkmcnt(0)
	; wave barrier
	scratch_load_dwordx4 v[2:5], off, off offset:48
	scratch_load_dwordx4 v[6:9], off, off offset:64
	;; [unrolled: 1-line block ×13, first 2 shown]
	v_mov_b32_e32 v114, 0
	scratch_load_dwordx4 v[54:57], off, off offset:256
	scratch_load_dwordx2 v[210:211], off, off offset:40
	ds_read_b128 v[58:61], v114 offset:384
	ds_read_b128 v[62:65], v114 offset:400
	;; [unrolled: 1-line block ×14, first 2 shown]
	v_cmp_lt_u32_e32 vcc, 4, v0
	s_waitcnt vmcnt(14) lgkmcnt(13)
	v_mul_f32_e32 v115, v58, v3
	v_mul_f32_e32 v116, v60, v5
	v_fmac_f32_e32 v115, v59, v2
	s_waitcnt vmcnt(13) lgkmcnt(12)
	v_mul_f32_e32 v117, v62, v7
	v_fmac_f32_e32 v116, v61, v4
	v_add_f32_e32 v115, 0, v115
	v_mul_f32_e32 v118, v64, v9
	v_fmac_f32_e32 v117, v63, v6
	v_add_f32_e32 v115, v115, v116
	s_waitcnt vmcnt(12) lgkmcnt(11)
	v_mul_f32_e32 v119, v66, v11
	v_fmac_f32_e32 v118, v65, v8
	v_add_f32_e32 v115, v115, v117
	v_mul_f32_e32 v202, v68, v13
	v_fmac_f32_e32 v119, v67, v10
	v_add_f32_e32 v115, v115, v118
	;; [unrolled: 7-line block ×6, first 2 shown]
	s_waitcnt vmcnt(7) lgkmcnt(6)
	v_mul_f32_e32 v213, v86, v31
	v_fmac_f32_e32 v212, v85, v28
	v_add_f32_e32 v115, v115, v209
	scratch_load_dwordx4 v[116:119], off, off offset:272
	v_mul_f32_e32 v214, v88, v33
	v_fmac_f32_e32 v213, v87, v30
	v_add_f32_e32 v115, v115, v212
	s_waitcnt vmcnt(7) lgkmcnt(5)
	v_mul_f32_e32 v215, v90, v35
	v_fmac_f32_e32 v214, v89, v32
	v_add_f32_e32 v115, v115, v213
	v_mul_f32_e32 v216, v92, v37
	v_fmac_f32_e32 v215, v91, v34
	v_add_f32_e32 v115, v115, v214
	s_waitcnt vmcnt(6) lgkmcnt(4)
	v_mul_f32_e32 v217, v94, v39
	v_fmac_f32_e32 v216, v93, v36
	v_add_f32_e32 v115, v115, v215
	;; [unrolled: 7-line block ×3, first 2 shown]
	v_fmac_f32_e32 v219, v99, v42
	v_add_f32_e32 v115, v115, v218
	v_add_f32_e32 v115, v115, v219
	scratch_load_dwordx4 v[202:205], off, off offset:288
	scratch_load_dwordx4 v[206:209], off, off offset:304
	scratch_load_dwordx2 v[218:219], off, off offset:320
	v_mul_f32_e32 v3, v59, v3
	v_fma_f32 v2, v58, v2, -v3
	v_mul_f32_e32 v3, v61, v5
	v_add_f32_e32 v2, 0, v2
	v_fma_f32 v3, v60, v4, -v3
	v_add_f32_e32 v2, v2, v3
	v_mul_f32_e32 v3, v63, v7
	v_fma_f32 v3, v62, v6, -v3
	v_add_f32_e32 v2, v2, v3
	v_mul_f32_e32 v3, v65, v9
	;; [unrolled: 3-line block ×20, first 2 shown]
	v_fma_f32 v3, v100, v44, -v3
	v_add_f32_e32 v2, v2, v3
	s_waitcnt vmcnt(7) lgkmcnt(2)
	v_mul_f32_e32 v3, v103, v47
	v_fma_f32 v3, v102, v46, -v3
	v_add_f32_e32 v2, v2, v3
	v_mul_f32_e32 v3, v105, v49
	v_mul_f32_e32 v220, v100, v45
	v_fma_f32 v3, v104, v48, -v3
	v_mul_f32_e32 v221, v102, v47
	v_fmac_f32_e32 v220, v101, v44
	v_add_f32_e32 v2, v2, v3
	s_waitcnt vmcnt(6) lgkmcnt(1)
	v_mul_f32_e32 v3, v107, v51
	v_mul_f32_e32 v222, v104, v49
	v_fmac_f32_e32 v221, v103, v46
	v_add_f32_e32 v115, v115, v220
	v_fma_f32 v3, v106, v50, -v3
	v_mul_f32_e32 v223, v106, v51
	v_fmac_f32_e32 v222, v105, v48
	v_add_f32_e32 v115, v115, v221
	v_add_f32_e32 v212, v2, v3
	v_mul_f32_e32 v2, v109, v53
	v_fmac_f32_e32 v223, v107, v50
	v_add_f32_e32 v115, v115, v222
	v_mul_f32_e32 v215, v108, v53
	v_fma_f32 v214, v108, v52, -v2
	s_waitcnt vmcnt(5) lgkmcnt(0)
	v_mul_f32_e32 v2, v111, v55
	v_mov_b32_e32 v18, v57
	v_add_f32_e32 v213, v115, v223
	v_fmac_f32_e32 v215, v109, v52
	v_mul_f32_e32 v217, v110, v55
	v_fma_f32 v216, v110, v54, -v2
	ds_read_b128 v[2:5], v114 offset:608
	ds_read_b128 v[6:9], v114 offset:624
	;; [unrolled: 1-line block ×3, first 2 shown]
	ds_read_b64 v[14:15], v114 offset:656
	v_pk_mul_f32 v[18:19], v[112:113], v[18:19] op_sel:[1,0] op_sel_hi:[0,0]
	v_fmac_f32_e32 v217, v111, v54
	v_pk_add_f32 v[16:17], v[212:213], v[214:215]
	v_pk_fma_f32 v[20:21], v[112:113], v[56:57], v[18:19] neg_lo:[0,0,1] neg_hi:[0,0,1]
	v_pk_fma_f32 v[18:19], v[112:113], v[56:57], v[18:19] op_sel_hi:[1,0,1]
	v_pk_add_f32 v[16:17], v[16:17], v[216:217]
	v_mov_b32_e32 v21, v19
	s_waitcnt vmcnt(3) lgkmcnt(3)
	v_pk_mul_f32 v[18:19], v[2:3], v[116:117] op_sel:[1,1] op_sel_hi:[0,1]
	v_pk_add_f32 v[16:17], v[16:17], v[20:21]
	v_pk_fma_f32 v[20:21], v[2:3], v[116:117], v[18:19] neg_lo:[0,0,1] neg_hi:[0,0,1]
	v_pk_fma_f32 v[2:3], v[2:3], v[116:117], v[18:19] op_sel_hi:[1,0,1]
	s_nop 0
	v_mov_b32_e32 v21, v3
	v_pk_add_f32 v[2:3], v[16:17], v[20:21]
	v_mov_b32_e32 v16, v119
	v_pk_mul_f32 v[16:17], v[4:5], v[16:17] op_sel:[1,0] op_sel_hi:[0,0]
	v_pk_fma_f32 v[18:19], v[4:5], v[118:119], v[16:17] neg_lo:[0,0,1] neg_hi:[0,0,1]
	v_pk_fma_f32 v[4:5], v[4:5], v[118:119], v[16:17] op_sel_hi:[1,0,1]
	s_nop 0
	v_mov_b32_e32 v19, v5
	s_waitcnt vmcnt(2) lgkmcnt(2)
	v_pk_mul_f32 v[4:5], v[6:7], v[202:203] op_sel:[1,1] op_sel_hi:[0,1]
	v_pk_fma_f32 v[16:17], v[6:7], v[202:203], v[4:5] neg_lo:[0,0,1] neg_hi:[0,0,1]
	v_pk_fma_f32 v[4:5], v[6:7], v[202:203], v[4:5] op_sel_hi:[1,0,1]
	v_pk_add_f32 v[2:3], v[2:3], v[18:19]
	v_mov_b32_e32 v4, v205
	v_mov_b32_e32 v17, v5
	v_pk_mul_f32 v[4:5], v[8:9], v[4:5] op_sel:[1,0] op_sel_hi:[0,0]
	v_pk_fma_f32 v[6:7], v[8:9], v[204:205], v[4:5] neg_lo:[0,0,1] neg_hi:[0,0,1]
	v_pk_fma_f32 v[4:5], v[8:9], v[204:205], v[4:5] op_sel_hi:[1,0,1]
	v_pk_add_f32 v[2:3], v[2:3], v[16:17]
	v_mov_b32_e32 v7, v5
	s_waitcnt vmcnt(1) lgkmcnt(1)
	v_pk_mul_f32 v[4:5], v[10:11], v[206:207] op_sel:[1,1] op_sel_hi:[0,1]
	v_pk_add_f32 v[2:3], v[2:3], v[6:7]
	v_pk_fma_f32 v[6:7], v[10:11], v[206:207], v[4:5] neg_lo:[0,0,1] neg_hi:[0,0,1]
	v_pk_fma_f32 v[4:5], v[10:11], v[206:207], v[4:5] op_sel_hi:[1,0,1]
	s_nop 0
	v_mov_b32_e32 v4, v209
	v_mov_b32_e32 v7, v5
	v_pk_mul_f32 v[4:5], v[12:13], v[4:5] op_sel:[1,0] op_sel_hi:[0,0]
	v_pk_add_f32 v[2:3], v[2:3], v[6:7]
	v_pk_fma_f32 v[6:7], v[12:13], v[208:209], v[4:5] neg_lo:[0,0,1] neg_hi:[0,0,1]
	v_pk_fma_f32 v[4:5], v[12:13], v[208:209], v[4:5] op_sel_hi:[1,0,1]
	s_nop 0
	v_mov_b32_e32 v7, v5
	s_waitcnt vmcnt(0) lgkmcnt(0)
	v_pk_mul_f32 v[4:5], v[14:15], v[218:219] op_sel:[1,1] op_sel_hi:[0,1]
	v_pk_add_f32 v[2:3], v[2:3], v[6:7]
	v_pk_fma_f32 v[6:7], v[14:15], v[218:219], v[4:5] neg_lo:[0,0,1] neg_hi:[0,0,1]
	v_pk_fma_f32 v[4:5], v[14:15], v[218:219], v[4:5] op_sel_hi:[1,0,1]
	s_nop 0
	v_mov_b32_e32 v7, v5
	v_pk_add_f32 v[2:3], v[2:3], v[6:7]
	s_nop 0
	v_pk_add_f32 v[2:3], v[210:211], v[2:3] neg_lo:[0,1] neg_hi:[0,1]
	scratch_store_dwordx2 off, v[2:3], off offset:40
	s_and_saveexec_b64 s[0:1], vcc
	s_cbranch_execz .LBB40_251
; %bb.250:
	scratch_load_dwordx2 v[2:3], off, off offset:32
	v_mov_b32_e32 v115, v114
	scratch_store_dwordx2 off, v[114:115], off offset:32
	s_waitcnt vmcnt(1)
	ds_write_b64 v1, v[2:3]
.LBB40_251:
	s_or_b64 exec, exec, s[0:1]
	s_waitcnt lgkmcnt(0)
	; wave barrier
	scratch_load_dwordx4 v[2:5], off, off offset:40
	scratch_load_dwordx4 v[6:9], off, off offset:56
	;; [unrolled: 1-line block ×13, first 2 shown]
	ds_read2_b64 v[110:113], v114 offset0:47 offset1:48
	ds_read2_b64 v[106:109], v114 offset0:49 offset1:50
	;; [unrolled: 1-line block ×14, first 2 shown]
	scratch_load_dwordx4 v[66:69], off, off offset:248
	scratch_load_dwordx2 v[214:215], off, off offset:32
	v_cmp_lt_u32_e32 vcc, 3, v0
	s_waitcnt vmcnt(14) lgkmcnt(13)
	v_mul_f32_e32 v115, v110, v3
	v_mul_f32_e32 v116, v112, v5
	v_fmac_f32_e32 v115, v111, v2
	s_waitcnt vmcnt(13) lgkmcnt(12)
	v_mul_f32_e32 v117, v106, v7
	v_fmac_f32_e32 v116, v113, v4
	v_add_f32_e32 v115, 0, v115
	v_mul_f32_e32 v118, v108, v9
	v_fmac_f32_e32 v117, v107, v6
	v_add_f32_e32 v115, v115, v116
	s_waitcnt vmcnt(12) lgkmcnt(11)
	v_mul_f32_e32 v119, v102, v11
	v_fmac_f32_e32 v118, v109, v8
	v_add_f32_e32 v115, v115, v117
	v_mul_f32_e32 v202, v104, v13
	v_fmac_f32_e32 v119, v103, v10
	v_add_f32_e32 v115, v115, v118
	;; [unrolled: 7-line block ×4, first 2 shown]
	s_waitcnt vmcnt(9) lgkmcnt(8)
	v_mul_f32_e32 v207, v90, v23
	v_fmac_f32_e32 v206, v97, v20
	v_add_f32_e32 v115, v115, v205
	scratch_load_dwordx4 v[116:119], off, off offset:264
	v_mul_f32_e32 v208, v92, v25
	v_fmac_f32_e32 v207, v91, v22
	v_add_f32_e32 v115, v115, v206
	s_waitcnt vmcnt(9) lgkmcnt(7)
	v_mul_f32_e32 v209, v86, v27
	v_fmac_f32_e32 v208, v93, v24
	v_add_f32_e32 v115, v115, v207
	v_mul_f32_e32 v210, v88, v29
	v_fmac_f32_e32 v209, v87, v26
	v_add_f32_e32 v115, v115, v208
	s_waitcnt vmcnt(8) lgkmcnt(6)
	v_mul_f32_e32 v211, v82, v31
	v_fmac_f32_e32 v210, v89, v28
	v_add_f32_e32 v115, v115, v209
	;; [unrolled: 7-line block ×3, first 2 shown]
	v_fmac_f32_e32 v213, v79, v34
	v_add_f32_e32 v115, v115, v212
	v_add_f32_e32 v115, v115, v213
	scratch_load_dwordx4 v[202:205], off, off offset:280
	scratch_load_dwordx4 v[206:209], off, off offset:296
	;; [unrolled: 1-line block ×3, first 2 shown]
	v_mul_f32_e32 v3, v111, v3
	v_fma_f32 v2, v110, v2, -v3
	v_mul_f32_e32 v3, v113, v5
	v_add_f32_e32 v2, 0, v2
	v_fma_f32 v3, v112, v4, -v3
	v_add_f32_e32 v2, v2, v3
	v_mul_f32_e32 v3, v107, v7
	v_fma_f32 v3, v106, v6, -v3
	v_add_f32_e32 v2, v2, v3
	v_mul_f32_e32 v3, v109, v9
	;; [unrolled: 3-line block ×16, first 2 shown]
	v_fma_f32 v3, v80, v36, -v3
	v_add_f32_e32 v2, v2, v3
	s_waitcnt vmcnt(9) lgkmcnt(4)
	v_mul_f32_e32 v3, v75, v39
	v_fma_f32 v3, v74, v38, -v3
	v_add_f32_e32 v2, v2, v3
	v_mul_f32_e32 v3, v77, v41
	v_fma_f32 v3, v76, v40, -v3
	v_add_f32_e32 v2, v2, v3
	s_waitcnt vmcnt(8) lgkmcnt(3)
	v_mul_f32_e32 v3, v71, v43
	v_fma_f32 v3, v70, v42, -v3
	v_add_f32_e32 v2, v2, v3
	v_mul_f32_e32 v3, v73, v45
	v_fma_f32 v3, v72, v44, -v3
	v_add_f32_e32 v2, v2, v3
	s_waitcnt vmcnt(7) lgkmcnt(2)
	v_mul_f32_e32 v3, v63, v47
	v_fma_f32 v3, v62, v46, -v3
	v_mul_f32_e32 v216, v80, v37
	v_add_f32_e32 v2, v2, v3
	v_mul_f32_e32 v3, v65, v49
	v_mul_f32_e32 v217, v74, v39
	v_fmac_f32_e32 v216, v81, v36
	v_fma_f32 v3, v64, v48, -v3
	v_mul_f32_e32 v218, v76, v41
	v_fmac_f32_e32 v217, v75, v38
	v_add_f32_e32 v115, v115, v216
	v_add_f32_e32 v2, v2, v3
	s_waitcnt vmcnt(6) lgkmcnt(1)
	v_mul_f32_e32 v3, v55, v51
	v_mul_f32_e32 v219, v70, v43
	v_fmac_f32_e32 v218, v77, v40
	v_add_f32_e32 v115, v115, v217
	v_fma_f32 v3, v54, v50, -v3
	v_mul_f32_e32 v220, v72, v45
	v_fmac_f32_e32 v219, v71, v42
	v_add_f32_e32 v115, v115, v218
	v_add_f32_e32 v2, v2, v3
	v_mul_f32_e32 v3, v57, v53
	v_mul_f32_e32 v221, v62, v47
	v_fmac_f32_e32 v220, v73, v44
	v_add_f32_e32 v115, v115, v219
	v_fma_f32 v3, v56, v52, -v3
	v_mul_f32_e32 v222, v64, v49
	v_fmac_f32_e32 v221, v63, v46
	v_add_f32_e32 v115, v115, v220
	v_add_f32_e32 v216, v2, v3
	s_waitcnt vmcnt(5) lgkmcnt(0)
	v_mul_f32_e32 v2, v59, v67
	v_mul_f32_e32 v223, v54, v51
	v_fmac_f32_e32 v222, v65, v48
	v_add_f32_e32 v115, v115, v221
	v_fma_f32 v218, v58, v66, -v2
	v_mul_f32_e32 v2, v61, v69
	v_mul_f32_e32 v224, v56, v53
	v_fmac_f32_e32 v223, v55, v50
	v_add_f32_e32 v115, v115, v222
	v_fma_f32 v220, v60, v68, -v2
	ds_read2_b64 v[2:5], v114 offset0:75 offset1:76
	ds_read2_b64 v[6:9], v114 offset0:77 offset1:78
	;; [unrolled: 1-line block ×4, first 2 shown]
	v_add_f32_e32 v115, v115, v223
	v_fmac_f32_e32 v224, v57, v52
	v_mul_f32_e32 v219, v58, v67
	v_add_f32_e32 v217, v115, v224
	v_fmac_f32_e32 v219, v59, v66
	v_mul_f32_e32 v221, v60, v69
	s_waitcnt vmcnt(3) lgkmcnt(3)
	v_pk_mul_f32 v[20:21], v[2:3], v[116:117] op_sel:[1,1] op_sel_hi:[0,1]
	v_fmac_f32_e32 v221, v61, v68
	v_pk_add_f32 v[18:19], v[216:217], v[218:219]
	v_pk_fma_f32 v[22:23], v[2:3], v[116:117], v[20:21] neg_lo:[0,0,1] neg_hi:[0,0,1]
	v_pk_fma_f32 v[2:3], v[2:3], v[116:117], v[20:21] op_sel_hi:[1,0,1]
	v_pk_add_f32 v[18:19], v[18:19], v[220:221]
	v_mov_b32_e32 v23, v3
	v_pk_add_f32 v[2:3], v[18:19], v[22:23]
	v_mov_b32_e32 v18, v119
	v_pk_mul_f32 v[18:19], v[4:5], v[18:19] op_sel:[1,0] op_sel_hi:[0,0]
	v_pk_fma_f32 v[20:21], v[4:5], v[118:119], v[18:19] neg_lo:[0,0,1] neg_hi:[0,0,1]
	v_pk_fma_f32 v[4:5], v[4:5], v[118:119], v[18:19] op_sel_hi:[1,0,1]
	s_nop 0
	v_mov_b32_e32 v21, v5
	s_waitcnt vmcnt(2) lgkmcnt(2)
	v_pk_mul_f32 v[4:5], v[6:7], v[202:203] op_sel:[1,1] op_sel_hi:[0,1]
	v_pk_fma_f32 v[18:19], v[6:7], v[202:203], v[4:5] neg_lo:[0,0,1] neg_hi:[0,0,1]
	v_pk_fma_f32 v[4:5], v[6:7], v[202:203], v[4:5] op_sel_hi:[1,0,1]
	v_pk_add_f32 v[2:3], v[2:3], v[20:21]
	v_mov_b32_e32 v4, v205
	v_mov_b32_e32 v19, v5
	v_pk_mul_f32 v[4:5], v[8:9], v[4:5] op_sel:[1,0] op_sel_hi:[0,0]
	v_pk_fma_f32 v[6:7], v[8:9], v[204:205], v[4:5] neg_lo:[0,0,1] neg_hi:[0,0,1]
	v_pk_fma_f32 v[4:5], v[8:9], v[204:205], v[4:5] op_sel_hi:[1,0,1]
	v_pk_add_f32 v[2:3], v[2:3], v[18:19]
	v_mov_b32_e32 v7, v5
	s_waitcnt vmcnt(1) lgkmcnt(1)
	v_pk_mul_f32 v[4:5], v[10:11], v[206:207] op_sel:[1,1] op_sel_hi:[0,1]
	v_pk_add_f32 v[2:3], v[2:3], v[6:7]
	v_pk_fma_f32 v[6:7], v[10:11], v[206:207], v[4:5] neg_lo:[0,0,1] neg_hi:[0,0,1]
	v_pk_fma_f32 v[4:5], v[10:11], v[206:207], v[4:5] op_sel_hi:[1,0,1]
	s_nop 0
	v_mov_b32_e32 v4, v209
	v_mov_b32_e32 v7, v5
	v_pk_mul_f32 v[4:5], v[12:13], v[4:5] op_sel:[1,0] op_sel_hi:[0,0]
	v_pk_add_f32 v[2:3], v[2:3], v[6:7]
	v_pk_fma_f32 v[6:7], v[12:13], v[208:209], v[4:5] neg_lo:[0,0,1] neg_hi:[0,0,1]
	v_pk_fma_f32 v[4:5], v[12:13], v[208:209], v[4:5] op_sel_hi:[1,0,1]
	s_nop 0
	v_mov_b32_e32 v7, v5
	s_waitcnt vmcnt(0) lgkmcnt(0)
	v_pk_mul_f32 v[4:5], v[14:15], v[210:211] op_sel:[1,1] op_sel_hi:[0,1]
	v_pk_add_f32 v[2:3], v[2:3], v[6:7]
	v_pk_fma_f32 v[6:7], v[14:15], v[210:211], v[4:5] neg_lo:[0,0,1] neg_hi:[0,0,1]
	v_pk_fma_f32 v[4:5], v[14:15], v[210:211], v[4:5] op_sel_hi:[1,0,1]
	s_nop 0
	v_mov_b32_e32 v4, v213
	v_mov_b32_e32 v7, v5
	v_pk_mul_f32 v[4:5], v[16:17], v[4:5] op_sel:[1,0] op_sel_hi:[0,0]
	v_pk_add_f32 v[2:3], v[2:3], v[6:7]
	v_pk_fma_f32 v[6:7], v[16:17], v[212:213], v[4:5] neg_lo:[0,0,1] neg_hi:[0,0,1]
	v_pk_fma_f32 v[4:5], v[16:17], v[212:213], v[4:5] op_sel_hi:[1,0,1]
	s_nop 0
	v_mov_b32_e32 v7, v5
	v_pk_add_f32 v[2:3], v[2:3], v[6:7]
	s_nop 0
	v_pk_add_f32 v[2:3], v[214:215], v[2:3] neg_lo:[0,1] neg_hi:[0,1]
	scratch_store_dwordx2 off, v[2:3], off offset:32
	s_and_saveexec_b64 s[0:1], vcc
	s_cbranch_execz .LBB40_253
; %bb.252:
	scratch_load_dwordx2 v[2:3], off, off offset:24
	v_mov_b32_e32 v4, 0
	v_mov_b32_e32 v5, v4
	scratch_store_dwordx2 off, v[4:5], off offset:24
	s_waitcnt vmcnt(1)
	ds_write_b64 v1, v[2:3]
.LBB40_253:
	s_or_b64 exec, exec, s[0:1]
	s_waitcnt lgkmcnt(0)
	; wave barrier
	scratch_load_dwordx4 v[2:5], off, off offset:32
	scratch_load_dwordx4 v[6:9], off, off offset:48
	;; [unrolled: 1-line block ×15, first 2 shown]
	scratch_load_dwordx2 v[222:223], off, off offset:24
	v_mov_b32_e32 v118, 0
	ds_read_b128 v[62:65], v118 offset:368
	ds_read_b128 v[66:69], v118 offset:384
	;; [unrolled: 1-line block ×14, first 2 shown]
	v_cmp_lt_u32_e32 vcc, 2, v0
	s_waitcnt vmcnt(15) lgkmcnt(13)
	v_mul_f32_e32 v119, v62, v3
	v_mul_f32_e32 v202, v64, v5
	v_fmac_f32_e32 v119, v63, v2
	s_waitcnt vmcnt(14) lgkmcnt(12)
	v_mul_f32_e32 v203, v66, v7
	v_fmac_f32_e32 v202, v65, v4
	v_add_f32_e32 v119, 0, v119
	v_mul_f32_e32 v204, v68, v9
	v_fmac_f32_e32 v203, v67, v6
	v_add_f32_e32 v119, v119, v202
	s_waitcnt vmcnt(13) lgkmcnt(11)
	v_mul_f32_e32 v205, v70, v11
	v_fmac_f32_e32 v204, v69, v8
	v_add_f32_e32 v119, v119, v203
	v_mul_f32_e32 v206, v72, v13
	v_fmac_f32_e32 v205, v71, v10
	v_add_f32_e32 v119, v119, v204
	;; [unrolled: 7-line block ×11, first 2 shown]
	s_waitcnt vmcnt(3) lgkmcnt(1)
	v_mul_f32_e32 v227, v110, v51
	v_fmac_f32_e32 v226, v109, v48
	v_add_f32_e32 v119, v119, v225
	v_add_f32_e32 v119, v119, v226
	v_fmac_f32_e32 v227, v111, v50
	v_mul_f32_e32 v202, v112, v53
	v_add_f32_e32 v119, v119, v227
	v_fmac_f32_e32 v202, v113, v52
	s_waitcnt vmcnt(2) lgkmcnt(0)
	v_mul_f32_e32 v206, v114, v55
	v_add_f32_e32 v119, v119, v202
	v_fmac_f32_e32 v206, v115, v54
	ds_read_b128 v[202:205], v118 offset:592
	v_add_f32_e32 v225, v119, v206
	ds_read_b128 v[206:209], v118 offset:608
	scratch_load_dwordx4 v[210:213], off, off offset:272
	scratch_load_dwordx4 v[214:217], off, off offset:288
	;; [unrolled: 1-line block ×3, first 2 shown]
	scratch_load_dwordx2 v[230:231], off, off offset:320
	v_mul_f32_e32 v3, v63, v3
	v_fma_f32 v2, v62, v2, -v3
	v_mul_f32_e32 v3, v65, v5
	v_add_f32_e32 v2, 0, v2
	v_fma_f32 v3, v64, v4, -v3
	v_add_f32_e32 v2, v2, v3
	v_mul_f32_e32 v3, v67, v7
	v_fma_f32 v3, v66, v6, -v3
	v_add_f32_e32 v2, v2, v3
	v_mul_f32_e32 v3, v69, v9
	;; [unrolled: 3-line block ×25, first 2 shown]
	v_fma_f32 v3, v114, v54, -v3
	v_mul_f32_e32 v227, v116, v57
	v_add_f32_e32 v224, v2, v3
	v_mul_f32_e32 v2, v117, v57
	s_waitcnt vmcnt(5)
	v_mov_b32_e32 v14, v61
	v_fmac_f32_e32 v227, v117, v56
	s_waitcnt lgkmcnt(1)
	v_mul_f32_e32 v229, v202, v59
	v_fma_f32 v226, v116, v56, -v2
	v_mul_f32_e32 v2, v203, v59
	v_pk_mul_f32 v[14:15], v[204:205], v[14:15] op_sel:[1,0] op_sel_hi:[0,0]
	v_fmac_f32_e32 v229, v203, v58
	v_fma_f32 v228, v202, v58, -v2
	v_pk_add_f32 v[12:13], v[224:225], v[226:227]
	v_pk_fma_f32 v[16:17], v[204:205], v[60:61], v[14:15] neg_lo:[0,0,1] neg_hi:[0,0,1]
	v_pk_fma_f32 v[14:15], v[204:205], v[60:61], v[14:15] op_sel_hi:[1,0,1]
	v_pk_add_f32 v[12:13], v[12:13], v[228:229]
	v_mov_b32_e32 v17, v15
	s_waitcnt vmcnt(3) lgkmcnt(0)
	v_pk_mul_f32 v[14:15], v[206:207], v[210:211] op_sel:[1,1] op_sel_hi:[0,1]
	v_pk_add_f32 v[12:13], v[12:13], v[16:17]
	v_pk_fma_f32 v[16:17], v[206:207], v[210:211], v[14:15] neg_lo:[0,0,1] neg_hi:[0,0,1]
	v_pk_fma_f32 v[14:15], v[206:207], v[210:211], v[14:15] op_sel_hi:[1,0,1]
	ds_read_b128 v[2:5], v118 offset:624
	ds_read_b128 v[6:9], v118 offset:640
	ds_read_b64 v[10:11], v118 offset:656
	v_mov_b32_e32 v14, v213
	v_mov_b32_e32 v17, v15
	v_pk_mul_f32 v[14:15], v[208:209], v[14:15] op_sel:[1,0] op_sel_hi:[0,0]
	v_pk_add_f32 v[12:13], v[12:13], v[16:17]
	v_pk_fma_f32 v[16:17], v[208:209], v[212:213], v[14:15] neg_lo:[0,0,1] neg_hi:[0,0,1]
	v_pk_fma_f32 v[14:15], v[208:209], v[212:213], v[14:15] op_sel_hi:[1,0,1]
	s_nop 0
	v_mov_b32_e32 v17, v15
	s_waitcnt vmcnt(2) lgkmcnt(2)
	v_pk_mul_f32 v[14:15], v[2:3], v[214:215] op_sel:[1,1] op_sel_hi:[0,1]
	v_pk_add_f32 v[12:13], v[12:13], v[16:17]
	v_pk_fma_f32 v[16:17], v[2:3], v[214:215], v[14:15] neg_lo:[0,0,1] neg_hi:[0,0,1]
	v_pk_fma_f32 v[2:3], v[2:3], v[214:215], v[14:15] op_sel_hi:[1,0,1]
	s_nop 0
	v_mov_b32_e32 v17, v3
	v_pk_add_f32 v[2:3], v[12:13], v[16:17]
	v_mov_b32_e32 v12, v217
	v_pk_mul_f32 v[12:13], v[4:5], v[12:13] op_sel:[1,0] op_sel_hi:[0,0]
	v_pk_fma_f32 v[14:15], v[4:5], v[216:217], v[12:13] neg_lo:[0,0,1] neg_hi:[0,0,1]
	v_pk_fma_f32 v[4:5], v[4:5], v[216:217], v[12:13] op_sel_hi:[1,0,1]
	s_nop 0
	v_mov_b32_e32 v15, v5
	s_waitcnt vmcnt(1) lgkmcnt(1)
	v_pk_mul_f32 v[4:5], v[6:7], v[218:219] op_sel:[1,1] op_sel_hi:[0,1]
	v_pk_fma_f32 v[12:13], v[6:7], v[218:219], v[4:5] neg_lo:[0,0,1] neg_hi:[0,0,1]
	v_pk_fma_f32 v[4:5], v[6:7], v[218:219], v[4:5] op_sel_hi:[1,0,1]
	v_pk_add_f32 v[2:3], v[2:3], v[14:15]
	v_mov_b32_e32 v4, v221
	v_mov_b32_e32 v13, v5
	v_pk_mul_f32 v[4:5], v[8:9], v[4:5] op_sel:[1,0] op_sel_hi:[0,0]
	v_pk_fma_f32 v[6:7], v[8:9], v[220:221], v[4:5] neg_lo:[0,0,1] neg_hi:[0,0,1]
	v_pk_fma_f32 v[4:5], v[8:9], v[220:221], v[4:5] op_sel_hi:[1,0,1]
	v_pk_add_f32 v[2:3], v[2:3], v[12:13]
	v_mov_b32_e32 v7, v5
	s_waitcnt vmcnt(0) lgkmcnt(0)
	v_pk_mul_f32 v[4:5], v[10:11], v[230:231] op_sel:[1,1] op_sel_hi:[0,1]
	v_pk_add_f32 v[2:3], v[2:3], v[6:7]
	v_pk_fma_f32 v[6:7], v[10:11], v[230:231], v[4:5] neg_lo:[0,0,1] neg_hi:[0,0,1]
	v_pk_fma_f32 v[4:5], v[10:11], v[230:231], v[4:5] op_sel_hi:[1,0,1]
	s_nop 0
	v_mov_b32_e32 v7, v5
	v_pk_add_f32 v[2:3], v[2:3], v[6:7]
	s_nop 0
	v_pk_add_f32 v[2:3], v[222:223], v[2:3] neg_lo:[0,1] neg_hi:[0,1]
	scratch_store_dwordx2 off, v[2:3], off offset:24
	s_and_saveexec_b64 s[0:1], vcc
	s_cbranch_execz .LBB40_255
; %bb.254:
	scratch_load_dwordx2 v[2:3], off, off offset:16
	v_mov_b32_e32 v119, v118
	scratch_store_dwordx2 off, v[118:119], off offset:16
	s_waitcnt vmcnt(1)
	ds_write_b64 v1, v[2:3]
.LBB40_255:
	s_or_b64 exec, exec, s[0:1]
	s_waitcnt lgkmcnt(0)
	; wave barrier
	scratch_load_dwordx4 v[2:5], off, off offset:24
	scratch_load_dwordx4 v[6:9], off, off offset:40
	;; [unrolled: 1-line block ×13, first 2 shown]
	ds_read2_b64 v[114:117], v118 offset0:45 offset1:46
	ds_read2_b64 v[110:113], v118 offset0:47 offset1:48
	;; [unrolled: 1-line block ×14, first 2 shown]
	scratch_load_dwordx4 v[62:65], off, off offset:232
	scratch_load_dwordx4 v[70:73], off, off offset:248
	scratch_load_dwordx2 v[226:227], off, off offset:16
	v_cmp_lt_u32_e32 vcc, 1, v0
	s_waitcnt vmcnt(15) lgkmcnt(13)
	v_mul_f32_e32 v119, v114, v3
	v_mul_f32_e32 v202, v116, v5
	v_fmac_f32_e32 v119, v115, v2
	s_waitcnt vmcnt(14) lgkmcnt(12)
	v_mul_f32_e32 v203, v110, v7
	v_fmac_f32_e32 v202, v117, v4
	v_add_f32_e32 v119, 0, v119
	v_mul_f32_e32 v204, v112, v9
	v_fmac_f32_e32 v203, v111, v6
	v_add_f32_e32 v119, v119, v202
	s_waitcnt vmcnt(13) lgkmcnt(11)
	v_mul_f32_e32 v205, v106, v11
	v_fmac_f32_e32 v204, v113, v8
	v_add_f32_e32 v119, v119, v203
	v_mul_f32_e32 v206, v108, v13
	v_fmac_f32_e32 v205, v107, v10
	v_add_f32_e32 v119, v119, v204
	s_waitcnt vmcnt(12) lgkmcnt(10)
	v_mul_f32_e32 v207, v102, v15
	v_fmac_f32_e32 v206, v109, v12
	v_add_f32_e32 v119, v119, v205
	v_mul_f32_e32 v208, v104, v17
	v_fmac_f32_e32 v207, v103, v14
	v_add_f32_e32 v119, v119, v206
	s_waitcnt vmcnt(11) lgkmcnt(9)
	v_mul_f32_e32 v209, v98, v19
	v_fmac_f32_e32 v208, v105, v16
	v_add_f32_e32 v119, v119, v207
	v_mul_f32_e32 v210, v100, v21
	v_fmac_f32_e32 v209, v99, v18
	v_add_f32_e32 v119, v119, v208
	s_waitcnt vmcnt(10) lgkmcnt(8)
	v_mul_f32_e32 v211, v94, v23
	v_fmac_f32_e32 v210, v101, v20
	v_add_f32_e32 v119, v119, v209
	v_mul_f32_e32 v212, v96, v25
	v_fmac_f32_e32 v211, v95, v22
	v_add_f32_e32 v119, v119, v210
	s_waitcnt vmcnt(9) lgkmcnt(7)
	v_mul_f32_e32 v213, v90, v27
	v_fmac_f32_e32 v212, v97, v24
	v_add_f32_e32 v119, v119, v211
	v_mul_f32_e32 v214, v92, v29
	v_fmac_f32_e32 v213, v91, v26
	v_add_f32_e32 v119, v119, v212
	s_waitcnt vmcnt(8) lgkmcnt(6)
	v_mul_f32_e32 v215, v86, v31
	v_fmac_f32_e32 v214, v93, v28
	v_add_f32_e32 v119, v119, v213
	v_mul_f32_e32 v216, v88, v33
	v_fmac_f32_e32 v215, v87, v30
	v_add_f32_e32 v119, v119, v214
	s_waitcnt vmcnt(7) lgkmcnt(5)
	v_mul_f32_e32 v217, v82, v35
	v_fmac_f32_e32 v216, v89, v32
	v_add_f32_e32 v119, v119, v215
	v_mul_f32_e32 v218, v84, v37
	v_fmac_f32_e32 v217, v83, v34
	v_add_f32_e32 v119, v119, v216
	s_waitcnt vmcnt(6) lgkmcnt(4)
	v_mul_f32_e32 v219, v78, v39
	v_fmac_f32_e32 v218, v85, v36
	v_add_f32_e32 v119, v119, v217
	v_mul_f32_e32 v220, v80, v41
	v_fmac_f32_e32 v219, v79, v38
	v_add_f32_e32 v119, v119, v218
	s_waitcnt vmcnt(5) lgkmcnt(3)
	v_mul_f32_e32 v221, v74, v43
	v_fmac_f32_e32 v220, v81, v40
	v_add_f32_e32 v119, v119, v219
	v_mul_f32_e32 v222, v76, v45
	v_fmac_f32_e32 v221, v75, v42
	v_add_f32_e32 v119, v119, v220
	s_waitcnt vmcnt(4) lgkmcnt(2)
	v_mul_f32_e32 v223, v66, v47
	v_fmac_f32_e32 v222, v77, v44
	v_add_f32_e32 v119, v119, v221
	v_mul_f32_e32 v224, v68, v49
	v_fmac_f32_e32 v223, v67, v46
	v_add_f32_e32 v119, v119, v222
	s_waitcnt vmcnt(3) lgkmcnt(1)
	v_mul_f32_e32 v225, v54, v51
	v_fmac_f32_e32 v224, v69, v48
	v_add_f32_e32 v119, v119, v223
	v_fmac_f32_e32 v225, v55, v50
	v_add_f32_e32 v119, v119, v224
	v_mul_f32_e32 v202, v56, v53
	v_add_f32_e32 v119, v119, v225
	v_fmac_f32_e32 v202, v57, v52
	v_add_f32_e32 v119, v119, v202
	s_waitcnt vmcnt(2) lgkmcnt(0)
	v_mul_f32_e32 v202, v58, v63
	v_fmac_f32_e32 v202, v59, v62
	v_mul_f32_e32 v206, v60, v65
	v_add_f32_e32 v119, v119, v202
	v_fmac_f32_e32 v206, v61, v64
	ds_read2_b64 v[202:205], v118 offset0:73 offset1:74
	v_add_f32_e32 v229, v119, v206
	ds_read2_b64 v[206:209], v118 offset0:75 offset1:76
	scratch_load_dwordx4 v[210:213], off, off offset:264
	scratch_load_dwordx4 v[214:217], off, off offset:280
	scratch_load_dwordx4 v[218:221], off, off offset:296
	scratch_load_dwordx4 v[222:225], off, off offset:312
	v_mul_f32_e32 v3, v115, v3
	v_fma_f32 v2, v114, v2, -v3
	v_mul_f32_e32 v3, v117, v5
	v_add_f32_e32 v2, 0, v2
	v_fma_f32 v3, v116, v4, -v3
	v_add_f32_e32 v2, v2, v3
	v_mul_f32_e32 v3, v111, v7
	v_fma_f32 v3, v110, v6, -v3
	v_add_f32_e32 v2, v2, v3
	v_mul_f32_e32 v3, v113, v9
	;; [unrolled: 3-line block ×26, first 2 shown]
	v_fma_f32 v3, v60, v64, -v3
	s_waitcnt vmcnt(5) lgkmcnt(1)
	v_mul_f32_e32 v231, v202, v71
	v_add_f32_e32 v228, v2, v3
	v_mul_f32_e32 v2, v203, v71
	s_waitcnt vmcnt(3) lgkmcnt(0)
	v_pk_mul_f32 v[16:17], v[206:207], v[210:211] op_sel:[1,1] op_sel_hi:[0,1]
	v_fmac_f32_e32 v231, v203, v70
	v_mul_f32_e32 v233, v204, v73
	v_fma_f32 v230, v202, v70, -v2
	v_mul_f32_e32 v2, v205, v73
	v_pk_fma_f32 v[18:19], v[206:207], v[210:211], v[16:17] neg_lo:[0,0,1] neg_hi:[0,0,1]
	v_pk_fma_f32 v[16:17], v[206:207], v[210:211], v[16:17] op_sel_hi:[1,0,1]
	v_fmac_f32_e32 v233, v205, v72
	v_fma_f32 v232, v204, v72, -v2
	ds_read2_b64 v[2:5], v118 offset0:77 offset1:78
	ds_read2_b64 v[6:9], v118 offset0:79 offset1:80
	;; [unrolled: 1-line block ×3, first 2 shown]
	v_pk_add_f32 v[14:15], v[228:229], v[230:231]
	v_mov_b32_e32 v16, v213
	v_pk_add_f32 v[14:15], v[14:15], v[232:233]
	v_mov_b32_e32 v19, v17
	v_pk_mul_f32 v[16:17], v[208:209], v[16:17] op_sel:[1,0] op_sel_hi:[0,0]
	v_pk_add_f32 v[14:15], v[14:15], v[18:19]
	v_pk_fma_f32 v[18:19], v[208:209], v[212:213], v[16:17] neg_lo:[0,0,1] neg_hi:[0,0,1]
	v_pk_fma_f32 v[16:17], v[208:209], v[212:213], v[16:17] op_sel_hi:[1,0,1]
	s_nop 0
	v_mov_b32_e32 v19, v17
	s_waitcnt vmcnt(2) lgkmcnt(2)
	v_pk_mul_f32 v[16:17], v[2:3], v[214:215] op_sel:[1,1] op_sel_hi:[0,1]
	v_pk_add_f32 v[14:15], v[14:15], v[18:19]
	v_pk_fma_f32 v[18:19], v[2:3], v[214:215], v[16:17] neg_lo:[0,0,1] neg_hi:[0,0,1]
	v_pk_fma_f32 v[2:3], v[2:3], v[214:215], v[16:17] op_sel_hi:[1,0,1]
	s_nop 0
	v_mov_b32_e32 v19, v3
	v_pk_add_f32 v[2:3], v[14:15], v[18:19]
	v_mov_b32_e32 v14, v217
	v_pk_mul_f32 v[14:15], v[4:5], v[14:15] op_sel:[1,0] op_sel_hi:[0,0]
	v_pk_fma_f32 v[16:17], v[4:5], v[216:217], v[14:15] neg_lo:[0,0,1] neg_hi:[0,0,1]
	v_pk_fma_f32 v[4:5], v[4:5], v[216:217], v[14:15] op_sel_hi:[1,0,1]
	s_nop 0
	v_mov_b32_e32 v17, v5
	s_waitcnt vmcnt(1) lgkmcnt(1)
	v_pk_mul_f32 v[4:5], v[6:7], v[218:219] op_sel:[1,1] op_sel_hi:[0,1]
	v_pk_fma_f32 v[14:15], v[6:7], v[218:219], v[4:5] neg_lo:[0,0,1] neg_hi:[0,0,1]
	v_pk_fma_f32 v[4:5], v[6:7], v[218:219], v[4:5] op_sel_hi:[1,0,1]
	v_pk_add_f32 v[2:3], v[2:3], v[16:17]
	v_mov_b32_e32 v4, v221
	v_mov_b32_e32 v15, v5
	v_pk_mul_f32 v[4:5], v[8:9], v[4:5] op_sel:[1,0] op_sel_hi:[0,0]
	v_pk_fma_f32 v[6:7], v[8:9], v[220:221], v[4:5] neg_lo:[0,0,1] neg_hi:[0,0,1]
	v_pk_fma_f32 v[4:5], v[8:9], v[220:221], v[4:5] op_sel_hi:[1,0,1]
	v_pk_add_f32 v[2:3], v[2:3], v[14:15]
	v_mov_b32_e32 v7, v5
	s_waitcnt vmcnt(0) lgkmcnt(0)
	v_pk_mul_f32 v[4:5], v[10:11], v[222:223] op_sel:[1,1] op_sel_hi:[0,1]
	v_pk_add_f32 v[2:3], v[2:3], v[6:7]
	v_pk_fma_f32 v[6:7], v[10:11], v[222:223], v[4:5] neg_lo:[0,0,1] neg_hi:[0,0,1]
	v_pk_fma_f32 v[4:5], v[10:11], v[222:223], v[4:5] op_sel_hi:[1,0,1]
	s_nop 0
	v_mov_b32_e32 v4, v225
	v_mov_b32_e32 v7, v5
	v_pk_mul_f32 v[4:5], v[12:13], v[4:5] op_sel:[1,0] op_sel_hi:[0,0]
	v_pk_add_f32 v[2:3], v[2:3], v[6:7]
	v_pk_fma_f32 v[6:7], v[12:13], v[224:225], v[4:5] neg_lo:[0,0,1] neg_hi:[0,0,1]
	v_pk_fma_f32 v[4:5], v[12:13], v[224:225], v[4:5] op_sel_hi:[1,0,1]
	s_nop 0
	v_mov_b32_e32 v7, v5
	v_pk_add_f32 v[2:3], v[2:3], v[6:7]
	s_nop 0
	v_pk_add_f32 v[2:3], v[226:227], v[2:3] neg_lo:[0,1] neg_hi:[0,1]
	scratch_store_dwordx2 off, v[2:3], off offset:16
	s_and_saveexec_b64 s[0:1], vcc
	s_cbranch_execz .LBB40_257
; %bb.256:
	scratch_load_dwordx2 v[2:3], off, off offset:8
	v_mov_b32_e32 v4, 0
	v_mov_b32_e32 v5, v4
	scratch_store_dwordx2 off, v[4:5], off offset:8
	s_waitcnt vmcnt(1)
	ds_write_b64 v1, v[2:3]
.LBB40_257:
	s_or_b64 exec, exec, s[0:1]
	s_waitcnt lgkmcnt(0)
	; wave barrier
	scratch_load_dwordx4 v[2:5], off, off offset:16
	scratch_load_dwordx4 v[6:9], off, off offset:32
	;; [unrolled: 1-line block ×16, first 2 shown]
	scratch_load_dwordx2 v[118:119], off, off offset:8
	v_mov_b32_e32 v202, 0
	ds_read_b128 v[66:69], v202 offset:352
	ds_read_b128 v[70:73], v202 offset:368
	;; [unrolled: 1-line block ×14, first 2 shown]
	v_cmp_ne_u32_e32 vcc, 0, v0
	s_waitcnt vmcnt(16) lgkmcnt(13)
	v_mul_f32_e32 v203, v66, v3
	v_mul_f32_e32 v208, v68, v5
	v_fmac_f32_e32 v203, v67, v2
	s_waitcnt vmcnt(15) lgkmcnt(12)
	v_mul_f32_e32 v209, v70, v7
	v_fmac_f32_e32 v208, v69, v4
	v_add_f32_e32 v203, 0, v203
	v_mul_f32_e32 v210, v72, v9
	v_fmac_f32_e32 v209, v71, v6
	v_add_f32_e32 v203, v203, v208
	s_waitcnt vmcnt(14) lgkmcnt(11)
	v_mul_f32_e32 v211, v74, v11
	v_fmac_f32_e32 v210, v73, v8
	v_add_f32_e32 v203, v203, v209
	v_mul_f32_e32 v212, v76, v13
	v_fmac_f32_e32 v211, v75, v10
	v_add_f32_e32 v203, v203, v210
	;; [unrolled: 7-line block ×11, first 2 shown]
	v_fmac_f32_e32 v230, v113, v48
	v_add_f32_e32 v203, v203, v229
	s_waitcnt vmcnt(4) lgkmcnt(1)
	v_mul_f32_e32 v208, v114, v51
	v_add_f32_e32 v203, v203, v230
	v_fmac_f32_e32 v208, v115, v50
	v_add_f32_e32 v203, v203, v208
	v_mul_f32_e32 v208, v116, v53
	v_fmac_f32_e32 v208, v117, v52
	v_add_f32_e32 v203, v203, v208
	s_waitcnt vmcnt(3) lgkmcnt(0)
	v_mul_f32_e32 v208, v204, v55
	v_fmac_f32_e32 v208, v205, v54
	v_add_f32_e32 v203, v203, v208
	ds_read_b128 v[208:211], v202 offset:576
	v_mul_f32_e32 v212, v206, v57
	v_fmac_f32_e32 v212, v207, v56
	v_add_f32_e32 v203, v203, v212
	ds_read_b128 v[212:215], v202 offset:592
	s_waitcnt vmcnt(2) lgkmcnt(1)
	v_mul_f32_e32 v216, v208, v63
	v_fmac_f32_e32 v216, v209, v62
	v_add_f32_e32 v229, v203, v216
	scratch_load_dwordx4 v[216:219], off, off offset:272
	scratch_load_dwordx4 v[220:223], off, off offset:288
	;; [unrolled: 1-line block ×3, first 2 shown]
	scratch_load_dwordx2 v[234:235], off, off offset:320
	v_mul_f32_e32 v3, v67, v3
	v_fma_f32 v2, v66, v2, -v3
	v_mul_f32_e32 v3, v69, v5
	v_add_f32_e32 v2, 0, v2
	v_fma_f32 v3, v68, v4, -v3
	v_add_f32_e32 v2, v2, v3
	v_mul_f32_e32 v3, v71, v7
	v_fma_f32 v3, v70, v6, -v3
	v_add_f32_e32 v2, v2, v3
	v_mul_f32_e32 v3, v73, v9
	;; [unrolled: 3-line block ×28, first 2 shown]
	v_mul_f32_e32 v231, v210, v65
	v_fma_f32 v230, v210, v64, -v2
	s_waitcnt vmcnt(5) lgkmcnt(0)
	v_mul_f32_e32 v2, v213, v59
	v_mov_b32_e32 v18, v61
	v_fmac_f32_e32 v231, v211, v64
	v_mul_f32_e32 v233, v212, v59
	v_fma_f32 v232, v212, v58, -v2
	ds_read_b128 v[2:5], v202 offset:608
	ds_read_b128 v[6:9], v202 offset:624
	;; [unrolled: 1-line block ×3, first 2 shown]
	ds_read_b64 v[14:15], v202 offset:656
	v_pk_mul_f32 v[18:19], v[214:215], v[18:19] op_sel:[1,0] op_sel_hi:[0,0]
	v_fmac_f32_e32 v233, v213, v58
	v_pk_add_f32 v[16:17], v[228:229], v[230:231]
	v_pk_fma_f32 v[20:21], v[214:215], v[60:61], v[18:19] neg_lo:[0,0,1] neg_hi:[0,0,1]
	v_pk_fma_f32 v[18:19], v[214:215], v[60:61], v[18:19] op_sel_hi:[1,0,1]
	v_pk_add_f32 v[16:17], v[16:17], v[232:233]
	v_mov_b32_e32 v21, v19
	s_waitcnt vmcnt(3) lgkmcnt(3)
	v_pk_mul_f32 v[18:19], v[2:3], v[216:217] op_sel:[1,1] op_sel_hi:[0,1]
	v_pk_add_f32 v[16:17], v[16:17], v[20:21]
	v_pk_fma_f32 v[20:21], v[2:3], v[216:217], v[18:19] neg_lo:[0,0,1] neg_hi:[0,0,1]
	v_pk_fma_f32 v[2:3], v[2:3], v[216:217], v[18:19] op_sel_hi:[1,0,1]
	s_nop 0
	v_mov_b32_e32 v21, v3
	v_pk_add_f32 v[2:3], v[16:17], v[20:21]
	v_mov_b32_e32 v16, v219
	v_pk_mul_f32 v[16:17], v[4:5], v[16:17] op_sel:[1,0] op_sel_hi:[0,0]
	v_pk_fma_f32 v[18:19], v[4:5], v[218:219], v[16:17] neg_lo:[0,0,1] neg_hi:[0,0,1]
	v_pk_fma_f32 v[4:5], v[4:5], v[218:219], v[16:17] op_sel_hi:[1,0,1]
	s_nop 0
	v_mov_b32_e32 v19, v5
	s_waitcnt vmcnt(2) lgkmcnt(2)
	v_pk_mul_f32 v[4:5], v[6:7], v[220:221] op_sel:[1,1] op_sel_hi:[0,1]
	v_pk_fma_f32 v[16:17], v[6:7], v[220:221], v[4:5] neg_lo:[0,0,1] neg_hi:[0,0,1]
	v_pk_fma_f32 v[4:5], v[6:7], v[220:221], v[4:5] op_sel_hi:[1,0,1]
	v_pk_add_f32 v[2:3], v[2:3], v[18:19]
	v_mov_b32_e32 v4, v223
	v_mov_b32_e32 v17, v5
	v_pk_mul_f32 v[4:5], v[8:9], v[4:5] op_sel:[1,0] op_sel_hi:[0,0]
	v_pk_fma_f32 v[6:7], v[8:9], v[222:223], v[4:5] neg_lo:[0,0,1] neg_hi:[0,0,1]
	v_pk_fma_f32 v[4:5], v[8:9], v[222:223], v[4:5] op_sel_hi:[1,0,1]
	v_pk_add_f32 v[2:3], v[2:3], v[16:17]
	v_mov_b32_e32 v7, v5
	s_waitcnt vmcnt(1) lgkmcnt(1)
	v_pk_mul_f32 v[4:5], v[10:11], v[224:225] op_sel:[1,1] op_sel_hi:[0,1]
	v_pk_add_f32 v[2:3], v[2:3], v[6:7]
	v_pk_fma_f32 v[6:7], v[10:11], v[224:225], v[4:5] neg_lo:[0,0,1] neg_hi:[0,0,1]
	v_pk_fma_f32 v[4:5], v[10:11], v[224:225], v[4:5] op_sel_hi:[1,0,1]
	s_nop 0
	v_mov_b32_e32 v4, v227
	v_mov_b32_e32 v7, v5
	v_pk_mul_f32 v[4:5], v[12:13], v[4:5] op_sel:[1,0] op_sel_hi:[0,0]
	v_pk_add_f32 v[2:3], v[2:3], v[6:7]
	v_pk_fma_f32 v[6:7], v[12:13], v[226:227], v[4:5] neg_lo:[0,0,1] neg_hi:[0,0,1]
	v_pk_fma_f32 v[4:5], v[12:13], v[226:227], v[4:5] op_sel_hi:[1,0,1]
	s_nop 0
	v_mov_b32_e32 v7, v5
	s_waitcnt vmcnt(0) lgkmcnt(0)
	v_pk_mul_f32 v[4:5], v[14:15], v[234:235] op_sel:[1,1] op_sel_hi:[0,1]
	v_pk_add_f32 v[2:3], v[2:3], v[6:7]
	v_pk_fma_f32 v[6:7], v[14:15], v[234:235], v[4:5] neg_lo:[0,0,1] neg_hi:[0,0,1]
	v_pk_fma_f32 v[4:5], v[14:15], v[234:235], v[4:5] op_sel_hi:[1,0,1]
	s_nop 0
	v_mov_b32_e32 v7, v5
	v_pk_add_f32 v[2:3], v[2:3], v[6:7]
	s_nop 0
	v_pk_add_f32 v[2:3], v[118:119], v[2:3] neg_lo:[0,1] neg_hi:[0,1]
	scratch_store_dwordx2 off, v[2:3], off offset:8
	s_and_saveexec_b64 s[0:1], vcc
	s_cbranch_execz .LBB40_259
; %bb.258:
	scratch_load_dwordx2 v[2:3], off, off
	v_mov_b32_e32 v203, v202
	scratch_store_dwordx2 off, v[202:203], off
	s_waitcnt vmcnt(1)
	ds_write_b64 v1, v[2:3]
.LBB40_259:
	s_or_b64 exec, exec, s[0:1]
	s_waitcnt lgkmcnt(0)
	; wave barrier
	scratch_load_dwordx4 v[0:3], off, off offset:8
	scratch_load_dwordx4 v[4:7], off, off offset:24
	;; [unrolled: 1-line block ×13, first 2 shown]
	ds_read2_b64 v[116:119], v202 offset0:43 offset1:44
	ds_read2_b64 v[112:115], v202 offset0:45 offset1:46
	;; [unrolled: 1-line block ×14, first 2 shown]
	scratch_load_dwordx4 v[60:63], off, off offset:216
	scratch_load_dwordx4 v[68:71], off, off offset:232
	scratch_load_dwordx4 v[76:79], off, off offset:248
	scratch_load_dwordx2 v[228:229], off, off
	s_and_b64 vcc, exec, s[18:19]
	s_waitcnt vmcnt(16) lgkmcnt(13)
	v_mul_f32_e32 v203, v116, v1
	v_mul_f32_e32 v204, v118, v3
	v_fmac_f32_e32 v203, v117, v0
	s_waitcnt vmcnt(15) lgkmcnt(12)
	v_mul_f32_e32 v205, v112, v5
	v_fmac_f32_e32 v204, v119, v2
	v_add_f32_e32 v203, 0, v203
	v_mul_f32_e32 v206, v114, v7
	v_fmac_f32_e32 v205, v113, v4
	v_add_f32_e32 v203, v203, v204
	s_waitcnt vmcnt(14) lgkmcnt(11)
	v_mul_f32_e32 v207, v108, v9
	v_fmac_f32_e32 v206, v115, v6
	v_add_f32_e32 v203, v203, v205
	v_mul_f32_e32 v208, v110, v11
	v_fmac_f32_e32 v207, v109, v8
	v_add_f32_e32 v203, v203, v206
	;; [unrolled: 7-line block ×11, first 2 shown]
	s_waitcnt vmcnt(4) lgkmcnt(1)
	v_mul_f32_e32 v227, v52, v49
	v_fmac_f32_e32 v226, v67, v46
	v_add_f32_e32 v203, v203, v225
	v_add_f32_e32 v203, v203, v226
	v_fmac_f32_e32 v227, v53, v48
	v_mul_f32_e32 v204, v54, v51
	v_add_f32_e32 v203, v203, v227
	v_fmac_f32_e32 v204, v55, v50
	v_add_f32_e32 v203, v203, v204
	s_waitcnt vmcnt(3) lgkmcnt(0)
	v_mul_f32_e32 v204, v56, v61
	v_fmac_f32_e32 v204, v57, v60
	v_add_f32_e32 v203, v203, v204
	ds_read2_b64 v[204:207], v202 offset0:71 offset1:72
	v_mul_f32_e32 v208, v58, v63
	v_fmac_f32_e32 v208, v59, v62
	v_add_f32_e32 v203, v203, v208
	ds_read2_b64 v[208:211], v202 offset0:73 offset1:74
	s_waitcnt vmcnt(2) lgkmcnt(1)
	v_mul_f32_e32 v212, v204, v69
	v_fmac_f32_e32 v212, v205, v68
	v_add_f32_e32 v203, v203, v212
	v_mul_f32_e32 v212, v206, v71
	v_fmac_f32_e32 v212, v207, v70
	v_add_f32_e32 v231, v203, v212
	scratch_load_dwordx4 v[212:215], off, off offset:264
	scratch_load_dwordx4 v[216:219], off, off offset:280
	;; [unrolled: 1-line block ×4, first 2 shown]
	v_mul_f32_e32 v1, v117, v1
	v_fma_f32 v0, v116, v0, -v1
	v_mul_f32_e32 v1, v119, v3
	v_add_f32_e32 v0, 0, v0
	v_fma_f32 v1, v118, v2, -v1
	v_add_f32_e32 v0, v0, v1
	v_mul_f32_e32 v1, v113, v5
	v_fma_f32 v1, v112, v4, -v1
	v_add_f32_e32 v0, v0, v1
	v_mul_f32_e32 v1, v115, v7
	;; [unrolled: 3-line block ×28, first 2 shown]
	v_fma_f32 v1, v206, v70, -v1
	v_add_f32_e32 v230, v0, v1
	s_waitcnt vmcnt(5) lgkmcnt(0)
	v_mul_f32_e32 v0, v209, v77
	v_fma_f32 v232, v208, v76, -v0
	v_mul_f32_e32 v0, v211, v79
	v_fma_f32 v234, v210, v78, -v0
	ds_read2_b64 v[0:3], v202 offset0:75 offset1:76
	ds_read2_b64 v[4:7], v202 offset0:77 offset1:78
	;; [unrolled: 1-line block ×4, first 2 shown]
	v_mul_f32_e32 v233, v208, v77
	v_fmac_f32_e32 v233, v209, v76
	v_mul_f32_e32 v235, v210, v79
	s_waitcnt vmcnt(3) lgkmcnt(3)
	v_pk_mul_f32 v[18:19], v[0:1], v[212:213] op_sel:[1,1] op_sel_hi:[0,1]
	v_fmac_f32_e32 v235, v211, v78
	v_pk_add_f32 v[16:17], v[230:231], v[232:233]
	v_pk_fma_f32 v[20:21], v[0:1], v[212:213], v[18:19] neg_lo:[0,0,1] neg_hi:[0,0,1]
	v_pk_fma_f32 v[0:1], v[0:1], v[212:213], v[18:19] op_sel_hi:[1,0,1]
	v_pk_add_f32 v[16:17], v[16:17], v[234:235]
	v_mov_b32_e32 v21, v1
	v_pk_add_f32 v[0:1], v[16:17], v[20:21]
	v_mov_b32_e32 v16, v215
	v_pk_mul_f32 v[16:17], v[2:3], v[16:17] op_sel:[1,0] op_sel_hi:[0,0]
	v_pk_fma_f32 v[18:19], v[2:3], v[214:215], v[16:17] neg_lo:[0,0,1] neg_hi:[0,0,1]
	v_pk_fma_f32 v[2:3], v[2:3], v[214:215], v[16:17] op_sel_hi:[1,0,1]
	s_nop 0
	v_mov_b32_e32 v19, v3
	s_waitcnt vmcnt(2) lgkmcnt(2)
	v_pk_mul_f32 v[2:3], v[4:5], v[216:217] op_sel:[1,1] op_sel_hi:[0,1]
	v_pk_fma_f32 v[16:17], v[4:5], v[216:217], v[2:3] neg_lo:[0,0,1] neg_hi:[0,0,1]
	v_pk_fma_f32 v[2:3], v[4:5], v[216:217], v[2:3] op_sel_hi:[1,0,1]
	v_pk_add_f32 v[0:1], v[0:1], v[18:19]
	v_mov_b32_e32 v2, v219
	v_mov_b32_e32 v17, v3
	v_pk_mul_f32 v[2:3], v[6:7], v[2:3] op_sel:[1,0] op_sel_hi:[0,0]
	v_pk_fma_f32 v[4:5], v[6:7], v[218:219], v[2:3] neg_lo:[0,0,1] neg_hi:[0,0,1]
	v_pk_fma_f32 v[2:3], v[6:7], v[218:219], v[2:3] op_sel_hi:[1,0,1]
	v_pk_add_f32 v[0:1], v[0:1], v[16:17]
	v_mov_b32_e32 v5, v3
	s_waitcnt vmcnt(1) lgkmcnt(1)
	v_pk_mul_f32 v[2:3], v[8:9], v[220:221] op_sel:[1,1] op_sel_hi:[0,1]
	v_pk_add_f32 v[0:1], v[0:1], v[4:5]
	v_pk_fma_f32 v[4:5], v[8:9], v[220:221], v[2:3] neg_lo:[0,0,1] neg_hi:[0,0,1]
	v_pk_fma_f32 v[2:3], v[8:9], v[220:221], v[2:3] op_sel_hi:[1,0,1]
	s_nop 0
	v_mov_b32_e32 v2, v223
	v_mov_b32_e32 v5, v3
	v_pk_mul_f32 v[2:3], v[10:11], v[2:3] op_sel:[1,0] op_sel_hi:[0,0]
	v_pk_add_f32 v[0:1], v[0:1], v[4:5]
	v_pk_fma_f32 v[4:5], v[10:11], v[222:223], v[2:3] neg_lo:[0,0,1] neg_hi:[0,0,1]
	v_pk_fma_f32 v[2:3], v[10:11], v[222:223], v[2:3] op_sel_hi:[1,0,1]
	s_nop 0
	v_mov_b32_e32 v5, v3
	s_waitcnt vmcnt(0) lgkmcnt(0)
	v_pk_mul_f32 v[2:3], v[12:13], v[224:225] op_sel:[1,1] op_sel_hi:[0,1]
	v_pk_add_f32 v[0:1], v[0:1], v[4:5]
	v_pk_fma_f32 v[4:5], v[12:13], v[224:225], v[2:3] neg_lo:[0,0,1] neg_hi:[0,0,1]
	v_pk_fma_f32 v[2:3], v[12:13], v[224:225], v[2:3] op_sel_hi:[1,0,1]
	s_nop 0
	v_mov_b32_e32 v2, v227
	v_mov_b32_e32 v5, v3
	v_pk_mul_f32 v[2:3], v[14:15], v[2:3] op_sel:[1,0] op_sel_hi:[0,0]
	v_pk_add_f32 v[0:1], v[0:1], v[4:5]
	v_pk_fma_f32 v[4:5], v[14:15], v[226:227], v[2:3] neg_lo:[0,0,1] neg_hi:[0,0,1]
	v_pk_fma_f32 v[2:3], v[14:15], v[226:227], v[2:3] op_sel_hi:[1,0,1]
	s_nop 0
	v_mov_b32_e32 v5, v3
	v_pk_add_f32 v[0:1], v[0:1], v[4:5]
	s_nop 0
	v_pk_add_f32 v[0:1], v[228:229], v[0:1] neg_lo:[0,1] neg_hi:[0,1]
	scratch_store_dwordx2 off, v[0:1], off
	s_cbranch_vccz .LBB40_340
; %bb.260:
	v_mov_b32_e32 v0, 0
	global_load_dword v1, v0, s[16:17] offset:156
	s_waitcnt vmcnt(0)
	v_readfirstlane_b32 s0, v1
	s_add_i32 s0, s0, -1
	s_cmp_lg_u32 s0, 39
	s_cbranch_scc0 .LBB40_262
; %bb.261:
	s_lshl_b32 s0, s0, 3
	s_nop 0
	scratch_load_dwordx2 v[2:3], off, s0
	scratch_load_dwordx2 v[4:5], off, off offset:312
	s_waitcnt vmcnt(1)
	scratch_store_dwordx2 off, v[2:3], off offset:312
	s_waitcnt vmcnt(1)
	scratch_store_dwordx2 off, v[4:5], s0
.LBB40_262:
	global_load_dword v0, v0, s[16:17] offset:152
	s_waitcnt vmcnt(0)
	v_readfirstlane_b32 s0, v0
	s_add_i32 s0, s0, -1
	s_cmp_eq_u32 s0, 38
	s_cbranch_scc1 .LBB40_264
; %bb.263:
	s_lshl_b32 s0, s0, 3
	s_nop 0
	scratch_load_dwordx2 v[0:1], off, s0
	scratch_load_dwordx2 v[2:3], off, off offset:304
	s_waitcnt vmcnt(1)
	scratch_store_dwordx2 off, v[0:1], off offset:304
	s_waitcnt vmcnt(1)
	scratch_store_dwordx2 off, v[2:3], s0
.LBB40_264:
	v_mov_b32_e32 v0, 0
	global_load_dword v1, v0, s[16:17] offset:148
	s_waitcnt vmcnt(0)
	v_readfirstlane_b32 s0, v1
	s_add_i32 s0, s0, -1
	s_cmp_eq_u32 s0, 37
	s_cbranch_scc1 .LBB40_266
; %bb.265:
	s_lshl_b32 s0, s0, 3
	s_nop 0
	scratch_load_dwordx2 v[2:3], off, s0
	scratch_load_dwordx2 v[4:5], off, off offset:296
	s_waitcnt vmcnt(1)
	scratch_store_dwordx2 off, v[2:3], off offset:296
	s_waitcnt vmcnt(1)
	scratch_store_dwordx2 off, v[4:5], s0
.LBB40_266:
	global_load_dword v0, v0, s[16:17] offset:144
	s_waitcnt vmcnt(0)
	v_readfirstlane_b32 s0, v0
	s_add_i32 s0, s0, -1
	s_cmp_eq_u32 s0, 36
	s_cbranch_scc1 .LBB40_268
; %bb.267:
	s_lshl_b32 s0, s0, 3
	s_nop 0
	scratch_load_dwordx2 v[0:1], off, s0
	scratch_load_dwordx2 v[2:3], off, off offset:288
	s_waitcnt vmcnt(1)
	scratch_store_dwordx2 off, v[0:1], off offset:288
	s_waitcnt vmcnt(1)
	scratch_store_dwordx2 off, v[2:3], s0
.LBB40_268:
	v_mov_b32_e32 v0, 0
	global_load_dword v1, v0, s[16:17] offset:140
	s_waitcnt vmcnt(0)
	v_readfirstlane_b32 s0, v1
	s_add_i32 s0, s0, -1
	s_cmp_eq_u32 s0, 35
	s_cbranch_scc1 .LBB40_270
; %bb.269:
	s_lshl_b32 s0, s0, 3
	s_nop 0
	scratch_load_dwordx2 v[2:3], off, s0
	scratch_load_dwordx2 v[4:5], off, off offset:280
	s_waitcnt vmcnt(1)
	scratch_store_dwordx2 off, v[2:3], off offset:280
	s_waitcnt vmcnt(1)
	scratch_store_dwordx2 off, v[4:5], s0
.LBB40_270:
	;; [unrolled: 33-line block ×19, first 2 shown]
	global_load_dword v2, v0, s[16:17]
	s_nop 0
	scratch_load_dwordx2 v[0:1], off, off
	s_waitcnt vmcnt(1)
	v_readfirstlane_b32 s0, v2
	s_add_i32 s0, s0, -1
	s_cmp_eq_u32 s0, 0
	s_cbranch_scc1 .LBB40_340
; %bb.339:
	s_lshl_b32 s0, s0, 3
	s_nop 0
	scratch_load_dwordx2 v[2:3], off, s0
	s_waitcnt vmcnt(0)
	scratch_store_dwordx2 off, v[2:3], off
	scratch_store_dwordx2 off, v[0:1], s0
	scratch_load_dwordx2 v[0:1], off, off
.LBB40_340:
	s_nop 0
	scratch_load_dwordx4 v[2:5], off, off offset:8
	scratch_load_dwordx4 v[6:9], off, off offset:24
	;; [unrolled: 1-line block ×20, first 2 shown]
	s_waitcnt vmcnt(20)
	global_store_dwordx2 v[120:121], v[0:1], off
	s_waitcnt vmcnt(20)
	global_store_dwordx2 v[122:123], v[2:3], off
	global_store_dwordx2 v[124:125], v[4:5], off
	s_waitcnt vmcnt(21)
	global_store_dwordx2 v[126:127], v[6:7], off
	;; [unrolled: 3-line block ×20, first 2 shown]
	global_store_dwordx2 v[200:201], v[80:81], off
	s_endpgm
	.section	.rodata,"a",@progbits
	.p2align	6, 0x0
	.amdhsa_kernel _ZN9rocsolver6v33100L18getri_kernel_smallILi41E19rocblas_complex_numIfEPS3_EEvT1_iilPiilS6_bb
		.amdhsa_group_segment_fixed_size 664
		.amdhsa_private_segment_fixed_size 336
		.amdhsa_kernarg_size 60
		.amdhsa_user_sgpr_count 2
		.amdhsa_user_sgpr_dispatch_ptr 0
		.amdhsa_user_sgpr_queue_ptr 0
		.amdhsa_user_sgpr_kernarg_segment_ptr 1
		.amdhsa_user_sgpr_dispatch_id 0
		.amdhsa_user_sgpr_kernarg_preload_length 0
		.amdhsa_user_sgpr_kernarg_preload_offset 0
		.amdhsa_user_sgpr_private_segment_size 0
		.amdhsa_uses_dynamic_stack 0
		.amdhsa_enable_private_segment 1
		.amdhsa_system_sgpr_workgroup_id_x 1
		.amdhsa_system_sgpr_workgroup_id_y 0
		.amdhsa_system_sgpr_workgroup_id_z 0
		.amdhsa_system_sgpr_workgroup_info 0
		.amdhsa_system_vgpr_workitem_id 0
		.amdhsa_next_free_vgpr 236
		.amdhsa_next_free_sgpr 20
		.amdhsa_accum_offset 236
		.amdhsa_reserve_vcc 1
		.amdhsa_float_round_mode_32 0
		.amdhsa_float_round_mode_16_64 0
		.amdhsa_float_denorm_mode_32 3
		.amdhsa_float_denorm_mode_16_64 3
		.amdhsa_dx10_clamp 1
		.amdhsa_ieee_mode 1
		.amdhsa_fp16_overflow 0
		.amdhsa_tg_split 0
		.amdhsa_exception_fp_ieee_invalid_op 0
		.amdhsa_exception_fp_denorm_src 0
		.amdhsa_exception_fp_ieee_div_zero 0
		.amdhsa_exception_fp_ieee_overflow 0
		.amdhsa_exception_fp_ieee_underflow 0
		.amdhsa_exception_fp_ieee_inexact 0
		.amdhsa_exception_int_div_zero 0
	.end_amdhsa_kernel
	.section	.text._ZN9rocsolver6v33100L18getri_kernel_smallILi41E19rocblas_complex_numIfEPS3_EEvT1_iilPiilS6_bb,"axG",@progbits,_ZN9rocsolver6v33100L18getri_kernel_smallILi41E19rocblas_complex_numIfEPS3_EEvT1_iilPiilS6_bb,comdat
.Lfunc_end40:
	.size	_ZN9rocsolver6v33100L18getri_kernel_smallILi41E19rocblas_complex_numIfEPS3_EEvT1_iilPiilS6_bb, .Lfunc_end40-_ZN9rocsolver6v33100L18getri_kernel_smallILi41E19rocblas_complex_numIfEPS3_EEvT1_iilPiilS6_bb
                                        ; -- End function
	.set _ZN9rocsolver6v33100L18getri_kernel_smallILi41E19rocblas_complex_numIfEPS3_EEvT1_iilPiilS6_bb.num_vgpr, 236
	.set _ZN9rocsolver6v33100L18getri_kernel_smallILi41E19rocblas_complex_numIfEPS3_EEvT1_iilPiilS6_bb.num_agpr, 0
	.set _ZN9rocsolver6v33100L18getri_kernel_smallILi41E19rocblas_complex_numIfEPS3_EEvT1_iilPiilS6_bb.numbered_sgpr, 20
	.set _ZN9rocsolver6v33100L18getri_kernel_smallILi41E19rocblas_complex_numIfEPS3_EEvT1_iilPiilS6_bb.num_named_barrier, 0
	.set _ZN9rocsolver6v33100L18getri_kernel_smallILi41E19rocblas_complex_numIfEPS3_EEvT1_iilPiilS6_bb.private_seg_size, 336
	.set _ZN9rocsolver6v33100L18getri_kernel_smallILi41E19rocblas_complex_numIfEPS3_EEvT1_iilPiilS6_bb.uses_vcc, 1
	.set _ZN9rocsolver6v33100L18getri_kernel_smallILi41E19rocblas_complex_numIfEPS3_EEvT1_iilPiilS6_bb.uses_flat_scratch, 0
	.set _ZN9rocsolver6v33100L18getri_kernel_smallILi41E19rocblas_complex_numIfEPS3_EEvT1_iilPiilS6_bb.has_dyn_sized_stack, 0
	.set _ZN9rocsolver6v33100L18getri_kernel_smallILi41E19rocblas_complex_numIfEPS3_EEvT1_iilPiilS6_bb.has_recursion, 0
	.set _ZN9rocsolver6v33100L18getri_kernel_smallILi41E19rocblas_complex_numIfEPS3_EEvT1_iilPiilS6_bb.has_indirect_call, 0
	.section	.AMDGPU.csdata,"",@progbits
; Kernel info:
; codeLenInByte = 52676
; TotalNumSgprs: 26
; NumVgprs: 236
; NumAgprs: 0
; TotalNumVgprs: 236
; ScratchSize: 336
; MemoryBound: 0
; FloatMode: 240
; IeeeMode: 1
; LDSByteSize: 664 bytes/workgroup (compile time only)
; SGPRBlocks: 3
; VGPRBlocks: 29
; NumSGPRsForWavesPerEU: 26
; NumVGPRsForWavesPerEU: 236
; AccumOffset: 236
; Occupancy: 2
; WaveLimiterHint : 1
; COMPUTE_PGM_RSRC2:SCRATCH_EN: 1
; COMPUTE_PGM_RSRC2:USER_SGPR: 2
; COMPUTE_PGM_RSRC2:TRAP_HANDLER: 0
; COMPUTE_PGM_RSRC2:TGID_X_EN: 1
; COMPUTE_PGM_RSRC2:TGID_Y_EN: 0
; COMPUTE_PGM_RSRC2:TGID_Z_EN: 0
; COMPUTE_PGM_RSRC2:TIDIG_COMP_CNT: 0
; COMPUTE_PGM_RSRC3_GFX90A:ACCUM_OFFSET: 58
; COMPUTE_PGM_RSRC3_GFX90A:TG_SPLIT: 0
	.section	.text._ZN9rocsolver6v33100L18getri_kernel_smallILi42E19rocblas_complex_numIfEPS3_EEvT1_iilPiilS6_bb,"axG",@progbits,_ZN9rocsolver6v33100L18getri_kernel_smallILi42E19rocblas_complex_numIfEPS3_EEvT1_iilPiilS6_bb,comdat
	.globl	_ZN9rocsolver6v33100L18getri_kernel_smallILi42E19rocblas_complex_numIfEPS3_EEvT1_iilPiilS6_bb ; -- Begin function _ZN9rocsolver6v33100L18getri_kernel_smallILi42E19rocblas_complex_numIfEPS3_EEvT1_iilPiilS6_bb
	.p2align	8
	.type	_ZN9rocsolver6v33100L18getri_kernel_smallILi42E19rocblas_complex_numIfEPS3_EEvT1_iilPiilS6_bb,@function
_ZN9rocsolver6v33100L18getri_kernel_smallILi42E19rocblas_complex_numIfEPS3_EEvT1_iilPiilS6_bb: ; @_ZN9rocsolver6v33100L18getri_kernel_smallILi42E19rocblas_complex_numIfEPS3_EEvT1_iilPiilS6_bb
; %bb.0:
	v_cmp_gt_u32_e32 vcc, 42, v0
	s_and_saveexec_b64 s[4:5], vcc
	s_cbranch_execz .LBB41_182
; %bb.1:
	s_load_dword s8, s[0:1], 0x38
	s_load_dwordx4 s[12:15], s[0:1], 0x10
	s_load_dwordx4 s[4:7], s[0:1], 0x28
                                        ; implicit-def: $sgpr16_sgpr17
	s_waitcnt lgkmcnt(0)
	s_bitcmp1_b32 s8, 8
	s_cselect_b64 s[18:19], -1, 0
	s_ashr_i32 s3, s2, 31
	s_bfe_u32 s8, s8, 0x10008
	s_cmp_eq_u32 s8, 0
	s_cbranch_scc1 .LBB41_3
; %bb.2:
	s_load_dword s8, s[0:1], 0x20
	s_mul_i32 s9, s4, s3
	s_mul_hi_u32 s10, s4, s2
	s_mul_i32 s5, s5, s2
	s_add_i32 s10, s10, s9
	s_add_i32 s5, s10, s5
	s_mul_i32 s4, s4, s2
	s_waitcnt lgkmcnt(0)
	s_ashr_i32 s9, s8, 31
	s_lshl_b64 s[4:5], s[4:5], 2
	s_add_u32 s10, s14, s4
	s_addc_u32 s11, s15, s5
	s_lshl_b64 s[4:5], s[8:9], 2
	s_add_u32 s16, s10, s4
	s_addc_u32 s17, s11, s5
.LBB41_3:
	s_load_dwordx4 s[8:11], s[0:1], 0x0
	s_load_dword s4, s[0:1], 0x38
	s_mul_i32 s5, s12, s3
	s_mul_hi_u32 s14, s12, s2
	s_add_i32 s5, s14, s5
	s_waitcnt lgkmcnt(0)
	s_ashr_i32 s1, s10, 31
	s_mov_b32 s0, s10
	s_mul_i32 s10, s13, s2
	s_add_i32 s13, s5, s10
	s_mul_i32 s12, s12, s2
	s_lshl_b64 s[12:13], s[12:13], 3
	s_add_u32 s5, s8, s12
	s_addc_u32 s8, s9, s13
	s_lshl_b64 s[0:1], s[0:1], 3
	s_add_u32 s0, s5, s0
	s_addc_u32 s1, s8, s1
	s_add_i32 s5, s11, s11
	v_add_u32_e32 v4, s5, v0
	v_ashrrev_i32_e32 v5, 31, v4
	v_lshl_add_u64 v[126:127], v[4:5], 3, s[0:1]
	v_add_u32_e32 v4, s11, v4
	v_ashrrev_i32_e32 v5, 31, v4
	v_lshl_add_u64 v[128:129], v[4:5], 3, s[0:1]
	;; [unrolled: 3-line block ×37, first 2 shown]
	v_add_u32_e32 v4, s11, v4
	v_lshlrev_b32_e32 v2, 3, v0
	v_mov_b32_e32 v3, 0
	v_ashrrev_i32_e32 v5, 31, v4
	v_lshl_add_u64 v[122:123], s[0:1], 0, v[2:3]
	s_ashr_i32 s9, s11, 31
	s_mov_b32 s8, s11
	v_lshl_add_u64 v[200:201], v[4:5], 3, s[0:1]
	v_add_u32_e32 v4, s11, v4
	v_lshl_add_u64 v[124:125], s[8:9], 3, v[122:123]
	v_ashrrev_i32_e32 v5, 31, v4
	global_load_dwordx2 v[6:7], v2, s[0:1]
	global_load_dwordx2 v[8:9], v[124:125], off
	global_load_dwordx2 v[10:11], v[126:127], off
	;; [unrolled: 1-line block ×36, first 2 shown]
	v_lshl_add_u64 v[202:203], v[4:5], 3, s[0:1]
	global_load_dwordx2 v[80:81], v[196:197], off
	global_load_dwordx2 v[82:83], v[198:199], off
	;; [unrolled: 1-line block ×4, first 2 shown]
	v_add_u32_e32 v4, s11, v4
	v_ashrrev_i32_e32 v5, 31, v4
	v_lshl_add_u64 v[204:205], v[4:5], 3, s[0:1]
	global_load_dwordx2 v[88:89], v[204:205], off
	s_bitcmp0_b32 s4, 0
	s_mov_b64 s[4:5], -1
	s_waitcnt vmcnt(40)
	scratch_store_dwordx4 off, v[6:9], off
	s_waitcnt vmcnt(39)
	scratch_store_dwordx4 off, v[10:13], off offset:16
	s_waitcnt vmcnt(38)
	scratch_store_dwordx4 off, v[14:17], off offset:32
	s_waitcnt vmcnt(37)
	scratch_store_dwordx4 off, v[18:21], off offset:48
	s_waitcnt vmcnt(36)
	scratch_store_dwordx4 off, v[22:25], off offset:64
	s_waitcnt vmcnt(35)
	scratch_store_dwordx4 off, v[26:29], off offset:80
	s_waitcnt vmcnt(34)
	scratch_store_dwordx4 off, v[30:33], off offset:96
	s_waitcnt vmcnt(33)
	scratch_store_dwordx4 off, v[34:37], off offset:112
	s_waitcnt vmcnt(32)
	scratch_store_dwordx4 off, v[38:41], off offset:128
	s_waitcnt vmcnt(31)
	scratch_store_dwordx4 off, v[42:45], off offset:144
	s_waitcnt vmcnt(30)
	scratch_store_dwordx4 off, v[46:49], off offset:160
	s_waitcnt vmcnt(29)
	scratch_store_dwordx4 off, v[50:53], off offset:176
	s_waitcnt vmcnt(28)
	scratch_store_dwordx4 off, v[54:57], off offset:192
	s_waitcnt vmcnt(27)
	scratch_store_dwordx4 off, v[58:61], off offset:208
	s_waitcnt vmcnt(26)
	scratch_store_dwordx4 off, v[62:65], off offset:224
	s_waitcnt vmcnt(25)
	scratch_store_dwordx4 off, v[66:69], off offset:240
	s_waitcnt vmcnt(24)
	scratch_store_dwordx4 off, v[70:73], off offset:256
	s_waitcnt vmcnt(23)
	scratch_store_dwordx4 off, v[74:77], off offset:272
	s_waitcnt vmcnt(22)
	scratch_store_dwordx4 off, v[78:81], off offset:288
	s_waitcnt vmcnt(21)
	scratch_store_dwordx4 off, v[82:85], off offset:304
	s_waitcnt vmcnt(20)
	scratch_store_dwordx4 off, v[86:89], off offset:320
	s_cbranch_scc1 .LBB41_180
; %bb.4:
	v_cmp_eq_u32_e64 s[0:1], 0, v0
	s_and_saveexec_b64 s[4:5], s[0:1]
; %bb.5:
	v_mov_b32_e32 v1, 0
	ds_write_b32 v1, v1 offset:672
; %bb.6:
	s_or_b64 exec, exec, s[4:5]
	s_waitcnt lgkmcnt(0)
	; wave barrier
	scratch_load_dwordx2 v[4:5], v2, off
	s_waitcnt vmcnt(0)
	v_cmp_eq_f32_e32 vcc, 0, v4
	v_cmp_eq_f32_e64 s[4:5], 0, v5
	s_and_b64 s[4:5], vcc, s[4:5]
	s_and_saveexec_b64 s[8:9], s[4:5]
	s_cbranch_execz .LBB41_10
; %bb.7:
	v_mov_b32_e32 v1, 0
	ds_read_b32 v4, v1 offset:672
	v_add_u32_e32 v3, 1, v0
	s_waitcnt lgkmcnt(0)
	v_readfirstlane_b32 s4, v4
	s_cmp_eq_u32 s4, 0
	s_cselect_b64 s[10:11], -1, 0
	v_cmp_gt_i32_e32 vcc, s4, v3
	s_or_b64 s[10:11], s[10:11], vcc
	s_and_b64 exec, exec, s[10:11]
	s_cbranch_execz .LBB41_10
; %bb.8:
	s_mov_b64 s[10:11], 0
	v_mov_b32_e32 v4, s4
.LBB41_9:                               ; =>This Inner Loop Header: Depth=1
	ds_cmpst_rtn_b32 v4, v1, v4, v3 offset:672
	s_waitcnt lgkmcnt(0)
	v_cmp_ne_u32_e32 vcc, 0, v4
	v_cmp_le_i32_e64 s[4:5], v4, v3
	s_and_b64 s[4:5], vcc, s[4:5]
	s_and_b64 s[4:5], exec, s[4:5]
	s_or_b64 s[10:11], s[4:5], s[10:11]
	s_andn2_b64 exec, exec, s[10:11]
	s_cbranch_execnz .LBB41_9
.LBB41_10:
	s_or_b64 exec, exec, s[8:9]
	v_mov_b32_e32 v3, 0
	; wave barrier
	ds_read_b32 v1, v3 offset:672
	s_and_saveexec_b64 s[4:5], s[0:1]
	s_cbranch_execz .LBB41_12
; %bb.11:
	s_lshl_b64 s[8:9], s[2:3], 2
	s_add_u32 s8, s6, s8
	s_addc_u32 s9, s7, s9
	s_waitcnt lgkmcnt(0)
	global_store_dword v3, v1, s[8:9]
.LBB41_12:
	s_or_b64 exec, exec, s[4:5]
	s_waitcnt lgkmcnt(0)
	v_cmp_ne_u32_e32 vcc, 0, v1
	s_mov_b64 s[4:5], 0
	s_cbranch_vccnz .LBB41_180
; %bb.13:
	v_mov_b32_e32 v3, v2
	scratch_load_dwordx2 v[4:5], v3, off
                                        ; implicit-def: $vgpr7
                                        ; implicit-def: $vgpr8
	s_waitcnt vmcnt(0)
	v_cmp_ngt_f32_e64 s[4:5], |v4|, |v5|
	s_and_saveexec_b64 s[8:9], s[4:5]
	s_xor_b64 s[4:5], exec, s[8:9]
	s_cbranch_execz .LBB41_15
; %bb.14:
	v_div_scale_f32 v1, s[8:9], v5, v5, v4
	v_rcp_f32_e32 v6, v1
	v_div_scale_f32 v7, vcc, v4, v5, v4
	v_fma_f32 v8, -v1, v6, 1.0
	v_fmac_f32_e32 v6, v8, v6
	v_mul_f32_e32 v8, v7, v6
	v_fma_f32 v9, -v1, v8, v7
	v_fmac_f32_e32 v8, v9, v6
	v_fma_f32 v1, -v1, v8, v7
	v_div_fmas_f32 v1, v1, v6, v8
	v_div_fixup_f32 v1, v1, v5, v4
	v_fmac_f32_e32 v5, v4, v1
	v_div_scale_f32 v4, s[8:9], v5, v5, -1.0
	v_rcp_f32_e32 v6, v4
	s_nop 0
	v_fma_f32 v7, -v4, v6, 1.0
	v_fmac_f32_e32 v6, v7, v6
	v_div_scale_f32 v7, vcc, -1.0, v5, -1.0
	v_mul_f32_e32 v8, v7, v6
	v_fma_f32 v9, -v4, v8, v7
	v_fmac_f32_e32 v8, v9, v6
	v_fma_f32 v4, -v4, v8, v7
	v_div_fmas_f32 v4, v4, v6, v8
	v_div_fixup_f32 v7, v4, v5, -1.0
	v_mul_f32_e32 v8, v1, v7
	v_xor_b32_e32 v6, 0x80000000, v8
                                        ; implicit-def: $vgpr4_vgpr5
.LBB41_15:
	s_andn2_saveexec_b64 s[4:5], s[4:5]
	s_cbranch_execz .LBB41_17
; %bb.16:
	v_div_scale_f32 v1, s[8:9], v4, v4, v5
	v_rcp_f32_e32 v6, v1
	v_div_scale_f32 v7, vcc, v5, v4, v5
	v_fma_f32 v8, -v1, v6, 1.0
	v_fmac_f32_e32 v6, v8, v6
	v_mul_f32_e32 v8, v7, v6
	v_fma_f32 v9, -v1, v8, v7
	v_fmac_f32_e32 v8, v9, v6
	v_fma_f32 v1, -v1, v8, v7
	v_div_fmas_f32 v1, v1, v6, v8
	v_div_fixup_f32 v1, v1, v4, v5
	v_fmac_f32_e32 v4, v5, v1
	v_div_scale_f32 v5, s[8:9], v4, v4, 1.0
	v_rcp_f32_e32 v6, v5
	s_nop 0
	v_fma_f32 v7, -v5, v6, 1.0
	v_fmac_f32_e32 v6, v7, v6
	v_div_scale_f32 v7, vcc, 1.0, v4, 1.0
	v_mul_f32_e32 v8, v7, v6
	v_fma_f32 v9, -v5, v8, v7
	v_fmac_f32_e32 v8, v9, v6
	v_fma_f32 v5, -v5, v8, v7
	v_div_fmas_f32 v5, v5, v6, v8
	v_div_fixup_f32 v6, v5, v4, 1.0
	v_xor_b32_e32 v8, 0x80000000, v6
	v_mul_f32_e64 v7, v1, -v6
.LBB41_17:
	s_or_b64 exec, exec, s[4:5]
	scratch_store_dwordx2 v3, v[6:7], off
	scratch_load_dwordx2 v[4:5], off, off offset:8
	v_xor_b32_e32 v9, 0x80000000, v7
	v_add_u32_e32 v1, 0x150, v2
	s_waitcnt vmcnt(0)
	ds_write2_b64 v2, v[8:9], v[4:5] offset1:42
	s_waitcnt lgkmcnt(0)
	; wave barrier
	s_and_saveexec_b64 s[4:5], s[0:1]
	s_cbranch_execz .LBB41_19
; %bb.18:
	scratch_load_dwordx2 v[4:5], v3, off
	ds_read_b64 v[6:7], v1
	v_mov_b32_e32 v8, 0
	ds_read_b64 v[8:9], v8 offset:8
	s_waitcnt vmcnt(0) lgkmcnt(1)
	v_pk_mul_f32 v[10:11], v[6:7], v[4:5] op_sel:[1,1] op_sel_hi:[0,1]
	v_pk_fma_f32 v[12:13], v[6:7], v[4:5], v[10:11] neg_lo:[0,0,1] neg_hi:[0,0,1]
	v_pk_fma_f32 v[4:5], v[6:7], v[4:5], v[10:11] op_sel_hi:[1,0,1]
	s_nop 0
	v_mov_b32_e32 v13, v5
	v_pk_add_f32 v[4:5], v[12:13], 0 op_sel_hi:[1,0]
	s_waitcnt lgkmcnt(0)
	v_pk_mul_f32 v[6:7], v[4:5], v[8:9] op_sel:[1,1] op_sel_hi:[0,1]
	v_pk_fma_f32 v[10:11], v[4:5], v[8:9], v[6:7] neg_lo:[0,0,1] neg_hi:[0,0,1]
	v_pk_fma_f32 v[4:5], v[4:5], v[8:9], v[6:7] op_sel_hi:[1,0,1]
	s_nop 0
	v_mov_b32_e32 v11, v5
	scratch_store_dwordx2 off, v[10:11], off offset:8
.LBB41_19:
	s_or_b64 exec, exec, s[4:5]
	; wave barrier
	scratch_load_dwordx2 v[4:5], off, off offset:16
	v_cmp_gt_u32_e32 vcc, 2, v0
	s_waitcnt vmcnt(0)
	ds_write_b64 v1, v[4:5]
	s_waitcnt lgkmcnt(0)
	; wave barrier
	s_and_saveexec_b64 s[4:5], vcc
	s_cbranch_execz .LBB41_23
; %bb.20:
	scratch_load_dwordx2 v[4:5], v3, off
	ds_read_b64 v[6:7], v1
	s_waitcnt vmcnt(0) lgkmcnt(0)
	v_pk_mul_f32 v[8:9], v[6:7], v[4:5] op_sel:[1,1] op_sel_hi:[0,1]
	v_pk_fma_f32 v[10:11], v[6:7], v[4:5], v[8:9] neg_lo:[0,0,1] neg_hi:[0,0,1]
	v_pk_fma_f32 v[4:5], v[6:7], v[4:5], v[8:9] op_sel_hi:[1,0,1]
	s_nop 0
	v_mov_b32_e32 v11, v5
	v_pk_add_f32 v[4:5], v[10:11], 0 op_sel_hi:[1,0]
	s_and_saveexec_b64 s[8:9], s[0:1]
	s_cbranch_execz .LBB41_22
; %bb.21:
	scratch_load_dwordx2 v[6:7], off, off offset:8
	v_mov_b32_e32 v3, 0
	ds_read_b64 v[8:9], v3 offset:344
	s_waitcnt vmcnt(0) lgkmcnt(0)
	v_pk_mul_f32 v[10:11], v[8:9], v[6:7] op_sel:[1,1] op_sel_hi:[0,1]
	v_pk_fma_f32 v[12:13], v[8:9], v[6:7], v[10:11] neg_lo:[0,0,1] neg_hi:[0,0,1]
	v_pk_fma_f32 v[6:7], v[8:9], v[6:7], v[10:11] op_sel_hi:[1,0,1]
	s_nop 0
	v_mov_b32_e32 v13, v7
	v_pk_add_f32 v[4:5], v[4:5], v[12:13]
.LBB41_22:
	s_or_b64 exec, exec, s[8:9]
	v_mov_b32_e32 v3, 0
	ds_read_b64 v[6:7], v3 offset:16
	s_waitcnt lgkmcnt(0)
	v_pk_mul_f32 v[8:9], v[4:5], v[6:7] op_sel:[1,1] op_sel_hi:[0,1]
	v_pk_fma_f32 v[10:11], v[4:5], v[6:7], v[8:9] neg_lo:[0,0,1] neg_hi:[0,0,1]
	v_pk_fma_f32 v[4:5], v[4:5], v[6:7], v[8:9] op_sel_hi:[1,0,1]
	s_nop 0
	v_mov_b32_e32 v11, v5
	scratch_store_dwordx2 off, v[10:11], off offset:16
.LBB41_23:
	s_or_b64 exec, exec, s[4:5]
	; wave barrier
	scratch_load_dwordx2 v[4:5], off, off offset:24
	v_cmp_gt_u32_e32 vcc, 3, v0
	v_add_u32_e32 v6, -1, v0
	s_waitcnt vmcnt(0)
	ds_write_b64 v1, v[4:5]
	s_waitcnt lgkmcnt(0)
	; wave barrier
	s_and_saveexec_b64 s[0:1], vcc
	s_cbranch_execz .LBB41_27
; %bb.24:
	v_mov_b32_e32 v4, 0
	v_add_u32_e32 v3, -1, v0
	v_add_u32_e32 v7, 0x150, v2
	v_mov_b32_e32 v8, v2
	s_mov_b64 s[4:5], 0
	v_mov_b32_e32 v5, v4
.LBB41_25:                              ; =>This Inner Loop Header: Depth=1
	scratch_load_dwordx2 v[10:11], v8, off
	ds_read_b64 v[12:13], v7
	v_add_u32_e32 v3, 1, v3
	v_cmp_lt_u32_e32 vcc, 1, v3
	v_add_u32_e32 v7, 8, v7
	v_add_u32_e32 v8, 8, v8
	s_or_b64 s[4:5], vcc, s[4:5]
	s_waitcnt vmcnt(0) lgkmcnt(0)
	v_pk_mul_f32 v[14:15], v[12:13], v[10:11] op_sel:[1,1] op_sel_hi:[0,1]
	v_pk_fma_f32 v[16:17], v[12:13], v[10:11], v[14:15] neg_lo:[0,0,1] neg_hi:[0,0,1]
	v_pk_fma_f32 v[10:11], v[12:13], v[10:11], v[14:15] op_sel_hi:[1,0,1]
	s_nop 0
	v_mov_b32_e32 v17, v11
	v_pk_add_f32 v[4:5], v[4:5], v[16:17]
	s_andn2_b64 exec, exec, s[4:5]
	s_cbranch_execnz .LBB41_25
; %bb.26:
	s_or_b64 exec, exec, s[4:5]
	v_mov_b32_e32 v3, 0
	ds_read_b64 v[8:9], v3 offset:24
	s_waitcnt lgkmcnt(0)
	v_pk_mul_f32 v[10:11], v[4:5], v[8:9] op_sel:[1,1] op_sel_hi:[0,1]
	v_pk_fma_f32 v[12:13], v[4:5], v[8:9], v[10:11] neg_lo:[0,0,1] neg_hi:[0,0,1]
	v_pk_fma_f32 v[4:5], v[4:5], v[8:9], v[10:11] op_sel_hi:[1,0,1]
	s_nop 0
	v_mov_b32_e32 v13, v5
	scratch_store_dwordx2 off, v[12:13], off offset:24
.LBB41_27:
	s_or_b64 exec, exec, s[0:1]
	; wave barrier
	scratch_load_dwordx2 v[4:5], off, off offset:32
	v_cmp_gt_u32_e32 vcc, 4, v0
	s_waitcnt vmcnt(0)
	ds_write_b64 v1, v[4:5]
	s_waitcnt lgkmcnt(0)
	; wave barrier
	s_and_saveexec_b64 s[0:1], vcc
	s_cbranch_execz .LBB41_31
; %bb.28:
	v_mov_b32_e32 v4, 0
	v_add_u32_e32 v3, -1, v0
	v_add_u32_e32 v7, 0x150, v2
	v_mov_b32_e32 v8, v2
	s_mov_b64 s[4:5], 0
	v_mov_b32_e32 v5, v4
.LBB41_29:                              ; =>This Inner Loop Header: Depth=1
	scratch_load_dwordx2 v[10:11], v8, off
	ds_read_b64 v[12:13], v7
	v_add_u32_e32 v3, 1, v3
	v_cmp_lt_u32_e32 vcc, 2, v3
	v_add_u32_e32 v7, 8, v7
	v_add_u32_e32 v8, 8, v8
	s_or_b64 s[4:5], vcc, s[4:5]
	s_waitcnt vmcnt(0) lgkmcnt(0)
	v_pk_mul_f32 v[14:15], v[12:13], v[10:11] op_sel:[1,1] op_sel_hi:[0,1]
	v_pk_fma_f32 v[16:17], v[12:13], v[10:11], v[14:15] neg_lo:[0,0,1] neg_hi:[0,0,1]
	v_pk_fma_f32 v[10:11], v[12:13], v[10:11], v[14:15] op_sel_hi:[1,0,1]
	s_nop 0
	v_mov_b32_e32 v17, v11
	v_pk_add_f32 v[4:5], v[4:5], v[16:17]
	s_andn2_b64 exec, exec, s[4:5]
	s_cbranch_execnz .LBB41_29
; %bb.30:
	s_or_b64 exec, exec, s[4:5]
	v_mov_b32_e32 v3, 0
	ds_read_b64 v[8:9], v3 offset:32
	s_waitcnt lgkmcnt(0)
	v_pk_mul_f32 v[10:11], v[4:5], v[8:9] op_sel:[1,1] op_sel_hi:[0,1]
	v_pk_fma_f32 v[12:13], v[4:5], v[8:9], v[10:11] neg_lo:[0,0,1] neg_hi:[0,0,1]
	v_pk_fma_f32 v[4:5], v[4:5], v[8:9], v[10:11] op_sel_hi:[1,0,1]
	s_nop 0
	v_mov_b32_e32 v13, v5
	scratch_store_dwordx2 off, v[12:13], off offset:32
.LBB41_31:
	s_or_b64 exec, exec, s[0:1]
	; wave barrier
	scratch_load_dwordx2 v[4:5], off, off offset:40
	v_cmp_gt_u32_e32 vcc, 5, v0
	;; [unrolled: 46-line block ×19, first 2 shown]
	s_waitcnt vmcnt(0)
	ds_write_b64 v1, v[4:5]
	s_waitcnt lgkmcnt(0)
	; wave barrier
	s_and_saveexec_b64 s[0:1], vcc
	s_cbranch_execz .LBB41_103
; %bb.100:
	v_mov_b32_e32 v4, 0
	v_add_u32_e32 v3, -1, v0
	v_add_u32_e32 v7, 0x150, v2
	v_mov_b32_e32 v8, v2
	s_mov_b64 s[4:5], 0
	v_mov_b32_e32 v5, v4
.LBB41_101:                             ; =>This Inner Loop Header: Depth=1
	scratch_load_dwordx2 v[10:11], v8, off
	ds_read_b64 v[12:13], v7
	v_add_u32_e32 v3, 1, v3
	v_cmp_lt_u32_e32 vcc, 20, v3
	v_add_u32_e32 v7, 8, v7
	v_add_u32_e32 v8, 8, v8
	s_or_b64 s[4:5], vcc, s[4:5]
	s_waitcnt vmcnt(0) lgkmcnt(0)
	v_pk_mul_f32 v[14:15], v[12:13], v[10:11] op_sel:[1,1] op_sel_hi:[0,1]
	v_pk_fma_f32 v[16:17], v[12:13], v[10:11], v[14:15] neg_lo:[0,0,1] neg_hi:[0,0,1]
	v_pk_fma_f32 v[10:11], v[12:13], v[10:11], v[14:15] op_sel_hi:[1,0,1]
	s_nop 0
	v_mov_b32_e32 v17, v11
	v_pk_add_f32 v[4:5], v[4:5], v[16:17]
	s_andn2_b64 exec, exec, s[4:5]
	s_cbranch_execnz .LBB41_101
; %bb.102:
	s_or_b64 exec, exec, s[4:5]
	v_mov_b32_e32 v3, 0
	ds_read_b64 v[8:9], v3 offset:176
	s_waitcnt lgkmcnt(0)
	v_pk_mul_f32 v[10:11], v[4:5], v[8:9] op_sel:[1,1] op_sel_hi:[0,1]
	v_pk_fma_f32 v[12:13], v[4:5], v[8:9], v[10:11] neg_lo:[0,0,1] neg_hi:[0,0,1]
	v_pk_fma_f32 v[4:5], v[4:5], v[8:9], v[10:11] op_sel_hi:[1,0,1]
	s_nop 0
	v_mov_b32_e32 v13, v5
	scratch_store_dwordx2 off, v[12:13], off offset:176
.LBB41_103:
	s_or_b64 exec, exec, s[0:1]
	; wave barrier
	scratch_load_dwordx2 v[4:5], off, off offset:184
	v_cmp_gt_u32_e32 vcc, 23, v0
	s_waitcnt vmcnt(0)
	ds_write_b64 v1, v[4:5]
	s_waitcnt lgkmcnt(0)
	; wave barrier
	s_and_saveexec_b64 s[0:1], vcc
	s_cbranch_execz .LBB41_107
; %bb.104:
	v_mov_b32_e32 v4, 0
	v_add_u32_e32 v3, -1, v0
	v_add_u32_e32 v7, 0x150, v2
	v_mov_b32_e32 v8, v2
	s_mov_b64 s[4:5], 0
	v_mov_b32_e32 v5, v4
.LBB41_105:                             ; =>This Inner Loop Header: Depth=1
	scratch_load_dwordx2 v[10:11], v8, off
	ds_read_b64 v[12:13], v7
	v_add_u32_e32 v3, 1, v3
	v_cmp_lt_u32_e32 vcc, 21, v3
	v_add_u32_e32 v7, 8, v7
	v_add_u32_e32 v8, 8, v8
	s_or_b64 s[4:5], vcc, s[4:5]
	s_waitcnt vmcnt(0) lgkmcnt(0)
	v_pk_mul_f32 v[14:15], v[12:13], v[10:11] op_sel:[1,1] op_sel_hi:[0,1]
	v_pk_fma_f32 v[16:17], v[12:13], v[10:11], v[14:15] neg_lo:[0,0,1] neg_hi:[0,0,1]
	v_pk_fma_f32 v[10:11], v[12:13], v[10:11], v[14:15] op_sel_hi:[1,0,1]
	s_nop 0
	v_mov_b32_e32 v17, v11
	v_pk_add_f32 v[4:5], v[4:5], v[16:17]
	s_andn2_b64 exec, exec, s[4:5]
	s_cbranch_execnz .LBB41_105
; %bb.106:
	s_or_b64 exec, exec, s[4:5]
	v_mov_b32_e32 v3, 0
	ds_read_b64 v[8:9], v3 offset:184
	s_waitcnt lgkmcnt(0)
	v_pk_mul_f32 v[10:11], v[4:5], v[8:9] op_sel:[1,1] op_sel_hi:[0,1]
	v_pk_fma_f32 v[12:13], v[4:5], v[8:9], v[10:11] neg_lo:[0,0,1] neg_hi:[0,0,1]
	v_pk_fma_f32 v[4:5], v[4:5], v[8:9], v[10:11] op_sel_hi:[1,0,1]
	s_nop 0
	v_mov_b32_e32 v13, v5
	scratch_store_dwordx2 off, v[12:13], off offset:184
.LBB41_107:
	s_or_b64 exec, exec, s[0:1]
	; wave barrier
	scratch_load_dwordx2 v[4:5], off, off offset:192
	v_cmp_gt_u32_e32 vcc, 24, v0
	s_waitcnt vmcnt(0)
	ds_write_b64 v1, v[4:5]
	s_waitcnt lgkmcnt(0)
	; wave barrier
	s_and_saveexec_b64 s[0:1], vcc
	s_cbranch_execz .LBB41_111
; %bb.108:
	v_mov_b32_e32 v4, 0
	v_add_u32_e32 v3, -1, v0
	v_add_u32_e32 v7, 0x150, v2
	v_mov_b32_e32 v8, v2
	s_mov_b64 s[4:5], 0
	v_mov_b32_e32 v5, v4
.LBB41_109:                             ; =>This Inner Loop Header: Depth=1
	scratch_load_dwordx2 v[10:11], v8, off
	ds_read_b64 v[12:13], v7
	v_add_u32_e32 v3, 1, v3
	v_cmp_lt_u32_e32 vcc, 22, v3
	v_add_u32_e32 v7, 8, v7
	v_add_u32_e32 v8, 8, v8
	s_or_b64 s[4:5], vcc, s[4:5]
	s_waitcnt vmcnt(0) lgkmcnt(0)
	v_pk_mul_f32 v[14:15], v[12:13], v[10:11] op_sel:[1,1] op_sel_hi:[0,1]
	v_pk_fma_f32 v[16:17], v[12:13], v[10:11], v[14:15] neg_lo:[0,0,1] neg_hi:[0,0,1]
	v_pk_fma_f32 v[10:11], v[12:13], v[10:11], v[14:15] op_sel_hi:[1,0,1]
	s_nop 0
	v_mov_b32_e32 v17, v11
	v_pk_add_f32 v[4:5], v[4:5], v[16:17]
	s_andn2_b64 exec, exec, s[4:5]
	s_cbranch_execnz .LBB41_109
; %bb.110:
	s_or_b64 exec, exec, s[4:5]
	v_mov_b32_e32 v3, 0
	ds_read_b64 v[8:9], v3 offset:192
	s_waitcnt lgkmcnt(0)
	v_pk_mul_f32 v[10:11], v[4:5], v[8:9] op_sel:[1,1] op_sel_hi:[0,1]
	v_pk_fma_f32 v[12:13], v[4:5], v[8:9], v[10:11] neg_lo:[0,0,1] neg_hi:[0,0,1]
	v_pk_fma_f32 v[4:5], v[4:5], v[8:9], v[10:11] op_sel_hi:[1,0,1]
	s_nop 0
	v_mov_b32_e32 v13, v5
	scratch_store_dwordx2 off, v[12:13], off offset:192
.LBB41_111:
	s_or_b64 exec, exec, s[0:1]
	; wave barrier
	scratch_load_dwordx2 v[4:5], off, off offset:200
	v_cmp_gt_u32_e32 vcc, 25, v0
	s_waitcnt vmcnt(0)
	ds_write_b64 v1, v[4:5]
	s_waitcnt lgkmcnt(0)
	; wave barrier
	s_and_saveexec_b64 s[0:1], vcc
	s_cbranch_execz .LBB41_115
; %bb.112:
	v_mov_b32_e32 v4, 0
	v_add_u32_e32 v3, -1, v0
	v_add_u32_e32 v7, 0x150, v2
	v_mov_b32_e32 v8, v2
	s_mov_b64 s[4:5], 0
	v_mov_b32_e32 v5, v4
.LBB41_113:                             ; =>This Inner Loop Header: Depth=1
	scratch_load_dwordx2 v[10:11], v8, off
	ds_read_b64 v[12:13], v7
	v_add_u32_e32 v3, 1, v3
	v_cmp_lt_u32_e32 vcc, 23, v3
	v_add_u32_e32 v7, 8, v7
	v_add_u32_e32 v8, 8, v8
	s_or_b64 s[4:5], vcc, s[4:5]
	s_waitcnt vmcnt(0) lgkmcnt(0)
	v_pk_mul_f32 v[14:15], v[12:13], v[10:11] op_sel:[1,1] op_sel_hi:[0,1]
	v_pk_fma_f32 v[16:17], v[12:13], v[10:11], v[14:15] neg_lo:[0,0,1] neg_hi:[0,0,1]
	v_pk_fma_f32 v[10:11], v[12:13], v[10:11], v[14:15] op_sel_hi:[1,0,1]
	s_nop 0
	v_mov_b32_e32 v17, v11
	v_pk_add_f32 v[4:5], v[4:5], v[16:17]
	s_andn2_b64 exec, exec, s[4:5]
	s_cbranch_execnz .LBB41_113
; %bb.114:
	s_or_b64 exec, exec, s[4:5]
	v_mov_b32_e32 v3, 0
	ds_read_b64 v[8:9], v3 offset:200
	s_waitcnt lgkmcnt(0)
	v_pk_mul_f32 v[10:11], v[4:5], v[8:9] op_sel:[1,1] op_sel_hi:[0,1]
	v_pk_fma_f32 v[12:13], v[4:5], v[8:9], v[10:11] neg_lo:[0,0,1] neg_hi:[0,0,1]
	v_pk_fma_f32 v[4:5], v[4:5], v[8:9], v[10:11] op_sel_hi:[1,0,1]
	s_nop 0
	v_mov_b32_e32 v13, v5
	scratch_store_dwordx2 off, v[12:13], off offset:200
.LBB41_115:
	s_or_b64 exec, exec, s[0:1]
	; wave barrier
	scratch_load_dwordx2 v[4:5], off, off offset:208
	v_cmp_gt_u32_e32 vcc, 26, v0
	s_waitcnt vmcnt(0)
	ds_write_b64 v1, v[4:5]
	s_waitcnt lgkmcnt(0)
	; wave barrier
	s_and_saveexec_b64 s[0:1], vcc
	s_cbranch_execz .LBB41_119
; %bb.116:
	v_mov_b32_e32 v4, 0
	v_add_u32_e32 v3, -1, v0
	v_add_u32_e32 v7, 0x150, v2
	v_mov_b32_e32 v8, v2
	s_mov_b64 s[4:5], 0
	v_mov_b32_e32 v5, v4
.LBB41_117:                             ; =>This Inner Loop Header: Depth=1
	scratch_load_dwordx2 v[10:11], v8, off
	ds_read_b64 v[12:13], v7
	v_add_u32_e32 v3, 1, v3
	v_cmp_lt_u32_e32 vcc, 24, v3
	v_add_u32_e32 v7, 8, v7
	v_add_u32_e32 v8, 8, v8
	s_or_b64 s[4:5], vcc, s[4:5]
	s_waitcnt vmcnt(0) lgkmcnt(0)
	v_pk_mul_f32 v[14:15], v[12:13], v[10:11] op_sel:[1,1] op_sel_hi:[0,1]
	v_pk_fma_f32 v[16:17], v[12:13], v[10:11], v[14:15] neg_lo:[0,0,1] neg_hi:[0,0,1]
	v_pk_fma_f32 v[10:11], v[12:13], v[10:11], v[14:15] op_sel_hi:[1,0,1]
	s_nop 0
	v_mov_b32_e32 v17, v11
	v_pk_add_f32 v[4:5], v[4:5], v[16:17]
	s_andn2_b64 exec, exec, s[4:5]
	s_cbranch_execnz .LBB41_117
; %bb.118:
	s_or_b64 exec, exec, s[4:5]
	v_mov_b32_e32 v3, 0
	ds_read_b64 v[8:9], v3 offset:208
	s_waitcnt lgkmcnt(0)
	v_pk_mul_f32 v[10:11], v[4:5], v[8:9] op_sel:[1,1] op_sel_hi:[0,1]
	v_pk_fma_f32 v[12:13], v[4:5], v[8:9], v[10:11] neg_lo:[0,0,1] neg_hi:[0,0,1]
	v_pk_fma_f32 v[4:5], v[4:5], v[8:9], v[10:11] op_sel_hi:[1,0,1]
	s_nop 0
	v_mov_b32_e32 v13, v5
	scratch_store_dwordx2 off, v[12:13], off offset:208
.LBB41_119:
	s_or_b64 exec, exec, s[0:1]
	; wave barrier
	scratch_load_dwordx2 v[4:5], off, off offset:216
	v_cmp_gt_u32_e32 vcc, 27, v0
	s_waitcnt vmcnt(0)
	ds_write_b64 v1, v[4:5]
	s_waitcnt lgkmcnt(0)
	; wave barrier
	s_and_saveexec_b64 s[0:1], vcc
	s_cbranch_execz .LBB41_123
; %bb.120:
	v_mov_b32_e32 v4, 0
	v_add_u32_e32 v3, -1, v0
	v_add_u32_e32 v7, 0x150, v2
	v_mov_b32_e32 v8, v2
	s_mov_b64 s[4:5], 0
	v_mov_b32_e32 v5, v4
.LBB41_121:                             ; =>This Inner Loop Header: Depth=1
	scratch_load_dwordx2 v[10:11], v8, off
	ds_read_b64 v[12:13], v7
	v_add_u32_e32 v3, 1, v3
	v_cmp_lt_u32_e32 vcc, 25, v3
	v_add_u32_e32 v7, 8, v7
	v_add_u32_e32 v8, 8, v8
	s_or_b64 s[4:5], vcc, s[4:5]
	s_waitcnt vmcnt(0) lgkmcnt(0)
	v_pk_mul_f32 v[14:15], v[12:13], v[10:11] op_sel:[1,1] op_sel_hi:[0,1]
	v_pk_fma_f32 v[16:17], v[12:13], v[10:11], v[14:15] neg_lo:[0,0,1] neg_hi:[0,0,1]
	v_pk_fma_f32 v[10:11], v[12:13], v[10:11], v[14:15] op_sel_hi:[1,0,1]
	s_nop 0
	v_mov_b32_e32 v17, v11
	v_pk_add_f32 v[4:5], v[4:5], v[16:17]
	s_andn2_b64 exec, exec, s[4:5]
	s_cbranch_execnz .LBB41_121
; %bb.122:
	s_or_b64 exec, exec, s[4:5]
	v_mov_b32_e32 v3, 0
	ds_read_b64 v[8:9], v3 offset:216
	s_waitcnt lgkmcnt(0)
	v_pk_mul_f32 v[10:11], v[4:5], v[8:9] op_sel:[1,1] op_sel_hi:[0,1]
	v_pk_fma_f32 v[12:13], v[4:5], v[8:9], v[10:11] neg_lo:[0,0,1] neg_hi:[0,0,1]
	v_pk_fma_f32 v[4:5], v[4:5], v[8:9], v[10:11] op_sel_hi:[1,0,1]
	s_nop 0
	v_mov_b32_e32 v13, v5
	scratch_store_dwordx2 off, v[12:13], off offset:216
.LBB41_123:
	s_or_b64 exec, exec, s[0:1]
	; wave barrier
	scratch_load_dwordx2 v[4:5], off, off offset:224
	v_cmp_gt_u32_e32 vcc, 28, v0
	s_waitcnt vmcnt(0)
	ds_write_b64 v1, v[4:5]
	s_waitcnt lgkmcnt(0)
	; wave barrier
	s_and_saveexec_b64 s[0:1], vcc
	s_cbranch_execz .LBB41_127
; %bb.124:
	v_mov_b32_e32 v4, 0
	v_add_u32_e32 v3, -1, v0
	v_add_u32_e32 v7, 0x150, v2
	v_mov_b32_e32 v8, v2
	s_mov_b64 s[4:5], 0
	v_mov_b32_e32 v5, v4
.LBB41_125:                             ; =>This Inner Loop Header: Depth=1
	scratch_load_dwordx2 v[10:11], v8, off
	ds_read_b64 v[12:13], v7
	v_add_u32_e32 v3, 1, v3
	v_cmp_lt_u32_e32 vcc, 26, v3
	v_add_u32_e32 v7, 8, v7
	v_add_u32_e32 v8, 8, v8
	s_or_b64 s[4:5], vcc, s[4:5]
	s_waitcnt vmcnt(0) lgkmcnt(0)
	v_pk_mul_f32 v[14:15], v[12:13], v[10:11] op_sel:[1,1] op_sel_hi:[0,1]
	v_pk_fma_f32 v[16:17], v[12:13], v[10:11], v[14:15] neg_lo:[0,0,1] neg_hi:[0,0,1]
	v_pk_fma_f32 v[10:11], v[12:13], v[10:11], v[14:15] op_sel_hi:[1,0,1]
	s_nop 0
	v_mov_b32_e32 v17, v11
	v_pk_add_f32 v[4:5], v[4:5], v[16:17]
	s_andn2_b64 exec, exec, s[4:5]
	s_cbranch_execnz .LBB41_125
; %bb.126:
	s_or_b64 exec, exec, s[4:5]
	v_mov_b32_e32 v3, 0
	ds_read_b64 v[8:9], v3 offset:224
	s_waitcnt lgkmcnt(0)
	v_pk_mul_f32 v[10:11], v[4:5], v[8:9] op_sel:[1,1] op_sel_hi:[0,1]
	v_pk_fma_f32 v[12:13], v[4:5], v[8:9], v[10:11] neg_lo:[0,0,1] neg_hi:[0,0,1]
	v_pk_fma_f32 v[4:5], v[4:5], v[8:9], v[10:11] op_sel_hi:[1,0,1]
	s_nop 0
	v_mov_b32_e32 v13, v5
	scratch_store_dwordx2 off, v[12:13], off offset:224
.LBB41_127:
	s_or_b64 exec, exec, s[0:1]
	; wave barrier
	scratch_load_dwordx2 v[4:5], off, off offset:232
	v_cmp_gt_u32_e32 vcc, 29, v0
	s_waitcnt vmcnt(0)
	ds_write_b64 v1, v[4:5]
	s_waitcnt lgkmcnt(0)
	; wave barrier
	s_and_saveexec_b64 s[0:1], vcc
	s_cbranch_execz .LBB41_131
; %bb.128:
	v_mov_b32_e32 v4, 0
	v_add_u32_e32 v3, -1, v0
	v_add_u32_e32 v7, 0x150, v2
	v_mov_b32_e32 v8, v2
	s_mov_b64 s[4:5], 0
	v_mov_b32_e32 v5, v4
.LBB41_129:                             ; =>This Inner Loop Header: Depth=1
	scratch_load_dwordx2 v[10:11], v8, off
	ds_read_b64 v[12:13], v7
	v_add_u32_e32 v3, 1, v3
	v_cmp_lt_u32_e32 vcc, 27, v3
	v_add_u32_e32 v7, 8, v7
	v_add_u32_e32 v8, 8, v8
	s_or_b64 s[4:5], vcc, s[4:5]
	s_waitcnt vmcnt(0) lgkmcnt(0)
	v_pk_mul_f32 v[14:15], v[12:13], v[10:11] op_sel:[1,1] op_sel_hi:[0,1]
	v_pk_fma_f32 v[16:17], v[12:13], v[10:11], v[14:15] neg_lo:[0,0,1] neg_hi:[0,0,1]
	v_pk_fma_f32 v[10:11], v[12:13], v[10:11], v[14:15] op_sel_hi:[1,0,1]
	s_nop 0
	v_mov_b32_e32 v17, v11
	v_pk_add_f32 v[4:5], v[4:5], v[16:17]
	s_andn2_b64 exec, exec, s[4:5]
	s_cbranch_execnz .LBB41_129
; %bb.130:
	s_or_b64 exec, exec, s[4:5]
	v_mov_b32_e32 v3, 0
	ds_read_b64 v[8:9], v3 offset:232
	s_waitcnt lgkmcnt(0)
	v_pk_mul_f32 v[10:11], v[4:5], v[8:9] op_sel:[1,1] op_sel_hi:[0,1]
	v_pk_fma_f32 v[12:13], v[4:5], v[8:9], v[10:11] neg_lo:[0,0,1] neg_hi:[0,0,1]
	v_pk_fma_f32 v[4:5], v[4:5], v[8:9], v[10:11] op_sel_hi:[1,0,1]
	s_nop 0
	v_mov_b32_e32 v13, v5
	scratch_store_dwordx2 off, v[12:13], off offset:232
.LBB41_131:
	s_or_b64 exec, exec, s[0:1]
	; wave barrier
	scratch_load_dwordx2 v[4:5], off, off offset:240
	v_cmp_gt_u32_e32 vcc, 30, v0
	s_waitcnt vmcnt(0)
	ds_write_b64 v1, v[4:5]
	s_waitcnt lgkmcnt(0)
	; wave barrier
	s_and_saveexec_b64 s[0:1], vcc
	s_cbranch_execz .LBB41_135
; %bb.132:
	v_mov_b32_e32 v4, 0
	v_add_u32_e32 v3, -1, v0
	v_add_u32_e32 v7, 0x150, v2
	v_mov_b32_e32 v8, v2
	s_mov_b64 s[4:5], 0
	v_mov_b32_e32 v5, v4
.LBB41_133:                             ; =>This Inner Loop Header: Depth=1
	scratch_load_dwordx2 v[10:11], v8, off
	ds_read_b64 v[12:13], v7
	v_add_u32_e32 v3, 1, v3
	v_cmp_lt_u32_e32 vcc, 28, v3
	v_add_u32_e32 v7, 8, v7
	v_add_u32_e32 v8, 8, v8
	s_or_b64 s[4:5], vcc, s[4:5]
	s_waitcnt vmcnt(0) lgkmcnt(0)
	v_pk_mul_f32 v[14:15], v[12:13], v[10:11] op_sel:[1,1] op_sel_hi:[0,1]
	v_pk_fma_f32 v[16:17], v[12:13], v[10:11], v[14:15] neg_lo:[0,0,1] neg_hi:[0,0,1]
	v_pk_fma_f32 v[10:11], v[12:13], v[10:11], v[14:15] op_sel_hi:[1,0,1]
	s_nop 0
	v_mov_b32_e32 v17, v11
	v_pk_add_f32 v[4:5], v[4:5], v[16:17]
	s_andn2_b64 exec, exec, s[4:5]
	s_cbranch_execnz .LBB41_133
; %bb.134:
	s_or_b64 exec, exec, s[4:5]
	v_mov_b32_e32 v3, 0
	ds_read_b64 v[8:9], v3 offset:240
	s_waitcnt lgkmcnt(0)
	v_pk_mul_f32 v[10:11], v[4:5], v[8:9] op_sel:[1,1] op_sel_hi:[0,1]
	v_pk_fma_f32 v[12:13], v[4:5], v[8:9], v[10:11] neg_lo:[0,0,1] neg_hi:[0,0,1]
	v_pk_fma_f32 v[4:5], v[4:5], v[8:9], v[10:11] op_sel_hi:[1,0,1]
	s_nop 0
	v_mov_b32_e32 v13, v5
	scratch_store_dwordx2 off, v[12:13], off offset:240
.LBB41_135:
	s_or_b64 exec, exec, s[0:1]
	; wave barrier
	scratch_load_dwordx2 v[4:5], off, off offset:248
	v_cmp_gt_u32_e32 vcc, 31, v0
	s_waitcnt vmcnt(0)
	ds_write_b64 v1, v[4:5]
	s_waitcnt lgkmcnt(0)
	; wave barrier
	s_and_saveexec_b64 s[0:1], vcc
	s_cbranch_execz .LBB41_139
; %bb.136:
	v_mov_b32_e32 v4, 0
	v_add_u32_e32 v3, -1, v0
	v_add_u32_e32 v7, 0x150, v2
	v_mov_b32_e32 v8, v2
	s_mov_b64 s[4:5], 0
	v_mov_b32_e32 v5, v4
.LBB41_137:                             ; =>This Inner Loop Header: Depth=1
	scratch_load_dwordx2 v[10:11], v8, off
	ds_read_b64 v[12:13], v7
	v_add_u32_e32 v3, 1, v3
	v_cmp_lt_u32_e32 vcc, 29, v3
	v_add_u32_e32 v7, 8, v7
	v_add_u32_e32 v8, 8, v8
	s_or_b64 s[4:5], vcc, s[4:5]
	s_waitcnt vmcnt(0) lgkmcnt(0)
	v_pk_mul_f32 v[14:15], v[12:13], v[10:11] op_sel:[1,1] op_sel_hi:[0,1]
	v_pk_fma_f32 v[16:17], v[12:13], v[10:11], v[14:15] neg_lo:[0,0,1] neg_hi:[0,0,1]
	v_pk_fma_f32 v[10:11], v[12:13], v[10:11], v[14:15] op_sel_hi:[1,0,1]
	s_nop 0
	v_mov_b32_e32 v17, v11
	v_pk_add_f32 v[4:5], v[4:5], v[16:17]
	s_andn2_b64 exec, exec, s[4:5]
	s_cbranch_execnz .LBB41_137
; %bb.138:
	s_or_b64 exec, exec, s[4:5]
	v_mov_b32_e32 v3, 0
	ds_read_b64 v[8:9], v3 offset:248
	s_waitcnt lgkmcnt(0)
	v_pk_mul_f32 v[10:11], v[4:5], v[8:9] op_sel:[1,1] op_sel_hi:[0,1]
	v_pk_fma_f32 v[12:13], v[4:5], v[8:9], v[10:11] neg_lo:[0,0,1] neg_hi:[0,0,1]
	v_pk_fma_f32 v[4:5], v[4:5], v[8:9], v[10:11] op_sel_hi:[1,0,1]
	s_nop 0
	v_mov_b32_e32 v13, v5
	scratch_store_dwordx2 off, v[12:13], off offset:248
.LBB41_139:
	s_or_b64 exec, exec, s[0:1]
	; wave barrier
	scratch_load_dwordx2 v[4:5], off, off offset:256
	v_cmp_gt_u32_e32 vcc, 32, v0
	s_waitcnt vmcnt(0)
	ds_write_b64 v1, v[4:5]
	s_waitcnt lgkmcnt(0)
	; wave barrier
	s_and_saveexec_b64 s[0:1], vcc
	s_cbranch_execz .LBB41_143
; %bb.140:
	v_mov_b32_e32 v4, 0
	v_add_u32_e32 v3, -1, v0
	v_add_u32_e32 v7, 0x150, v2
	v_mov_b32_e32 v8, v2
	s_mov_b64 s[4:5], 0
	v_mov_b32_e32 v5, v4
.LBB41_141:                             ; =>This Inner Loop Header: Depth=1
	scratch_load_dwordx2 v[10:11], v8, off
	ds_read_b64 v[12:13], v7
	v_add_u32_e32 v3, 1, v3
	v_cmp_lt_u32_e32 vcc, 30, v3
	v_add_u32_e32 v7, 8, v7
	v_add_u32_e32 v8, 8, v8
	s_or_b64 s[4:5], vcc, s[4:5]
	s_waitcnt vmcnt(0) lgkmcnt(0)
	v_pk_mul_f32 v[14:15], v[12:13], v[10:11] op_sel:[1,1] op_sel_hi:[0,1]
	v_pk_fma_f32 v[16:17], v[12:13], v[10:11], v[14:15] neg_lo:[0,0,1] neg_hi:[0,0,1]
	v_pk_fma_f32 v[10:11], v[12:13], v[10:11], v[14:15] op_sel_hi:[1,0,1]
	s_nop 0
	v_mov_b32_e32 v17, v11
	v_pk_add_f32 v[4:5], v[4:5], v[16:17]
	s_andn2_b64 exec, exec, s[4:5]
	s_cbranch_execnz .LBB41_141
; %bb.142:
	s_or_b64 exec, exec, s[4:5]
	v_mov_b32_e32 v3, 0
	ds_read_b64 v[8:9], v3 offset:256
	s_waitcnt lgkmcnt(0)
	v_pk_mul_f32 v[10:11], v[4:5], v[8:9] op_sel:[1,1] op_sel_hi:[0,1]
	v_pk_fma_f32 v[12:13], v[4:5], v[8:9], v[10:11] neg_lo:[0,0,1] neg_hi:[0,0,1]
	v_pk_fma_f32 v[4:5], v[4:5], v[8:9], v[10:11] op_sel_hi:[1,0,1]
	s_nop 0
	v_mov_b32_e32 v13, v5
	scratch_store_dwordx2 off, v[12:13], off offset:256
.LBB41_143:
	s_or_b64 exec, exec, s[0:1]
	; wave barrier
	scratch_load_dwordx2 v[4:5], off, off offset:264
	v_cmp_gt_u32_e32 vcc, 33, v0
	s_waitcnt vmcnt(0)
	ds_write_b64 v1, v[4:5]
	s_waitcnt lgkmcnt(0)
	; wave barrier
	s_and_saveexec_b64 s[0:1], vcc
	s_cbranch_execz .LBB41_147
; %bb.144:
	v_mov_b32_e32 v4, 0
	v_add_u32_e32 v3, -1, v0
	v_add_u32_e32 v7, 0x150, v2
	v_mov_b32_e32 v8, v2
	s_mov_b64 s[4:5], 0
	v_mov_b32_e32 v5, v4
.LBB41_145:                             ; =>This Inner Loop Header: Depth=1
	scratch_load_dwordx2 v[10:11], v8, off
	ds_read_b64 v[12:13], v7
	v_add_u32_e32 v3, 1, v3
	v_cmp_lt_u32_e32 vcc, 31, v3
	v_add_u32_e32 v7, 8, v7
	v_add_u32_e32 v8, 8, v8
	s_or_b64 s[4:5], vcc, s[4:5]
	s_waitcnt vmcnt(0) lgkmcnt(0)
	v_pk_mul_f32 v[14:15], v[12:13], v[10:11] op_sel:[1,1] op_sel_hi:[0,1]
	v_pk_fma_f32 v[16:17], v[12:13], v[10:11], v[14:15] neg_lo:[0,0,1] neg_hi:[0,0,1]
	v_pk_fma_f32 v[10:11], v[12:13], v[10:11], v[14:15] op_sel_hi:[1,0,1]
	s_nop 0
	v_mov_b32_e32 v17, v11
	v_pk_add_f32 v[4:5], v[4:5], v[16:17]
	s_andn2_b64 exec, exec, s[4:5]
	s_cbranch_execnz .LBB41_145
; %bb.146:
	s_or_b64 exec, exec, s[4:5]
	v_mov_b32_e32 v3, 0
	ds_read_b64 v[8:9], v3 offset:264
	s_waitcnt lgkmcnt(0)
	v_pk_mul_f32 v[10:11], v[4:5], v[8:9] op_sel:[1,1] op_sel_hi:[0,1]
	v_pk_fma_f32 v[12:13], v[4:5], v[8:9], v[10:11] neg_lo:[0,0,1] neg_hi:[0,0,1]
	v_pk_fma_f32 v[4:5], v[4:5], v[8:9], v[10:11] op_sel_hi:[1,0,1]
	s_nop 0
	v_mov_b32_e32 v13, v5
	scratch_store_dwordx2 off, v[12:13], off offset:264
.LBB41_147:
	s_or_b64 exec, exec, s[0:1]
	; wave barrier
	scratch_load_dwordx2 v[4:5], off, off offset:272
	v_cmp_gt_u32_e32 vcc, 34, v0
	s_waitcnt vmcnt(0)
	ds_write_b64 v1, v[4:5]
	s_waitcnt lgkmcnt(0)
	; wave barrier
	s_and_saveexec_b64 s[0:1], vcc
	s_cbranch_execz .LBB41_151
; %bb.148:
	v_mov_b32_e32 v4, 0
	v_add_u32_e32 v3, -1, v0
	v_add_u32_e32 v7, 0x150, v2
	v_mov_b32_e32 v8, v2
	s_mov_b64 s[4:5], 0
	v_mov_b32_e32 v5, v4
.LBB41_149:                             ; =>This Inner Loop Header: Depth=1
	scratch_load_dwordx2 v[10:11], v8, off
	ds_read_b64 v[12:13], v7
	v_add_u32_e32 v3, 1, v3
	v_cmp_lt_u32_e32 vcc, 32, v3
	v_add_u32_e32 v7, 8, v7
	v_add_u32_e32 v8, 8, v8
	s_or_b64 s[4:5], vcc, s[4:5]
	s_waitcnt vmcnt(0) lgkmcnt(0)
	v_pk_mul_f32 v[14:15], v[12:13], v[10:11] op_sel:[1,1] op_sel_hi:[0,1]
	v_pk_fma_f32 v[16:17], v[12:13], v[10:11], v[14:15] neg_lo:[0,0,1] neg_hi:[0,0,1]
	v_pk_fma_f32 v[10:11], v[12:13], v[10:11], v[14:15] op_sel_hi:[1,0,1]
	s_nop 0
	v_mov_b32_e32 v17, v11
	v_pk_add_f32 v[4:5], v[4:5], v[16:17]
	s_andn2_b64 exec, exec, s[4:5]
	s_cbranch_execnz .LBB41_149
; %bb.150:
	s_or_b64 exec, exec, s[4:5]
	v_mov_b32_e32 v3, 0
	ds_read_b64 v[8:9], v3 offset:272
	s_waitcnt lgkmcnt(0)
	v_pk_mul_f32 v[10:11], v[4:5], v[8:9] op_sel:[1,1] op_sel_hi:[0,1]
	v_pk_fma_f32 v[12:13], v[4:5], v[8:9], v[10:11] neg_lo:[0,0,1] neg_hi:[0,0,1]
	v_pk_fma_f32 v[4:5], v[4:5], v[8:9], v[10:11] op_sel_hi:[1,0,1]
	s_nop 0
	v_mov_b32_e32 v13, v5
	scratch_store_dwordx2 off, v[12:13], off offset:272
.LBB41_151:
	s_or_b64 exec, exec, s[0:1]
	; wave barrier
	scratch_load_dwordx2 v[4:5], off, off offset:280
	v_cmp_gt_u32_e32 vcc, 35, v0
	s_waitcnt vmcnt(0)
	ds_write_b64 v1, v[4:5]
	s_waitcnt lgkmcnt(0)
	; wave barrier
	s_and_saveexec_b64 s[0:1], vcc
	s_cbranch_execz .LBB41_155
; %bb.152:
	v_mov_b32_e32 v4, 0
	v_add_u32_e32 v3, -1, v0
	v_add_u32_e32 v7, 0x150, v2
	v_mov_b32_e32 v8, v2
	s_mov_b64 s[4:5], 0
	v_mov_b32_e32 v5, v4
.LBB41_153:                             ; =>This Inner Loop Header: Depth=1
	scratch_load_dwordx2 v[10:11], v8, off
	ds_read_b64 v[12:13], v7
	v_add_u32_e32 v3, 1, v3
	v_cmp_lt_u32_e32 vcc, 33, v3
	v_add_u32_e32 v7, 8, v7
	v_add_u32_e32 v8, 8, v8
	s_or_b64 s[4:5], vcc, s[4:5]
	s_waitcnt vmcnt(0) lgkmcnt(0)
	v_pk_mul_f32 v[14:15], v[12:13], v[10:11] op_sel:[1,1] op_sel_hi:[0,1]
	v_pk_fma_f32 v[16:17], v[12:13], v[10:11], v[14:15] neg_lo:[0,0,1] neg_hi:[0,0,1]
	v_pk_fma_f32 v[10:11], v[12:13], v[10:11], v[14:15] op_sel_hi:[1,0,1]
	s_nop 0
	v_mov_b32_e32 v17, v11
	v_pk_add_f32 v[4:5], v[4:5], v[16:17]
	s_andn2_b64 exec, exec, s[4:5]
	s_cbranch_execnz .LBB41_153
; %bb.154:
	s_or_b64 exec, exec, s[4:5]
	v_mov_b32_e32 v3, 0
	ds_read_b64 v[8:9], v3 offset:280
	s_waitcnt lgkmcnt(0)
	v_pk_mul_f32 v[10:11], v[4:5], v[8:9] op_sel:[1,1] op_sel_hi:[0,1]
	v_pk_fma_f32 v[12:13], v[4:5], v[8:9], v[10:11] neg_lo:[0,0,1] neg_hi:[0,0,1]
	v_pk_fma_f32 v[4:5], v[4:5], v[8:9], v[10:11] op_sel_hi:[1,0,1]
	s_nop 0
	v_mov_b32_e32 v13, v5
	scratch_store_dwordx2 off, v[12:13], off offset:280
.LBB41_155:
	s_or_b64 exec, exec, s[0:1]
	; wave barrier
	scratch_load_dwordx2 v[4:5], off, off offset:288
	v_cmp_gt_u32_e32 vcc, 36, v0
	s_waitcnt vmcnt(0)
	ds_write_b64 v1, v[4:5]
	s_waitcnt lgkmcnt(0)
	; wave barrier
	s_and_saveexec_b64 s[0:1], vcc
	s_cbranch_execz .LBB41_159
; %bb.156:
	v_mov_b32_e32 v4, 0
	v_add_u32_e32 v3, -1, v0
	v_add_u32_e32 v7, 0x150, v2
	v_mov_b32_e32 v8, v2
	s_mov_b64 s[4:5], 0
	v_mov_b32_e32 v5, v4
.LBB41_157:                             ; =>This Inner Loop Header: Depth=1
	scratch_load_dwordx2 v[10:11], v8, off
	ds_read_b64 v[12:13], v7
	v_add_u32_e32 v3, 1, v3
	v_cmp_lt_u32_e32 vcc, 34, v3
	v_add_u32_e32 v7, 8, v7
	v_add_u32_e32 v8, 8, v8
	s_or_b64 s[4:5], vcc, s[4:5]
	s_waitcnt vmcnt(0) lgkmcnt(0)
	v_pk_mul_f32 v[14:15], v[12:13], v[10:11] op_sel:[1,1] op_sel_hi:[0,1]
	v_pk_fma_f32 v[16:17], v[12:13], v[10:11], v[14:15] neg_lo:[0,0,1] neg_hi:[0,0,1]
	v_pk_fma_f32 v[10:11], v[12:13], v[10:11], v[14:15] op_sel_hi:[1,0,1]
	s_nop 0
	v_mov_b32_e32 v17, v11
	v_pk_add_f32 v[4:5], v[4:5], v[16:17]
	s_andn2_b64 exec, exec, s[4:5]
	s_cbranch_execnz .LBB41_157
; %bb.158:
	s_or_b64 exec, exec, s[4:5]
	v_mov_b32_e32 v3, 0
	ds_read_b64 v[8:9], v3 offset:288
	s_waitcnt lgkmcnt(0)
	v_pk_mul_f32 v[10:11], v[4:5], v[8:9] op_sel:[1,1] op_sel_hi:[0,1]
	v_pk_fma_f32 v[12:13], v[4:5], v[8:9], v[10:11] neg_lo:[0,0,1] neg_hi:[0,0,1]
	v_pk_fma_f32 v[4:5], v[4:5], v[8:9], v[10:11] op_sel_hi:[1,0,1]
	s_nop 0
	v_mov_b32_e32 v13, v5
	scratch_store_dwordx2 off, v[12:13], off offset:288
.LBB41_159:
	s_or_b64 exec, exec, s[0:1]
	; wave barrier
	scratch_load_dwordx2 v[4:5], off, off offset:296
	v_cmp_gt_u32_e32 vcc, 37, v0
	s_waitcnt vmcnt(0)
	ds_write_b64 v1, v[4:5]
	s_waitcnt lgkmcnt(0)
	; wave barrier
	s_and_saveexec_b64 s[0:1], vcc
	s_cbranch_execz .LBB41_163
; %bb.160:
	v_mov_b32_e32 v4, 0
	v_add_u32_e32 v3, -1, v0
	v_add_u32_e32 v7, 0x150, v2
	v_mov_b32_e32 v8, v2
	s_mov_b64 s[4:5], 0
	v_mov_b32_e32 v5, v4
.LBB41_161:                             ; =>This Inner Loop Header: Depth=1
	scratch_load_dwordx2 v[10:11], v8, off
	ds_read_b64 v[12:13], v7
	v_add_u32_e32 v3, 1, v3
	v_cmp_lt_u32_e32 vcc, 35, v3
	v_add_u32_e32 v7, 8, v7
	v_add_u32_e32 v8, 8, v8
	s_or_b64 s[4:5], vcc, s[4:5]
	s_waitcnt vmcnt(0) lgkmcnt(0)
	v_pk_mul_f32 v[14:15], v[12:13], v[10:11] op_sel:[1,1] op_sel_hi:[0,1]
	v_pk_fma_f32 v[16:17], v[12:13], v[10:11], v[14:15] neg_lo:[0,0,1] neg_hi:[0,0,1]
	v_pk_fma_f32 v[10:11], v[12:13], v[10:11], v[14:15] op_sel_hi:[1,0,1]
	s_nop 0
	v_mov_b32_e32 v17, v11
	v_pk_add_f32 v[4:5], v[4:5], v[16:17]
	s_andn2_b64 exec, exec, s[4:5]
	s_cbranch_execnz .LBB41_161
; %bb.162:
	s_or_b64 exec, exec, s[4:5]
	v_mov_b32_e32 v3, 0
	ds_read_b64 v[8:9], v3 offset:296
	s_waitcnt lgkmcnt(0)
	v_pk_mul_f32 v[10:11], v[4:5], v[8:9] op_sel:[1,1] op_sel_hi:[0,1]
	v_pk_fma_f32 v[12:13], v[4:5], v[8:9], v[10:11] neg_lo:[0,0,1] neg_hi:[0,0,1]
	v_pk_fma_f32 v[4:5], v[4:5], v[8:9], v[10:11] op_sel_hi:[1,0,1]
	s_nop 0
	v_mov_b32_e32 v13, v5
	scratch_store_dwordx2 off, v[12:13], off offset:296
.LBB41_163:
	s_or_b64 exec, exec, s[0:1]
	; wave barrier
	scratch_load_dwordx2 v[4:5], off, off offset:304
	v_cmp_gt_u32_e32 vcc, 38, v0
	s_waitcnt vmcnt(0)
	ds_write_b64 v1, v[4:5]
	s_waitcnt lgkmcnt(0)
	; wave barrier
	s_and_saveexec_b64 s[0:1], vcc
	s_cbranch_execz .LBB41_167
; %bb.164:
	v_mov_b32_e32 v4, 0
	v_add_u32_e32 v3, -1, v0
	v_add_u32_e32 v7, 0x150, v2
	v_mov_b32_e32 v8, v2
	s_mov_b64 s[4:5], 0
	v_mov_b32_e32 v5, v4
.LBB41_165:                             ; =>This Inner Loop Header: Depth=1
	scratch_load_dwordx2 v[10:11], v8, off
	ds_read_b64 v[12:13], v7
	v_add_u32_e32 v3, 1, v3
	v_cmp_lt_u32_e32 vcc, 36, v3
	v_add_u32_e32 v7, 8, v7
	v_add_u32_e32 v8, 8, v8
	s_or_b64 s[4:5], vcc, s[4:5]
	s_waitcnt vmcnt(0) lgkmcnt(0)
	v_pk_mul_f32 v[14:15], v[12:13], v[10:11] op_sel:[1,1] op_sel_hi:[0,1]
	v_pk_fma_f32 v[16:17], v[12:13], v[10:11], v[14:15] neg_lo:[0,0,1] neg_hi:[0,0,1]
	v_pk_fma_f32 v[10:11], v[12:13], v[10:11], v[14:15] op_sel_hi:[1,0,1]
	s_nop 0
	v_mov_b32_e32 v17, v11
	v_pk_add_f32 v[4:5], v[4:5], v[16:17]
	s_andn2_b64 exec, exec, s[4:5]
	s_cbranch_execnz .LBB41_165
; %bb.166:
	s_or_b64 exec, exec, s[4:5]
	v_mov_b32_e32 v3, 0
	ds_read_b64 v[8:9], v3 offset:304
	s_waitcnt lgkmcnt(0)
	v_pk_mul_f32 v[10:11], v[4:5], v[8:9] op_sel:[1,1] op_sel_hi:[0,1]
	v_pk_fma_f32 v[12:13], v[4:5], v[8:9], v[10:11] neg_lo:[0,0,1] neg_hi:[0,0,1]
	v_pk_fma_f32 v[4:5], v[4:5], v[8:9], v[10:11] op_sel_hi:[1,0,1]
	s_nop 0
	v_mov_b32_e32 v13, v5
	scratch_store_dwordx2 off, v[12:13], off offset:304
.LBB41_167:
	s_or_b64 exec, exec, s[0:1]
	; wave barrier
	scratch_load_dwordx2 v[4:5], off, off offset:312
	v_cmp_gt_u32_e32 vcc, 39, v0
	s_waitcnt vmcnt(0)
	ds_write_b64 v1, v[4:5]
	s_waitcnt lgkmcnt(0)
	; wave barrier
	s_and_saveexec_b64 s[0:1], vcc
	s_cbranch_execz .LBB41_171
; %bb.168:
	v_mov_b32_e32 v4, 0
	v_add_u32_e32 v3, -1, v0
	v_add_u32_e32 v7, 0x150, v2
	v_mov_b32_e32 v8, v2
	s_mov_b64 s[4:5], 0
	v_mov_b32_e32 v5, v4
.LBB41_169:                             ; =>This Inner Loop Header: Depth=1
	scratch_load_dwordx2 v[10:11], v8, off
	ds_read_b64 v[12:13], v7
	v_add_u32_e32 v3, 1, v3
	v_cmp_lt_u32_e32 vcc, 37, v3
	v_add_u32_e32 v7, 8, v7
	v_add_u32_e32 v8, 8, v8
	s_or_b64 s[4:5], vcc, s[4:5]
	s_waitcnt vmcnt(0) lgkmcnt(0)
	v_pk_mul_f32 v[14:15], v[12:13], v[10:11] op_sel:[1,1] op_sel_hi:[0,1]
	v_pk_fma_f32 v[16:17], v[12:13], v[10:11], v[14:15] neg_lo:[0,0,1] neg_hi:[0,0,1]
	v_pk_fma_f32 v[10:11], v[12:13], v[10:11], v[14:15] op_sel_hi:[1,0,1]
	s_nop 0
	v_mov_b32_e32 v17, v11
	v_pk_add_f32 v[4:5], v[4:5], v[16:17]
	s_andn2_b64 exec, exec, s[4:5]
	s_cbranch_execnz .LBB41_169
; %bb.170:
	s_or_b64 exec, exec, s[4:5]
	v_mov_b32_e32 v3, 0
	ds_read_b64 v[8:9], v3 offset:312
	s_waitcnt lgkmcnt(0)
	v_pk_mul_f32 v[10:11], v[4:5], v[8:9] op_sel:[1,1] op_sel_hi:[0,1]
	v_pk_fma_f32 v[12:13], v[4:5], v[8:9], v[10:11] neg_lo:[0,0,1] neg_hi:[0,0,1]
	v_pk_fma_f32 v[4:5], v[4:5], v[8:9], v[10:11] op_sel_hi:[1,0,1]
	s_nop 0
	v_mov_b32_e32 v13, v5
	scratch_store_dwordx2 off, v[12:13], off offset:312
.LBB41_171:
	s_or_b64 exec, exec, s[0:1]
	; wave barrier
	scratch_load_dwordx2 v[4:5], off, off offset:320
	v_cmp_gt_u32_e32 vcc, 40, v0
	s_waitcnt vmcnt(0)
	ds_write_b64 v1, v[4:5]
	s_waitcnt lgkmcnt(0)
	; wave barrier
	s_and_saveexec_b64 s[0:1], vcc
	s_cbranch_execz .LBB41_175
; %bb.172:
	v_mov_b32_e32 v4, 0
	v_add_u32_e32 v3, -1, v0
	v_add_u32_e32 v7, 0x150, v2
	v_mov_b32_e32 v8, v2
	s_mov_b64 s[4:5], 0
	v_mov_b32_e32 v5, v4
.LBB41_173:                             ; =>This Inner Loop Header: Depth=1
	scratch_load_dwordx2 v[10:11], v8, off
	ds_read_b64 v[12:13], v7
	v_add_u32_e32 v3, 1, v3
	v_cmp_lt_u32_e32 vcc, 38, v3
	v_add_u32_e32 v7, 8, v7
	v_add_u32_e32 v8, 8, v8
	s_or_b64 s[4:5], vcc, s[4:5]
	s_waitcnt vmcnt(0) lgkmcnt(0)
	v_pk_mul_f32 v[14:15], v[12:13], v[10:11] op_sel:[1,1] op_sel_hi:[0,1]
	v_pk_fma_f32 v[16:17], v[12:13], v[10:11], v[14:15] neg_lo:[0,0,1] neg_hi:[0,0,1]
	v_pk_fma_f32 v[10:11], v[12:13], v[10:11], v[14:15] op_sel_hi:[1,0,1]
	s_nop 0
	v_mov_b32_e32 v17, v11
	v_pk_add_f32 v[4:5], v[4:5], v[16:17]
	s_andn2_b64 exec, exec, s[4:5]
	s_cbranch_execnz .LBB41_173
; %bb.174:
	s_or_b64 exec, exec, s[4:5]
	v_mov_b32_e32 v3, 0
	ds_read_b64 v[8:9], v3 offset:320
	s_waitcnt lgkmcnt(0)
	v_pk_mul_f32 v[10:11], v[4:5], v[8:9] op_sel:[1,1] op_sel_hi:[0,1]
	v_pk_fma_f32 v[12:13], v[4:5], v[8:9], v[10:11] neg_lo:[0,0,1] neg_hi:[0,0,1]
	v_pk_fma_f32 v[4:5], v[4:5], v[8:9], v[10:11] op_sel_hi:[1,0,1]
	s_nop 0
	v_mov_b32_e32 v13, v5
	scratch_store_dwordx2 off, v[12:13], off offset:320
.LBB41_175:
	s_or_b64 exec, exec, s[0:1]
	; wave barrier
	scratch_load_dwordx2 v[4:5], off, off offset:328
	v_cmp_ne_u32_e32 vcc, 41, v0
	s_waitcnt vmcnt(0)
	ds_write_b64 v1, v[4:5]
	s_waitcnt lgkmcnt(0)
	; wave barrier
	s_and_saveexec_b64 s[0:1], vcc
	s_cbranch_execz .LBB41_179
; %bb.176:
	v_add_u32_e32 v1, 0x150, v2
	v_mov_b32_e32 v4, v2
	v_mov_b32_e32 v2, 0
	s_mov_b64 s[4:5], 0
	v_mov_b32_e32 v3, v2
.LBB41_177:                             ; =>This Inner Loop Header: Depth=1
	scratch_load_dwordx2 v[8:9], v4, off
	ds_read_b64 v[10:11], v1
	v_add_u32_e32 v6, 1, v6
	v_cmp_lt_u32_e32 vcc, 39, v6
	v_add_u32_e32 v1, 8, v1
	v_add_u32_e32 v4, 8, v4
	s_or_b64 s[4:5], vcc, s[4:5]
	s_waitcnt vmcnt(0) lgkmcnt(0)
	v_pk_mul_f32 v[12:13], v[10:11], v[8:9] op_sel:[1,1] op_sel_hi:[0,1]
	v_pk_fma_f32 v[14:15], v[10:11], v[8:9], v[12:13] neg_lo:[0,0,1] neg_hi:[0,0,1]
	v_pk_fma_f32 v[8:9], v[10:11], v[8:9], v[12:13] op_sel_hi:[1,0,1]
	s_nop 0
	v_mov_b32_e32 v15, v9
	v_pk_add_f32 v[2:3], v[2:3], v[14:15]
	s_andn2_b64 exec, exec, s[4:5]
	s_cbranch_execnz .LBB41_177
; %bb.178:
	s_or_b64 exec, exec, s[4:5]
	v_mov_b32_e32 v1, 0
	ds_read_b64 v[4:5], v1 offset:328
	s_waitcnt lgkmcnt(0)
	v_pk_mul_f32 v[6:7], v[2:3], v[4:5] op_sel:[1,1] op_sel_hi:[0,1]
	v_pk_fma_f32 v[8:9], v[2:3], v[4:5], v[6:7] neg_lo:[0,0,1] neg_hi:[0,0,1]
	v_pk_fma_f32 v[2:3], v[2:3], v[4:5], v[6:7] op_sel_hi:[1,0,1]
	s_nop 0
	v_mov_b32_e32 v9, v3
	scratch_store_dwordx2 off, v[8:9], off offset:328
.LBB41_179:
	s_or_b64 exec, exec, s[0:1]
	s_mov_b64 s[4:5], -1
	; wave barrier
.LBB41_180:
	s_and_b64 vcc, exec, s[4:5]
	s_cbranch_vccz .LBB41_182
; %bb.181:
	s_lshl_b64 s[0:1], s[2:3], 2
	s_add_u32 s0, s6, s0
	s_addc_u32 s1, s7, s1
	v_mov_b32_e32 v1, 0
	global_load_dword v1, v1, s[0:1]
	s_waitcnt vmcnt(0)
	v_cmp_ne_u32_e32 vcc, 0, v1
	s_cbranch_vccz .LBB41_183
.LBB41_182:
	s_endpgm
.LBB41_183:
	v_mov_b32_e32 v1, 0x150
	v_lshl_add_u32 v1, v0, 3, v1
	v_cmp_eq_u32_e32 vcc, 41, v0
	s_and_saveexec_b64 s[0:1], vcc
	s_cbranch_execz .LBB41_185
; %bb.184:
	scratch_load_dwordx2 v[2:3], off, off offset:320
	v_mov_b32_e32 v4, 0
	v_mov_b32_e32 v5, v4
	scratch_store_dwordx2 off, v[4:5], off offset:320
	s_waitcnt vmcnt(1)
	ds_write_b64 v1, v[2:3]
.LBB41_185:
	s_or_b64 exec, exec, s[0:1]
	s_waitcnt lgkmcnt(0)
	; wave barrier
	scratch_load_dwordx2 v[4:5], off, off offset:328
	scratch_load_dwordx2 v[6:7], off, off offset:320
	v_mov_b32_e32 v2, 0
	ds_read_b64 v[8:9], v2 offset:664
	v_cmp_lt_u32_e32 vcc, 39, v0
	s_waitcnt vmcnt(1) lgkmcnt(0)
	v_pk_mul_f32 v[10:11], v[8:9], v[4:5] op_sel:[1,1] op_sel_hi:[0,1]
	v_pk_fma_f32 v[12:13], v[8:9], v[4:5], v[10:11] neg_lo:[0,0,1] neg_hi:[0,0,1]
	v_pk_fma_f32 v[4:5], v[8:9], v[4:5], v[10:11] op_sel_hi:[1,0,1]
	s_nop 0
	v_mov_b32_e32 v13, v5
	v_pk_add_f32 v[4:5], v[12:13], 0 op_sel_hi:[1,0]
	s_waitcnt vmcnt(0)
	v_pk_add_f32 v[4:5], v[6:7], v[4:5] neg_lo:[0,1] neg_hi:[0,1]
	scratch_store_dwordx2 off, v[4:5], off offset:320
	s_and_saveexec_b64 s[0:1], vcc
	s_cbranch_execz .LBB41_187
; %bb.186:
	scratch_load_dwordx2 v[4:5], off, off offset:312
	v_mov_b32_e32 v3, v2
	scratch_store_dwordx2 off, v[2:3], off offset:312
	s_waitcnt vmcnt(1)
	ds_write_b64 v1, v[4:5]
.LBB41_187:
	s_or_b64 exec, exec, s[0:1]
	s_waitcnt lgkmcnt(0)
	; wave barrier
	scratch_load_dwordx4 v[4:7], off, off offset:320
	scratch_load_dwordx2 v[12:13], off, off offset:312
	ds_read_b128 v[8:11], v2 offset:656
	v_cmp_lt_u32_e32 vcc, 38, v0
	s_waitcnt vmcnt(1) lgkmcnt(0)
	v_pk_mul_f32 v[2:3], v[8:9], v[4:5] op_sel:[1,1] op_sel_hi:[0,1]
	v_mov_b32_e32 v14, v7
	v_pk_fma_f32 v[16:17], v[8:9], v[4:5], v[2:3] neg_lo:[0,0,1] neg_hi:[0,0,1]
	v_pk_fma_f32 v[2:3], v[8:9], v[4:5], v[2:3] op_sel_hi:[1,0,1]
	v_pk_mul_f32 v[4:5], v[10:11], v[14:15] op_sel:[1,0] op_sel_hi:[0,0]
	v_mov_b32_e32 v17, v3
	v_pk_fma_f32 v[2:3], v[10:11], v[6:7], v[4:5] neg_lo:[0,0,1] neg_hi:[0,0,1]
	v_pk_fma_f32 v[4:5], v[10:11], v[6:7], v[4:5] op_sel_hi:[1,0,1]
	v_pk_add_f32 v[6:7], v[16:17], 0 op_sel_hi:[1,0]
	v_mov_b32_e32 v3, v5
	v_pk_add_f32 v[2:3], v[6:7], v[2:3]
	s_waitcnt vmcnt(0)
	v_pk_add_f32 v[2:3], v[12:13], v[2:3] neg_lo:[0,1] neg_hi:[0,1]
	scratch_store_dwordx2 off, v[2:3], off offset:312
	s_and_saveexec_b64 s[0:1], vcc
	s_cbranch_execz .LBB41_189
; %bb.188:
	scratch_load_dwordx2 v[2:3], off, off offset:304
	v_mov_b32_e32 v4, 0
	v_mov_b32_e32 v5, v4
	scratch_store_dwordx2 off, v[4:5], off offset:304
	s_waitcnt vmcnt(1)
	ds_write_b64 v1, v[2:3]
.LBB41_189:
	s_or_b64 exec, exec, s[0:1]
	s_waitcnt lgkmcnt(0)
	; wave barrier
	scratch_load_dwordx4 v[4:7], off, off offset:312
	scratch_load_dwordx2 v[12:13], off, off offset:328
	scratch_load_dwordx2 v[14:15], off, off offset:304
	v_mov_b32_e32 v2, 0
	ds_read2_b64 v[8:11], v2 offset0:81 offset1:82
	ds_read_b64 v[16:17], v2 offset:664
	v_cmp_lt_u32_e32 vcc, 37, v0
	s_waitcnt vmcnt(2) lgkmcnt(1)
	v_pk_mul_f32 v[18:19], v[8:9], v[4:5] op_sel:[1,1] op_sel_hi:[0,1]
	v_mov_b32_e32 v20, v7
	v_pk_fma_f32 v[24:25], v[8:9], v[4:5], v[18:19] neg_lo:[0,0,1] neg_hi:[0,0,1]
	v_pk_fma_f32 v[4:5], v[8:9], v[4:5], v[18:19] op_sel_hi:[1,0,1]
	v_pk_mul_f32 v[8:9], v[10:11], v[20:21] op_sel:[1,0] op_sel_hi:[0,0]
	s_waitcnt vmcnt(1) lgkmcnt(0)
	v_pk_mul_f32 v[22:23], v[16:17], v[12:13] op_sel:[1,1] op_sel_hi:[0,1]
	v_mov_b32_e32 v25, v5
	v_pk_fma_f32 v[4:5], v[10:11], v[6:7], v[8:9] neg_lo:[0,0,1] neg_hi:[0,0,1]
	v_pk_fma_f32 v[6:7], v[10:11], v[6:7], v[8:9] op_sel_hi:[1,0,1]
	v_pk_fma_f32 v[18:19], v[16:17], v[12:13], v[22:23] neg_lo:[0,0,1] neg_hi:[0,0,1]
	v_pk_fma_f32 v[12:13], v[16:17], v[12:13], v[22:23] op_sel_hi:[1,0,1]
	v_pk_add_f32 v[8:9], v[24:25], 0 op_sel_hi:[1,0]
	v_mov_b32_e32 v5, v7
	v_mov_b32_e32 v19, v13
	v_pk_add_f32 v[4:5], v[8:9], v[4:5]
	s_nop 0
	v_pk_add_f32 v[4:5], v[4:5], v[18:19]
	s_waitcnt vmcnt(0)
	v_pk_add_f32 v[4:5], v[14:15], v[4:5] neg_lo:[0,1] neg_hi:[0,1]
	scratch_store_dwordx2 off, v[4:5], off offset:304
	s_and_saveexec_b64 s[0:1], vcc
	s_cbranch_execz .LBB41_191
; %bb.190:
	scratch_load_dwordx2 v[4:5], off, off offset:296
	v_mov_b32_e32 v3, v2
	scratch_store_dwordx2 off, v[2:3], off offset:296
	s_waitcnt vmcnt(1)
	ds_write_b64 v1, v[4:5]
.LBB41_191:
	s_or_b64 exec, exec, s[0:1]
	s_waitcnt lgkmcnt(0)
	; wave barrier
	scratch_load_dwordx4 v[4:7], off, off offset:304
	scratch_load_dwordx4 v[8:11], off, off offset:320
	scratch_load_dwordx2 v[20:21], off, off offset:296
	ds_read_b128 v[12:15], v2 offset:640
	ds_read_b128 v[16:19], v2 offset:656
	v_cmp_lt_u32_e32 vcc, 36, v0
	s_waitcnt vmcnt(2) lgkmcnt(1)
	v_pk_mul_f32 v[2:3], v[12:13], v[4:5] op_sel:[1,1] op_sel_hi:[0,1]
	v_mov_b32_e32 v22, v7
	s_waitcnt vmcnt(1) lgkmcnt(0)
	v_pk_mul_f32 v[24:25], v[16:17], v[8:9] op_sel:[1,1] op_sel_hi:[0,1]
	v_mov_b32_e32 v26, v11
	v_pk_fma_f32 v[28:29], v[12:13], v[4:5], v[2:3] neg_lo:[0,0,1] neg_hi:[0,0,1]
	v_pk_fma_f32 v[2:3], v[12:13], v[4:5], v[2:3] op_sel_hi:[1,0,1]
	v_pk_mul_f32 v[4:5], v[14:15], v[22:23] op_sel:[1,0] op_sel_hi:[0,0]
	v_pk_fma_f32 v[12:13], v[16:17], v[8:9], v[24:25] neg_lo:[0,0,1] neg_hi:[0,0,1]
	v_pk_fma_f32 v[8:9], v[16:17], v[8:9], v[24:25] op_sel_hi:[1,0,1]
	v_pk_mul_f32 v[16:17], v[18:19], v[26:27] op_sel:[1,0] op_sel_hi:[0,0]
	v_mov_b32_e32 v29, v3
	v_pk_fma_f32 v[2:3], v[14:15], v[6:7], v[4:5] neg_lo:[0,0,1] neg_hi:[0,0,1]
	v_pk_fma_f32 v[4:5], v[14:15], v[6:7], v[4:5] op_sel_hi:[1,0,1]
	v_mov_b32_e32 v13, v9
	v_pk_fma_f32 v[6:7], v[18:19], v[10:11], v[16:17] neg_lo:[0,0,1] neg_hi:[0,0,1]
	v_pk_fma_f32 v[8:9], v[18:19], v[10:11], v[16:17] op_sel_hi:[1,0,1]
	v_pk_add_f32 v[10:11], v[28:29], 0 op_sel_hi:[1,0]
	v_mov_b32_e32 v3, v5
	v_pk_add_f32 v[2:3], v[10:11], v[2:3]
	v_mov_b32_e32 v7, v9
	v_pk_add_f32 v[2:3], v[2:3], v[12:13]
	s_nop 0
	v_pk_add_f32 v[2:3], v[2:3], v[6:7]
	s_waitcnt vmcnt(0)
	v_pk_add_f32 v[2:3], v[20:21], v[2:3] neg_lo:[0,1] neg_hi:[0,1]
	scratch_store_dwordx2 off, v[2:3], off offset:296
	s_and_saveexec_b64 s[0:1], vcc
	s_cbranch_execz .LBB41_193
; %bb.192:
	scratch_load_dwordx2 v[2:3], off, off offset:288
	v_mov_b32_e32 v4, 0
	v_mov_b32_e32 v5, v4
	scratch_store_dwordx2 off, v[4:5], off offset:288
	s_waitcnt vmcnt(1)
	ds_write_b64 v1, v[2:3]
.LBB41_193:
	s_or_b64 exec, exec, s[0:1]
	s_waitcnt lgkmcnt(0)
	; wave barrier
	scratch_load_dwordx4 v[4:7], off, off offset:296
	scratch_load_dwordx4 v[8:11], off, off offset:312
	scratch_load_dwordx2 v[20:21], off, off offset:328
	scratch_load_dwordx2 v[22:23], off, off offset:288
	v_mov_b32_e32 v2, 0
	ds_read2_b64 v[12:15], v2 offset0:79 offset1:80
	ds_read2_b64 v[16:19], v2 offset0:81 offset1:82
	ds_read_b64 v[24:25], v2 offset:664
	v_cmp_lt_u32_e32 vcc, 35, v0
	s_waitcnt vmcnt(3) lgkmcnt(2)
	v_pk_mul_f32 v[26:27], v[12:13], v[4:5] op_sel:[1,1] op_sel_hi:[0,1]
	v_mov_b32_e32 v28, v7
	v_pk_fma_f32 v[36:37], v[12:13], v[4:5], v[26:27] neg_lo:[0,0,1] neg_hi:[0,0,1]
	v_pk_fma_f32 v[4:5], v[12:13], v[4:5], v[26:27] op_sel_hi:[1,0,1]
	v_pk_mul_f32 v[12:13], v[14:15], v[28:29] op_sel:[1,0] op_sel_hi:[0,0]
	s_waitcnt vmcnt(2) lgkmcnt(1)
	v_pk_mul_f32 v[30:31], v[16:17], v[8:9] op_sel:[1,1] op_sel_hi:[0,1]
	v_mov_b32_e32 v32, v11
	v_mov_b32_e32 v37, v5
	v_pk_fma_f32 v[4:5], v[14:15], v[6:7], v[12:13] neg_lo:[0,0,1] neg_hi:[0,0,1]
	v_pk_fma_f32 v[6:7], v[14:15], v[6:7], v[12:13] op_sel_hi:[1,0,1]
	v_pk_fma_f32 v[26:27], v[16:17], v[8:9], v[30:31] neg_lo:[0,0,1] neg_hi:[0,0,1]
	v_pk_fma_f32 v[8:9], v[16:17], v[8:9], v[30:31] op_sel_hi:[1,0,1]
	v_pk_mul_f32 v[16:17], v[18:19], v[32:33] op_sel:[1,0] op_sel_hi:[0,0]
	v_pk_add_f32 v[12:13], v[36:37], 0 op_sel_hi:[1,0]
	v_mov_b32_e32 v5, v7
	s_waitcnt vmcnt(1) lgkmcnt(0)
	v_pk_mul_f32 v[34:35], v[24:25], v[20:21] op_sel:[1,1] op_sel_hi:[0,1]
	v_mov_b32_e32 v27, v9
	v_pk_fma_f32 v[8:9], v[18:19], v[10:11], v[16:17] neg_lo:[0,0,1] neg_hi:[0,0,1]
	v_pk_fma_f32 v[10:11], v[18:19], v[10:11], v[16:17] op_sel_hi:[1,0,1]
	v_pk_add_f32 v[4:5], v[12:13], v[4:5]
	v_pk_fma_f32 v[28:29], v[24:25], v[20:21], v[34:35] neg_lo:[0,0,1] neg_hi:[0,0,1]
	v_pk_fma_f32 v[20:21], v[24:25], v[20:21], v[34:35] op_sel_hi:[1,0,1]
	v_mov_b32_e32 v9, v11
	v_pk_add_f32 v[4:5], v[4:5], v[26:27]
	v_mov_b32_e32 v29, v21
	v_pk_add_f32 v[4:5], v[4:5], v[8:9]
	s_nop 0
	v_pk_add_f32 v[4:5], v[4:5], v[28:29]
	s_waitcnt vmcnt(0)
	v_pk_add_f32 v[4:5], v[22:23], v[4:5] neg_lo:[0,1] neg_hi:[0,1]
	scratch_store_dwordx2 off, v[4:5], off offset:288
	s_and_saveexec_b64 s[0:1], vcc
	s_cbranch_execz .LBB41_195
; %bb.194:
	scratch_load_dwordx2 v[4:5], off, off offset:280
	v_mov_b32_e32 v3, v2
	scratch_store_dwordx2 off, v[2:3], off offset:280
	s_waitcnt vmcnt(1)
	ds_write_b64 v1, v[4:5]
.LBB41_195:
	s_or_b64 exec, exec, s[0:1]
	s_waitcnt lgkmcnt(0)
	; wave barrier
	scratch_load_dwordx4 v[4:7], off, off offset:288
	scratch_load_dwordx4 v[8:11], off, off offset:304
	;; [unrolled: 1-line block ×3, first 2 shown]
	scratch_load_dwordx2 v[28:29], off, off offset:280
	ds_read_b128 v[16:19], v2 offset:624
	ds_read_b128 v[20:23], v2 offset:640
	;; [unrolled: 1-line block ×3, first 2 shown]
	v_cmp_lt_u32_e32 vcc, 34, v0
	s_waitcnt vmcnt(3) lgkmcnt(2)
	v_pk_mul_f32 v[2:3], v[16:17], v[4:5] op_sel:[1,1] op_sel_hi:[0,1]
	v_mov_b32_e32 v30, v7
	s_waitcnt vmcnt(2) lgkmcnt(1)
	v_pk_mul_f32 v[32:33], v[20:21], v[8:9] op_sel:[1,1] op_sel_hi:[0,1]
	v_mov_b32_e32 v34, v11
	s_waitcnt vmcnt(1) lgkmcnt(0)
	v_pk_mul_f32 v[36:37], v[24:25], v[12:13] op_sel:[1,1] op_sel_hi:[0,1]
	v_mov_b32_e32 v38, v15
	v_pk_fma_f32 v[40:41], v[16:17], v[4:5], v[2:3] neg_lo:[0,0,1] neg_hi:[0,0,1]
	v_pk_fma_f32 v[2:3], v[16:17], v[4:5], v[2:3] op_sel_hi:[1,0,1]
	v_pk_mul_f32 v[4:5], v[18:19], v[30:31] op_sel:[1,0] op_sel_hi:[0,0]
	v_pk_fma_f32 v[16:17], v[20:21], v[8:9], v[32:33] neg_lo:[0,0,1] neg_hi:[0,0,1]
	v_pk_fma_f32 v[8:9], v[20:21], v[8:9], v[32:33] op_sel_hi:[1,0,1]
	v_pk_mul_f32 v[20:21], v[22:23], v[34:35] op_sel:[1,0] op_sel_hi:[0,0]
	;; [unrolled: 3-line block ×3, first 2 shown]
	v_mov_b32_e32 v41, v3
	v_pk_fma_f32 v[2:3], v[18:19], v[6:7], v[4:5] neg_lo:[0,0,1] neg_hi:[0,0,1]
	v_pk_fma_f32 v[4:5], v[18:19], v[6:7], v[4:5] op_sel_hi:[1,0,1]
	v_mov_b32_e32 v17, v9
	v_pk_fma_f32 v[6:7], v[22:23], v[10:11], v[20:21] neg_lo:[0,0,1] neg_hi:[0,0,1]
	v_pk_fma_f32 v[8:9], v[22:23], v[10:11], v[20:21] op_sel_hi:[1,0,1]
	;; [unrolled: 3-line block ×3, first 2 shown]
	v_pk_add_f32 v[14:15], v[40:41], 0 op_sel_hi:[1,0]
	v_mov_b32_e32 v3, v5
	v_pk_add_f32 v[2:3], v[14:15], v[2:3]
	v_mov_b32_e32 v7, v9
	v_pk_add_f32 v[2:3], v[2:3], v[16:17]
	;; [unrolled: 2-line block ×3, first 2 shown]
	s_nop 0
	v_pk_add_f32 v[2:3], v[2:3], v[30:31]
	s_nop 0
	v_pk_add_f32 v[2:3], v[2:3], v[10:11]
	s_waitcnt vmcnt(0)
	v_pk_add_f32 v[2:3], v[28:29], v[2:3] neg_lo:[0,1] neg_hi:[0,1]
	scratch_store_dwordx2 off, v[2:3], off offset:280
	s_and_saveexec_b64 s[0:1], vcc
	s_cbranch_execz .LBB41_197
; %bb.196:
	scratch_load_dwordx2 v[2:3], off, off offset:272
	v_mov_b32_e32 v4, 0
	v_mov_b32_e32 v5, v4
	scratch_store_dwordx2 off, v[4:5], off offset:272
	s_waitcnt vmcnt(1)
	ds_write_b64 v1, v[2:3]
.LBB41_197:
	s_or_b64 exec, exec, s[0:1]
	s_waitcnt lgkmcnt(0)
	; wave barrier
	scratch_load_dwordx4 v[4:7], off, off offset:280
	scratch_load_dwordx4 v[8:11], off, off offset:296
	;; [unrolled: 1-line block ×3, first 2 shown]
	scratch_load_dwordx2 v[28:29], off, off offset:328
	v_mov_b32_e32 v2, 0
	ds_read2_b64 v[16:19], v2 offset0:77 offset1:78
	ds_read2_b64 v[20:23], v2 offset0:79 offset1:80
	;; [unrolled: 1-line block ×3, first 2 shown]
	ds_read_b64 v[30:31], v2 offset:664
	v_cmp_lt_u32_e32 vcc, 33, v0
	s_waitcnt vmcnt(3) lgkmcnt(3)
	v_pk_mul_f32 v[32:33], v[16:17], v[4:5] op_sel:[1,1] op_sel_hi:[0,1]
	v_pk_fma_f32 v[34:35], v[16:17], v[4:5], v[32:33] neg_lo:[0,0,1] neg_hi:[0,0,1]
	v_pk_fma_f32 v[4:5], v[16:17], v[4:5], v[32:33] op_sel_hi:[1,0,1]
	v_mov_b32_e32 v16, v7
	v_pk_mul_f32 v[16:17], v[18:19], v[16:17] op_sel:[1,0] op_sel_hi:[0,0]
	v_pk_fma_f32 v[32:33], v[18:19], v[6:7], v[16:17] neg_lo:[0,0,1] neg_hi:[0,0,1]
	v_pk_fma_f32 v[6:7], v[18:19], v[6:7], v[16:17] op_sel_hi:[1,0,1]
	v_mov_b32_e32 v35, v5
	v_mov_b32_e32 v33, v7
	s_waitcnt vmcnt(2) lgkmcnt(2)
	v_pk_mul_f32 v[6:7], v[20:21], v[8:9] op_sel:[1,1] op_sel_hi:[0,1]
	v_pk_fma_f32 v[16:17], v[20:21], v[8:9], v[6:7] neg_lo:[0,0,1] neg_hi:[0,0,1]
	v_pk_fma_f32 v[6:7], v[20:21], v[8:9], v[6:7] op_sel_hi:[1,0,1]
	v_pk_add_f32 v[4:5], v[34:35], 0 op_sel_hi:[1,0]
	v_mov_b32_e32 v6, v11
	v_mov_b32_e32 v17, v7
	v_pk_mul_f32 v[6:7], v[22:23], v[6:7] op_sel:[1,0] op_sel_hi:[0,0]
	v_pk_add_f32 v[4:5], v[4:5], v[32:33]
	v_pk_fma_f32 v[8:9], v[22:23], v[10:11], v[6:7] neg_lo:[0,0,1] neg_hi:[0,0,1]
	v_pk_fma_f32 v[6:7], v[22:23], v[10:11], v[6:7] op_sel_hi:[1,0,1]
	v_pk_add_f32 v[4:5], v[4:5], v[16:17]
	v_mov_b32_e32 v9, v7
	s_waitcnt vmcnt(1) lgkmcnt(1)
	v_pk_mul_f32 v[6:7], v[24:25], v[12:13] op_sel:[1,1] op_sel_hi:[0,1]
	v_pk_add_f32 v[4:5], v[4:5], v[8:9]
	v_pk_fma_f32 v[8:9], v[24:25], v[12:13], v[6:7] neg_lo:[0,0,1] neg_hi:[0,0,1]
	v_pk_fma_f32 v[6:7], v[24:25], v[12:13], v[6:7] op_sel_hi:[1,0,1]
	s_nop 0
	v_mov_b32_e32 v6, v15
	v_mov_b32_e32 v9, v7
	v_pk_mul_f32 v[6:7], v[26:27], v[6:7] op_sel:[1,0] op_sel_hi:[0,0]
	v_pk_add_f32 v[4:5], v[4:5], v[8:9]
	v_pk_fma_f32 v[8:9], v[26:27], v[14:15], v[6:7] neg_lo:[0,0,1] neg_hi:[0,0,1]
	v_pk_fma_f32 v[6:7], v[26:27], v[14:15], v[6:7] op_sel_hi:[1,0,1]
	s_nop 0
	v_mov_b32_e32 v9, v7
	s_waitcnt vmcnt(0) lgkmcnt(0)
	v_pk_mul_f32 v[6:7], v[30:31], v[28:29] op_sel:[1,1] op_sel_hi:[0,1]
	v_pk_add_f32 v[4:5], v[4:5], v[8:9]
	v_pk_fma_f32 v[8:9], v[30:31], v[28:29], v[6:7] neg_lo:[0,0,1] neg_hi:[0,0,1]
	v_pk_fma_f32 v[6:7], v[30:31], v[28:29], v[6:7] op_sel_hi:[1,0,1]
	s_nop 0
	v_mov_b32_e32 v9, v7
	scratch_load_dwordx2 v[6:7], off, off offset:272
	v_pk_add_f32 v[4:5], v[4:5], v[8:9]
	s_waitcnt vmcnt(0)
	v_pk_add_f32 v[4:5], v[6:7], v[4:5] neg_lo:[0,1] neg_hi:[0,1]
	scratch_store_dwordx2 off, v[4:5], off offset:272
	s_and_saveexec_b64 s[0:1], vcc
	s_cbranch_execz .LBB41_199
; %bb.198:
	scratch_load_dwordx2 v[4:5], off, off offset:264
	v_mov_b32_e32 v3, v2
	scratch_store_dwordx2 off, v[2:3], off offset:264
	s_waitcnt vmcnt(1)
	ds_write_b64 v1, v[4:5]
.LBB41_199:
	s_or_b64 exec, exec, s[0:1]
	s_waitcnt lgkmcnt(0)
	; wave barrier
	scratch_load_dwordx4 v[4:7], off, off offset:272
	scratch_load_dwordx4 v[8:11], off, off offset:288
	;; [unrolled: 1-line block ×4, first 2 shown]
	ds_read_b128 v[20:23], v2 offset:608
	ds_read_b128 v[24:27], v2 offset:624
	;; [unrolled: 1-line block ×4, first 2 shown]
	v_cmp_lt_u32_e32 vcc, 32, v0
	s_waitcnt vmcnt(3) lgkmcnt(3)
	v_pk_mul_f32 v[2:3], v[20:21], v[4:5] op_sel:[1,1] op_sel_hi:[0,1]
	v_pk_fma_f32 v[36:37], v[20:21], v[4:5], v[2:3] neg_lo:[0,0,1] neg_hi:[0,0,1]
	v_pk_fma_f32 v[2:3], v[20:21], v[4:5], v[2:3] op_sel_hi:[1,0,1]
	v_mov_b32_e32 v4, v7
	v_pk_mul_f32 v[4:5], v[22:23], v[4:5] op_sel:[1,0] op_sel_hi:[0,0]
	v_pk_fma_f32 v[20:21], v[22:23], v[6:7], v[4:5] neg_lo:[0,0,1] neg_hi:[0,0,1]
	v_pk_fma_f32 v[4:5], v[22:23], v[6:7], v[4:5] op_sel_hi:[1,0,1]
	v_mov_b32_e32 v37, v3
	v_mov_b32_e32 v21, v5
	s_waitcnt vmcnt(2) lgkmcnt(2)
	v_pk_mul_f32 v[4:5], v[24:25], v[8:9] op_sel:[1,1] op_sel_hi:[0,1]
	v_pk_fma_f32 v[6:7], v[24:25], v[8:9], v[4:5] neg_lo:[0,0,1] neg_hi:[0,0,1]
	v_pk_fma_f32 v[4:5], v[24:25], v[8:9], v[4:5] op_sel_hi:[1,0,1]
	v_pk_add_f32 v[2:3], v[36:37], 0 op_sel_hi:[1,0]
	v_mov_b32_e32 v4, v11
	v_pk_add_f32 v[2:3], v[2:3], v[20:21]
	v_mov_b32_e32 v7, v5
	v_pk_mul_f32 v[4:5], v[26:27], v[4:5] op_sel:[1,0] op_sel_hi:[0,0]
	v_pk_add_f32 v[2:3], v[2:3], v[6:7]
	v_pk_fma_f32 v[6:7], v[26:27], v[10:11], v[4:5] neg_lo:[0,0,1] neg_hi:[0,0,1]
	v_pk_fma_f32 v[4:5], v[26:27], v[10:11], v[4:5] op_sel_hi:[1,0,1]
	s_nop 0
	v_mov_b32_e32 v7, v5
	s_waitcnt vmcnt(1) lgkmcnt(1)
	v_pk_mul_f32 v[4:5], v[28:29], v[12:13] op_sel:[1,1] op_sel_hi:[0,1]
	v_pk_add_f32 v[2:3], v[2:3], v[6:7]
	v_pk_fma_f32 v[6:7], v[28:29], v[12:13], v[4:5] neg_lo:[0,0,1] neg_hi:[0,0,1]
	v_pk_fma_f32 v[4:5], v[28:29], v[12:13], v[4:5] op_sel_hi:[1,0,1]
	s_nop 0
	v_mov_b32_e32 v4, v15
	v_mov_b32_e32 v7, v5
	v_pk_mul_f32 v[4:5], v[30:31], v[4:5] op_sel:[1,0] op_sel_hi:[0,0]
	v_pk_add_f32 v[2:3], v[2:3], v[6:7]
	v_pk_fma_f32 v[6:7], v[30:31], v[14:15], v[4:5] neg_lo:[0,0,1] neg_hi:[0,0,1]
	v_pk_fma_f32 v[4:5], v[30:31], v[14:15], v[4:5] op_sel_hi:[1,0,1]
	s_nop 0
	v_mov_b32_e32 v7, v5
	s_waitcnt vmcnt(0) lgkmcnt(0)
	v_pk_mul_f32 v[4:5], v[32:33], v[16:17] op_sel:[1,1] op_sel_hi:[0,1]
	v_pk_add_f32 v[2:3], v[2:3], v[6:7]
	v_pk_fma_f32 v[6:7], v[32:33], v[16:17], v[4:5] neg_lo:[0,0,1] neg_hi:[0,0,1]
	v_pk_fma_f32 v[4:5], v[32:33], v[16:17], v[4:5] op_sel_hi:[1,0,1]
	s_nop 0
	v_mov_b32_e32 v4, v19
	v_mov_b32_e32 v7, v5
	v_pk_mul_f32 v[4:5], v[34:35], v[4:5] op_sel:[1,0] op_sel_hi:[0,0]
	v_pk_add_f32 v[2:3], v[2:3], v[6:7]
	v_pk_fma_f32 v[6:7], v[34:35], v[18:19], v[4:5] neg_lo:[0,0,1] neg_hi:[0,0,1]
	v_pk_fma_f32 v[4:5], v[34:35], v[18:19], v[4:5] op_sel_hi:[1,0,1]
	s_nop 0
	v_mov_b32_e32 v7, v5
	scratch_load_dwordx2 v[4:5], off, off offset:264
	v_pk_add_f32 v[2:3], v[2:3], v[6:7]
	s_waitcnt vmcnt(0)
	v_pk_add_f32 v[2:3], v[4:5], v[2:3] neg_lo:[0,1] neg_hi:[0,1]
	scratch_store_dwordx2 off, v[2:3], off offset:264
	s_and_saveexec_b64 s[0:1], vcc
	s_cbranch_execz .LBB41_201
; %bb.200:
	scratch_load_dwordx2 v[2:3], off, off offset:256
	v_mov_b32_e32 v4, 0
	v_mov_b32_e32 v5, v4
	scratch_store_dwordx2 off, v[4:5], off offset:256
	s_waitcnt vmcnt(1)
	ds_write_b64 v1, v[2:3]
.LBB41_201:
	s_or_b64 exec, exec, s[0:1]
	s_waitcnt lgkmcnt(0)
	; wave barrier
	scratch_load_dwordx4 v[8:11], off, off offset:264
	v_mov_b32_e32 v2, 0
	ds_read2_b64 v[4:7], v2 offset0:75 offset1:76
	scratch_load_dwordx4 v[12:15], off, off offset:280
	scratch_load_dwordx4 v[16:19], off, off offset:296
	;; [unrolled: 1-line block ×3, first 2 shown]
	scratch_load_dwordx2 v[38:39], off, off offset:328
	v_cmp_lt_u32_e32 vcc, 31, v0
	s_waitcnt vmcnt(4) lgkmcnt(0)
	v_mul_f32_e32 v37, v4, v9
	v_mul_f32_e32 v3, v5, v9
	v_fmac_f32_e32 v37, v5, v8
	v_fma_f32 v36, v4, v8, -v3
	v_pk_add_f32 v[8:9], v[36:37], 0 op_sel_hi:[1,0]
	v_mov_b32_e32 v36, v11
	v_pk_mul_f32 v[36:37], v[6:7], v[36:37] op_sel:[1,0] op_sel_hi:[0,0]
	ds_read2_b64 v[24:27], v2 offset0:77 offset1:78
	ds_read2_b64 v[28:31], v2 offset0:79 offset1:80
	;; [unrolled: 1-line block ×3, first 2 shown]
	ds_read_b64 v[4:5], v2 offset:664
	v_pk_fma_f32 v[40:41], v[6:7], v[10:11], v[36:37] neg_lo:[0,0,1] neg_hi:[0,0,1]
	v_pk_fma_f32 v[6:7], v[6:7], v[10:11], v[36:37] op_sel_hi:[1,0,1]
	s_nop 0
	v_mov_b32_e32 v41, v7
	v_pk_add_f32 v[6:7], v[8:9], v[40:41]
	s_waitcnt vmcnt(3) lgkmcnt(3)
	v_pk_mul_f32 v[8:9], v[24:25], v[12:13] op_sel:[1,1] op_sel_hi:[0,1]
	v_pk_fma_f32 v[10:11], v[24:25], v[12:13], v[8:9] neg_lo:[0,0,1] neg_hi:[0,0,1]
	v_pk_fma_f32 v[8:9], v[24:25], v[12:13], v[8:9] op_sel_hi:[1,0,1]
	s_nop 0
	v_mov_b32_e32 v8, v15
	v_mov_b32_e32 v11, v9
	v_pk_mul_f32 v[8:9], v[26:27], v[8:9] op_sel:[1,0] op_sel_hi:[0,0]
	v_pk_add_f32 v[6:7], v[6:7], v[10:11]
	v_pk_fma_f32 v[10:11], v[26:27], v[14:15], v[8:9] neg_lo:[0,0,1] neg_hi:[0,0,1]
	v_pk_fma_f32 v[8:9], v[26:27], v[14:15], v[8:9] op_sel_hi:[1,0,1]
	s_nop 0
	v_mov_b32_e32 v11, v9
	s_waitcnt vmcnt(2) lgkmcnt(2)
	v_pk_mul_f32 v[8:9], v[28:29], v[16:17] op_sel:[1,1] op_sel_hi:[0,1]
	v_pk_add_f32 v[6:7], v[6:7], v[10:11]
	v_pk_fma_f32 v[10:11], v[28:29], v[16:17], v[8:9] neg_lo:[0,0,1] neg_hi:[0,0,1]
	v_pk_fma_f32 v[8:9], v[28:29], v[16:17], v[8:9] op_sel_hi:[1,0,1]
	s_nop 0
	v_mov_b32_e32 v8, v19
	v_mov_b32_e32 v11, v9
	v_pk_mul_f32 v[8:9], v[30:31], v[8:9] op_sel:[1,0] op_sel_hi:[0,0]
	v_pk_add_f32 v[6:7], v[6:7], v[10:11]
	v_pk_fma_f32 v[10:11], v[30:31], v[18:19], v[8:9] neg_lo:[0,0,1] neg_hi:[0,0,1]
	v_pk_fma_f32 v[8:9], v[30:31], v[18:19], v[8:9] op_sel_hi:[1,0,1]
	s_nop 0
	v_mov_b32_e32 v11, v9
	s_waitcnt vmcnt(1) lgkmcnt(1)
	v_pk_mul_f32 v[8:9], v[32:33], v[20:21] op_sel:[1,1] op_sel_hi:[0,1]
	v_pk_add_f32 v[6:7], v[6:7], v[10:11]
	v_pk_fma_f32 v[10:11], v[32:33], v[20:21], v[8:9] neg_lo:[0,0,1] neg_hi:[0,0,1]
	v_pk_fma_f32 v[8:9], v[32:33], v[20:21], v[8:9] op_sel_hi:[1,0,1]
	s_nop 0
	v_mov_b32_e32 v8, v23
	v_mov_b32_e32 v11, v9
	v_pk_mul_f32 v[8:9], v[34:35], v[8:9] op_sel:[1,0] op_sel_hi:[0,0]
	v_pk_add_f32 v[6:7], v[6:7], v[10:11]
	v_pk_fma_f32 v[10:11], v[34:35], v[22:23], v[8:9] neg_lo:[0,0,1] neg_hi:[0,0,1]
	v_pk_fma_f32 v[8:9], v[34:35], v[22:23], v[8:9] op_sel_hi:[1,0,1]
	s_nop 0
	v_mov_b32_e32 v11, v9
	s_waitcnt vmcnt(0) lgkmcnt(0)
	v_pk_mul_f32 v[8:9], v[4:5], v[38:39] op_sel:[1,1] op_sel_hi:[0,1]
	v_pk_add_f32 v[6:7], v[6:7], v[10:11]
	v_pk_fma_f32 v[10:11], v[4:5], v[38:39], v[8:9] neg_lo:[0,0,1] neg_hi:[0,0,1]
	v_pk_fma_f32 v[4:5], v[4:5], v[38:39], v[8:9] op_sel_hi:[1,0,1]
	s_nop 0
	v_mov_b32_e32 v11, v5
	v_pk_add_f32 v[4:5], v[6:7], v[10:11]
	scratch_load_dwordx2 v[6:7], off, off offset:256
	s_waitcnt vmcnt(0)
	v_pk_add_f32 v[4:5], v[6:7], v[4:5] neg_lo:[0,1] neg_hi:[0,1]
	scratch_store_dwordx2 off, v[4:5], off offset:256
	s_and_saveexec_b64 s[0:1], vcc
	s_cbranch_execz .LBB41_203
; %bb.202:
	scratch_load_dwordx2 v[4:5], off, off offset:248
	v_mov_b32_e32 v3, v2
	scratch_store_dwordx2 off, v[2:3], off offset:248
	s_waitcnt vmcnt(1)
	ds_write_b64 v1, v[4:5]
.LBB41_203:
	s_or_b64 exec, exec, s[0:1]
	s_waitcnt lgkmcnt(0)
	; wave barrier
	ds_read_b128 v[4:7], v2 offset:592
	ds_read_b128 v[8:11], v2 offset:608
	;; [unrolled: 1-line block ×4, first 2 shown]
	scratch_load_dwordx4 v[20:23], off, off offset:256
	scratch_load_dwordx4 v[24:27], off, off offset:272
	;; [unrolled: 1-line block ×5, first 2 shown]
	v_cmp_lt_u32_e32 vcc, 30, v0
	s_waitcnt vmcnt(4) lgkmcnt(3)
	v_mul_f32_e32 v41, v4, v21
	v_mul_f32_e32 v3, v5, v21
	v_fmac_f32_e32 v41, v5, v20
	v_mul_f32_e32 v43, v6, v23
	v_fma_f32 v40, v4, v20, -v3
	v_mul_f32_e32 v3, v7, v23
	s_waitcnt vmcnt(3) lgkmcnt(2)
	v_pk_mul_f32 v[20:21], v[8:9], v[24:25] op_sel:[1,1] op_sel_hi:[0,1]
	v_fmac_f32_e32 v43, v7, v22
	v_fma_f32 v42, v6, v22, -v3
	v_pk_fma_f32 v[22:23], v[8:9], v[24:25], v[20:21] neg_lo:[0,0,1] neg_hi:[0,0,1]
	v_pk_fma_f32 v[8:9], v[8:9], v[24:25], v[20:21] op_sel_hi:[1,0,1]
	v_pk_add_f32 v[6:7], v[40:41], 0 op_sel_hi:[1,0]
	v_mov_b32_e32 v8, v27
	v_mov_b32_e32 v23, v9
	v_pk_mul_f32 v[8:9], v[10:11], v[8:9] op_sel:[1,0] op_sel_hi:[0,0]
	v_pk_fma_f32 v[20:21], v[10:11], v[26:27], v[8:9] neg_lo:[0,0,1] neg_hi:[0,0,1]
	v_pk_fma_f32 v[8:9], v[10:11], v[26:27], v[8:9] op_sel_hi:[1,0,1]
	v_pk_add_f32 v[6:7], v[6:7], v[42:43]
	v_mov_b32_e32 v21, v9
	s_waitcnt vmcnt(2) lgkmcnt(1)
	v_pk_mul_f32 v[8:9], v[12:13], v[28:29] op_sel:[1,1] op_sel_hi:[0,1]
	v_pk_fma_f32 v[10:11], v[12:13], v[28:29], v[8:9] neg_lo:[0,0,1] neg_hi:[0,0,1]
	v_pk_fma_f32 v[8:9], v[12:13], v[28:29], v[8:9] op_sel_hi:[1,0,1]
	v_pk_add_f32 v[6:7], v[6:7], v[22:23]
	v_mov_b32_e32 v8, v31
	v_pk_add_f32 v[6:7], v[6:7], v[20:21]
	v_mov_b32_e32 v11, v9
	v_pk_mul_f32 v[8:9], v[14:15], v[8:9] op_sel:[1,0] op_sel_hi:[0,0]
	v_pk_add_f32 v[6:7], v[6:7], v[10:11]
	v_pk_fma_f32 v[10:11], v[14:15], v[30:31], v[8:9] neg_lo:[0,0,1] neg_hi:[0,0,1]
	v_pk_fma_f32 v[8:9], v[14:15], v[30:31], v[8:9] op_sel_hi:[1,0,1]
	ds_read_b128 v[2:5], v2 offset:656
	v_mov_b32_e32 v11, v9
	s_waitcnt vmcnt(1) lgkmcnt(1)
	v_pk_mul_f32 v[8:9], v[16:17], v[32:33] op_sel:[1,1] op_sel_hi:[0,1]
	v_pk_add_f32 v[6:7], v[6:7], v[10:11]
	v_pk_fma_f32 v[10:11], v[16:17], v[32:33], v[8:9] neg_lo:[0,0,1] neg_hi:[0,0,1]
	v_pk_fma_f32 v[8:9], v[16:17], v[32:33], v[8:9] op_sel_hi:[1,0,1]
	s_nop 0
	v_mov_b32_e32 v8, v35
	v_mov_b32_e32 v11, v9
	v_pk_mul_f32 v[8:9], v[18:19], v[8:9] op_sel:[1,0] op_sel_hi:[0,0]
	v_pk_add_f32 v[6:7], v[6:7], v[10:11]
	v_pk_fma_f32 v[10:11], v[18:19], v[34:35], v[8:9] neg_lo:[0,0,1] neg_hi:[0,0,1]
	v_pk_fma_f32 v[8:9], v[18:19], v[34:35], v[8:9] op_sel_hi:[1,0,1]
	s_nop 0
	v_mov_b32_e32 v11, v9
	s_waitcnt vmcnt(0) lgkmcnt(0)
	v_pk_mul_f32 v[8:9], v[2:3], v[36:37] op_sel:[1,1] op_sel_hi:[0,1]
	v_pk_add_f32 v[6:7], v[6:7], v[10:11]
	v_pk_fma_f32 v[10:11], v[2:3], v[36:37], v[8:9] neg_lo:[0,0,1] neg_hi:[0,0,1]
	v_pk_fma_f32 v[2:3], v[2:3], v[36:37], v[8:9] op_sel_hi:[1,0,1]
	s_nop 0
	v_mov_b32_e32 v11, v3
	v_pk_add_f32 v[2:3], v[6:7], v[10:11]
	v_mov_b32_e32 v6, v39
	v_pk_mul_f32 v[6:7], v[4:5], v[6:7] op_sel:[1,0] op_sel_hi:[0,0]
	v_pk_fma_f32 v[8:9], v[4:5], v[38:39], v[6:7] neg_lo:[0,0,1] neg_hi:[0,0,1]
	v_pk_fma_f32 v[4:5], v[4:5], v[38:39], v[6:7] op_sel_hi:[1,0,1]
	s_nop 0
	v_mov_b32_e32 v9, v5
	scratch_load_dwordx2 v[4:5], off, off offset:248
	v_pk_add_f32 v[2:3], v[2:3], v[8:9]
	s_waitcnt vmcnt(0)
	v_pk_add_f32 v[2:3], v[4:5], v[2:3] neg_lo:[0,1] neg_hi:[0,1]
	scratch_store_dwordx2 off, v[2:3], off offset:248
	s_and_saveexec_b64 s[0:1], vcc
	s_cbranch_execz .LBB41_205
; %bb.204:
	scratch_load_dwordx2 v[2:3], off, off offset:240
	v_mov_b32_e32 v4, 0
	v_mov_b32_e32 v5, v4
	scratch_store_dwordx2 off, v[4:5], off offset:240
	s_waitcnt vmcnt(1)
	ds_write_b64 v1, v[2:3]
.LBB41_205:
	s_or_b64 exec, exec, s[0:1]
	s_waitcnt lgkmcnt(0)
	; wave barrier
	scratch_load_dwordx4 v[8:11], off, off offset:248
	scratch_load_dwordx4 v[16:19], off, off offset:264
	v_mov_b32_e32 v2, 0
	ds_read2_b64 v[4:7], v2 offset0:73 offset1:74
	ds_read2_b64 v[12:15], v2 offset0:75 offset1:76
	scratch_load_dwordx4 v[20:23], off, off offset:280
	scratch_load_dwordx4 v[24:27], off, off offset:296
	;; [unrolled: 1-line block ×3, first 2 shown]
	scratch_load_dwordx2 v[42:43], off, off offset:328
	v_cmp_lt_u32_e32 vcc, 29, v0
	s_waitcnt vmcnt(5) lgkmcnt(1)
	v_mul_f32_e32 v3, v4, v9
	v_fmac_f32_e32 v3, v5, v8
	v_add_f32_e32 v37, 0, v3
	v_mul_f32_e32 v3, v5, v9
	v_fma_f32 v3, v4, v8, -v3
	v_mul_f32_e32 v39, v6, v11
	v_add_f32_e32 v36, 0, v3
	v_mul_f32_e32 v3, v7, v11
	v_fmac_f32_e32 v39, v7, v10
	s_waitcnt vmcnt(4) lgkmcnt(0)
	v_mul_f32_e32 v41, v12, v17
	v_fma_f32 v38, v6, v10, -v3
	v_mul_f32_e32 v3, v13, v17
	v_fmac_f32_e32 v41, v13, v16
	v_fma_f32 v40, v12, v16, -v3
	v_pk_add_f32 v[16:17], v[36:37], v[38:39]
	v_mov_b32_e32 v36, v19
	v_pk_mul_f32 v[36:37], v[14:15], v[36:37] op_sel:[1,0] op_sel_hi:[0,0]
	ds_read2_b64 v[4:7], v2 offset0:77 offset1:78
	ds_read2_b64 v[8:11], v2 offset0:79 offset1:80
	;; [unrolled: 1-line block ×3, first 2 shown]
	ds_read_b64 v[12:13], v2 offset:664
	v_pk_fma_f32 v[38:39], v[14:15], v[18:19], v[36:37] neg_lo:[0,0,1] neg_hi:[0,0,1]
	v_pk_fma_f32 v[14:15], v[14:15], v[18:19], v[36:37] op_sel_hi:[1,0,1]
	v_pk_add_f32 v[16:17], v[16:17], v[40:41]
	v_mov_b32_e32 v39, v15
	v_pk_add_f32 v[14:15], v[16:17], v[38:39]
	s_waitcnt vmcnt(3) lgkmcnt(3)
	v_pk_mul_f32 v[16:17], v[4:5], v[20:21] op_sel:[1,1] op_sel_hi:[0,1]
	v_pk_fma_f32 v[18:19], v[4:5], v[20:21], v[16:17] neg_lo:[0,0,1] neg_hi:[0,0,1]
	v_pk_fma_f32 v[4:5], v[4:5], v[20:21], v[16:17] op_sel_hi:[1,0,1]
	s_nop 0
	v_mov_b32_e32 v19, v5
	v_pk_add_f32 v[4:5], v[14:15], v[18:19]
	v_mov_b32_e32 v14, v23
	v_pk_mul_f32 v[14:15], v[6:7], v[14:15] op_sel:[1,0] op_sel_hi:[0,0]
	v_pk_fma_f32 v[16:17], v[6:7], v[22:23], v[14:15] neg_lo:[0,0,1] neg_hi:[0,0,1]
	v_pk_fma_f32 v[6:7], v[6:7], v[22:23], v[14:15] op_sel_hi:[1,0,1]
	s_nop 0
	v_mov_b32_e32 v17, v7
	s_waitcnt vmcnt(2) lgkmcnt(2)
	v_pk_mul_f32 v[6:7], v[8:9], v[24:25] op_sel:[1,1] op_sel_hi:[0,1]
	v_pk_fma_f32 v[14:15], v[8:9], v[24:25], v[6:7] neg_lo:[0,0,1] neg_hi:[0,0,1]
	v_pk_fma_f32 v[6:7], v[8:9], v[24:25], v[6:7] op_sel_hi:[1,0,1]
	v_pk_add_f32 v[4:5], v[4:5], v[16:17]
	v_mov_b32_e32 v6, v27
	v_mov_b32_e32 v15, v7
	v_pk_mul_f32 v[6:7], v[10:11], v[6:7] op_sel:[1,0] op_sel_hi:[0,0]
	v_pk_fma_f32 v[8:9], v[10:11], v[26:27], v[6:7] neg_lo:[0,0,1] neg_hi:[0,0,1]
	v_pk_fma_f32 v[6:7], v[10:11], v[26:27], v[6:7] op_sel_hi:[1,0,1]
	v_pk_add_f32 v[4:5], v[4:5], v[14:15]
	v_mov_b32_e32 v9, v7
	s_waitcnt vmcnt(1) lgkmcnt(1)
	v_pk_mul_f32 v[6:7], v[32:33], v[28:29] op_sel:[1,1] op_sel_hi:[0,1]
	v_pk_add_f32 v[4:5], v[4:5], v[8:9]
	v_pk_fma_f32 v[8:9], v[32:33], v[28:29], v[6:7] neg_lo:[0,0,1] neg_hi:[0,0,1]
	v_pk_fma_f32 v[6:7], v[32:33], v[28:29], v[6:7] op_sel_hi:[1,0,1]
	s_nop 0
	v_mov_b32_e32 v6, v31
	v_mov_b32_e32 v9, v7
	v_pk_mul_f32 v[6:7], v[34:35], v[6:7] op_sel:[1,0] op_sel_hi:[0,0]
	v_pk_add_f32 v[4:5], v[4:5], v[8:9]
	v_pk_fma_f32 v[8:9], v[34:35], v[30:31], v[6:7] neg_lo:[0,0,1] neg_hi:[0,0,1]
	v_pk_fma_f32 v[6:7], v[34:35], v[30:31], v[6:7] op_sel_hi:[1,0,1]
	s_nop 0
	v_mov_b32_e32 v9, v7
	s_waitcnt vmcnt(0) lgkmcnt(0)
	v_pk_mul_f32 v[6:7], v[12:13], v[42:43] op_sel:[1,1] op_sel_hi:[0,1]
	v_pk_add_f32 v[4:5], v[4:5], v[8:9]
	v_pk_fma_f32 v[8:9], v[12:13], v[42:43], v[6:7] neg_lo:[0,0,1] neg_hi:[0,0,1]
	v_pk_fma_f32 v[6:7], v[12:13], v[42:43], v[6:7] op_sel_hi:[1,0,1]
	s_nop 0
	v_mov_b32_e32 v9, v7
	scratch_load_dwordx2 v[6:7], off, off offset:240
	v_pk_add_f32 v[4:5], v[4:5], v[8:9]
	s_waitcnt vmcnt(0)
	v_pk_add_f32 v[4:5], v[6:7], v[4:5] neg_lo:[0,1] neg_hi:[0,1]
	scratch_store_dwordx2 off, v[4:5], off offset:240
	s_and_saveexec_b64 s[0:1], vcc
	s_cbranch_execz .LBB41_207
; %bb.206:
	scratch_load_dwordx2 v[4:5], off, off offset:232
	v_mov_b32_e32 v3, v2
	scratch_store_dwordx2 off, v[2:3], off offset:232
	s_waitcnt vmcnt(1)
	ds_write_b64 v1, v[4:5]
.LBB41_207:
	s_or_b64 exec, exec, s[0:1]
	s_waitcnt lgkmcnt(0)
	; wave barrier
	scratch_load_dwordx4 v[4:7], off, off offset:240
	scratch_load_dwordx4 v[8:11], off, off offset:256
	;; [unrolled: 1-line block ×6, first 2 shown]
	scratch_load_dwordx2 v[52:53], off, off offset:232
	ds_read_b128 v[28:31], v2 offset:576
	ds_read_b128 v[32:35], v2 offset:592
	;; [unrolled: 1-line block ×6, first 2 shown]
	v_cmp_lt_u32_e32 vcc, 28, v0
	s_waitcnt vmcnt(6) lgkmcnt(5)
	v_mul_f32_e32 v59, v28, v5
	v_mul_f32_e32 v63, v30, v7
	s_waitcnt vmcnt(5) lgkmcnt(4)
	v_mul_f32_e32 v3, v32, v9
	v_mul_f32_e32 v2, v29, v5
	;; [unrolled: 1-line block ×4, first 2 shown]
	s_waitcnt vmcnt(1) lgkmcnt(0)
	v_pk_mul_f32 v[68:69], v[48:49], v[24:25] op_sel:[1,1] op_sel_hi:[0,1]
	v_pk_mul_f32 v[56:57], v[36:37], v[12:13] op_sel:[1,1] op_sel_hi:[0,1]
	v_fmac_f32_e32 v59, v29, v4
	v_fmac_f32_e32 v3, v33, v8
	v_fma_f32 v67, v28, v4, -v2
	v_fma_f32 v2, v32, v8, -v7
	v_pk_fma_f32 v[32:33], v[48:49], v[24:25], v[68:69] neg_lo:[0,0,1] neg_hi:[0,0,1]
	v_pk_fma_f32 v[24:25], v[48:49], v[24:25], v[68:69] op_sel_hi:[1,0,1]
	v_fmac_f32_e32 v63, v31, v6
	v_fma_f32 v71, v30, v6, -v5
	v_pk_fma_f32 v[4:5], v[36:37], v[12:13], v[56:57] neg_lo:[0,0,1] neg_hi:[0,0,1]
	v_pk_fma_f32 v[6:7], v[36:37], v[12:13], v[56:57] op_sel_hi:[1,0,1]
	v_add_f32_e32 v24, 0, v59
	v_add_f32_e32 v36, 0, v67
	v_mul_f32_e32 v55, v34, v11
	v_mul_f32_e32 v9, v35, v11
	v_mov_b32_e32 v58, v15
	v_mov_b32_e32 v33, v25
	v_add_f32_e32 v25, v24, v63
	v_add_f32_e32 v24, v36, v71
	v_fmac_f32_e32 v55, v35, v10
	v_fma_f32 v54, v34, v10, -v9
	v_pk_mul_f32 v[8:9], v[38:39], v[58:59] op_sel:[1,0] op_sel_hi:[0,0]
	v_pk_add_f32 v[2:3], v[24:25], v[2:3]
	v_pk_mul_f32 v[60:61], v[40:41], v[16:17] op_sel:[1,1] op_sel_hi:[0,1]
	v_mov_b32_e32 v62, v19
	v_mov_b32_e32 v5, v7
	v_pk_fma_f32 v[6:7], v[38:39], v[14:15], v[8:9] neg_lo:[0,0,1] neg_hi:[0,0,1]
	v_pk_fma_f32 v[8:9], v[38:39], v[14:15], v[8:9] op_sel_hi:[1,0,1]
	v_pk_add_f32 v[2:3], v[2:3], v[54:55]
	v_pk_fma_f32 v[10:11], v[40:41], v[16:17], v[60:61] neg_lo:[0,0,1] neg_hi:[0,0,1]
	v_pk_fma_f32 v[12:13], v[40:41], v[16:17], v[60:61] op_sel_hi:[1,0,1]
	v_pk_mul_f32 v[16:17], v[42:43], v[62:63] op_sel:[1,0] op_sel_hi:[0,0]
	v_mov_b32_e32 v7, v9
	v_pk_add_f32 v[2:3], v[2:3], v[4:5]
	v_pk_mul_f32 v[64:65], v[44:45], v[20:21] op_sel:[1,1] op_sel_hi:[0,1]
	v_mov_b32_e32 v66, v23
	v_mov_b32_e32 v11, v13
	v_pk_fma_f32 v[12:13], v[42:43], v[18:19], v[16:17] neg_lo:[0,0,1] neg_hi:[0,0,1]
	v_pk_fma_f32 v[14:15], v[42:43], v[18:19], v[16:17] op_sel_hi:[1,0,1]
	v_pk_add_f32 v[2:3], v[2:3], v[6:7]
	v_pk_fma_f32 v[28:29], v[44:45], v[20:21], v[64:65] neg_lo:[0,0,1] neg_hi:[0,0,1]
	v_pk_fma_f32 v[20:21], v[44:45], v[20:21], v[64:65] op_sel_hi:[1,0,1]
	v_pk_mul_f32 v[30:31], v[46:47], v[66:67] op_sel:[1,0] op_sel_hi:[0,0]
	v_mov_b32_e32 v13, v15
	v_pk_add_f32 v[2:3], v[2:3], v[10:11]
	v_mov_b32_e32 v70, v27
	v_mov_b32_e32 v29, v21
	v_pk_fma_f32 v[16:17], v[46:47], v[22:23], v[30:31] neg_lo:[0,0,1] neg_hi:[0,0,1]
	v_pk_fma_f32 v[18:19], v[46:47], v[22:23], v[30:31] op_sel_hi:[1,0,1]
	v_pk_add_f32 v[2:3], v[2:3], v[12:13]
	v_pk_mul_f32 v[34:35], v[50:51], v[70:71] op_sel:[1,0] op_sel_hi:[0,0]
	v_mov_b32_e32 v17, v19
	v_pk_add_f32 v[2:3], v[2:3], v[28:29]
	v_pk_fma_f32 v[20:21], v[50:51], v[26:27], v[34:35] neg_lo:[0,0,1] neg_hi:[0,0,1]
	v_pk_fma_f32 v[22:23], v[50:51], v[26:27], v[34:35] op_sel_hi:[1,0,1]
	v_pk_add_f32 v[2:3], v[2:3], v[16:17]
	v_mov_b32_e32 v21, v23
	v_pk_add_f32 v[2:3], v[2:3], v[32:33]
	s_nop 0
	v_pk_add_f32 v[2:3], v[2:3], v[20:21]
	s_waitcnt vmcnt(0)
	v_pk_add_f32 v[2:3], v[52:53], v[2:3] neg_lo:[0,1] neg_hi:[0,1]
	scratch_store_dwordx2 off, v[2:3], off offset:232
	s_and_saveexec_b64 s[0:1], vcc
	s_cbranch_execz .LBB41_209
; %bb.208:
	scratch_load_dwordx2 v[2:3], off, off offset:224
	v_mov_b32_e32 v4, 0
	v_mov_b32_e32 v5, v4
	scratch_store_dwordx2 off, v[4:5], off offset:224
	s_waitcnt vmcnt(1)
	ds_write_b64 v1, v[2:3]
.LBB41_209:
	s_or_b64 exec, exec, s[0:1]
	s_waitcnt lgkmcnt(0)
	; wave barrier
	scratch_load_dwordx4 v[4:7], off, off offset:232
	scratch_load_dwordx4 v[8:11], off, off offset:248
	;; [unrolled: 1-line block ×6, first 2 shown]
	scratch_load_dwordx2 v[52:53], off, off offset:328
	scratch_load_dwordx2 v[54:55], off, off offset:224
	v_mov_b32_e32 v2, 0
	ds_read2_b64 v[28:31], v2 offset0:71 offset1:72
	ds_read2_b64 v[32:35], v2 offset0:73 offset1:74
	;; [unrolled: 1-line block ×6, first 2 shown]
	ds_read_b64 v[56:57], v2 offset:664
	v_cmp_lt_u32_e32 vcc, 27, v0
	s_waitcnt vmcnt(7) lgkmcnt(6)
	v_mul_f32_e32 v63, v30, v7
	v_mul_f32_e32 v3, v28, v5
	s_waitcnt vmcnt(5) lgkmcnt(4)
	v_mul_f32_e32 v61, v36, v13
	v_mul_f32_e32 v5, v29, v5
	v_mov_b32_e32 v62, v15
	s_waitcnt vmcnt(2) lgkmcnt(1)
	v_pk_mul_f32 v[72:73], v[48:49], v[24:25] op_sel:[1,1] op_sel_hi:[0,1]
	v_fmac_f32_e32 v63, v31, v6
	v_mul_f32_e32 v7, v31, v7
	v_mul_f32_e32 v13, v37, v13
	v_fmac_f32_e32 v3, v29, v4
	v_fmac_f32_e32 v61, v37, v12
	v_fma_f32 v37, v28, v4, -v5
	v_pk_mul_f32 v[4:5], v[38:39], v[62:63] op_sel:[1,0] op_sel_hi:[0,0]
	v_pk_fma_f32 v[28:29], v[48:49], v[24:25], v[72:73] neg_lo:[0,0,1] neg_hi:[0,0,1]
	v_pk_fma_f32 v[24:25], v[48:49], v[24:25], v[72:73] op_sel_hi:[1,0,1]
	v_mul_f32_e32 v67, v32, v9
	v_mul_f32_e32 v9, v33, v9
	v_fma_f32 v71, v30, v6, -v7
	v_fma_f32 v60, v36, v12, -v13
	v_add_f32_e32 v3, 0, v3
	v_add_f32_e32 v24, 0, v37
	v_pk_fma_f32 v[36:37], v[38:39], v[14:15], v[4:5] neg_lo:[0,0,1] neg_hi:[0,0,1]
	v_pk_fma_f32 v[4:5], v[38:39], v[14:15], v[4:5] op_sel_hi:[1,0,1]
	v_mul_f32_e32 v59, v34, v11
	v_mul_f32_e32 v11, v35, v11
	v_fmac_f32_e32 v67, v33, v8
	v_fma_f32 v75, v32, v8, -v9
	v_add_f32_e32 v3, v3, v63
	v_add_f32_e32 v4, v24, v71
	v_fmac_f32_e32 v59, v35, v10
	v_fma_f32 v58, v34, v10, -v11
	v_mov_b32_e32 v37, v5
	v_add_f32_e32 v5, v3, v67
	v_add_f32_e32 v4, v4, v75
	v_pk_mul_f32 v[64:65], v[40:41], v[16:17] op_sel:[1,1] op_sel_hi:[0,1]
	v_mov_b32_e32 v66, v19
	v_pk_add_f32 v[4:5], v[4:5], v[58:59]
	v_pk_fma_f32 v[6:7], v[40:41], v[16:17], v[64:65] neg_lo:[0,0,1] neg_hi:[0,0,1]
	v_pk_fma_f32 v[8:9], v[40:41], v[16:17], v[64:65] op_sel_hi:[1,0,1]
	v_pk_mul_f32 v[10:11], v[42:43], v[66:67] op_sel:[1,0] op_sel_hi:[0,0]
	v_pk_add_f32 v[4:5], v[4:5], v[60:61]
	v_pk_mul_f32 v[68:69], v[44:45], v[20:21] op_sel:[1,1] op_sel_hi:[0,1]
	v_mov_b32_e32 v70, v23
	v_mov_b32_e32 v7, v9
	v_pk_fma_f32 v[8:9], v[42:43], v[18:19], v[10:11] neg_lo:[0,0,1] neg_hi:[0,0,1]
	v_pk_fma_f32 v[10:11], v[42:43], v[18:19], v[10:11] op_sel_hi:[1,0,1]
	v_pk_add_f32 v[4:5], v[4:5], v[36:37]
	v_pk_fma_f32 v[12:13], v[44:45], v[20:21], v[68:69] neg_lo:[0,0,1] neg_hi:[0,0,1]
	v_pk_fma_f32 v[16:17], v[44:45], v[20:21], v[68:69] op_sel_hi:[1,0,1]
	v_pk_mul_f32 v[20:21], v[46:47], v[70:71] op_sel:[1,0] op_sel_hi:[0,0]
	v_mov_b32_e32 v9, v11
	v_pk_add_f32 v[4:5], v[4:5], v[6:7]
	v_mov_b32_e32 v74, v27
	v_mov_b32_e32 v13, v17
	v_pk_fma_f32 v[14:15], v[46:47], v[22:23], v[20:21] neg_lo:[0,0,1] neg_hi:[0,0,1]
	v_pk_fma_f32 v[16:17], v[46:47], v[22:23], v[20:21] op_sel_hi:[1,0,1]
	v_pk_add_f32 v[4:5], v[4:5], v[8:9]
	v_pk_mul_f32 v[30:31], v[50:51], v[74:75] op_sel:[1,0] op_sel_hi:[0,0]
	v_mov_b32_e32 v15, v17
	v_pk_add_f32 v[4:5], v[4:5], v[12:13]
	s_waitcnt vmcnt(1) lgkmcnt(0)
	v_pk_mul_f32 v[76:77], v[56:57], v[52:53] op_sel:[1,1] op_sel_hi:[0,1]
	v_mov_b32_e32 v29, v25
	v_pk_fma_f32 v[18:19], v[50:51], v[26:27], v[30:31] neg_lo:[0,0,1] neg_hi:[0,0,1]
	v_pk_fma_f32 v[20:21], v[50:51], v[26:27], v[30:31] op_sel_hi:[1,0,1]
	v_pk_add_f32 v[4:5], v[4:5], v[14:15]
	v_pk_fma_f32 v[32:33], v[56:57], v[52:53], v[76:77] neg_lo:[0,0,1] neg_hi:[0,0,1]
	v_pk_fma_f32 v[34:35], v[56:57], v[52:53], v[76:77] op_sel_hi:[1,0,1]
	v_mov_b32_e32 v19, v21
	v_pk_add_f32 v[4:5], v[4:5], v[28:29]
	v_mov_b32_e32 v33, v35
	v_pk_add_f32 v[4:5], v[4:5], v[18:19]
	s_nop 0
	v_pk_add_f32 v[4:5], v[4:5], v[32:33]
	s_waitcnt vmcnt(0)
	v_pk_add_f32 v[4:5], v[54:55], v[4:5] neg_lo:[0,1] neg_hi:[0,1]
	scratch_store_dwordx2 off, v[4:5], off offset:224
	s_and_saveexec_b64 s[0:1], vcc
	s_cbranch_execz .LBB41_211
; %bb.210:
	scratch_load_dwordx2 v[4:5], off, off offset:216
	v_mov_b32_e32 v3, v2
	scratch_store_dwordx2 off, v[2:3], off offset:216
	s_waitcnt vmcnt(1)
	ds_write_b64 v1, v[4:5]
.LBB41_211:
	s_or_b64 exec, exec, s[0:1]
	s_waitcnt lgkmcnt(0)
	; wave barrier
	scratch_load_dwordx4 v[4:7], off, off offset:224
	scratch_load_dwordx4 v[8:11], off, off offset:240
	;; [unrolled: 1-line block ×7, first 2 shown]
	ds_read_b128 v[32:35], v2 offset:560
	ds_read_b128 v[36:39], v2 offset:576
	;; [unrolled: 1-line block ×6, first 2 shown]
	scratch_load_dwordx2 v[60:61], off, off offset:216
	ds_read_b128 v[56:59], v2 offset:656
	v_cmp_lt_u32_e32 vcc, 26, v0
	s_waitcnt vmcnt(7) lgkmcnt(6)
	v_mul_f32_e32 v67, v32, v5
	v_mul_f32_e32 v71, v34, v7
	s_waitcnt vmcnt(6) lgkmcnt(5)
	v_mul_f32_e32 v75, v36, v9
	v_mul_f32_e32 v79, v38, v11
	;; [unrolled: 3-line block ×3, first 2 shown]
	v_mul_f32_e32 v2, v33, v5
	v_mul_f32_e32 v5, v35, v7
	;; [unrolled: 1-line block ×6, first 2 shown]
	s_waitcnt vmcnt(4) lgkmcnt(3)
	v_pk_mul_f32 v[64:65], v[44:45], v[16:17] op_sel:[1,1] op_sel_hi:[0,1]
	v_mov_b32_e32 v66, v19
	s_waitcnt vmcnt(3) lgkmcnt(2)
	v_pk_mul_f32 v[68:69], v[48:49], v[20:21] op_sel:[1,1] op_sel_hi:[0,1]
	v_mov_b32_e32 v70, v23
	s_waitcnt vmcnt(1) lgkmcnt(0)
	v_pk_mul_f32 v[76:77], v[56:57], v[28:29] op_sel:[1,1] op_sel_hi:[0,1]
	v_fmac_f32_e32 v67, v33, v4
	v_fmac_f32_e32 v71, v35, v6
	;; [unrolled: 1-line block ×6, first 2 shown]
	v_fma_f32 v37, v32, v4, -v2
	v_fma_f32 v39, v34, v6, -v5
	;; [unrolled: 1-line block ×6, first 2 shown]
	v_pk_fma_f32 v[4:5], v[44:45], v[16:17], v[64:65] neg_lo:[0,0,1] neg_hi:[0,0,1]
	v_pk_fma_f32 v[6:7], v[44:45], v[16:17], v[64:65] op_sel_hi:[1,0,1]
	v_pk_mul_f32 v[8:9], v[46:47], v[66:67] op_sel:[1,0] op_sel_hi:[0,0]
	v_pk_fma_f32 v[10:11], v[48:49], v[20:21], v[68:69] neg_lo:[0,0,1] neg_hi:[0,0,1]
	v_pk_fma_f32 v[12:13], v[48:49], v[20:21], v[68:69] op_sel_hi:[1,0,1]
	v_pk_mul_f32 v[14:15], v[50:51], v[70:71] op_sel:[1,0] op_sel_hi:[0,0]
	v_pk_fma_f32 v[32:33], v[56:57], v[28:29], v[76:77] neg_lo:[0,0,1] neg_hi:[0,0,1]
	v_pk_fma_f32 v[28:29], v[56:57], v[28:29], v[76:77] op_sel_hi:[1,0,1]
	v_add_f32_e32 v37, 0, v37
	v_add_f32_e32 v28, 0, v67
	v_mov_b32_e32 v5, v7
	v_pk_fma_f32 v[6:7], v[46:47], v[18:19], v[8:9] neg_lo:[0,0,1] neg_hi:[0,0,1]
	v_pk_fma_f32 v[8:9], v[46:47], v[18:19], v[8:9] op_sel_hi:[1,0,1]
	v_mov_b32_e32 v11, v13
	v_pk_fma_f32 v[12:13], v[50:51], v[22:23], v[14:15] neg_lo:[0,0,1] neg_hi:[0,0,1]
	v_pk_fma_f32 v[14:15], v[50:51], v[22:23], v[14:15] op_sel_hi:[1,0,1]
	v_add_f32_e32 v8, v28, v71
	v_add_f32_e32 v14, v37, v39
	;; [unrolled: 1-line block ×4, first 2 shown]
	v_mov_b32_e32 v7, v9
	v_add_f32_e32 v9, v8, v79
	v_add_f32_e32 v8, v14, v38
	v_pk_add_f32 v[2:3], v[8:9], v[2:3]
	v_pk_mul_f32 v[72:73], v[52:53], v[24:25] op_sel:[1,1] op_sel_hi:[0,1]
	v_pk_add_f32 v[2:3], v[2:3], v[62:63]
	v_mov_b32_e32 v74, v27
	v_pk_add_f32 v[2:3], v[2:3], v[4:5]
	v_pk_fma_f32 v[16:17], v[52:53], v[24:25], v[72:73] neg_lo:[0,0,1] neg_hi:[0,0,1]
	v_pk_add_f32 v[2:3], v[2:3], v[6:7]
	v_pk_fma_f32 v[20:21], v[52:53], v[24:25], v[72:73] op_sel_hi:[1,0,1]
	v_pk_mul_f32 v[24:25], v[54:55], v[74:75] op_sel:[1,0] op_sel_hi:[0,0]
	v_mov_b32_e32 v13, v15
	v_pk_add_f32 v[2:3], v[2:3], v[10:11]
	v_mov_b32_e32 v78, v31
	v_mov_b32_e32 v17, v21
	v_pk_fma_f32 v[18:19], v[54:55], v[26:27], v[24:25] neg_lo:[0,0,1] neg_hi:[0,0,1]
	v_pk_fma_f32 v[20:21], v[54:55], v[26:27], v[24:25] op_sel_hi:[1,0,1]
	v_pk_add_f32 v[2:3], v[2:3], v[12:13]
	v_pk_mul_f32 v[34:35], v[58:59], v[78:79] op_sel:[1,0] op_sel_hi:[0,0]
	v_mov_b32_e32 v19, v21
	v_pk_add_f32 v[2:3], v[2:3], v[16:17]
	v_mov_b32_e32 v33, v29
	v_pk_fma_f32 v[22:23], v[58:59], v[30:31], v[34:35] neg_lo:[0,0,1] neg_hi:[0,0,1]
	v_pk_fma_f32 v[24:25], v[58:59], v[30:31], v[34:35] op_sel_hi:[1,0,1]
	v_pk_add_f32 v[2:3], v[2:3], v[18:19]
	v_mov_b32_e32 v23, v25
	v_pk_add_f32 v[2:3], v[2:3], v[32:33]
	s_nop 0
	v_pk_add_f32 v[2:3], v[2:3], v[22:23]
	s_waitcnt vmcnt(0)
	v_pk_add_f32 v[2:3], v[60:61], v[2:3] neg_lo:[0,1] neg_hi:[0,1]
	scratch_store_dwordx2 off, v[2:3], off offset:216
	s_and_saveexec_b64 s[0:1], vcc
	s_cbranch_execz .LBB41_213
; %bb.212:
	scratch_load_dwordx2 v[2:3], off, off offset:208
	v_mov_b32_e32 v4, 0
	v_mov_b32_e32 v5, v4
	scratch_store_dwordx2 off, v[4:5], off offset:208
	s_waitcnt vmcnt(1)
	ds_write_b64 v1, v[2:3]
.LBB41_213:
	s_or_b64 exec, exec, s[0:1]
	s_waitcnt lgkmcnt(0)
	; wave barrier
	scratch_load_dwordx4 v[4:7], off, off offset:216
	scratch_load_dwordx4 v[8:11], off, off offset:232
	;; [unrolled: 1-line block ×7, first 2 shown]
	scratch_load_dwordx2 v[60:61], off, off offset:328
	scratch_load_dwordx2 v[62:63], off, off offset:208
	v_mov_b32_e32 v2, 0
	ds_read2_b64 v[32:35], v2 offset0:69 offset1:70
	ds_read2_b64 v[36:39], v2 offset0:71 offset1:72
	;; [unrolled: 1-line block ×7, first 2 shown]
	ds_read_b64 v[64:65], v2 offset:664
	v_cmp_lt_u32_e32 vcc, 25, v0
	s_waitcnt vmcnt(8) lgkmcnt(7)
	v_mul_f32_e32 v71, v34, v7
	v_mul_f32_e32 v3, v32, v5
	s_waitcnt vmcnt(7) lgkmcnt(6)
	v_mul_f32_e32 v75, v36, v9
	s_waitcnt vmcnt(6) lgkmcnt(5)
	v_mul_f32_e32 v83, v40, v13
	v_mul_f32_e32 v67, v42, v15
	;; [unrolled: 1-line block ×5, first 2 shown]
	s_waitcnt vmcnt(5)
	v_mov_b32_e32 v70, v19
	s_waitcnt vmcnt(3) lgkmcnt(2)
	v_pk_mul_f32 v[76:77], v[52:53], v[24:25] op_sel:[1,1] op_sel_hi:[0,1]
	s_waitcnt vmcnt(2) lgkmcnt(1)
	v_pk_mul_f32 v[80:81], v[56:57], v[28:29] op_sel:[1,1] op_sel_hi:[0,1]
	v_fmac_f32_e32 v71, v35, v6
	v_mul_f32_e32 v7, v35, v7
	v_mul_f32_e32 v9, v37, v9
	v_fmac_f32_e32 v3, v33, v4
	v_fmac_f32_e32 v75, v37, v8
	;; [unrolled: 1-line block ×4, first 2 shown]
	v_fma_f32 v32, v32, v4, -v5
	v_fma_f32 v37, v40, v12, -v13
	;; [unrolled: 1-line block ×3, first 2 shown]
	v_pk_mul_f32 v[4:5], v[46:47], v[70:71] op_sel:[1,0] op_sel_hi:[0,0]
	v_pk_fma_f32 v[12:13], v[52:53], v[24:25], v[76:77] neg_lo:[0,0,1] neg_hi:[0,0,1]
	v_pk_fma_f32 v[14:15], v[52:53], v[24:25], v[76:77] op_sel_hi:[1,0,1]
	v_pk_fma_f32 v[24:25], v[56:57], v[28:29], v[80:81] op_sel_hi:[1,0,1]
	v_fma_f32 v34, v34, v6, -v7
	v_add_f32_e32 v3, 0, v3
	v_add_f32_e32 v24, 0, v32
	v_pk_fma_f32 v[32:33], v[46:47], v[18:19], v[4:5] neg_lo:[0,0,1] neg_hi:[0,0,1]
	v_pk_fma_f32 v[4:5], v[46:47], v[18:19], v[4:5] op_sel_hi:[1,0,1]
	v_mul_f32_e32 v79, v38, v11
	v_mul_f32_e32 v11, v39, v11
	v_fma_f32 v35, v36, v8, -v9
	v_add_f32_e32 v3, v3, v71
	v_add_f32_e32 v4, v24, v34
	v_fmac_f32_e32 v79, v39, v10
	v_fma_f32 v36, v38, v10, -v11
	v_add_f32_e32 v3, v3, v75
	v_add_f32_e32 v4, v4, v35
	;; [unrolled: 1-line block ×4, first 2 shown]
	v_mul_f32_e32 v69, v44, v17
	v_mul_f32_e32 v17, v45, v17
	v_mov_b32_e32 v33, v5
	v_add_f32_e32 v5, v3, v83
	v_add_f32_e32 v4, v4, v37
	v_pk_mul_f32 v[72:73], v[48:49], v[20:21] op_sel:[1,1] op_sel_hi:[0,1]
	v_mov_b32_e32 v74, v23
	v_fmac_f32_e32 v69, v45, v16
	v_fma_f32 v68, v44, v16, -v17
	v_pk_add_f32 v[4:5], v[4:5], v[66:67]
	v_pk_fma_f32 v[6:7], v[48:49], v[20:21], v[72:73] neg_lo:[0,0,1] neg_hi:[0,0,1]
	v_pk_fma_f32 v[8:9], v[48:49], v[20:21], v[72:73] op_sel_hi:[1,0,1]
	v_pk_mul_f32 v[10:11], v[50:51], v[74:75] op_sel:[1,0] op_sel_hi:[0,0]
	v_pk_add_f32 v[4:5], v[4:5], v[68:69]
	v_mov_b32_e32 v78, v27
	v_mov_b32_e32 v7, v9
	v_pk_fma_f32 v[8:9], v[50:51], v[22:23], v[10:11] neg_lo:[0,0,1] neg_hi:[0,0,1]
	v_pk_fma_f32 v[10:11], v[50:51], v[22:23], v[10:11] op_sel_hi:[1,0,1]
	v_pk_add_f32 v[4:5], v[4:5], v[32:33]
	v_pk_mul_f32 v[16:17], v[54:55], v[78:79] op_sel:[1,0] op_sel_hi:[0,0]
	v_mov_b32_e32 v9, v11
	v_pk_add_f32 v[4:5], v[4:5], v[6:7]
	v_mov_b32_e32 v82, v31
	v_mov_b32_e32 v13, v15
	v_pk_fma_f32 v[14:15], v[54:55], v[26:27], v[16:17] neg_lo:[0,0,1] neg_hi:[0,0,1]
	v_pk_fma_f32 v[16:17], v[54:55], v[26:27], v[16:17] op_sel_hi:[1,0,1]
	v_pk_add_f32 v[4:5], v[4:5], v[8:9]
	v_pk_fma_f32 v[20:21], v[56:57], v[28:29], v[80:81] neg_lo:[0,0,1] neg_hi:[0,0,1]
	v_pk_mul_f32 v[28:29], v[58:59], v[82:83] op_sel:[1,0] op_sel_hi:[0,0]
	v_mov_b32_e32 v15, v17
	v_pk_add_f32 v[4:5], v[4:5], v[12:13]
	v_mov_b32_e32 v21, v25
	v_pk_add_f32 v[4:5], v[4:5], v[14:15]
	v_pk_fma_f32 v[6:7], v[58:59], v[30:31], v[28:29] neg_lo:[0,0,1] neg_hi:[0,0,1]
	v_pk_fma_f32 v[8:9], v[58:59], v[30:31], v[28:29] op_sel_hi:[1,0,1]
	v_pk_add_f32 v[4:5], v[4:5], v[20:21]
	v_mov_b32_e32 v7, v9
	v_pk_add_f32 v[4:5], v[4:5], v[6:7]
	s_waitcnt vmcnt(1) lgkmcnt(0)
	v_pk_mul_f32 v[6:7], v[64:65], v[60:61] op_sel:[1,1] op_sel_hi:[0,1]
	v_pk_fma_f32 v[8:9], v[64:65], v[60:61], v[6:7] neg_lo:[0,0,1] neg_hi:[0,0,1]
	v_pk_fma_f32 v[6:7], v[64:65], v[60:61], v[6:7] op_sel_hi:[1,0,1]
	s_nop 0
	v_mov_b32_e32 v9, v7
	v_pk_add_f32 v[4:5], v[4:5], v[8:9]
	s_waitcnt vmcnt(0)
	v_pk_add_f32 v[4:5], v[62:63], v[4:5] neg_lo:[0,1] neg_hi:[0,1]
	scratch_store_dwordx2 off, v[4:5], off offset:208
	s_and_saveexec_b64 s[0:1], vcc
	s_cbranch_execz .LBB41_215
; %bb.214:
	scratch_load_dwordx2 v[4:5], off, off offset:200
	v_mov_b32_e32 v3, v2
	scratch_store_dwordx2 off, v[2:3], off offset:200
	s_waitcnt vmcnt(1)
	ds_write_b64 v1, v[4:5]
.LBB41_215:
	s_or_b64 exec, exec, s[0:1]
	s_waitcnt lgkmcnt(0)
	; wave barrier
	ds_read_b128 v[4:7], v2 offset:544
	ds_read_b128 v[8:11], v2 offset:560
	;; [unrolled: 1-line block ×4, first 2 shown]
	scratch_load_dwordx4 v[20:23], off, off offset:208
	v_cmp_lt_u32_e32 vcc, 24, v0
	s_waitcnt vmcnt(0) lgkmcnt(3)
	v_mul_f32_e32 v3, v4, v21
	v_fmac_f32_e32 v3, v5, v20
	v_mul_f32_e32 v24, v6, v23
	v_add_f32_e32 v3, 0, v3
	v_fmac_f32_e32 v24, v7, v22
	v_add_f32_e32 v3, v3, v24
	scratch_load_dwordx4 v[24:27], off, off offset:224
	s_waitcnt vmcnt(0) lgkmcnt(2)
	v_mul_f32_e32 v28, v8, v25
	v_fmac_f32_e32 v28, v9, v24
	v_add_f32_e32 v3, v3, v28
	v_mul_f32_e32 v28, v10, v27
	v_fmac_f32_e32 v28, v11, v26
	v_add_f32_e32 v3, v3, v28
	scratch_load_dwordx4 v[28:31], off, off offset:240
	s_waitcnt vmcnt(0) lgkmcnt(1)
	v_mul_f32_e32 v32, v12, v29
	v_fmac_f32_e32 v32, v13, v28
	v_add_f32_e32 v3, v3, v32
	v_mul_f32_e32 v32, v14, v31
	v_fmac_f32_e32 v32, v15, v30
	v_add_f32_e32 v53, v3, v32
	scratch_load_dwordx4 v[32:35], off, off offset:256
	scratch_load_dwordx4 v[36:39], off, off offset:272
	;; [unrolled: 1-line block ×5, first 2 shown]
	v_mul_f32_e32 v3, v5, v21
	v_fma_f32 v3, v4, v20, -v3
	v_mul_f32_e32 v4, v7, v23
	v_add_f32_e32 v3, 0, v3
	v_fma_f32 v4, v6, v22, -v4
	v_add_f32_e32 v3, v3, v4
	v_mul_f32_e32 v4, v9, v25
	v_fma_f32 v4, v8, v24, -v4
	v_add_f32_e32 v3, v3, v4
	v_mul_f32_e32 v4, v11, v27
	v_fma_f32 v4, v10, v26, -v4
	v_add_f32_e32 v3, v3, v4
	v_mul_f32_e32 v4, v13, v29
	v_fma_f32 v4, v12, v28, -v4
	v_add_f32_e32 v3, v3, v4
	v_mul_f32_e32 v4, v15, v31
	v_fma_f32 v4, v14, v30, -v4
	v_add_f32_e32 v52, v3, v4
	s_waitcnt vmcnt(4) lgkmcnt(0)
	v_mul_f32_e32 v3, v17, v33
	v_mul_f32_e32 v55, v16, v33
	;; [unrolled: 1-line block ×3, first 2 shown]
	v_fma_f32 v54, v16, v32, -v3
	v_mul_f32_e32 v3, v19, v35
	v_fmac_f32_e32 v55, v17, v32
	v_fmac_f32_e32 v57, v19, v34
	v_fma_f32 v56, v18, v34, -v3
	ds_read_b128 v[4:7], v2 offset:608
	ds_read_b128 v[8:11], v2 offset:624
	;; [unrolled: 1-line block ×4, first 2 shown]
	v_pk_add_f32 v[2:3], v[52:53], v[54:55]
	s_waitcnt vmcnt(3) lgkmcnt(3)
	v_pk_mul_f32 v[20:21], v[4:5], v[36:37] op_sel:[1,1] op_sel_hi:[0,1]
	v_pk_fma_f32 v[22:23], v[4:5], v[36:37], v[20:21] neg_lo:[0,0,1] neg_hi:[0,0,1]
	v_pk_fma_f32 v[4:5], v[4:5], v[36:37], v[20:21] op_sel_hi:[1,0,1]
	v_pk_add_f32 v[2:3], v[2:3], v[56:57]
	v_mov_b32_e32 v4, v39
	v_mov_b32_e32 v23, v5
	v_pk_mul_f32 v[4:5], v[6:7], v[4:5] op_sel:[1,0] op_sel_hi:[0,0]
	v_pk_fma_f32 v[20:21], v[6:7], v[38:39], v[4:5] neg_lo:[0,0,1] neg_hi:[0,0,1]
	v_pk_fma_f32 v[4:5], v[6:7], v[38:39], v[4:5] op_sel_hi:[1,0,1]
	v_pk_add_f32 v[2:3], v[2:3], v[22:23]
	v_mov_b32_e32 v21, v5
	s_waitcnt vmcnt(2) lgkmcnt(2)
	v_pk_mul_f32 v[4:5], v[8:9], v[40:41] op_sel:[1,1] op_sel_hi:[0,1]
	v_pk_fma_f32 v[6:7], v[8:9], v[40:41], v[4:5] neg_lo:[0,0,1] neg_hi:[0,0,1]
	v_pk_fma_f32 v[4:5], v[8:9], v[40:41], v[4:5] op_sel_hi:[1,0,1]
	v_pk_add_f32 v[2:3], v[2:3], v[20:21]
	v_mov_b32_e32 v4, v43
	v_mov_b32_e32 v7, v5
	v_pk_mul_f32 v[4:5], v[10:11], v[4:5] op_sel:[1,0] op_sel_hi:[0,0]
	v_pk_add_f32 v[2:3], v[2:3], v[6:7]
	v_pk_fma_f32 v[6:7], v[10:11], v[42:43], v[4:5] neg_lo:[0,0,1] neg_hi:[0,0,1]
	v_pk_fma_f32 v[4:5], v[10:11], v[42:43], v[4:5] op_sel_hi:[1,0,1]
	s_nop 0
	v_mov_b32_e32 v7, v5
	s_waitcnt vmcnt(1) lgkmcnt(1)
	v_pk_mul_f32 v[4:5], v[12:13], v[44:45] op_sel:[1,1] op_sel_hi:[0,1]
	v_pk_add_f32 v[2:3], v[2:3], v[6:7]
	v_pk_fma_f32 v[6:7], v[12:13], v[44:45], v[4:5] neg_lo:[0,0,1] neg_hi:[0,0,1]
	v_pk_fma_f32 v[4:5], v[12:13], v[44:45], v[4:5] op_sel_hi:[1,0,1]
	s_nop 0
	v_mov_b32_e32 v4, v47
	v_mov_b32_e32 v7, v5
	v_pk_mul_f32 v[4:5], v[14:15], v[4:5] op_sel:[1,0] op_sel_hi:[0,0]
	v_pk_add_f32 v[2:3], v[2:3], v[6:7]
	v_pk_fma_f32 v[6:7], v[14:15], v[46:47], v[4:5] neg_lo:[0,0,1] neg_hi:[0,0,1]
	v_pk_fma_f32 v[4:5], v[14:15], v[46:47], v[4:5] op_sel_hi:[1,0,1]
	s_nop 0
	v_mov_b32_e32 v7, v5
	s_waitcnt vmcnt(0) lgkmcnt(0)
	v_pk_mul_f32 v[4:5], v[16:17], v[48:49] op_sel:[1,1] op_sel_hi:[0,1]
	v_pk_add_f32 v[2:3], v[2:3], v[6:7]
	v_pk_fma_f32 v[6:7], v[16:17], v[48:49], v[4:5] neg_lo:[0,0,1] neg_hi:[0,0,1]
	v_pk_fma_f32 v[4:5], v[16:17], v[48:49], v[4:5] op_sel_hi:[1,0,1]
	s_nop 0
	v_mov_b32_e32 v4, v51
	v_mov_b32_e32 v7, v5
	v_pk_mul_f32 v[4:5], v[18:19], v[4:5] op_sel:[1,0] op_sel_hi:[0,0]
	v_pk_add_f32 v[2:3], v[2:3], v[6:7]
	v_pk_fma_f32 v[6:7], v[18:19], v[50:51], v[4:5] neg_lo:[0,0,1] neg_hi:[0,0,1]
	v_pk_fma_f32 v[4:5], v[18:19], v[50:51], v[4:5] op_sel_hi:[1,0,1]
	s_nop 0
	v_mov_b32_e32 v7, v5
	scratch_load_dwordx2 v[4:5], off, off offset:200
	v_pk_add_f32 v[2:3], v[2:3], v[6:7]
	s_waitcnt vmcnt(0)
	v_pk_add_f32 v[2:3], v[4:5], v[2:3] neg_lo:[0,1] neg_hi:[0,1]
	scratch_store_dwordx2 off, v[2:3], off offset:200
	s_and_saveexec_b64 s[0:1], vcc
	s_cbranch_execz .LBB41_217
; %bb.216:
	scratch_load_dwordx2 v[2:3], off, off offset:192
	v_mov_b32_e32 v4, 0
	v_mov_b32_e32 v5, v4
	scratch_store_dwordx2 off, v[4:5], off offset:192
	s_waitcnt vmcnt(1)
	ds_write_b64 v1, v[2:3]
.LBB41_217:
	s_or_b64 exec, exec, s[0:1]
	s_waitcnt lgkmcnt(0)
	; wave barrier
	scratch_load_dwordx4 v[8:11], off, off offset:200
	scratch_load_dwordx4 v[16:19], off, off offset:216
	;; [unrolled: 1-line block ×4, first 2 shown]
	v_mov_b32_e32 v2, 0
	ds_read2_b64 v[4:7], v2 offset0:67 offset1:68
	scratch_load_dwordx4 v[40:43], off, off offset:264
	v_cmp_lt_u32_e32 vcc, 23, v0
	s_waitcnt vmcnt(4) lgkmcnt(0)
	v_mul_f32_e32 v3, v4, v9
	v_fmac_f32_e32 v3, v5, v8
	v_mul_f32_e32 v12, v6, v11
	v_add_f32_e32 v3, 0, v3
	v_fmac_f32_e32 v12, v7, v10
	v_add_f32_e32 v3, v3, v12
	ds_read2_b64 v[12:15], v2 offset0:69 offset1:70
	s_waitcnt vmcnt(3) lgkmcnt(0)
	v_mul_f32_e32 v20, v12, v17
	v_fmac_f32_e32 v20, v13, v16
	v_add_f32_e32 v3, v3, v20
	v_mul_f32_e32 v20, v14, v19
	v_fmac_f32_e32 v20, v15, v18
	v_add_f32_e32 v3, v3, v20
	ds_read2_b64 v[20:23], v2 offset0:71 offset1:72
	s_waitcnt vmcnt(2) lgkmcnt(0)
	v_mul_f32_e32 v28, v20, v25
	v_fmac_f32_e32 v28, v21, v24
	v_add_f32_e32 v3, v3, v28
	v_mul_f32_e32 v28, v22, v27
	v_fmac_f32_e32 v28, v23, v26
	v_add_f32_e32 v3, v3, v28
	ds_read2_b64 v[28:31], v2 offset0:73 offset1:74
	s_waitcnt vmcnt(1) lgkmcnt(0)
	v_mul_f32_e32 v36, v28, v33
	v_fmac_f32_e32 v36, v29, v32
	v_add_f32_e32 v57, v3, v36
	ds_read2_b64 v[36:39], v2 offset0:75 offset1:76
	scratch_load_dwordx4 v[44:47], off, off offset:280
	scratch_load_dwordx4 v[48:51], off, off offset:296
	scratch_load_dwordx4 v[52:55], off, off offset:312
	scratch_load_dwordx2 v[62:63], off, off offset:328
	v_mul_f32_e32 v3, v5, v9
	v_fma_f32 v3, v4, v8, -v3
	v_mul_f32_e32 v4, v7, v11
	v_add_f32_e32 v3, 0, v3
	v_fma_f32 v4, v6, v10, -v4
	v_add_f32_e32 v3, v3, v4
	v_mul_f32_e32 v4, v13, v17
	v_fma_f32 v4, v12, v16, -v4
	v_add_f32_e32 v3, v3, v4
	v_mul_f32_e32 v4, v15, v19
	;; [unrolled: 3-line block ×5, first 2 shown]
	v_fma_f32 v4, v28, v32, -v4
	v_mul_f32_e32 v59, v30, v35
	v_add_f32_e32 v56, v3, v4
	v_mul_f32_e32 v3, v31, v35
	s_waitcnt vmcnt(4)
	v_mov_b32_e32 v20, v43
	v_fmac_f32_e32 v59, v31, v34
	s_waitcnt lgkmcnt(0)
	v_mul_f32_e32 v61, v36, v41
	v_fma_f32 v58, v30, v34, -v3
	v_mul_f32_e32 v3, v37, v41
	ds_read2_b64 v[4:7], v2 offset0:77 offset1:78
	ds_read2_b64 v[8:11], v2 offset0:79 offset1:80
	;; [unrolled: 1-line block ×3, first 2 shown]
	ds_read_b64 v[16:17], v2 offset:664
	v_pk_mul_f32 v[20:21], v[38:39], v[20:21] op_sel:[1,0] op_sel_hi:[0,0]
	v_fmac_f32_e32 v61, v37, v40
	v_fma_f32 v60, v36, v40, -v3
	v_pk_add_f32 v[18:19], v[56:57], v[58:59]
	v_pk_fma_f32 v[22:23], v[38:39], v[42:43], v[20:21] neg_lo:[0,0,1] neg_hi:[0,0,1]
	v_pk_fma_f32 v[20:21], v[38:39], v[42:43], v[20:21] op_sel_hi:[1,0,1]
	v_pk_add_f32 v[18:19], v[18:19], v[60:61]
	v_mov_b32_e32 v23, v21
	v_pk_add_f32 v[18:19], v[18:19], v[22:23]
	s_waitcnt vmcnt(3) lgkmcnt(3)
	v_pk_mul_f32 v[20:21], v[4:5], v[44:45] op_sel:[1,1] op_sel_hi:[0,1]
	v_pk_fma_f32 v[22:23], v[4:5], v[44:45], v[20:21] neg_lo:[0,0,1] neg_hi:[0,0,1]
	v_pk_fma_f32 v[4:5], v[4:5], v[44:45], v[20:21] op_sel_hi:[1,0,1]
	s_nop 0
	v_mov_b32_e32 v23, v5
	v_pk_add_f32 v[4:5], v[18:19], v[22:23]
	v_mov_b32_e32 v18, v47
	v_pk_mul_f32 v[18:19], v[6:7], v[18:19] op_sel:[1,0] op_sel_hi:[0,0]
	v_pk_fma_f32 v[20:21], v[6:7], v[46:47], v[18:19] neg_lo:[0,0,1] neg_hi:[0,0,1]
	v_pk_fma_f32 v[6:7], v[6:7], v[46:47], v[18:19] op_sel_hi:[1,0,1]
	s_nop 0
	v_mov_b32_e32 v21, v7
	s_waitcnt vmcnt(2) lgkmcnt(2)
	v_pk_mul_f32 v[6:7], v[8:9], v[48:49] op_sel:[1,1] op_sel_hi:[0,1]
	v_pk_fma_f32 v[18:19], v[8:9], v[48:49], v[6:7] neg_lo:[0,0,1] neg_hi:[0,0,1]
	v_pk_fma_f32 v[6:7], v[8:9], v[48:49], v[6:7] op_sel_hi:[1,0,1]
	v_pk_add_f32 v[4:5], v[4:5], v[20:21]
	v_mov_b32_e32 v6, v51
	v_mov_b32_e32 v19, v7
	v_pk_mul_f32 v[6:7], v[10:11], v[6:7] op_sel:[1,0] op_sel_hi:[0,0]
	v_pk_fma_f32 v[8:9], v[10:11], v[50:51], v[6:7] neg_lo:[0,0,1] neg_hi:[0,0,1]
	v_pk_fma_f32 v[6:7], v[10:11], v[50:51], v[6:7] op_sel_hi:[1,0,1]
	v_pk_add_f32 v[4:5], v[4:5], v[18:19]
	v_mov_b32_e32 v9, v7
	s_waitcnt vmcnt(1) lgkmcnt(1)
	v_pk_mul_f32 v[6:7], v[12:13], v[52:53] op_sel:[1,1] op_sel_hi:[0,1]
	v_pk_add_f32 v[4:5], v[4:5], v[8:9]
	v_pk_fma_f32 v[8:9], v[12:13], v[52:53], v[6:7] neg_lo:[0,0,1] neg_hi:[0,0,1]
	v_pk_fma_f32 v[6:7], v[12:13], v[52:53], v[6:7] op_sel_hi:[1,0,1]
	s_nop 0
	v_mov_b32_e32 v6, v55
	v_mov_b32_e32 v9, v7
	v_pk_mul_f32 v[6:7], v[14:15], v[6:7] op_sel:[1,0] op_sel_hi:[0,0]
	v_pk_add_f32 v[4:5], v[4:5], v[8:9]
	v_pk_fma_f32 v[8:9], v[14:15], v[54:55], v[6:7] neg_lo:[0,0,1] neg_hi:[0,0,1]
	v_pk_fma_f32 v[6:7], v[14:15], v[54:55], v[6:7] op_sel_hi:[1,0,1]
	s_nop 0
	v_mov_b32_e32 v9, v7
	s_waitcnt vmcnt(0) lgkmcnt(0)
	v_pk_mul_f32 v[6:7], v[16:17], v[62:63] op_sel:[1,1] op_sel_hi:[0,1]
	v_pk_add_f32 v[4:5], v[4:5], v[8:9]
	v_pk_fma_f32 v[8:9], v[16:17], v[62:63], v[6:7] neg_lo:[0,0,1] neg_hi:[0,0,1]
	v_pk_fma_f32 v[6:7], v[16:17], v[62:63], v[6:7] op_sel_hi:[1,0,1]
	s_nop 0
	v_mov_b32_e32 v9, v7
	scratch_load_dwordx2 v[6:7], off, off offset:192
	v_pk_add_f32 v[4:5], v[4:5], v[8:9]
	s_waitcnt vmcnt(0)
	v_pk_add_f32 v[4:5], v[6:7], v[4:5] neg_lo:[0,1] neg_hi:[0,1]
	scratch_store_dwordx2 off, v[4:5], off offset:192
	s_and_saveexec_b64 s[0:1], vcc
	s_cbranch_execz .LBB41_219
; %bb.218:
	scratch_load_dwordx2 v[4:5], off, off offset:184
	v_mov_b32_e32 v3, v2
	scratch_store_dwordx2 off, v[2:3], off offset:184
	s_waitcnt vmcnt(1)
	ds_write_b64 v1, v[4:5]
.LBB41_219:
	s_or_b64 exec, exec, s[0:1]
	s_waitcnt lgkmcnt(0)
	; wave barrier
	ds_read_b128 v[4:7], v2 offset:528
	ds_read_b128 v[8:11], v2 offset:544
	;; [unrolled: 1-line block ×4, first 2 shown]
	scratch_load_dwordx4 v[20:23], off, off offset:192
	scratch_load_dwordx4 v[40:43], off, off offset:256
	v_cmp_lt_u32_e32 vcc, 22, v0
	s_waitcnt vmcnt(1) lgkmcnt(3)
	v_mul_f32_e32 v3, v4, v21
	v_fmac_f32_e32 v3, v5, v20
	v_mul_f32_e32 v24, v6, v23
	v_add_f32_e32 v3, 0, v3
	v_fmac_f32_e32 v24, v7, v22
	v_add_f32_e32 v3, v3, v24
	scratch_load_dwordx4 v[24:27], off, off offset:208
	s_waitcnt vmcnt(0) lgkmcnt(2)
	v_mul_f32_e32 v28, v8, v25
	v_fmac_f32_e32 v28, v9, v24
	v_add_f32_e32 v3, v3, v28
	v_mul_f32_e32 v28, v10, v27
	v_fmac_f32_e32 v28, v11, v26
	v_add_f32_e32 v3, v3, v28
	scratch_load_dwordx4 v[28:31], off, off offset:224
	s_waitcnt vmcnt(0) lgkmcnt(1)
	v_mul_f32_e32 v32, v12, v29
	v_fmac_f32_e32 v32, v13, v28
	v_add_f32_e32 v3, v3, v32
	v_mul_f32_e32 v32, v14, v31
	;; [unrolled: 8-line block ×3, first 2 shown]
	v_fmac_f32_e32 v36, v19, v34
	v_add_f32_e32 v61, v3, v36
	ds_read_b128 v[36:39], v2 offset:592
	scratch_load_dwordx4 v[44:47], off, off offset:272
	scratch_load_dwordx4 v[48:51], off, off offset:288
	;; [unrolled: 1-line block ×4, first 2 shown]
	v_mul_f32_e32 v3, v5, v21
	v_fma_f32 v3, v4, v20, -v3
	v_mul_f32_e32 v4, v7, v23
	v_add_f32_e32 v3, 0, v3
	v_fma_f32 v4, v6, v22, -v4
	v_add_f32_e32 v3, v3, v4
	v_mul_f32_e32 v4, v9, v25
	v_fma_f32 v4, v8, v24, -v4
	v_add_f32_e32 v3, v3, v4
	v_mul_f32_e32 v4, v11, v27
	;; [unrolled: 3-line block ×6, first 2 shown]
	v_fma_f32 v4, v18, v34, -v4
	v_add_f32_e32 v60, v3, v4
	ds_read_b128 v[4:7], v2 offset:608
	ds_read_b128 v[8:11], v2 offset:624
	;; [unrolled: 1-line block ×4, first 2 shown]
	s_waitcnt lgkmcnt(4)
	v_mul_f32_e32 v63, v36, v41
	v_mul_f32_e32 v3, v37, v41
	v_fmac_f32_e32 v63, v37, v40
	v_mul_f32_e32 v65, v38, v43
	v_fma_f32 v62, v36, v40, -v3
	v_mul_f32_e32 v3, v39, v43
	v_fmac_f32_e32 v65, v39, v42
	v_fma_f32 v64, v38, v42, -v3
	v_pk_add_f32 v[2:3], v[60:61], v[62:63]
	s_waitcnt vmcnt(3) lgkmcnt(3)
	v_pk_mul_f32 v[20:21], v[4:5], v[44:45] op_sel:[1,1] op_sel_hi:[0,1]
	v_pk_fma_f32 v[22:23], v[4:5], v[44:45], v[20:21] neg_lo:[0,0,1] neg_hi:[0,0,1]
	v_pk_fma_f32 v[4:5], v[4:5], v[44:45], v[20:21] op_sel_hi:[1,0,1]
	v_pk_add_f32 v[2:3], v[2:3], v[64:65]
	v_mov_b32_e32 v4, v47
	v_mov_b32_e32 v23, v5
	v_pk_mul_f32 v[4:5], v[6:7], v[4:5] op_sel:[1,0] op_sel_hi:[0,0]
	v_pk_fma_f32 v[20:21], v[6:7], v[46:47], v[4:5] neg_lo:[0,0,1] neg_hi:[0,0,1]
	v_pk_fma_f32 v[4:5], v[6:7], v[46:47], v[4:5] op_sel_hi:[1,0,1]
	v_pk_add_f32 v[2:3], v[2:3], v[22:23]
	v_mov_b32_e32 v21, v5
	s_waitcnt vmcnt(2) lgkmcnt(2)
	v_pk_mul_f32 v[4:5], v[8:9], v[48:49] op_sel:[1,1] op_sel_hi:[0,1]
	v_pk_fma_f32 v[6:7], v[8:9], v[48:49], v[4:5] neg_lo:[0,0,1] neg_hi:[0,0,1]
	v_pk_fma_f32 v[4:5], v[8:9], v[48:49], v[4:5] op_sel_hi:[1,0,1]
	v_pk_add_f32 v[2:3], v[2:3], v[20:21]
	v_mov_b32_e32 v4, v51
	v_mov_b32_e32 v7, v5
	v_pk_mul_f32 v[4:5], v[10:11], v[4:5] op_sel:[1,0] op_sel_hi:[0,0]
	v_pk_add_f32 v[2:3], v[2:3], v[6:7]
	v_pk_fma_f32 v[6:7], v[10:11], v[50:51], v[4:5] neg_lo:[0,0,1] neg_hi:[0,0,1]
	v_pk_fma_f32 v[4:5], v[10:11], v[50:51], v[4:5] op_sel_hi:[1,0,1]
	s_nop 0
	v_mov_b32_e32 v7, v5
	s_waitcnt vmcnt(1) lgkmcnt(1)
	v_pk_mul_f32 v[4:5], v[12:13], v[52:53] op_sel:[1,1] op_sel_hi:[0,1]
	v_pk_add_f32 v[2:3], v[2:3], v[6:7]
	v_pk_fma_f32 v[6:7], v[12:13], v[52:53], v[4:5] neg_lo:[0,0,1] neg_hi:[0,0,1]
	v_pk_fma_f32 v[4:5], v[12:13], v[52:53], v[4:5] op_sel_hi:[1,0,1]
	s_nop 0
	v_mov_b32_e32 v4, v55
	v_mov_b32_e32 v7, v5
	v_pk_mul_f32 v[4:5], v[14:15], v[4:5] op_sel:[1,0] op_sel_hi:[0,0]
	v_pk_add_f32 v[2:3], v[2:3], v[6:7]
	v_pk_fma_f32 v[6:7], v[14:15], v[54:55], v[4:5] neg_lo:[0,0,1] neg_hi:[0,0,1]
	v_pk_fma_f32 v[4:5], v[14:15], v[54:55], v[4:5] op_sel_hi:[1,0,1]
	s_nop 0
	v_mov_b32_e32 v7, v5
	s_waitcnt vmcnt(0) lgkmcnt(0)
	v_pk_mul_f32 v[4:5], v[16:17], v[56:57] op_sel:[1,1] op_sel_hi:[0,1]
	v_pk_add_f32 v[2:3], v[2:3], v[6:7]
	v_pk_fma_f32 v[6:7], v[16:17], v[56:57], v[4:5] neg_lo:[0,0,1] neg_hi:[0,0,1]
	v_pk_fma_f32 v[4:5], v[16:17], v[56:57], v[4:5] op_sel_hi:[1,0,1]
	s_nop 0
	v_mov_b32_e32 v4, v59
	v_mov_b32_e32 v7, v5
	v_pk_mul_f32 v[4:5], v[18:19], v[4:5] op_sel:[1,0] op_sel_hi:[0,0]
	v_pk_add_f32 v[2:3], v[2:3], v[6:7]
	v_pk_fma_f32 v[6:7], v[18:19], v[58:59], v[4:5] neg_lo:[0,0,1] neg_hi:[0,0,1]
	v_pk_fma_f32 v[4:5], v[18:19], v[58:59], v[4:5] op_sel_hi:[1,0,1]
	s_nop 0
	v_mov_b32_e32 v7, v5
	scratch_load_dwordx2 v[4:5], off, off offset:184
	v_pk_add_f32 v[2:3], v[2:3], v[6:7]
	s_waitcnt vmcnt(0)
	v_pk_add_f32 v[2:3], v[4:5], v[2:3] neg_lo:[0,1] neg_hi:[0,1]
	scratch_store_dwordx2 off, v[2:3], off offset:184
	s_and_saveexec_b64 s[0:1], vcc
	s_cbranch_execz .LBB41_221
; %bb.220:
	scratch_load_dwordx2 v[2:3], off, off offset:176
	v_mov_b32_e32 v4, 0
	v_mov_b32_e32 v5, v4
	scratch_store_dwordx2 off, v[4:5], off offset:176
	s_waitcnt vmcnt(1)
	ds_write_b64 v1, v[2:3]
.LBB41_221:
	s_or_b64 exec, exec, s[0:1]
	s_waitcnt lgkmcnt(0)
	; wave barrier
	scratch_load_dwordx4 v[8:11], off, off offset:184
	scratch_load_dwordx4 v[16:19], off, off offset:200
	;; [unrolled: 1-line block ×6, first 2 shown]
	v_mov_b32_e32 v2, 0
	ds_read2_b64 v[4:7], v2 offset0:65 offset1:66
	v_cmp_lt_u32_e32 vcc, 21, v0
	s_waitcnt vmcnt(5) lgkmcnt(0)
	v_mul_f32_e32 v3, v4, v9
	v_fmac_f32_e32 v3, v5, v8
	v_mul_f32_e32 v12, v6, v11
	v_add_f32_e32 v3, 0, v3
	v_fmac_f32_e32 v12, v7, v10
	v_add_f32_e32 v3, v3, v12
	ds_read2_b64 v[12:15], v2 offset0:67 offset1:68
	s_waitcnt vmcnt(4) lgkmcnt(0)
	v_mul_f32_e32 v20, v12, v17
	v_fmac_f32_e32 v20, v13, v16
	v_add_f32_e32 v3, v3, v20
	v_mul_f32_e32 v20, v14, v19
	v_fmac_f32_e32 v20, v15, v18
	v_add_f32_e32 v3, v3, v20
	ds_read2_b64 v[20:23], v2 offset0:69 offset1:70
	s_waitcnt vmcnt(3) lgkmcnt(0)
	v_mul_f32_e32 v28, v20, v25
	v_fmac_f32_e32 v28, v21, v24
	v_add_f32_e32 v3, v3, v28
	v_mul_f32_e32 v28, v22, v27
	;; [unrolled: 8-line block ×3, first 2 shown]
	v_fmac_f32_e32 v36, v31, v34
	v_add_f32_e32 v3, v3, v36
	ds_read2_b64 v[36:39], v2 offset0:73 offset1:74
	s_waitcnt vmcnt(1) lgkmcnt(0)
	v_mul_f32_e32 v44, v36, v41
	v_fmac_f32_e32 v44, v37, v40
	v_add_f32_e32 v65, v3, v44
	ds_read2_b64 v[44:47], v2 offset0:75 offset1:76
	scratch_load_dwordx4 v[52:55], off, off offset:280
	scratch_load_dwordx4 v[56:59], off, off offset:296
	scratch_load_dwordx4 v[60:63], off, off offset:312
	scratch_load_dwordx2 v[70:71], off, off offset:328
	v_mul_f32_e32 v3, v5, v9
	v_fma_f32 v3, v4, v8, -v3
	v_mul_f32_e32 v4, v7, v11
	v_add_f32_e32 v3, 0, v3
	v_fma_f32 v4, v6, v10, -v4
	v_add_f32_e32 v3, v3, v4
	v_mul_f32_e32 v4, v13, v17
	v_fma_f32 v4, v12, v16, -v4
	v_add_f32_e32 v3, v3, v4
	v_mul_f32_e32 v4, v15, v19
	;; [unrolled: 3-line block ×7, first 2 shown]
	v_fma_f32 v4, v36, v40, -v4
	v_mul_f32_e32 v67, v38, v43
	v_add_f32_e32 v64, v3, v4
	v_mul_f32_e32 v3, v39, v43
	s_waitcnt vmcnt(4)
	v_mov_b32_e32 v20, v51
	v_fmac_f32_e32 v67, v39, v42
	s_waitcnt lgkmcnt(0)
	v_mul_f32_e32 v69, v44, v49
	v_fma_f32 v66, v38, v42, -v3
	v_mul_f32_e32 v3, v45, v49
	ds_read2_b64 v[4:7], v2 offset0:77 offset1:78
	ds_read2_b64 v[8:11], v2 offset0:79 offset1:80
	;; [unrolled: 1-line block ×3, first 2 shown]
	ds_read_b64 v[16:17], v2 offset:664
	v_pk_mul_f32 v[20:21], v[46:47], v[20:21] op_sel:[1,0] op_sel_hi:[0,0]
	v_fmac_f32_e32 v69, v45, v48
	v_fma_f32 v68, v44, v48, -v3
	v_pk_add_f32 v[18:19], v[64:65], v[66:67]
	v_pk_fma_f32 v[22:23], v[46:47], v[50:51], v[20:21] neg_lo:[0,0,1] neg_hi:[0,0,1]
	v_pk_fma_f32 v[20:21], v[46:47], v[50:51], v[20:21] op_sel_hi:[1,0,1]
	v_pk_add_f32 v[18:19], v[18:19], v[68:69]
	v_mov_b32_e32 v23, v21
	v_pk_add_f32 v[18:19], v[18:19], v[22:23]
	s_waitcnt vmcnt(3) lgkmcnt(3)
	v_pk_mul_f32 v[20:21], v[4:5], v[52:53] op_sel:[1,1] op_sel_hi:[0,1]
	v_pk_fma_f32 v[22:23], v[4:5], v[52:53], v[20:21] neg_lo:[0,0,1] neg_hi:[0,0,1]
	v_pk_fma_f32 v[4:5], v[4:5], v[52:53], v[20:21] op_sel_hi:[1,0,1]
	s_nop 0
	v_mov_b32_e32 v23, v5
	v_pk_add_f32 v[4:5], v[18:19], v[22:23]
	v_mov_b32_e32 v18, v55
	v_pk_mul_f32 v[18:19], v[6:7], v[18:19] op_sel:[1,0] op_sel_hi:[0,0]
	v_pk_fma_f32 v[20:21], v[6:7], v[54:55], v[18:19] neg_lo:[0,0,1] neg_hi:[0,0,1]
	v_pk_fma_f32 v[6:7], v[6:7], v[54:55], v[18:19] op_sel_hi:[1,0,1]
	s_nop 0
	v_mov_b32_e32 v21, v7
	s_waitcnt vmcnt(2) lgkmcnt(2)
	v_pk_mul_f32 v[6:7], v[8:9], v[56:57] op_sel:[1,1] op_sel_hi:[0,1]
	v_pk_fma_f32 v[18:19], v[8:9], v[56:57], v[6:7] neg_lo:[0,0,1] neg_hi:[0,0,1]
	v_pk_fma_f32 v[6:7], v[8:9], v[56:57], v[6:7] op_sel_hi:[1,0,1]
	v_pk_add_f32 v[4:5], v[4:5], v[20:21]
	v_mov_b32_e32 v6, v59
	v_mov_b32_e32 v19, v7
	v_pk_mul_f32 v[6:7], v[10:11], v[6:7] op_sel:[1,0] op_sel_hi:[0,0]
	v_pk_fma_f32 v[8:9], v[10:11], v[58:59], v[6:7] neg_lo:[0,0,1] neg_hi:[0,0,1]
	v_pk_fma_f32 v[6:7], v[10:11], v[58:59], v[6:7] op_sel_hi:[1,0,1]
	v_pk_add_f32 v[4:5], v[4:5], v[18:19]
	v_mov_b32_e32 v9, v7
	s_waitcnt vmcnt(1) lgkmcnt(1)
	v_pk_mul_f32 v[6:7], v[12:13], v[60:61] op_sel:[1,1] op_sel_hi:[0,1]
	v_pk_add_f32 v[4:5], v[4:5], v[8:9]
	v_pk_fma_f32 v[8:9], v[12:13], v[60:61], v[6:7] neg_lo:[0,0,1] neg_hi:[0,0,1]
	v_pk_fma_f32 v[6:7], v[12:13], v[60:61], v[6:7] op_sel_hi:[1,0,1]
	s_nop 0
	v_mov_b32_e32 v6, v63
	v_mov_b32_e32 v9, v7
	v_pk_mul_f32 v[6:7], v[14:15], v[6:7] op_sel:[1,0] op_sel_hi:[0,0]
	v_pk_add_f32 v[4:5], v[4:5], v[8:9]
	v_pk_fma_f32 v[8:9], v[14:15], v[62:63], v[6:7] neg_lo:[0,0,1] neg_hi:[0,0,1]
	v_pk_fma_f32 v[6:7], v[14:15], v[62:63], v[6:7] op_sel_hi:[1,0,1]
	s_nop 0
	v_mov_b32_e32 v9, v7
	s_waitcnt vmcnt(0) lgkmcnt(0)
	v_pk_mul_f32 v[6:7], v[16:17], v[70:71] op_sel:[1,1] op_sel_hi:[0,1]
	v_pk_add_f32 v[4:5], v[4:5], v[8:9]
	v_pk_fma_f32 v[8:9], v[16:17], v[70:71], v[6:7] neg_lo:[0,0,1] neg_hi:[0,0,1]
	v_pk_fma_f32 v[6:7], v[16:17], v[70:71], v[6:7] op_sel_hi:[1,0,1]
	s_nop 0
	v_mov_b32_e32 v9, v7
	scratch_load_dwordx2 v[6:7], off, off offset:176
	v_pk_add_f32 v[4:5], v[4:5], v[8:9]
	s_waitcnt vmcnt(0)
	v_pk_add_f32 v[4:5], v[6:7], v[4:5] neg_lo:[0,1] neg_hi:[0,1]
	scratch_store_dwordx2 off, v[4:5], off offset:176
	s_and_saveexec_b64 s[0:1], vcc
	s_cbranch_execz .LBB41_223
; %bb.222:
	scratch_load_dwordx2 v[4:5], off, off offset:168
	v_mov_b32_e32 v3, v2
	scratch_store_dwordx2 off, v[2:3], off offset:168
	s_waitcnt vmcnt(1)
	ds_write_b64 v1, v[4:5]
.LBB41_223:
	s_or_b64 exec, exec, s[0:1]
	s_waitcnt lgkmcnt(0)
	; wave barrier
	ds_read_b128 v[4:7], v2 offset:512
	ds_read_b128 v[8:11], v2 offset:528
	;; [unrolled: 1-line block ×4, first 2 shown]
	scratch_load_dwordx4 v[20:23], off, off offset:176
	scratch_load_dwordx4 v[40:43], off, off offset:240
	v_cmp_lt_u32_e32 vcc, 20, v0
	scratch_load_dwordx4 v[48:51], off, off offset:256
	s_waitcnt vmcnt(2) lgkmcnt(3)
	v_mul_f32_e32 v3, v4, v21
	v_fmac_f32_e32 v3, v5, v20
	v_mul_f32_e32 v24, v6, v23
	v_add_f32_e32 v3, 0, v3
	v_fmac_f32_e32 v24, v7, v22
	v_add_f32_e32 v3, v3, v24
	scratch_load_dwordx4 v[24:27], off, off offset:192
	s_waitcnt vmcnt(0) lgkmcnt(2)
	v_mul_f32_e32 v28, v8, v25
	v_fmac_f32_e32 v28, v9, v24
	v_add_f32_e32 v3, v3, v28
	v_mul_f32_e32 v28, v10, v27
	v_fmac_f32_e32 v28, v11, v26
	v_add_f32_e32 v3, v3, v28
	scratch_load_dwordx4 v[28:31], off, off offset:208
	s_waitcnt vmcnt(0) lgkmcnt(1)
	v_mul_f32_e32 v32, v12, v29
	v_fmac_f32_e32 v32, v13, v28
	v_add_f32_e32 v3, v3, v32
	v_mul_f32_e32 v32, v14, v31
	;; [unrolled: 8-line block ×3, first 2 shown]
	v_fmac_f32_e32 v36, v19, v34
	v_add_f32_e32 v3, v3, v36
	ds_read_b128 v[36:39], v2 offset:576
	s_waitcnt lgkmcnt(0)
	v_mul_f32_e32 v44, v36, v41
	v_fmac_f32_e32 v44, v37, v40
	v_add_f32_e32 v3, v3, v44
	v_mul_f32_e32 v44, v38, v43
	v_fmac_f32_e32 v44, v39, v42
	v_add_f32_e32 v69, v3, v44
	ds_read_b128 v[44:47], v2 offset:592
	scratch_load_dwordx4 v[52:55], off, off offset:272
	scratch_load_dwordx4 v[56:59], off, off offset:288
	;; [unrolled: 1-line block ×4, first 2 shown]
	v_mul_f32_e32 v3, v5, v21
	v_fma_f32 v3, v4, v20, -v3
	v_mul_f32_e32 v4, v7, v23
	v_add_f32_e32 v3, 0, v3
	v_fma_f32 v4, v6, v22, -v4
	v_add_f32_e32 v3, v3, v4
	v_mul_f32_e32 v4, v9, v25
	v_fma_f32 v4, v8, v24, -v4
	v_add_f32_e32 v3, v3, v4
	v_mul_f32_e32 v4, v11, v27
	;; [unrolled: 3-line block ×8, first 2 shown]
	v_fma_f32 v4, v38, v42, -v4
	v_add_f32_e32 v68, v3, v4
	ds_read_b128 v[4:7], v2 offset:608
	ds_read_b128 v[8:11], v2 offset:624
	;; [unrolled: 1-line block ×4, first 2 shown]
	s_waitcnt lgkmcnt(4)
	v_mul_f32_e32 v71, v44, v49
	v_mul_f32_e32 v3, v45, v49
	v_fmac_f32_e32 v71, v45, v48
	v_mul_f32_e32 v73, v46, v51
	v_fma_f32 v70, v44, v48, -v3
	v_mul_f32_e32 v3, v47, v51
	v_fmac_f32_e32 v73, v47, v50
	v_fma_f32 v72, v46, v50, -v3
	v_pk_add_f32 v[2:3], v[68:69], v[70:71]
	s_waitcnt vmcnt(3) lgkmcnt(3)
	v_pk_mul_f32 v[20:21], v[4:5], v[52:53] op_sel:[1,1] op_sel_hi:[0,1]
	v_pk_fma_f32 v[22:23], v[4:5], v[52:53], v[20:21] neg_lo:[0,0,1] neg_hi:[0,0,1]
	v_pk_fma_f32 v[4:5], v[4:5], v[52:53], v[20:21] op_sel_hi:[1,0,1]
	v_pk_add_f32 v[2:3], v[2:3], v[72:73]
	v_mov_b32_e32 v4, v55
	v_mov_b32_e32 v23, v5
	v_pk_mul_f32 v[4:5], v[6:7], v[4:5] op_sel:[1,0] op_sel_hi:[0,0]
	v_pk_fma_f32 v[20:21], v[6:7], v[54:55], v[4:5] neg_lo:[0,0,1] neg_hi:[0,0,1]
	v_pk_fma_f32 v[4:5], v[6:7], v[54:55], v[4:5] op_sel_hi:[1,0,1]
	v_pk_add_f32 v[2:3], v[2:3], v[22:23]
	v_mov_b32_e32 v21, v5
	s_waitcnt vmcnt(2) lgkmcnt(2)
	v_pk_mul_f32 v[4:5], v[8:9], v[56:57] op_sel:[1,1] op_sel_hi:[0,1]
	v_pk_fma_f32 v[6:7], v[8:9], v[56:57], v[4:5] neg_lo:[0,0,1] neg_hi:[0,0,1]
	v_pk_fma_f32 v[4:5], v[8:9], v[56:57], v[4:5] op_sel_hi:[1,0,1]
	v_pk_add_f32 v[2:3], v[2:3], v[20:21]
	v_mov_b32_e32 v4, v59
	v_mov_b32_e32 v7, v5
	v_pk_mul_f32 v[4:5], v[10:11], v[4:5] op_sel:[1,0] op_sel_hi:[0,0]
	v_pk_add_f32 v[2:3], v[2:3], v[6:7]
	v_pk_fma_f32 v[6:7], v[10:11], v[58:59], v[4:5] neg_lo:[0,0,1] neg_hi:[0,0,1]
	v_pk_fma_f32 v[4:5], v[10:11], v[58:59], v[4:5] op_sel_hi:[1,0,1]
	s_nop 0
	v_mov_b32_e32 v7, v5
	s_waitcnt vmcnt(1) lgkmcnt(1)
	v_pk_mul_f32 v[4:5], v[12:13], v[60:61] op_sel:[1,1] op_sel_hi:[0,1]
	v_pk_add_f32 v[2:3], v[2:3], v[6:7]
	v_pk_fma_f32 v[6:7], v[12:13], v[60:61], v[4:5] neg_lo:[0,0,1] neg_hi:[0,0,1]
	v_pk_fma_f32 v[4:5], v[12:13], v[60:61], v[4:5] op_sel_hi:[1,0,1]
	s_nop 0
	v_mov_b32_e32 v4, v63
	v_mov_b32_e32 v7, v5
	v_pk_mul_f32 v[4:5], v[14:15], v[4:5] op_sel:[1,0] op_sel_hi:[0,0]
	v_pk_add_f32 v[2:3], v[2:3], v[6:7]
	v_pk_fma_f32 v[6:7], v[14:15], v[62:63], v[4:5] neg_lo:[0,0,1] neg_hi:[0,0,1]
	v_pk_fma_f32 v[4:5], v[14:15], v[62:63], v[4:5] op_sel_hi:[1,0,1]
	s_nop 0
	v_mov_b32_e32 v7, v5
	s_waitcnt vmcnt(0) lgkmcnt(0)
	v_pk_mul_f32 v[4:5], v[16:17], v[64:65] op_sel:[1,1] op_sel_hi:[0,1]
	v_pk_add_f32 v[2:3], v[2:3], v[6:7]
	v_pk_fma_f32 v[6:7], v[16:17], v[64:65], v[4:5] neg_lo:[0,0,1] neg_hi:[0,0,1]
	v_pk_fma_f32 v[4:5], v[16:17], v[64:65], v[4:5] op_sel_hi:[1,0,1]
	s_nop 0
	v_mov_b32_e32 v4, v67
	v_mov_b32_e32 v7, v5
	v_pk_mul_f32 v[4:5], v[18:19], v[4:5] op_sel:[1,0] op_sel_hi:[0,0]
	v_pk_add_f32 v[2:3], v[2:3], v[6:7]
	v_pk_fma_f32 v[6:7], v[18:19], v[66:67], v[4:5] neg_lo:[0,0,1] neg_hi:[0,0,1]
	v_pk_fma_f32 v[4:5], v[18:19], v[66:67], v[4:5] op_sel_hi:[1,0,1]
	s_nop 0
	v_mov_b32_e32 v7, v5
	scratch_load_dwordx2 v[4:5], off, off offset:168
	v_pk_add_f32 v[2:3], v[2:3], v[6:7]
	s_waitcnt vmcnt(0)
	v_pk_add_f32 v[2:3], v[4:5], v[2:3] neg_lo:[0,1] neg_hi:[0,1]
	scratch_store_dwordx2 off, v[2:3], off offset:168
	s_and_saveexec_b64 s[0:1], vcc
	s_cbranch_execz .LBB41_225
; %bb.224:
	scratch_load_dwordx2 v[2:3], off, off offset:160
	v_mov_b32_e32 v4, 0
	v_mov_b32_e32 v5, v4
	scratch_store_dwordx2 off, v[4:5], off offset:160
	s_waitcnt vmcnt(1)
	ds_write_b64 v1, v[2:3]
.LBB41_225:
	s_or_b64 exec, exec, s[0:1]
	s_waitcnt lgkmcnt(0)
	; wave barrier
	scratch_load_dwordx4 v[8:11], off, off offset:168
	scratch_load_dwordx4 v[16:19], off, off offset:184
	;; [unrolled: 1-line block ×6, first 2 shown]
	v_mov_b32_e32 v2, 0
	ds_read2_b64 v[4:7], v2 offset0:63 offset1:64
	scratch_load_dwordx4 v[56:59], off, off offset:264
	v_cmp_lt_u32_e32 vcc, 19, v0
	s_waitcnt vmcnt(6) lgkmcnt(0)
	v_mul_f32_e32 v3, v4, v9
	v_fmac_f32_e32 v3, v5, v8
	v_mul_f32_e32 v12, v6, v11
	v_add_f32_e32 v3, 0, v3
	v_fmac_f32_e32 v12, v7, v10
	v_add_f32_e32 v3, v3, v12
	ds_read2_b64 v[12:15], v2 offset0:65 offset1:66
	s_waitcnt vmcnt(5) lgkmcnt(0)
	v_mul_f32_e32 v20, v12, v17
	v_fmac_f32_e32 v20, v13, v16
	v_add_f32_e32 v3, v3, v20
	v_mul_f32_e32 v20, v14, v19
	v_fmac_f32_e32 v20, v15, v18
	v_add_f32_e32 v3, v3, v20
	ds_read2_b64 v[20:23], v2 offset0:67 offset1:68
	s_waitcnt vmcnt(4) lgkmcnt(0)
	v_mul_f32_e32 v28, v20, v25
	v_fmac_f32_e32 v28, v21, v24
	v_add_f32_e32 v3, v3, v28
	v_mul_f32_e32 v28, v22, v27
	v_fmac_f32_e32 v28, v23, v26
	v_add_f32_e32 v3, v3, v28
	ds_read2_b64 v[28:31], v2 offset0:69 offset1:70
	s_waitcnt vmcnt(3) lgkmcnt(0)
	v_mul_f32_e32 v36, v28, v33
	v_fmac_f32_e32 v36, v29, v32
	v_add_f32_e32 v3, v3, v36
	v_mul_f32_e32 v36, v30, v35
	v_fmac_f32_e32 v36, v31, v34
	v_add_f32_e32 v3, v3, v36
	ds_read2_b64 v[36:39], v2 offset0:71 offset1:72
	s_waitcnt vmcnt(2) lgkmcnt(0)
	v_mul_f32_e32 v44, v36, v41
	v_fmac_f32_e32 v44, v37, v40
	v_add_f32_e32 v3, v3, v44
	v_mul_f32_e32 v44, v38, v43
	v_fmac_f32_e32 v44, v39, v42
	v_add_f32_e32 v3, v3, v44
	ds_read2_b64 v[44:47], v2 offset0:73 offset1:74
	s_waitcnt vmcnt(1) lgkmcnt(0)
	v_mul_f32_e32 v52, v44, v49
	v_fmac_f32_e32 v52, v45, v48
	v_add_f32_e32 v73, v3, v52
	ds_read2_b64 v[52:55], v2 offset0:75 offset1:76
	scratch_load_dwordx4 v[60:63], off, off offset:280
	scratch_load_dwordx4 v[64:67], off, off offset:296
	;; [unrolled: 1-line block ×3, first 2 shown]
	scratch_load_dwordx2 v[78:79], off, off offset:328
	v_mul_f32_e32 v3, v5, v9
	v_fma_f32 v3, v4, v8, -v3
	v_mul_f32_e32 v4, v7, v11
	v_add_f32_e32 v3, 0, v3
	v_fma_f32 v4, v6, v10, -v4
	v_add_f32_e32 v3, v3, v4
	v_mul_f32_e32 v4, v13, v17
	v_fma_f32 v4, v12, v16, -v4
	v_add_f32_e32 v3, v3, v4
	v_mul_f32_e32 v4, v15, v19
	;; [unrolled: 3-line block ×9, first 2 shown]
	v_fma_f32 v4, v44, v48, -v4
	v_mul_f32_e32 v75, v46, v51
	v_add_f32_e32 v72, v3, v4
	v_mul_f32_e32 v3, v47, v51
	s_waitcnt vmcnt(4)
	v_mov_b32_e32 v20, v59
	v_fmac_f32_e32 v75, v47, v50
	s_waitcnt lgkmcnt(0)
	v_mul_f32_e32 v77, v52, v57
	v_fma_f32 v74, v46, v50, -v3
	v_mul_f32_e32 v3, v53, v57
	ds_read2_b64 v[4:7], v2 offset0:77 offset1:78
	ds_read2_b64 v[8:11], v2 offset0:79 offset1:80
	;; [unrolled: 1-line block ×3, first 2 shown]
	ds_read_b64 v[16:17], v2 offset:664
	v_pk_mul_f32 v[20:21], v[54:55], v[20:21] op_sel:[1,0] op_sel_hi:[0,0]
	v_fmac_f32_e32 v77, v53, v56
	v_fma_f32 v76, v52, v56, -v3
	v_pk_add_f32 v[18:19], v[72:73], v[74:75]
	v_pk_fma_f32 v[22:23], v[54:55], v[58:59], v[20:21] neg_lo:[0,0,1] neg_hi:[0,0,1]
	v_pk_fma_f32 v[20:21], v[54:55], v[58:59], v[20:21] op_sel_hi:[1,0,1]
	v_pk_add_f32 v[18:19], v[18:19], v[76:77]
	v_mov_b32_e32 v23, v21
	v_pk_add_f32 v[18:19], v[18:19], v[22:23]
	s_waitcnt vmcnt(3) lgkmcnt(3)
	v_pk_mul_f32 v[20:21], v[4:5], v[60:61] op_sel:[1,1] op_sel_hi:[0,1]
	v_pk_fma_f32 v[22:23], v[4:5], v[60:61], v[20:21] neg_lo:[0,0,1] neg_hi:[0,0,1]
	v_pk_fma_f32 v[4:5], v[4:5], v[60:61], v[20:21] op_sel_hi:[1,0,1]
	s_nop 0
	v_mov_b32_e32 v23, v5
	v_pk_add_f32 v[4:5], v[18:19], v[22:23]
	v_mov_b32_e32 v18, v63
	v_pk_mul_f32 v[18:19], v[6:7], v[18:19] op_sel:[1,0] op_sel_hi:[0,0]
	v_pk_fma_f32 v[20:21], v[6:7], v[62:63], v[18:19] neg_lo:[0,0,1] neg_hi:[0,0,1]
	v_pk_fma_f32 v[6:7], v[6:7], v[62:63], v[18:19] op_sel_hi:[1,0,1]
	s_nop 0
	v_mov_b32_e32 v21, v7
	s_waitcnt vmcnt(2) lgkmcnt(2)
	v_pk_mul_f32 v[6:7], v[8:9], v[64:65] op_sel:[1,1] op_sel_hi:[0,1]
	v_pk_fma_f32 v[18:19], v[8:9], v[64:65], v[6:7] neg_lo:[0,0,1] neg_hi:[0,0,1]
	v_pk_fma_f32 v[6:7], v[8:9], v[64:65], v[6:7] op_sel_hi:[1,0,1]
	v_pk_add_f32 v[4:5], v[4:5], v[20:21]
	v_mov_b32_e32 v6, v67
	v_mov_b32_e32 v19, v7
	v_pk_mul_f32 v[6:7], v[10:11], v[6:7] op_sel:[1,0] op_sel_hi:[0,0]
	v_pk_fma_f32 v[8:9], v[10:11], v[66:67], v[6:7] neg_lo:[0,0,1] neg_hi:[0,0,1]
	v_pk_fma_f32 v[6:7], v[10:11], v[66:67], v[6:7] op_sel_hi:[1,0,1]
	v_pk_add_f32 v[4:5], v[4:5], v[18:19]
	v_mov_b32_e32 v9, v7
	s_waitcnt vmcnt(1) lgkmcnt(1)
	v_pk_mul_f32 v[6:7], v[12:13], v[68:69] op_sel:[1,1] op_sel_hi:[0,1]
	v_pk_add_f32 v[4:5], v[4:5], v[8:9]
	v_pk_fma_f32 v[8:9], v[12:13], v[68:69], v[6:7] neg_lo:[0,0,1] neg_hi:[0,0,1]
	v_pk_fma_f32 v[6:7], v[12:13], v[68:69], v[6:7] op_sel_hi:[1,0,1]
	s_nop 0
	v_mov_b32_e32 v6, v71
	v_mov_b32_e32 v9, v7
	v_pk_mul_f32 v[6:7], v[14:15], v[6:7] op_sel:[1,0] op_sel_hi:[0,0]
	v_pk_add_f32 v[4:5], v[4:5], v[8:9]
	v_pk_fma_f32 v[8:9], v[14:15], v[70:71], v[6:7] neg_lo:[0,0,1] neg_hi:[0,0,1]
	v_pk_fma_f32 v[6:7], v[14:15], v[70:71], v[6:7] op_sel_hi:[1,0,1]
	s_nop 0
	v_mov_b32_e32 v9, v7
	s_waitcnt vmcnt(0) lgkmcnt(0)
	v_pk_mul_f32 v[6:7], v[16:17], v[78:79] op_sel:[1,1] op_sel_hi:[0,1]
	v_pk_add_f32 v[4:5], v[4:5], v[8:9]
	v_pk_fma_f32 v[8:9], v[16:17], v[78:79], v[6:7] neg_lo:[0,0,1] neg_hi:[0,0,1]
	v_pk_fma_f32 v[6:7], v[16:17], v[78:79], v[6:7] op_sel_hi:[1,0,1]
	s_nop 0
	v_mov_b32_e32 v9, v7
	scratch_load_dwordx2 v[6:7], off, off offset:160
	v_pk_add_f32 v[4:5], v[4:5], v[8:9]
	s_waitcnt vmcnt(0)
	v_pk_add_f32 v[4:5], v[6:7], v[4:5] neg_lo:[0,1] neg_hi:[0,1]
	scratch_store_dwordx2 off, v[4:5], off offset:160
	s_and_saveexec_b64 s[0:1], vcc
	s_cbranch_execz .LBB41_227
; %bb.226:
	scratch_load_dwordx2 v[4:5], off, off offset:152
	v_mov_b32_e32 v3, v2
	scratch_store_dwordx2 off, v[2:3], off offset:152
	s_waitcnt vmcnt(1)
	ds_write_b64 v1, v[4:5]
.LBB41_227:
	s_or_b64 exec, exec, s[0:1]
	s_waitcnt lgkmcnt(0)
	; wave barrier
	ds_read_b128 v[4:7], v2 offset:496
	ds_read_b128 v[8:11], v2 offset:512
	;; [unrolled: 1-line block ×4, first 2 shown]
	scratch_load_dwordx4 v[20:23], off, off offset:160
	scratch_load_dwordx4 v[40:43], off, off offset:224
	v_cmp_lt_u32_e32 vcc, 18, v0
	scratch_load_dwordx4 v[48:51], off, off offset:240
	scratch_load_dwordx4 v[56:59], off, off offset:256
	s_waitcnt vmcnt(3) lgkmcnt(3)
	v_mul_f32_e32 v3, v4, v21
	v_fmac_f32_e32 v3, v5, v20
	v_mul_f32_e32 v24, v6, v23
	v_add_f32_e32 v3, 0, v3
	v_fmac_f32_e32 v24, v7, v22
	v_add_f32_e32 v3, v3, v24
	scratch_load_dwordx4 v[24:27], off, off offset:176
	s_waitcnt vmcnt(0) lgkmcnt(2)
	v_mul_f32_e32 v28, v8, v25
	v_fmac_f32_e32 v28, v9, v24
	v_add_f32_e32 v3, v3, v28
	v_mul_f32_e32 v28, v10, v27
	v_fmac_f32_e32 v28, v11, v26
	v_add_f32_e32 v3, v3, v28
	scratch_load_dwordx4 v[28:31], off, off offset:192
	s_waitcnt vmcnt(0) lgkmcnt(1)
	v_mul_f32_e32 v32, v12, v29
	v_fmac_f32_e32 v32, v13, v28
	v_add_f32_e32 v3, v3, v32
	v_mul_f32_e32 v32, v14, v31
	;; [unrolled: 8-line block ×3, first 2 shown]
	v_fmac_f32_e32 v36, v19, v34
	v_add_f32_e32 v3, v3, v36
	ds_read_b128 v[36:39], v2 offset:560
	s_waitcnt lgkmcnt(0)
	v_mul_f32_e32 v44, v36, v41
	v_fmac_f32_e32 v44, v37, v40
	v_add_f32_e32 v3, v3, v44
	v_mul_f32_e32 v44, v38, v43
	v_fmac_f32_e32 v44, v39, v42
	v_add_f32_e32 v3, v3, v44
	ds_read_b128 v[44:47], v2 offset:576
	s_waitcnt lgkmcnt(0)
	v_mul_f32_e32 v52, v44, v49
	v_fmac_f32_e32 v52, v45, v48
	v_add_f32_e32 v3, v3, v52
	v_mul_f32_e32 v52, v46, v51
	v_fmac_f32_e32 v52, v47, v50
	v_add_f32_e32 v77, v3, v52
	ds_read_b128 v[52:55], v2 offset:592
	scratch_load_dwordx4 v[60:63], off, off offset:272
	scratch_load_dwordx4 v[64:67], off, off offset:288
	;; [unrolled: 1-line block ×4, first 2 shown]
	v_mul_f32_e32 v3, v5, v21
	v_fma_f32 v3, v4, v20, -v3
	v_mul_f32_e32 v4, v7, v23
	v_add_f32_e32 v3, 0, v3
	v_fma_f32 v4, v6, v22, -v4
	v_add_f32_e32 v3, v3, v4
	v_mul_f32_e32 v4, v9, v25
	v_fma_f32 v4, v8, v24, -v4
	v_add_f32_e32 v3, v3, v4
	v_mul_f32_e32 v4, v11, v27
	;; [unrolled: 3-line block ×10, first 2 shown]
	v_fma_f32 v4, v46, v50, -v4
	v_add_f32_e32 v76, v3, v4
	ds_read_b128 v[4:7], v2 offset:608
	ds_read_b128 v[8:11], v2 offset:624
	;; [unrolled: 1-line block ×4, first 2 shown]
	s_waitcnt lgkmcnt(4)
	v_mul_f32_e32 v79, v52, v57
	v_mul_f32_e32 v3, v53, v57
	v_fmac_f32_e32 v79, v53, v56
	v_mul_f32_e32 v81, v54, v59
	v_fma_f32 v78, v52, v56, -v3
	v_mul_f32_e32 v3, v55, v59
	v_fmac_f32_e32 v81, v55, v58
	v_fma_f32 v80, v54, v58, -v3
	v_pk_add_f32 v[2:3], v[76:77], v[78:79]
	s_waitcnt vmcnt(3) lgkmcnt(3)
	v_pk_mul_f32 v[20:21], v[4:5], v[60:61] op_sel:[1,1] op_sel_hi:[0,1]
	v_pk_fma_f32 v[22:23], v[4:5], v[60:61], v[20:21] neg_lo:[0,0,1] neg_hi:[0,0,1]
	v_pk_fma_f32 v[4:5], v[4:5], v[60:61], v[20:21] op_sel_hi:[1,0,1]
	v_pk_add_f32 v[2:3], v[2:3], v[80:81]
	v_mov_b32_e32 v4, v63
	v_mov_b32_e32 v23, v5
	v_pk_mul_f32 v[4:5], v[6:7], v[4:5] op_sel:[1,0] op_sel_hi:[0,0]
	v_pk_fma_f32 v[20:21], v[6:7], v[62:63], v[4:5] neg_lo:[0,0,1] neg_hi:[0,0,1]
	v_pk_fma_f32 v[4:5], v[6:7], v[62:63], v[4:5] op_sel_hi:[1,0,1]
	v_pk_add_f32 v[2:3], v[2:3], v[22:23]
	v_mov_b32_e32 v21, v5
	s_waitcnt vmcnt(2) lgkmcnt(2)
	v_pk_mul_f32 v[4:5], v[8:9], v[64:65] op_sel:[1,1] op_sel_hi:[0,1]
	v_pk_fma_f32 v[6:7], v[8:9], v[64:65], v[4:5] neg_lo:[0,0,1] neg_hi:[0,0,1]
	v_pk_fma_f32 v[4:5], v[8:9], v[64:65], v[4:5] op_sel_hi:[1,0,1]
	v_pk_add_f32 v[2:3], v[2:3], v[20:21]
	v_mov_b32_e32 v4, v67
	v_mov_b32_e32 v7, v5
	v_pk_mul_f32 v[4:5], v[10:11], v[4:5] op_sel:[1,0] op_sel_hi:[0,0]
	v_pk_add_f32 v[2:3], v[2:3], v[6:7]
	v_pk_fma_f32 v[6:7], v[10:11], v[66:67], v[4:5] neg_lo:[0,0,1] neg_hi:[0,0,1]
	v_pk_fma_f32 v[4:5], v[10:11], v[66:67], v[4:5] op_sel_hi:[1,0,1]
	s_nop 0
	v_mov_b32_e32 v7, v5
	s_waitcnt vmcnt(1) lgkmcnt(1)
	v_pk_mul_f32 v[4:5], v[12:13], v[68:69] op_sel:[1,1] op_sel_hi:[0,1]
	v_pk_add_f32 v[2:3], v[2:3], v[6:7]
	v_pk_fma_f32 v[6:7], v[12:13], v[68:69], v[4:5] neg_lo:[0,0,1] neg_hi:[0,0,1]
	v_pk_fma_f32 v[4:5], v[12:13], v[68:69], v[4:5] op_sel_hi:[1,0,1]
	s_nop 0
	v_mov_b32_e32 v4, v71
	v_mov_b32_e32 v7, v5
	v_pk_mul_f32 v[4:5], v[14:15], v[4:5] op_sel:[1,0] op_sel_hi:[0,0]
	v_pk_add_f32 v[2:3], v[2:3], v[6:7]
	v_pk_fma_f32 v[6:7], v[14:15], v[70:71], v[4:5] neg_lo:[0,0,1] neg_hi:[0,0,1]
	v_pk_fma_f32 v[4:5], v[14:15], v[70:71], v[4:5] op_sel_hi:[1,0,1]
	s_nop 0
	v_mov_b32_e32 v7, v5
	s_waitcnt vmcnt(0) lgkmcnt(0)
	v_pk_mul_f32 v[4:5], v[16:17], v[72:73] op_sel:[1,1] op_sel_hi:[0,1]
	v_pk_add_f32 v[2:3], v[2:3], v[6:7]
	v_pk_fma_f32 v[6:7], v[16:17], v[72:73], v[4:5] neg_lo:[0,0,1] neg_hi:[0,0,1]
	v_pk_fma_f32 v[4:5], v[16:17], v[72:73], v[4:5] op_sel_hi:[1,0,1]
	s_nop 0
	v_mov_b32_e32 v4, v75
	v_mov_b32_e32 v7, v5
	v_pk_mul_f32 v[4:5], v[18:19], v[4:5] op_sel:[1,0] op_sel_hi:[0,0]
	v_pk_add_f32 v[2:3], v[2:3], v[6:7]
	v_pk_fma_f32 v[6:7], v[18:19], v[74:75], v[4:5] neg_lo:[0,0,1] neg_hi:[0,0,1]
	v_pk_fma_f32 v[4:5], v[18:19], v[74:75], v[4:5] op_sel_hi:[1,0,1]
	s_nop 0
	v_mov_b32_e32 v7, v5
	scratch_load_dwordx2 v[4:5], off, off offset:152
	v_pk_add_f32 v[2:3], v[2:3], v[6:7]
	s_waitcnt vmcnt(0)
	v_pk_add_f32 v[2:3], v[4:5], v[2:3] neg_lo:[0,1] neg_hi:[0,1]
	scratch_store_dwordx2 off, v[2:3], off offset:152
	s_and_saveexec_b64 s[0:1], vcc
	s_cbranch_execz .LBB41_229
; %bb.228:
	scratch_load_dwordx2 v[2:3], off, off offset:144
	v_mov_b32_e32 v4, 0
	v_mov_b32_e32 v5, v4
	scratch_store_dwordx2 off, v[4:5], off offset:144
	s_waitcnt vmcnt(1)
	ds_write_b64 v1, v[2:3]
.LBB41_229:
	s_or_b64 exec, exec, s[0:1]
	s_waitcnt lgkmcnt(0)
	; wave barrier
	scratch_load_dwordx4 v[2:5], off, off offset:152
	scratch_load_dwordx4 v[14:17], off, off offset:168
	;; [unrolled: 1-line block ×11, first 2 shown]
	scratch_load_dwordx2 v[22:23], off, off offset:328
	scratch_load_dwordx2 v[36:37], off, off offset:144
	v_mov_b32_e32 v38, 0
	ds_read2_b64 v[52:55], v38 offset0:61 offset1:62
	ds_read2_b64 v[56:59], v38 offset0:63 offset1:64
	;; [unrolled: 1-line block ×8, first 2 shown]
	v_cmp_lt_u32_e32 vcc, 17, v0
	s_waitcnt vmcnt(12) lgkmcnt(7)
	v_mul_f32_e32 v39, v52, v3
	v_mul_f32_e32 v84, v54, v5
	;; [unrolled: 1-line block ×3, first 2 shown]
	v_fmac_f32_e32 v39, v53, v2
	s_waitcnt vmcnt(8) lgkmcnt(3)
	v_mul_f32_e32 v93, v68, v19
	v_mul_f32_e32 v19, v69, v19
	;; [unrolled: 1-line block ×4, first 2 shown]
	v_fmac_f32_e32 v84, v55, v4
	v_fmac_f32_e32 v93, v69, v18
	v_fma_f32 v2, v52, v2, -v3
	v_fma_f32 v18, v68, v18, -v19
	v_add_f32_e32 v19, 0, v39
	v_mul_f32_e32 v88, v58, v17
	v_fmac_f32_e32 v86, v57, v14
	v_fma_f32 v3, v54, v4, -v5
	v_add_f32_e32 v2, 0, v2
	v_add_f32_e32 v19, v19, v84
	v_mul_f32_e32 v89, v60, v25
	v_fmac_f32_e32 v88, v59, v16
	v_add_f32_e32 v2, v2, v3
	v_add_f32_e32 v3, v19, v86
	v_mul_f32_e32 v90, v62, v27
	v_fmac_f32_e32 v89, v61, v24
	v_add_f32_e32 v3, v3, v88
	v_mul_f32_e32 v91, v64, v29
	v_mul_f32_e32 v15, v57, v15
	v_fmac_f32_e32 v90, v63, v26
	v_add_f32_e32 v3, v3, v89
	v_mul_f32_e32 v92, v66, v31
	v_mul_f32_e32 v17, v59, v17
	v_fmac_f32_e32 v91, v65, v28
	v_fma_f32 v4, v56, v14, -v15
	v_add_f32_e32 v3, v3, v90
	v_mul_f32_e32 v25, v61, v25
	v_fmac_f32_e32 v92, v67, v30
	v_fma_f32 v5, v58, v16, -v17
	v_add_f32_e32 v2, v2, v4
	v_add_f32_e32 v3, v3, v91
	v_mul_f32_e32 v94, v70, v21
	v_mul_f32_e32 v27, v63, v27
	v_fma_f32 v14, v60, v24, -v25
	v_add_f32_e32 v2, v2, v5
	v_add_f32_e32 v3, v3, v92
	s_waitcnt vmcnt(7) lgkmcnt(2)
	v_mul_f32_e32 v95, v72, v33
	v_mul_f32_e32 v29, v65, v29
	v_fmac_f32_e32 v94, v71, v20
	v_fma_f32 v15, v62, v26, -v27
	v_add_f32_e32 v2, v2, v14
	v_add_f32_e32 v3, v3, v93
	v_mul_f32_e32 v96, v74, v35
	v_mul_f32_e32 v31, v67, v31
	v_fmac_f32_e32 v95, v73, v32
	v_fma_f32 v16, v64, v28, -v29
	v_add_f32_e32 v2, v2, v15
	v_add_f32_e32 v3, v3, v94
	s_waitcnt vmcnt(6) lgkmcnt(1)
	v_mul_f32_e32 v97, v76, v41
	v_fmac_f32_e32 v96, v75, v34
	v_fma_f32 v17, v66, v30, -v31
	v_add_f32_e32 v2, v2, v16
	v_add_f32_e32 v3, v3, v95
	v_mul_f32_e32 v21, v71, v21
	v_fmac_f32_e32 v97, v77, v40
	v_add_f32_e32 v2, v2, v17
	v_add_f32_e32 v3, v3, v96
	;; [unrolled: 1-line block ×4, first 2 shown]
	v_fma_f32 v3, v70, v20, -v21
	v_add_f32_e32 v2, v2, v3
	v_mul_f32_e32 v3, v73, v33
	v_fma_f32 v3, v72, v32, -v3
	v_add_f32_e32 v2, v2, v3
	v_mul_f32_e32 v3, v75, v35
	;; [unrolled: 3-line block ×4, first 2 shown]
	v_mul_f32_e32 v85, v78, v43
	v_fma_f32 v84, v78, v42, -v2
	s_waitcnt vmcnt(5) lgkmcnt(0)
	v_mul_f32_e32 v2, v81, v45
	v_mov_b32_e32 v28, v47
	v_mul_f32_e32 v87, v80, v45
	v_fmac_f32_e32 v85, v79, v42
	v_fma_f32 v86, v80, v44, -v2
	ds_read2_b64 v[2:5], v38 offset0:77 offset1:78
	ds_read2_b64 v[14:17], v38 offset0:79 offset1:80
	;; [unrolled: 1-line block ×3, first 2 shown]
	ds_read_b64 v[26:27], v38 offset:664
	v_pk_mul_f32 v[28:29], v[82:83], v[28:29] op_sel:[1,0] op_sel_hi:[0,0]
	v_fmac_f32_e32 v87, v81, v44
	v_pk_add_f32 v[24:25], v[24:25], v[84:85]
	v_pk_fma_f32 v[30:31], v[82:83], v[46:47], v[28:29] neg_lo:[0,0,1] neg_hi:[0,0,1]
	v_pk_fma_f32 v[28:29], v[82:83], v[46:47], v[28:29] op_sel_hi:[1,0,1]
	v_pk_add_f32 v[24:25], v[24:25], v[86:87]
	v_mov_b32_e32 v31, v29
	s_waitcnt vmcnt(4) lgkmcnt(3)
	v_pk_mul_f32 v[28:29], v[2:3], v[48:49] op_sel:[1,1] op_sel_hi:[0,1]
	v_pk_add_f32 v[24:25], v[24:25], v[30:31]
	v_pk_fma_f32 v[30:31], v[2:3], v[48:49], v[28:29] neg_lo:[0,0,1] neg_hi:[0,0,1]
	v_pk_fma_f32 v[2:3], v[2:3], v[48:49], v[28:29] op_sel_hi:[1,0,1]
	s_nop 0
	v_mov_b32_e32 v31, v3
	v_pk_add_f32 v[2:3], v[24:25], v[30:31]
	v_mov_b32_e32 v24, v51
	v_pk_mul_f32 v[24:25], v[4:5], v[24:25] op_sel:[1,0] op_sel_hi:[0,0]
	v_pk_fma_f32 v[28:29], v[4:5], v[50:51], v[24:25] neg_lo:[0,0,1] neg_hi:[0,0,1]
	v_pk_fma_f32 v[4:5], v[4:5], v[50:51], v[24:25] op_sel_hi:[1,0,1]
	s_nop 0
	v_mov_b32_e32 v29, v5
	s_waitcnt vmcnt(3) lgkmcnt(2)
	v_pk_mul_f32 v[4:5], v[14:15], v[10:11] op_sel:[1,1] op_sel_hi:[0,1]
	v_pk_fma_f32 v[24:25], v[14:15], v[10:11], v[4:5] neg_lo:[0,0,1] neg_hi:[0,0,1]
	v_pk_fma_f32 v[4:5], v[14:15], v[10:11], v[4:5] op_sel_hi:[1,0,1]
	v_pk_add_f32 v[2:3], v[2:3], v[28:29]
	v_mov_b32_e32 v4, v13
	v_mov_b32_e32 v25, v5
	v_pk_mul_f32 v[4:5], v[16:17], v[4:5] op_sel:[1,0] op_sel_hi:[0,0]
	v_pk_fma_f32 v[10:11], v[16:17], v[12:13], v[4:5] neg_lo:[0,0,1] neg_hi:[0,0,1]
	v_pk_fma_f32 v[4:5], v[16:17], v[12:13], v[4:5] op_sel_hi:[1,0,1]
	v_pk_add_f32 v[2:3], v[2:3], v[24:25]
	v_mov_b32_e32 v11, v5
	s_waitcnt vmcnt(2) lgkmcnt(1)
	v_pk_mul_f32 v[4:5], v[18:19], v[6:7] op_sel:[1,1] op_sel_hi:[0,1]
	v_pk_add_f32 v[2:3], v[2:3], v[10:11]
	v_pk_fma_f32 v[10:11], v[18:19], v[6:7], v[4:5] neg_lo:[0,0,1] neg_hi:[0,0,1]
	v_pk_fma_f32 v[4:5], v[18:19], v[6:7], v[4:5] op_sel_hi:[1,0,1]
	s_nop 0
	v_mov_b32_e32 v4, v9
	v_mov_b32_e32 v11, v5
	v_pk_mul_f32 v[4:5], v[20:21], v[4:5] op_sel:[1,0] op_sel_hi:[0,0]
	v_pk_fma_f32 v[6:7], v[20:21], v[8:9], v[4:5] neg_lo:[0,0,1] neg_hi:[0,0,1]
	v_pk_fma_f32 v[4:5], v[20:21], v[8:9], v[4:5] op_sel_hi:[1,0,1]
	v_pk_add_f32 v[2:3], v[2:3], v[10:11]
	v_mov_b32_e32 v7, v5
	s_waitcnt vmcnt(1) lgkmcnt(0)
	v_pk_mul_f32 v[4:5], v[26:27], v[22:23] op_sel:[1,1] op_sel_hi:[0,1]
	v_pk_add_f32 v[2:3], v[2:3], v[6:7]
	v_pk_fma_f32 v[6:7], v[26:27], v[22:23], v[4:5] neg_lo:[0,0,1] neg_hi:[0,0,1]
	v_pk_fma_f32 v[4:5], v[26:27], v[22:23], v[4:5] op_sel_hi:[1,0,1]
	s_nop 0
	v_mov_b32_e32 v7, v5
	v_pk_add_f32 v[2:3], v[2:3], v[6:7]
	s_waitcnt vmcnt(0)
	v_pk_add_f32 v[2:3], v[36:37], v[2:3] neg_lo:[0,1] neg_hi:[0,1]
	scratch_store_dwordx2 off, v[2:3], off offset:144
	s_and_saveexec_b64 s[0:1], vcc
	s_cbranch_execz .LBB41_231
; %bb.230:
	scratch_load_dwordx2 v[2:3], off, off offset:136
	v_mov_b32_e32 v39, v38
	scratch_store_dwordx2 off, v[38:39], off offset:136
	s_waitcnt vmcnt(1)
	ds_write_b64 v1, v[2:3]
.LBB41_231:
	s_or_b64 exec, exec, s[0:1]
	s_waitcnt lgkmcnt(0)
	; wave barrier
	scratch_load_dwordx4 v[6:9], off, off offset:144
	scratch_load_dwordx4 v[18:21], off, off offset:160
	;; [unrolled: 1-line block ×8, first 2 shown]
	ds_read_b128 v[48:51], v38 offset:480
	ds_read_b128 v[52:55], v38 offset:496
	;; [unrolled: 1-line block ×8, first 2 shown]
	scratch_load_dwordx4 v[80:83], off, off offset:272
	scratch_load_dwordx4 v[26:29], off, off offset:288
	;; [unrolled: 1-line block ×4, first 2 shown]
	scratch_load_dwordx2 v[84:85], off, off offset:136
	v_cmp_lt_u32_e32 vcc, 16, v0
	s_waitcnt vmcnt(12) lgkmcnt(7)
	v_mul_f32_e32 v39, v48, v7
	v_mul_f32_e32 v86, v50, v9
	;; [unrolled: 1-line block ×3, first 2 shown]
	v_fmac_f32_e32 v39, v49, v6
	s_waitcnt vmcnt(8) lgkmcnt(3)
	v_mul_f32_e32 v95, v64, v15
	v_mul_f32_e32 v15, v65, v15
	;; [unrolled: 1-line block ×4, first 2 shown]
	v_fmac_f32_e32 v86, v51, v8
	v_fmac_f32_e32 v95, v65, v14
	v_fma_f32 v6, v48, v6, -v7
	v_fma_f32 v14, v64, v14, -v15
	v_add_f32_e32 v15, 0, v39
	v_mul_f32_e32 v90, v54, v21
	v_fmac_f32_e32 v88, v53, v18
	v_fma_f32 v7, v50, v8, -v9
	v_add_f32_e32 v6, 0, v6
	v_add_f32_e32 v15, v15, v86
	v_mul_f32_e32 v91, v56, v35
	v_fmac_f32_e32 v90, v55, v20
	v_add_f32_e32 v6, v6, v7
	v_add_f32_e32 v7, v15, v88
	v_mul_f32_e32 v92, v58, v37
	v_fmac_f32_e32 v91, v57, v34
	v_add_f32_e32 v7, v7, v90
	v_mul_f32_e32 v93, v60, v41
	v_fmac_f32_e32 v92, v59, v36
	;; [unrolled: 3-line block ×4, first 2 shown]
	v_add_f32_e32 v7, v7, v93
	v_mul_f32_e32 v96, v66, v17
	v_mul_f32_e32 v21, v55, v21
	v_fma_f32 v8, v52, v18, -v19
	v_add_f32_e32 v7, v7, v94
	s_waitcnt vmcnt(7) lgkmcnt(2)
	v_mul_f32_e32 v97, v68, v23
	v_mul_f32_e32 v35, v57, v35
	v_fmac_f32_e32 v96, v67, v16
	v_fma_f32 v9, v54, v20, -v21
	v_add_f32_e32 v6, v6, v8
	v_add_f32_e32 v7, v7, v95
	v_mul_f32_e32 v98, v70, v25
	v_mul_f32_e32 v37, v59, v37
	v_fmac_f32_e32 v97, v69, v22
	v_fma_f32 v18, v56, v34, -v35
	v_add_f32_e32 v6, v6, v9
	v_add_f32_e32 v7, v7, v96
	s_waitcnt vmcnt(6) lgkmcnt(1)
	v_mul_f32_e32 v99, v72, v31
	v_mul_f32_e32 v41, v61, v41
	v_fmac_f32_e32 v98, v71, v24
	v_fma_f32 v19, v58, v36, -v37
	v_add_f32_e32 v6, v6, v18
	v_add_f32_e32 v7, v7, v97
	v_mul_f32_e32 v100, v74, v33
	v_mul_f32_e32 v43, v63, v43
	v_fmac_f32_e32 v99, v73, v30
	v_fma_f32 v20, v60, v40, -v41
	v_add_f32_e32 v6, v6, v19
	v_add_f32_e32 v7, v7, v98
	v_fmac_f32_e32 v100, v75, v32
	v_fma_f32 v21, v62, v42, -v43
	v_add_f32_e32 v6, v6, v20
	v_add_f32_e32 v7, v7, v99
	;; [unrolled: 1-line block ×4, first 2 shown]
	v_mul_f32_e32 v7, v67, v17
	v_add_f32_e32 v6, v6, v14
	v_fma_f32 v7, v66, v16, -v7
	v_add_f32_e32 v6, v6, v7
	v_mul_f32_e32 v7, v69, v23
	v_fma_f32 v7, v68, v22, -v7
	v_add_f32_e32 v6, v6, v7
	v_mul_f32_e32 v7, v71, v25
	;; [unrolled: 3-line block ×4, first 2 shown]
	v_fma_f32 v7, v74, v32, -v7
	v_add_f32_e32 v34, v6, v7
	s_waitcnt vmcnt(5) lgkmcnt(0)
	v_mul_f32_e32 v6, v77, v45
	v_fma_f32 v86, v76, v44, -v6
	v_mul_f32_e32 v6, v79, v47
	v_fma_f32 v88, v78, v46, -v6
	ds_read_b128 v[6:9], v38 offset:608
	ds_read_b128 v[14:17], v38 offset:624
	;; [unrolled: 1-line block ×4, first 2 shown]
	v_mul_f32_e32 v87, v76, v45
	v_mul_f32_e32 v89, v78, v47
	v_fmac_f32_e32 v87, v77, v44
	s_waitcnt vmcnt(4) lgkmcnt(3)
	v_pk_mul_f32 v[32:33], v[6:7], v[80:81] op_sel:[1,1] op_sel_hi:[0,1]
	v_fmac_f32_e32 v89, v79, v46
	v_pk_add_f32 v[30:31], v[34:35], v[86:87]
	v_pk_fma_f32 v[34:35], v[6:7], v[80:81], v[32:33] neg_lo:[0,0,1] neg_hi:[0,0,1]
	v_pk_fma_f32 v[6:7], v[6:7], v[80:81], v[32:33] op_sel_hi:[1,0,1]
	v_pk_add_f32 v[30:31], v[30:31], v[88:89]
	v_mov_b32_e32 v35, v7
	v_pk_add_f32 v[6:7], v[30:31], v[34:35]
	v_mov_b32_e32 v30, v83
	v_pk_mul_f32 v[30:31], v[8:9], v[30:31] op_sel:[1,0] op_sel_hi:[0,0]
	v_pk_fma_f32 v[32:33], v[8:9], v[82:83], v[30:31] neg_lo:[0,0,1] neg_hi:[0,0,1]
	v_pk_fma_f32 v[8:9], v[8:9], v[82:83], v[30:31] op_sel_hi:[1,0,1]
	s_nop 0
	v_mov_b32_e32 v33, v9
	s_waitcnt vmcnt(3) lgkmcnt(2)
	v_pk_mul_f32 v[8:9], v[14:15], v[26:27] op_sel:[1,1] op_sel_hi:[0,1]
	v_pk_fma_f32 v[30:31], v[14:15], v[26:27], v[8:9] neg_lo:[0,0,1] neg_hi:[0,0,1]
	v_pk_fma_f32 v[8:9], v[14:15], v[26:27], v[8:9] op_sel_hi:[1,0,1]
	v_pk_add_f32 v[6:7], v[6:7], v[32:33]
	v_mov_b32_e32 v8, v29
	v_mov_b32_e32 v31, v9
	v_pk_mul_f32 v[8:9], v[16:17], v[8:9] op_sel:[1,0] op_sel_hi:[0,0]
	v_pk_fma_f32 v[14:15], v[16:17], v[28:29], v[8:9] neg_lo:[0,0,1] neg_hi:[0,0,1]
	v_pk_fma_f32 v[8:9], v[16:17], v[28:29], v[8:9] op_sel_hi:[1,0,1]
	v_pk_add_f32 v[6:7], v[6:7], v[30:31]
	v_mov_b32_e32 v15, v9
	s_waitcnt vmcnt(2) lgkmcnt(1)
	v_pk_mul_f32 v[8:9], v[18:19], v[10:11] op_sel:[1,1] op_sel_hi:[0,1]
	v_pk_add_f32 v[6:7], v[6:7], v[14:15]
	v_pk_fma_f32 v[14:15], v[18:19], v[10:11], v[8:9] neg_lo:[0,0,1] neg_hi:[0,0,1]
	v_pk_fma_f32 v[8:9], v[18:19], v[10:11], v[8:9] op_sel_hi:[1,0,1]
	s_nop 0
	v_mov_b32_e32 v8, v13
	v_mov_b32_e32 v15, v9
	v_pk_mul_f32 v[8:9], v[20:21], v[8:9] op_sel:[1,0] op_sel_hi:[0,0]
	v_pk_fma_f32 v[10:11], v[20:21], v[12:13], v[8:9] neg_lo:[0,0,1] neg_hi:[0,0,1]
	v_pk_fma_f32 v[8:9], v[20:21], v[12:13], v[8:9] op_sel_hi:[1,0,1]
	v_pk_add_f32 v[6:7], v[6:7], v[14:15]
	v_mov_b32_e32 v11, v9
	s_waitcnt vmcnt(1) lgkmcnt(0)
	v_pk_mul_f32 v[8:9], v[22:23], v[2:3] op_sel:[1,1] op_sel_hi:[0,1]
	v_pk_add_f32 v[6:7], v[6:7], v[10:11]
	v_pk_fma_f32 v[10:11], v[22:23], v[2:3], v[8:9] neg_lo:[0,0,1] neg_hi:[0,0,1]
	v_pk_fma_f32 v[2:3], v[22:23], v[2:3], v[8:9] op_sel_hi:[1,0,1]
	s_nop 0
	v_mov_b32_e32 v11, v3
	v_pk_add_f32 v[2:3], v[6:7], v[10:11]
	v_mov_b32_e32 v6, v5
	v_pk_mul_f32 v[6:7], v[24:25], v[6:7] op_sel:[1,0] op_sel_hi:[0,0]
	v_pk_fma_f32 v[8:9], v[24:25], v[4:5], v[6:7] neg_lo:[0,0,1] neg_hi:[0,0,1]
	v_pk_fma_f32 v[4:5], v[24:25], v[4:5], v[6:7] op_sel_hi:[1,0,1]
	s_nop 0
	v_mov_b32_e32 v9, v5
	v_pk_add_f32 v[2:3], v[2:3], v[8:9]
	s_waitcnt vmcnt(0)
	v_pk_add_f32 v[2:3], v[84:85], v[2:3] neg_lo:[0,1] neg_hi:[0,1]
	scratch_store_dwordx2 off, v[2:3], off offset:136
	s_and_saveexec_b64 s[0:1], vcc
	s_cbranch_execz .LBB41_233
; %bb.232:
	scratch_load_dwordx2 v[2:3], off, off offset:128
	v_mov_b32_e32 v4, 0
	v_mov_b32_e32 v5, v4
	scratch_store_dwordx2 off, v[4:5], off offset:128
	s_waitcnt vmcnt(1)
	ds_write_b64 v1, v[2:3]
.LBB41_233:
	s_or_b64 exec, exec, s[0:1]
	s_waitcnt lgkmcnt(0)
	; wave barrier
	scratch_load_dwordx4 v[2:5], off, off offset:136
	scratch_load_dwordx4 v[22:25], off, off offset:152
	;; [unrolled: 1-line block ×12, first 2 shown]
	scratch_load_dwordx2 v[50:51], off, off offset:328
	scratch_load_dwordx2 v[56:57], off, off offset:128
	v_mov_b32_e32 v58, 0
	ds_read2_b64 v[52:55], v58 offset0:59 offset1:60
	ds_read2_b64 v[60:63], v58 offset0:61 offset1:62
	;; [unrolled: 1-line block ×10, first 2 shown]
	v_cmp_lt_u32_e32 vcc, 15, v0
	s_waitcnt vmcnt(13) lgkmcnt(9)
	v_mul_f32_e32 v59, v52, v3
	v_mul_f32_e32 v96, v54, v5
	v_mul_f32_e32 v3, v53, v3
	s_waitcnt vmcnt(10) lgkmcnt(6)
	v_mul_f32_e32 v103, v68, v11
	v_mul_f32_e32 v11, v69, v11
	v_fmac_f32_e32 v59, v53, v2
	v_mul_f32_e32 v98, v60, v23
	v_mul_f32_e32 v5, v55, v5
	v_fmac_f32_e32 v96, v55, v4
	v_fmac_f32_e32 v103, v69, v10
	v_fma_f32 v2, v52, v2, -v3
	v_fma_f32 v10, v68, v10, -v11
	v_add_f32_e32 v11, 0, v59
	v_mul_f32_e32 v100, v62, v25
	v_fmac_f32_e32 v98, v61, v22
	v_fma_f32 v3, v54, v4, -v5
	v_add_f32_e32 v2, 0, v2
	v_add_f32_e32 v11, v11, v96
	v_mul_f32_e32 v101, v64, v39
	v_fmac_f32_e32 v100, v63, v24
	v_add_f32_e32 v2, v2, v3
	v_add_f32_e32 v3, v11, v98
	v_mul_f32_e32 v102, v66, v41
	v_fmac_f32_e32 v101, v65, v38
	v_add_f32_e32 v3, v3, v100
	v_fmac_f32_e32 v102, v67, v40
	v_add_f32_e32 v3, v3, v101
	v_mul_f32_e32 v104, v70, v13
	v_add_f32_e32 v3, v3, v102
	s_waitcnt vmcnt(9) lgkmcnt(5)
	v_mul_f32_e32 v105, v72, v15
	v_fmac_f32_e32 v104, v71, v12
	v_add_f32_e32 v3, v3, v103
	v_mul_f32_e32 v106, v74, v17
	v_fmac_f32_e32 v105, v73, v14
	v_add_f32_e32 v3, v3, v104
	s_waitcnt vmcnt(8) lgkmcnt(4)
	v_mul_f32_e32 v107, v76, v27
	v_fmac_f32_e32 v106, v75, v16
	v_add_f32_e32 v3, v3, v105
	v_mul_f32_e32 v108, v78, v29
	v_mul_f32_e32 v23, v61, v23
	v_fmac_f32_e32 v107, v77, v26
	v_add_f32_e32 v3, v3, v106
	s_waitcnt vmcnt(7) lgkmcnt(3)
	v_mul_f32_e32 v109, v80, v31
	v_mul_f32_e32 v25, v63, v25
	v_fmac_f32_e32 v108, v79, v28
	v_fma_f32 v4, v60, v22, -v23
	v_add_f32_e32 v3, v3, v107
	v_mul_f32_e32 v110, v82, v33
	v_mul_f32_e32 v39, v65, v39
	v_fmac_f32_e32 v109, v81, v30
	v_fma_f32 v5, v62, v24, -v25
	v_add_f32_e32 v2, v2, v4
	v_add_f32_e32 v3, v3, v108
	s_waitcnt vmcnt(6) lgkmcnt(2)
	v_mul_f32_e32 v111, v84, v43
	v_mul_f32_e32 v41, v67, v41
	v_fmac_f32_e32 v110, v83, v32
	v_fma_f32 v22, v64, v38, -v39
	v_add_f32_e32 v2, v2, v5
	v_add_f32_e32 v3, v3, v109
	v_fmac_f32_e32 v111, v85, v42
	v_fma_f32 v23, v66, v40, -v41
	v_add_f32_e32 v2, v2, v22
	v_add_f32_e32 v3, v3, v110
	;; [unrolled: 1-line block ×4, first 2 shown]
	v_mul_f32_e32 v3, v71, v13
	v_add_f32_e32 v2, v2, v10
	v_fma_f32 v3, v70, v12, -v3
	v_add_f32_e32 v2, v2, v3
	v_mul_f32_e32 v3, v73, v15
	v_fma_f32 v3, v72, v14, -v3
	v_add_f32_e32 v2, v2, v3
	v_mul_f32_e32 v3, v75, v17
	;; [unrolled: 3-line block ×7, first 2 shown]
	v_fma_f32 v3, v84, v42, -v3
	v_mul_f32_e32 v97, v86, v45
	v_add_f32_e32 v22, v2, v3
	v_mul_f32_e32 v2, v87, v45
	v_fmac_f32_e32 v97, v87, v44
	v_fma_f32 v96, v86, v44, -v2
	v_pk_add_f32 v[16:17], v[22:23], v[96:97]
	s_waitcnt vmcnt(5)
	v_mov_b32_e32 v22, v49
	s_waitcnt lgkmcnt(1)
	v_mul_f32_e32 v99, v88, v47
	v_mul_f32_e32 v2, v89, v47
	v_pk_mul_f32 v[22:23], v[90:91], v[22:23] op_sel:[1,0] op_sel_hi:[0,0]
	v_fmac_f32_e32 v99, v89, v46
	v_fma_f32 v98, v88, v46, -v2
	v_pk_fma_f32 v[24:25], v[90:91], v[48:49], v[22:23] neg_lo:[0,0,1] neg_hi:[0,0,1]
	v_pk_fma_f32 v[22:23], v[90:91], v[48:49], v[22:23] op_sel_hi:[1,0,1]
	v_pk_add_f32 v[16:17], v[16:17], v[98:99]
	v_mov_b32_e32 v25, v23
	s_waitcnt vmcnt(4) lgkmcnt(0)
	v_pk_mul_f32 v[22:23], v[92:93], v[34:35] op_sel:[1,1] op_sel_hi:[0,1]
	v_pk_add_f32 v[16:17], v[16:17], v[24:25]
	v_pk_fma_f32 v[24:25], v[92:93], v[34:35], v[22:23] neg_lo:[0,0,1] neg_hi:[0,0,1]
	v_pk_fma_f32 v[22:23], v[92:93], v[34:35], v[22:23] op_sel_hi:[1,0,1]
	ds_read2_b64 v[2:5], v58 offset0:79 offset1:80
	ds_read2_b64 v[10:13], v58 offset0:81 offset1:82
	ds_read_b64 v[14:15], v58 offset:664
	v_mov_b32_e32 v22, v37
	v_mov_b32_e32 v25, v23
	v_pk_mul_f32 v[22:23], v[94:95], v[22:23] op_sel:[1,0] op_sel_hi:[0,0]
	v_pk_add_f32 v[16:17], v[16:17], v[24:25]
	v_pk_fma_f32 v[24:25], v[94:95], v[36:37], v[22:23] neg_lo:[0,0,1] neg_hi:[0,0,1]
	v_pk_fma_f32 v[22:23], v[94:95], v[36:37], v[22:23] op_sel_hi:[1,0,1]
	s_nop 0
	v_mov_b32_e32 v25, v23
	s_waitcnt vmcnt(3) lgkmcnt(2)
	v_pk_mul_f32 v[22:23], v[2:3], v[18:19] op_sel:[1,1] op_sel_hi:[0,1]
	v_pk_add_f32 v[16:17], v[16:17], v[24:25]
	v_pk_fma_f32 v[24:25], v[2:3], v[18:19], v[22:23] neg_lo:[0,0,1] neg_hi:[0,0,1]
	v_pk_fma_f32 v[2:3], v[2:3], v[18:19], v[22:23] op_sel_hi:[1,0,1]
	s_nop 0
	v_mov_b32_e32 v25, v3
	v_pk_add_f32 v[2:3], v[16:17], v[24:25]
	v_mov_b32_e32 v16, v21
	v_pk_mul_f32 v[16:17], v[4:5], v[16:17] op_sel:[1,0] op_sel_hi:[0,0]
	v_pk_fma_f32 v[18:19], v[4:5], v[20:21], v[16:17] neg_lo:[0,0,1] neg_hi:[0,0,1]
	v_pk_fma_f32 v[4:5], v[4:5], v[20:21], v[16:17] op_sel_hi:[1,0,1]
	s_nop 0
	v_mov_b32_e32 v19, v5
	s_waitcnt vmcnt(2) lgkmcnt(1)
	v_pk_mul_f32 v[4:5], v[10:11], v[6:7] op_sel:[1,1] op_sel_hi:[0,1]
	v_pk_fma_f32 v[16:17], v[10:11], v[6:7], v[4:5] neg_lo:[0,0,1] neg_hi:[0,0,1]
	v_pk_fma_f32 v[4:5], v[10:11], v[6:7], v[4:5] op_sel_hi:[1,0,1]
	v_pk_add_f32 v[2:3], v[2:3], v[18:19]
	v_mov_b32_e32 v4, v9
	v_mov_b32_e32 v17, v5
	v_pk_mul_f32 v[4:5], v[12:13], v[4:5] op_sel:[1,0] op_sel_hi:[0,0]
	v_pk_fma_f32 v[6:7], v[12:13], v[8:9], v[4:5] neg_lo:[0,0,1] neg_hi:[0,0,1]
	v_pk_fma_f32 v[4:5], v[12:13], v[8:9], v[4:5] op_sel_hi:[1,0,1]
	v_pk_add_f32 v[2:3], v[2:3], v[16:17]
	v_mov_b32_e32 v7, v5
	s_waitcnt vmcnt(1) lgkmcnt(0)
	v_pk_mul_f32 v[4:5], v[14:15], v[50:51] op_sel:[1,1] op_sel_hi:[0,1]
	v_pk_add_f32 v[2:3], v[2:3], v[6:7]
	v_pk_fma_f32 v[6:7], v[14:15], v[50:51], v[4:5] neg_lo:[0,0,1] neg_hi:[0,0,1]
	v_pk_fma_f32 v[4:5], v[14:15], v[50:51], v[4:5] op_sel_hi:[1,0,1]
	s_nop 0
	v_mov_b32_e32 v7, v5
	v_pk_add_f32 v[2:3], v[2:3], v[6:7]
	s_waitcnt vmcnt(0)
	v_pk_add_f32 v[2:3], v[56:57], v[2:3] neg_lo:[0,1] neg_hi:[0,1]
	scratch_store_dwordx2 off, v[2:3], off offset:128
	s_and_saveexec_b64 s[0:1], vcc
	s_cbranch_execz .LBB41_235
; %bb.234:
	scratch_load_dwordx2 v[2:3], off, off offset:120
	v_mov_b32_e32 v59, v58
	scratch_store_dwordx2 off, v[58:59], off offset:120
	s_waitcnt vmcnt(1)
	ds_write_b64 v1, v[2:3]
.LBB41_235:
	s_or_b64 exec, exec, s[0:1]
	s_waitcnt lgkmcnt(0)
	; wave barrier
	scratch_load_dwordx4 v[10:13], off, off offset:128
	scratch_load_dwordx4 v[26:29], off, off offset:144
	;; [unrolled: 1-line block ×9, first 2 shown]
	ds_read_b128 v[60:63], v58 offset:464
	ds_read_b128 v[64:67], v58 offset:480
	;; [unrolled: 1-line block ×8, first 2 shown]
	scratch_load_dwordx4 v[50:53], off, off offset:272
	scratch_load_dwordx4 v[34:37], off, off offset:288
	scratch_load_dwordx4 v[22:25], off, off offset:304
	scratch_load_dwordx4 v[6:9], off, off offset:320
	ds_read_b128 v[88:91], v58 offset:592
	ds_read_b128 v[92:95], v58 offset:608
	scratch_load_dwordx2 v[96:97], off, off offset:120
	v_cmp_lt_u32_e32 vcc, 14, v0
	s_waitcnt vmcnt(13) lgkmcnt(9)
	v_mul_f32_e32 v59, v60, v11
	v_mul_f32_e32 v98, v62, v13
	v_fmac_f32_e32 v59, v61, v10
	s_waitcnt vmcnt(10) lgkmcnt(6)
	v_mul_f32_e32 v105, v72, v3
	v_mul_f32_e32 v3, v73, v3
	v_mul_f32_e32 v100, v64, v27
	v_fmac_f32_e32 v98, v63, v12
	v_fmac_f32_e32 v105, v73, v2
	v_fma_f32 v2, v72, v2, -v3
	v_add_f32_e32 v3, 0, v59
	v_mul_f32_e32 v102, v66, v29
	v_fmac_f32_e32 v100, v65, v26
	v_add_f32_e32 v3, v3, v98
	v_mul_f32_e32 v103, v68, v43
	v_fmac_f32_e32 v102, v67, v28
	;; [unrolled: 3-line block ×3, first 2 shown]
	v_add_f32_e32 v3, v3, v102
	v_fmac_f32_e32 v104, v71, v44
	v_add_f32_e32 v3, v3, v103
	v_mul_f32_e32 v106, v74, v5
	v_add_f32_e32 v3, v3, v104
	s_waitcnt vmcnt(9) lgkmcnt(5)
	v_mul_f32_e32 v107, v76, v15
	v_fmac_f32_e32 v106, v75, v4
	v_add_f32_e32 v3, v3, v105
	v_mul_f32_e32 v108, v78, v17
	v_fmac_f32_e32 v107, v77, v14
	v_add_f32_e32 v3, v3, v106
	s_waitcnt vmcnt(8) lgkmcnt(4)
	v_mul_f32_e32 v109, v80, v19
	v_mul_f32_e32 v11, v61, v11
	v_fmac_f32_e32 v108, v79, v16
	v_add_f32_e32 v3, v3, v107
	v_mul_f32_e32 v110, v82, v21
	v_mul_f32_e32 v13, v63, v13
	v_fmac_f32_e32 v109, v81, v18
	v_fma_f32 v10, v60, v10, -v11
	v_add_f32_e32 v3, v3, v108
	s_waitcnt vmcnt(7) lgkmcnt(3)
	v_mul_f32_e32 v111, v84, v31
	v_mul_f32_e32 v27, v65, v27
	v_fmac_f32_e32 v110, v83, v20
	v_fma_f32 v11, v62, v12, -v13
	v_add_f32_e32 v10, 0, v10
	v_add_f32_e32 v3, v3, v109
	v_mul_f32_e32 v112, v86, v33
	v_mul_f32_e32 v29, v67, v29
	v_fmac_f32_e32 v111, v85, v30
	v_fma_f32 v12, v64, v26, -v27
	v_add_f32_e32 v10, v10, v11
	v_add_f32_e32 v3, v3, v110
	s_waitcnt vmcnt(6) lgkmcnt(2)
	v_mul_f32_e32 v113, v54, v39
	v_mul_f32_e32 v43, v69, v43
	v_fmac_f32_e32 v112, v87, v32
	v_fma_f32 v13, v66, v28, -v29
	v_add_f32_e32 v10, v10, v12
	v_add_f32_e32 v3, v3, v111
	v_mul_f32_e32 v114, v56, v41
	v_mul_f32_e32 v45, v71, v45
	v_fmac_f32_e32 v113, v55, v38
	v_fma_f32 v26, v68, v42, -v43
	v_add_f32_e32 v10, v10, v13
	v_add_f32_e32 v3, v3, v112
	v_fmac_f32_e32 v114, v57, v40
	v_fma_f32 v27, v70, v44, -v45
	v_add_f32_e32 v10, v10, v26
	v_add_f32_e32 v3, v3, v113
	;; [unrolled: 1-line block ×4, first 2 shown]
	v_mul_f32_e32 v3, v75, v5
	v_add_f32_e32 v2, v10, v2
	v_fma_f32 v3, v74, v4, -v3
	v_add_f32_e32 v2, v2, v3
	v_mul_f32_e32 v3, v77, v15
	v_fma_f32 v3, v76, v14, -v3
	v_add_f32_e32 v2, v2, v3
	v_mul_f32_e32 v3, v79, v17
	;; [unrolled: 3-line block ×8, first 2 shown]
	v_fma_f32 v3, v56, v40, -v3
	s_waitcnt vmcnt(5) lgkmcnt(1)
	v_mul_f32_e32 v99, v88, v47
	v_add_f32_e32 v26, v2, v3
	v_mul_f32_e32 v2, v89, v47
	v_fmac_f32_e32 v99, v89, v46
	v_fma_f32 v98, v88, v46, -v2
	s_waitcnt vmcnt(4) lgkmcnt(0)
	v_pk_mul_f32 v[20:21], v[92:93], v[50:51] op_sel:[1,1] op_sel_hi:[0,1]
	v_mul_f32_e32 v101, v90, v49
	v_mul_f32_e32 v2, v91, v49
	v_pk_add_f32 v[18:19], v[26:27], v[98:99]
	v_pk_fma_f32 v[26:27], v[92:93], v[50:51], v[20:21] neg_lo:[0,0,1] neg_hi:[0,0,1]
	v_pk_fma_f32 v[20:21], v[92:93], v[50:51], v[20:21] op_sel_hi:[1,0,1]
	v_fmac_f32_e32 v101, v91, v48
	v_fma_f32 v100, v90, v48, -v2
	ds_read_b128 v[2:5], v58 offset:624
	ds_read_b128 v[10:13], v58 offset:640
	;; [unrolled: 1-line block ×3, first 2 shown]
	v_mov_b32_e32 v20, v53
	v_pk_add_f32 v[18:19], v[18:19], v[100:101]
	v_mov_b32_e32 v27, v21
	v_pk_mul_f32 v[20:21], v[94:95], v[20:21] op_sel:[1,0] op_sel_hi:[0,0]
	v_pk_add_f32 v[18:19], v[18:19], v[26:27]
	v_pk_fma_f32 v[26:27], v[94:95], v[52:53], v[20:21] neg_lo:[0,0,1] neg_hi:[0,0,1]
	v_pk_fma_f32 v[20:21], v[94:95], v[52:53], v[20:21] op_sel_hi:[1,0,1]
	s_nop 0
	v_mov_b32_e32 v27, v21
	s_waitcnt vmcnt(3) lgkmcnt(2)
	v_pk_mul_f32 v[20:21], v[2:3], v[34:35] op_sel:[1,1] op_sel_hi:[0,1]
	v_pk_add_f32 v[18:19], v[18:19], v[26:27]
	v_pk_fma_f32 v[26:27], v[2:3], v[34:35], v[20:21] neg_lo:[0,0,1] neg_hi:[0,0,1]
	v_pk_fma_f32 v[2:3], v[2:3], v[34:35], v[20:21] op_sel_hi:[1,0,1]
	s_nop 0
	v_mov_b32_e32 v27, v3
	v_pk_add_f32 v[2:3], v[18:19], v[26:27]
	v_mov_b32_e32 v18, v37
	v_pk_mul_f32 v[18:19], v[4:5], v[18:19] op_sel:[1,0] op_sel_hi:[0,0]
	v_pk_fma_f32 v[20:21], v[4:5], v[36:37], v[18:19] neg_lo:[0,0,1] neg_hi:[0,0,1]
	v_pk_fma_f32 v[4:5], v[4:5], v[36:37], v[18:19] op_sel_hi:[1,0,1]
	s_nop 0
	v_mov_b32_e32 v21, v5
	s_waitcnt vmcnt(2) lgkmcnt(1)
	v_pk_mul_f32 v[4:5], v[10:11], v[22:23] op_sel:[1,1] op_sel_hi:[0,1]
	v_pk_fma_f32 v[18:19], v[10:11], v[22:23], v[4:5] neg_lo:[0,0,1] neg_hi:[0,0,1]
	v_pk_fma_f32 v[4:5], v[10:11], v[22:23], v[4:5] op_sel_hi:[1,0,1]
	v_pk_add_f32 v[2:3], v[2:3], v[20:21]
	v_mov_b32_e32 v4, v25
	v_mov_b32_e32 v19, v5
	v_pk_mul_f32 v[4:5], v[12:13], v[4:5] op_sel:[1,0] op_sel_hi:[0,0]
	v_pk_fma_f32 v[10:11], v[12:13], v[24:25], v[4:5] neg_lo:[0,0,1] neg_hi:[0,0,1]
	v_pk_fma_f32 v[4:5], v[12:13], v[24:25], v[4:5] op_sel_hi:[1,0,1]
	v_pk_add_f32 v[2:3], v[2:3], v[18:19]
	v_mov_b32_e32 v11, v5
	s_waitcnt vmcnt(1) lgkmcnt(0)
	v_pk_mul_f32 v[4:5], v[14:15], v[6:7] op_sel:[1,1] op_sel_hi:[0,1]
	v_pk_add_f32 v[2:3], v[2:3], v[10:11]
	v_pk_fma_f32 v[10:11], v[14:15], v[6:7], v[4:5] neg_lo:[0,0,1] neg_hi:[0,0,1]
	v_pk_fma_f32 v[4:5], v[14:15], v[6:7], v[4:5] op_sel_hi:[1,0,1]
	s_nop 0
	v_mov_b32_e32 v4, v9
	v_mov_b32_e32 v11, v5
	v_pk_mul_f32 v[4:5], v[16:17], v[4:5] op_sel:[1,0] op_sel_hi:[0,0]
	v_pk_fma_f32 v[6:7], v[16:17], v[8:9], v[4:5] neg_lo:[0,0,1] neg_hi:[0,0,1]
	v_pk_fma_f32 v[4:5], v[16:17], v[8:9], v[4:5] op_sel_hi:[1,0,1]
	v_pk_add_f32 v[2:3], v[2:3], v[10:11]
	v_mov_b32_e32 v7, v5
	v_pk_add_f32 v[2:3], v[2:3], v[6:7]
	s_waitcnt vmcnt(0)
	v_pk_add_f32 v[2:3], v[96:97], v[2:3] neg_lo:[0,1] neg_hi:[0,1]
	scratch_store_dwordx2 off, v[2:3], off offset:120
	s_and_saveexec_b64 s[0:1], vcc
	s_cbranch_execz .LBB41_237
; %bb.236:
	scratch_load_dwordx2 v[2:3], off, off offset:112
	v_mov_b32_e32 v4, 0
	v_mov_b32_e32 v5, v4
	scratch_store_dwordx2 off, v[4:5], off offset:112
	s_waitcnt vmcnt(1)
	ds_write_b64 v1, v[2:3]
.LBB41_237:
	s_or_b64 exec, exec, s[0:1]
	s_waitcnt lgkmcnt(0)
	; wave barrier
	scratch_load_dwordx4 v[10:13], off, off offset:120
	scratch_load_dwordx4 v[30:33], off, off offset:136
	;; [unrolled: 1-line block ×13, first 2 shown]
	scratch_load_dwordx2 v[54:55], off, off offset:328
	scratch_load_dwordx2 v[80:81], off, off offset:112
	v_mov_b32_e32 v82, 0
	ds_read2_b64 v[56:59], v82 offset0:57 offset1:58
	ds_read2_b64 v[60:63], v82 offset0:59 offset1:60
	ds_read2_b64 v[64:67], v82 offset0:61 offset1:62
	ds_read2_b64 v[68:71], v82 offset0:63 offset1:64
	ds_read2_b64 v[72:75], v82 offset0:65 offset1:66
	ds_read2_b64 v[76:79], v82 offset0:67 offset1:68
	ds_read2_b64 v[84:87], v82 offset0:69 offset1:70
	ds_read2_b64 v[88:91], v82 offset0:71 offset1:72
	ds_read2_b64 v[92:95], v82 offset0:73 offset1:74
	ds_read2_b64 v[96:99], v82 offset0:75 offset1:76
	v_cmp_lt_u32_e32 vcc, 13, v0
	s_waitcnt vmcnt(14) lgkmcnt(9)
	v_mul_f32_e32 v83, v56, v11
	v_mul_f32_e32 v100, v58, v13
	s_waitcnt vmcnt(12) lgkmcnt(7)
	v_mul_f32_e32 v105, v64, v3
	v_mul_f32_e32 v3, v65, v3
	v_fmac_f32_e32 v83, v57, v10
	v_mul_f32_e32 v102, v60, v31
	v_fmac_f32_e32 v100, v59, v12
	v_fmac_f32_e32 v105, v65, v2
	v_fma_f32 v2, v64, v2, -v3
	v_add_f32_e32 v3, 0, v83
	v_mul_f32_e32 v104, v62, v33
	v_fmac_f32_e32 v102, v61, v30
	v_add_f32_e32 v3, v3, v100
	v_fmac_f32_e32 v104, v63, v32
	v_add_f32_e32 v3, v3, v102
	v_mul_f32_e32 v106, v66, v5
	v_add_f32_e32 v3, v3, v104
	s_waitcnt vmcnt(11) lgkmcnt(6)
	v_mul_f32_e32 v107, v68, v7
	v_fmac_f32_e32 v106, v67, v4
	v_add_f32_e32 v3, v3, v105
	v_mul_f32_e32 v108, v70, v9
	v_fmac_f32_e32 v107, v69, v6
	v_add_f32_e32 v3, v3, v106
	s_waitcnt vmcnt(10) lgkmcnt(5)
	v_mul_f32_e32 v109, v72, v19
	v_fmac_f32_e32 v108, v71, v8
	v_add_f32_e32 v3, v3, v107
	v_mul_f32_e32 v110, v74, v21
	v_fmac_f32_e32 v109, v73, v18
	;; [unrolled: 7-line block ×3, first 2 shown]
	v_add_f32_e32 v3, v3, v110
	s_waitcnt vmcnt(8) lgkmcnt(3)
	v_mul_f32_e32 v113, v84, v35
	v_mul_f32_e32 v11, v57, v11
	v_fmac_f32_e32 v112, v79, v24
	v_add_f32_e32 v3, v3, v111
	v_mul_f32_e32 v114, v86, v37
	v_mul_f32_e32 v13, v59, v13
	v_fmac_f32_e32 v113, v85, v34
	v_fma_f32 v10, v56, v10, -v11
	v_add_f32_e32 v3, v3, v112
	s_waitcnt vmcnt(7) lgkmcnt(2)
	v_mul_f32_e32 v115, v88, v39
	v_mul_f32_e32 v31, v61, v31
	v_fmac_f32_e32 v114, v87, v36
	v_fma_f32 v11, v58, v12, -v13
	v_add_f32_e32 v10, 0, v10
	v_add_f32_e32 v3, v3, v113
	v_mul_f32_e32 v116, v90, v41
	v_mul_f32_e32 v33, v63, v33
	v_fmac_f32_e32 v115, v89, v38
	v_fma_f32 v12, v60, v30, -v31
	v_add_f32_e32 v10, v10, v11
	v_add_f32_e32 v3, v3, v114
	s_waitcnt vmcnt(6) lgkmcnt(1)
	v_mul_f32_e32 v117, v92, v51
	v_fmac_f32_e32 v116, v91, v40
	v_fma_f32 v13, v62, v32, -v33
	v_add_f32_e32 v10, v10, v12
	v_add_f32_e32 v3, v3, v115
	v_mul_f32_e32 v5, v67, v5
	v_fmac_f32_e32 v117, v93, v50
	v_add_f32_e32 v10, v10, v13
	v_add_f32_e32 v3, v3, v116
	;; [unrolled: 1-line block ×4, first 2 shown]
	v_fma_f32 v3, v66, v4, -v5
	v_add_f32_e32 v2, v2, v3
	v_mul_f32_e32 v3, v69, v7
	v_fma_f32 v3, v68, v6, -v3
	v_add_f32_e32 v2, v2, v3
	v_mul_f32_e32 v3, v71, v9
	;; [unrolled: 3-line block ×12, first 2 shown]
	v_mul_f32_e32 v101, v94, v53
	v_fma_f32 v100, v94, v52, -v2
	s_waitcnt vmcnt(5) lgkmcnt(0)
	v_mul_f32_e32 v2, v97, v47
	v_mov_b32_e32 v22, v49
	v_mul_f32_e32 v103, v96, v47
	v_fmac_f32_e32 v101, v95, v52
	v_fma_f32 v102, v96, v46, -v2
	ds_read2_b64 v[2:5], v82 offset0:77 offset1:78
	ds_read2_b64 v[6:9], v82 offset0:79 offset1:80
	;; [unrolled: 1-line block ×3, first 2 shown]
	ds_read_b64 v[18:19], v82 offset:664
	v_pk_mul_f32 v[22:23], v[98:99], v[22:23] op_sel:[1,0] op_sel_hi:[0,0]
	v_fmac_f32_e32 v103, v97, v46
	v_pk_add_f32 v[20:21], v[30:31], v[100:101]
	v_pk_fma_f32 v[24:25], v[98:99], v[48:49], v[22:23] neg_lo:[0,0,1] neg_hi:[0,0,1]
	v_pk_fma_f32 v[22:23], v[98:99], v[48:49], v[22:23] op_sel_hi:[1,0,1]
	v_pk_add_f32 v[20:21], v[20:21], v[102:103]
	v_mov_b32_e32 v25, v23
	s_waitcnt vmcnt(4) lgkmcnt(3)
	v_pk_mul_f32 v[22:23], v[2:3], v[42:43] op_sel:[1,1] op_sel_hi:[0,1]
	v_pk_add_f32 v[20:21], v[20:21], v[24:25]
	v_pk_fma_f32 v[24:25], v[2:3], v[42:43], v[22:23] neg_lo:[0,0,1] neg_hi:[0,0,1]
	v_pk_fma_f32 v[2:3], v[2:3], v[42:43], v[22:23] op_sel_hi:[1,0,1]
	s_nop 0
	v_mov_b32_e32 v25, v3
	v_pk_add_f32 v[2:3], v[20:21], v[24:25]
	v_mov_b32_e32 v20, v45
	v_pk_mul_f32 v[20:21], v[4:5], v[20:21] op_sel:[1,0] op_sel_hi:[0,0]
	v_pk_fma_f32 v[22:23], v[4:5], v[44:45], v[20:21] neg_lo:[0,0,1] neg_hi:[0,0,1]
	v_pk_fma_f32 v[4:5], v[4:5], v[44:45], v[20:21] op_sel_hi:[1,0,1]
	s_nop 0
	v_mov_b32_e32 v23, v5
	s_waitcnt vmcnt(3) lgkmcnt(2)
	v_pk_mul_f32 v[4:5], v[6:7], v[26:27] op_sel:[1,1] op_sel_hi:[0,1]
	v_pk_fma_f32 v[20:21], v[6:7], v[26:27], v[4:5] neg_lo:[0,0,1] neg_hi:[0,0,1]
	v_pk_fma_f32 v[4:5], v[6:7], v[26:27], v[4:5] op_sel_hi:[1,0,1]
	v_pk_add_f32 v[2:3], v[2:3], v[22:23]
	v_mov_b32_e32 v4, v29
	v_mov_b32_e32 v21, v5
	v_pk_mul_f32 v[4:5], v[8:9], v[4:5] op_sel:[1,0] op_sel_hi:[0,0]
	v_pk_fma_f32 v[6:7], v[8:9], v[28:29], v[4:5] neg_lo:[0,0,1] neg_hi:[0,0,1]
	v_pk_fma_f32 v[4:5], v[8:9], v[28:29], v[4:5] op_sel_hi:[1,0,1]
	v_pk_add_f32 v[2:3], v[2:3], v[20:21]
	v_mov_b32_e32 v7, v5
	s_waitcnt vmcnt(2) lgkmcnt(1)
	v_pk_mul_f32 v[4:5], v[10:11], v[14:15] op_sel:[1,1] op_sel_hi:[0,1]
	v_pk_add_f32 v[2:3], v[2:3], v[6:7]
	v_pk_fma_f32 v[6:7], v[10:11], v[14:15], v[4:5] neg_lo:[0,0,1] neg_hi:[0,0,1]
	v_pk_fma_f32 v[4:5], v[10:11], v[14:15], v[4:5] op_sel_hi:[1,0,1]
	s_nop 0
	v_mov_b32_e32 v4, v17
	v_mov_b32_e32 v7, v5
	v_pk_mul_f32 v[4:5], v[12:13], v[4:5] op_sel:[1,0] op_sel_hi:[0,0]
	v_pk_add_f32 v[2:3], v[2:3], v[6:7]
	v_pk_fma_f32 v[6:7], v[12:13], v[16:17], v[4:5] neg_lo:[0,0,1] neg_hi:[0,0,1]
	v_pk_fma_f32 v[4:5], v[12:13], v[16:17], v[4:5] op_sel_hi:[1,0,1]
	s_nop 0
	v_mov_b32_e32 v7, v5
	s_waitcnt vmcnt(1) lgkmcnt(0)
	v_pk_mul_f32 v[4:5], v[18:19], v[54:55] op_sel:[1,1] op_sel_hi:[0,1]
	v_pk_add_f32 v[2:3], v[2:3], v[6:7]
	v_pk_fma_f32 v[6:7], v[18:19], v[54:55], v[4:5] neg_lo:[0,0,1] neg_hi:[0,0,1]
	v_pk_fma_f32 v[4:5], v[18:19], v[54:55], v[4:5] op_sel_hi:[1,0,1]
	s_nop 0
	v_mov_b32_e32 v7, v5
	v_pk_add_f32 v[2:3], v[2:3], v[6:7]
	s_waitcnt vmcnt(0)
	v_pk_add_f32 v[2:3], v[80:81], v[2:3] neg_lo:[0,1] neg_hi:[0,1]
	scratch_store_dwordx2 off, v[2:3], off offset:112
	s_and_saveexec_b64 s[0:1], vcc
	s_cbranch_execz .LBB41_239
; %bb.238:
	scratch_load_dwordx2 v[2:3], off, off offset:104
	v_mov_b32_e32 v83, v82
	scratch_store_dwordx2 off, v[82:83], off offset:104
	s_waitcnt vmcnt(1)
	ds_write_b64 v1, v[2:3]
.LBB41_239:
	s_or_b64 exec, exec, s[0:1]
	s_waitcnt lgkmcnt(0)
	; wave barrier
	scratch_load_dwordx4 v[18:21], off, off offset:112
	scratch_load_dwordx4 v[34:37], off, off offset:128
	scratch_load_dwordx4 v[2:5], off, off offset:144
	scratch_load_dwordx4 v[6:9], off, off offset:160
	scratch_load_dwordx4 v[10:13], off, off offset:176
	scratch_load_dwordx4 v[22:25], off, off offset:192
	scratch_load_dwordx4 v[26:29], off, off offset:208
	scratch_load_dwordx4 v[38:41], off, off offset:224
	scratch_load_dwordx4 v[42:45], off, off offset:240
	scratch_load_dwordx4 v[50:53], off, off offset:256
	ds_read_b128 v[84:87], v82 offset:448
	ds_read_b128 v[88:91], v82 offset:464
	;; [unrolled: 1-line block ×10, first 2 shown]
	scratch_load_dwordx4 v[54:57], off, off offset:272
	scratch_load_dwordx4 v[46:49], off, off offset:288
	;; [unrolled: 1-line block ×4, first 2 shown]
	scratch_load_dwordx2 v[100:101], off, off offset:104
	v_cmp_lt_u32_e32 vcc, 12, v0
	s_waitcnt vmcnt(14) lgkmcnt(9)
	v_mul_f32_e32 v83, v84, v19
	v_mul_f32_e32 v102, v86, v21
	s_waitcnt vmcnt(12) lgkmcnt(7)
	v_mul_f32_e32 v107, v92, v3
	v_mul_f32_e32 v3, v93, v3
	v_fmac_f32_e32 v83, v85, v18
	v_mul_f32_e32 v104, v88, v35
	v_fmac_f32_e32 v102, v87, v20
	v_fmac_f32_e32 v107, v93, v2
	v_fma_f32 v2, v92, v2, -v3
	v_add_f32_e32 v3, 0, v83
	v_mul_f32_e32 v106, v90, v37
	v_fmac_f32_e32 v104, v89, v34
	v_add_f32_e32 v3, v3, v102
	v_fmac_f32_e32 v106, v91, v36
	v_add_f32_e32 v3, v3, v104
	v_mul_f32_e32 v108, v94, v5
	v_add_f32_e32 v3, v3, v106
	s_waitcnt vmcnt(11) lgkmcnt(6)
	v_mul_f32_e32 v109, v96, v7
	v_fmac_f32_e32 v108, v95, v4
	v_add_f32_e32 v3, v3, v107
	v_mul_f32_e32 v110, v98, v9
	v_fmac_f32_e32 v109, v97, v6
	v_add_f32_e32 v3, v3, v108
	s_waitcnt vmcnt(10) lgkmcnt(5)
	v_mul_f32_e32 v111, v78, v11
	v_fmac_f32_e32 v110, v99, v8
	v_add_f32_e32 v3, v3, v109
	v_mul_f32_e32 v112, v80, v13
	v_fmac_f32_e32 v111, v79, v10
	;; [unrolled: 7-line block ×4, first 2 shown]
	v_add_f32_e32 v3, v3, v114
	s_waitcnt vmcnt(7) lgkmcnt(2)
	v_mul_f32_e32 v117, v66, v39
	v_mul_f32_e32 v19, v85, v19
	v_fmac_f32_e32 v116, v73, v28
	v_add_f32_e32 v3, v3, v115
	v_mul_f32_e32 v118, v68, v41
	v_mul_f32_e32 v21, v87, v21
	v_fmac_f32_e32 v117, v67, v38
	v_fma_f32 v18, v84, v18, -v19
	v_add_f32_e32 v3, v3, v116
	s_waitcnt vmcnt(6) lgkmcnt(1)
	v_mul_f32_e32 v119, v62, v43
	v_mul_f32_e32 v35, v89, v35
	v_fmac_f32_e32 v118, v69, v40
	v_fma_f32 v19, v86, v20, -v21
	v_add_f32_e32 v18, 0, v18
	v_add_f32_e32 v3, v3, v117
	v_mul_f32_e32 v120, v64, v45
	v_mul_f32_e32 v37, v91, v37
	v_fmac_f32_e32 v119, v63, v42
	v_fma_f32 v20, v88, v34, -v35
	v_add_f32_e32 v18, v18, v19
	v_add_f32_e32 v3, v3, v118
	v_fmac_f32_e32 v120, v65, v44
	v_fma_f32 v21, v90, v36, -v37
	v_add_f32_e32 v18, v18, v20
	v_add_f32_e32 v3, v3, v119
	;; [unrolled: 1-line block ×4, first 2 shown]
	v_mul_f32_e32 v3, v95, v5
	v_add_f32_e32 v2, v18, v2
	v_fma_f32 v3, v94, v4, -v3
	v_add_f32_e32 v2, v2, v3
	v_mul_f32_e32 v3, v97, v7
	v_fma_f32 v3, v96, v6, -v3
	v_add_f32_e32 v2, v2, v3
	v_mul_f32_e32 v3, v99, v9
	;; [unrolled: 3-line block ×12, first 2 shown]
	v_fma_f32 v3, v64, v44, -v3
	v_add_f32_e32 v34, v2, v3
	s_waitcnt vmcnt(5) lgkmcnt(0)
	v_mul_f32_e32 v2, v59, v51
	v_fma_f32 v102, v58, v50, -v2
	v_mul_f32_e32 v2, v61, v53
	v_fma_f32 v104, v60, v52, -v2
	ds_read_b128 v[2:5], v82 offset:608
	ds_read_b128 v[6:9], v82 offset:624
	;; [unrolled: 1-line block ×4, first 2 shown]
	v_mul_f32_e32 v103, v58, v51
	v_mul_f32_e32 v105, v60, v53
	v_fmac_f32_e32 v103, v59, v50
	s_waitcnt vmcnt(4) lgkmcnt(3)
	v_pk_mul_f32 v[24:25], v[2:3], v[54:55] op_sel:[1,1] op_sel_hi:[0,1]
	v_fmac_f32_e32 v105, v61, v52
	v_pk_add_f32 v[22:23], v[34:35], v[102:103]
	v_pk_fma_f32 v[26:27], v[2:3], v[54:55], v[24:25] neg_lo:[0,0,1] neg_hi:[0,0,1]
	v_pk_fma_f32 v[2:3], v[2:3], v[54:55], v[24:25] op_sel_hi:[1,0,1]
	v_pk_add_f32 v[22:23], v[22:23], v[104:105]
	v_mov_b32_e32 v27, v3
	v_pk_add_f32 v[2:3], v[22:23], v[26:27]
	v_mov_b32_e32 v22, v57
	v_pk_mul_f32 v[22:23], v[4:5], v[22:23] op_sel:[1,0] op_sel_hi:[0,0]
	v_pk_fma_f32 v[24:25], v[4:5], v[56:57], v[22:23] neg_lo:[0,0,1] neg_hi:[0,0,1]
	v_pk_fma_f32 v[4:5], v[4:5], v[56:57], v[22:23] op_sel_hi:[1,0,1]
	s_nop 0
	v_mov_b32_e32 v25, v5
	s_waitcnt vmcnt(3) lgkmcnt(2)
	v_pk_mul_f32 v[4:5], v[6:7], v[46:47] op_sel:[1,1] op_sel_hi:[0,1]
	v_pk_fma_f32 v[22:23], v[6:7], v[46:47], v[4:5] neg_lo:[0,0,1] neg_hi:[0,0,1]
	v_pk_fma_f32 v[4:5], v[6:7], v[46:47], v[4:5] op_sel_hi:[1,0,1]
	v_pk_add_f32 v[2:3], v[2:3], v[24:25]
	v_mov_b32_e32 v4, v49
	v_mov_b32_e32 v23, v5
	v_pk_mul_f32 v[4:5], v[8:9], v[4:5] op_sel:[1,0] op_sel_hi:[0,0]
	v_pk_fma_f32 v[6:7], v[8:9], v[48:49], v[4:5] neg_lo:[0,0,1] neg_hi:[0,0,1]
	v_pk_fma_f32 v[4:5], v[8:9], v[48:49], v[4:5] op_sel_hi:[1,0,1]
	v_pk_add_f32 v[2:3], v[2:3], v[22:23]
	v_mov_b32_e32 v7, v5
	s_waitcnt vmcnt(2) lgkmcnt(1)
	v_pk_mul_f32 v[4:5], v[10:11], v[30:31] op_sel:[1,1] op_sel_hi:[0,1]
	v_pk_add_f32 v[2:3], v[2:3], v[6:7]
	v_pk_fma_f32 v[6:7], v[10:11], v[30:31], v[4:5] neg_lo:[0,0,1] neg_hi:[0,0,1]
	v_pk_fma_f32 v[4:5], v[10:11], v[30:31], v[4:5] op_sel_hi:[1,0,1]
	s_nop 0
	v_mov_b32_e32 v4, v33
	v_mov_b32_e32 v7, v5
	v_pk_mul_f32 v[4:5], v[12:13], v[4:5] op_sel:[1,0] op_sel_hi:[0,0]
	v_pk_add_f32 v[2:3], v[2:3], v[6:7]
	v_pk_fma_f32 v[6:7], v[12:13], v[32:33], v[4:5] neg_lo:[0,0,1] neg_hi:[0,0,1]
	v_pk_fma_f32 v[4:5], v[12:13], v[32:33], v[4:5] op_sel_hi:[1,0,1]
	s_nop 0
	v_mov_b32_e32 v7, v5
	s_waitcnt vmcnt(1) lgkmcnt(0)
	v_pk_mul_f32 v[4:5], v[18:19], v[14:15] op_sel:[1,1] op_sel_hi:[0,1]
	v_pk_add_f32 v[2:3], v[2:3], v[6:7]
	v_pk_fma_f32 v[6:7], v[18:19], v[14:15], v[4:5] neg_lo:[0,0,1] neg_hi:[0,0,1]
	v_pk_fma_f32 v[4:5], v[18:19], v[14:15], v[4:5] op_sel_hi:[1,0,1]
	s_nop 0
	v_mov_b32_e32 v4, v17
	v_mov_b32_e32 v7, v5
	v_pk_mul_f32 v[4:5], v[20:21], v[4:5] op_sel:[1,0] op_sel_hi:[0,0]
	v_pk_add_f32 v[2:3], v[2:3], v[6:7]
	v_pk_fma_f32 v[6:7], v[20:21], v[16:17], v[4:5] neg_lo:[0,0,1] neg_hi:[0,0,1]
	v_pk_fma_f32 v[4:5], v[20:21], v[16:17], v[4:5] op_sel_hi:[1,0,1]
	s_nop 0
	v_mov_b32_e32 v7, v5
	v_pk_add_f32 v[2:3], v[2:3], v[6:7]
	s_waitcnt vmcnt(0)
	v_pk_add_f32 v[2:3], v[100:101], v[2:3] neg_lo:[0,1] neg_hi:[0,1]
	scratch_store_dwordx2 off, v[2:3], off offset:104
	s_and_saveexec_b64 s[0:1], vcc
	s_cbranch_execz .LBB41_241
; %bb.240:
	scratch_load_dwordx2 v[2:3], off, off offset:96
	v_mov_b32_e32 v4, 0
	v_mov_b32_e32 v5, v4
	scratch_store_dwordx2 off, v[4:5], off offset:96
	s_waitcnt vmcnt(1)
	ds_write_b64 v1, v[2:3]
.LBB41_241:
	s_or_b64 exec, exec, s[0:1]
	s_waitcnt lgkmcnt(0)
	; wave barrier
	scratch_load_dwordx4 v[18:21], off, off offset:104
	scratch_load_dwordx4 v[2:5], off, off offset:120
	;; [unrolled: 1-line block ×14, first 2 shown]
	scratch_load_dwordx2 v[58:59], off, off offset:328
	scratch_load_dwordx2 v[100:101], off, off offset:96
	v_mov_b32_e32 v102, 0
	ds_read2_b64 v[60:63], v102 offset0:55 offset1:56
	ds_read2_b64 v[64:67], v102 offset0:57 offset1:58
	;; [unrolled: 1-line block ×12, first 2 shown]
	v_cmp_lt_u32_e32 vcc, 11, v0
	s_waitcnt vmcnt(15) lgkmcnt(11)
	v_mul_f32_e32 v103, v60, v19
	v_mul_f32_e32 v112, v62, v21
	s_waitcnt vmcnt(14) lgkmcnt(10)
	v_mul_f32_e32 v114, v64, v3
	v_mul_f32_e32 v3, v65, v3
	v_fmac_f32_e32 v103, v61, v18
	v_fmac_f32_e32 v112, v63, v20
	v_fmac_f32_e32 v114, v65, v2
	v_fma_f32 v2, v64, v2, -v3
	v_add_f32_e32 v3, 0, v103
	v_mul_f32_e32 v116, v66, v5
	v_add_f32_e32 v3, v3, v112
	s_waitcnt vmcnt(13) lgkmcnt(9)
	v_mul_f32_e32 v117, v68, v7
	v_fmac_f32_e32 v116, v67, v4
	v_add_f32_e32 v3, v3, v114
	v_mul_f32_e32 v118, v70, v9
	v_fmac_f32_e32 v117, v69, v6
	v_add_f32_e32 v3, v3, v116
	s_waitcnt vmcnt(12) lgkmcnt(8)
	v_mul_f32_e32 v119, v72, v11
	v_fmac_f32_e32 v118, v71, v8
	v_add_f32_e32 v3, v3, v117
	v_mul_f32_e32 v120, v74, v13
	v_fmac_f32_e32 v119, v73, v10
	;; [unrolled: 7-line block ×6, first 2 shown]
	v_add_f32_e32 v3, v3, v210
	s_waitcnt vmcnt(7) lgkmcnt(3)
	v_mul_f32_e32 v213, v92, v43
	v_fmac_f32_e32 v212, v91, v40
	v_add_f32_e32 v3, v3, v211
	v_mul_f32_e32 v214, v94, v45
	v_mul_f32_e32 v19, v61, v19
	v_fmac_f32_e32 v213, v93, v42
	v_add_f32_e32 v3, v3, v212
	s_waitcnt vmcnt(6) lgkmcnt(2)
	v_mul_f32_e32 v215, v96, v51
	v_mul_f32_e32 v21, v63, v21
	v_fmac_f32_e32 v214, v95, v44
	v_fma_f32 v18, v60, v18, -v19
	v_add_f32_e32 v3, v3, v213
	v_fmac_f32_e32 v215, v97, v50
	v_fma_f32 v19, v62, v20, -v21
	v_add_f32_e32 v18, 0, v18
	v_add_f32_e32 v3, v3, v214
	;; [unrolled: 1-line block ×4, first 2 shown]
	v_mul_f32_e32 v3, v67, v5
	v_add_f32_e32 v2, v18, v2
	v_fma_f32 v3, v66, v4, -v3
	v_add_f32_e32 v2, v2, v3
	v_mul_f32_e32 v3, v69, v7
	v_fma_f32 v3, v68, v6, -v3
	v_add_f32_e32 v2, v2, v3
	v_mul_f32_e32 v3, v71, v9
	;; [unrolled: 3-line block ×15, first 2 shown]
	v_fma_f32 v3, v96, v50, -v3
	v_mul_f32_e32 v113, v98, v53
	v_add_f32_e32 v18, v2, v3
	v_mul_f32_e32 v2, v99, v53
	s_waitcnt vmcnt(5)
	v_mov_b32_e32 v14, v57
	s_waitcnt lgkmcnt(1)
	v_mul_f32_e32 v115, v104, v55
	v_fmac_f32_e32 v113, v99, v52
	v_fma_f32 v112, v98, v52, -v2
	v_mul_f32_e32 v2, v105, v55
	v_pk_mul_f32 v[14:15], v[106:107], v[14:15] op_sel:[1,0] op_sel_hi:[0,0]
	v_fmac_f32_e32 v115, v105, v54
	v_fma_f32 v114, v104, v54, -v2
	v_pk_add_f32 v[12:13], v[18:19], v[112:113]
	v_pk_fma_f32 v[16:17], v[106:107], v[56:57], v[14:15] neg_lo:[0,0,1] neg_hi:[0,0,1]
	v_pk_fma_f32 v[14:15], v[106:107], v[56:57], v[14:15] op_sel_hi:[1,0,1]
	v_pk_add_f32 v[12:13], v[12:13], v[114:115]
	v_mov_b32_e32 v17, v15
	s_waitcnt vmcnt(4) lgkmcnt(0)
	v_pk_mul_f32 v[14:15], v[108:109], v[46:47] op_sel:[1,1] op_sel_hi:[0,1]
	v_pk_add_f32 v[12:13], v[12:13], v[16:17]
	v_pk_fma_f32 v[16:17], v[108:109], v[46:47], v[14:15] neg_lo:[0,0,1] neg_hi:[0,0,1]
	v_pk_fma_f32 v[14:15], v[108:109], v[46:47], v[14:15] op_sel_hi:[1,0,1]
	ds_read2_b64 v[2:5], v102 offset0:79 offset1:80
	ds_read2_b64 v[6:9], v102 offset0:81 offset1:82
	ds_read_b64 v[10:11], v102 offset:664
	v_mov_b32_e32 v14, v49
	v_mov_b32_e32 v17, v15
	v_pk_mul_f32 v[14:15], v[110:111], v[14:15] op_sel:[1,0] op_sel_hi:[0,0]
	v_pk_add_f32 v[12:13], v[12:13], v[16:17]
	v_pk_fma_f32 v[16:17], v[110:111], v[48:49], v[14:15] neg_lo:[0,0,1] neg_hi:[0,0,1]
	v_pk_fma_f32 v[14:15], v[110:111], v[48:49], v[14:15] op_sel_hi:[1,0,1]
	s_nop 0
	v_mov_b32_e32 v17, v15
	s_waitcnt vmcnt(3) lgkmcnt(2)
	v_pk_mul_f32 v[14:15], v[2:3], v[34:35] op_sel:[1,1] op_sel_hi:[0,1]
	v_pk_add_f32 v[12:13], v[12:13], v[16:17]
	v_pk_fma_f32 v[16:17], v[2:3], v[34:35], v[14:15] neg_lo:[0,0,1] neg_hi:[0,0,1]
	v_pk_fma_f32 v[2:3], v[2:3], v[34:35], v[14:15] op_sel_hi:[1,0,1]
	s_nop 0
	v_mov_b32_e32 v17, v3
	v_pk_add_f32 v[2:3], v[12:13], v[16:17]
	v_mov_b32_e32 v12, v37
	v_pk_mul_f32 v[12:13], v[4:5], v[12:13] op_sel:[1,0] op_sel_hi:[0,0]
	v_pk_fma_f32 v[14:15], v[4:5], v[36:37], v[12:13] neg_lo:[0,0,1] neg_hi:[0,0,1]
	v_pk_fma_f32 v[4:5], v[4:5], v[36:37], v[12:13] op_sel_hi:[1,0,1]
	s_nop 0
	v_mov_b32_e32 v15, v5
	s_waitcnt vmcnt(2) lgkmcnt(1)
	v_pk_mul_f32 v[4:5], v[6:7], v[22:23] op_sel:[1,1] op_sel_hi:[0,1]
	v_pk_fma_f32 v[12:13], v[6:7], v[22:23], v[4:5] neg_lo:[0,0,1] neg_hi:[0,0,1]
	v_pk_fma_f32 v[4:5], v[6:7], v[22:23], v[4:5] op_sel_hi:[1,0,1]
	v_pk_add_f32 v[2:3], v[2:3], v[14:15]
	v_mov_b32_e32 v4, v25
	v_mov_b32_e32 v13, v5
	v_pk_mul_f32 v[4:5], v[8:9], v[4:5] op_sel:[1,0] op_sel_hi:[0,0]
	v_pk_fma_f32 v[6:7], v[8:9], v[24:25], v[4:5] neg_lo:[0,0,1] neg_hi:[0,0,1]
	v_pk_fma_f32 v[4:5], v[8:9], v[24:25], v[4:5] op_sel_hi:[1,0,1]
	v_pk_add_f32 v[2:3], v[2:3], v[12:13]
	v_mov_b32_e32 v7, v5
	s_waitcnt vmcnt(1) lgkmcnt(0)
	v_pk_mul_f32 v[4:5], v[10:11], v[58:59] op_sel:[1,1] op_sel_hi:[0,1]
	v_pk_add_f32 v[2:3], v[2:3], v[6:7]
	v_pk_fma_f32 v[6:7], v[10:11], v[58:59], v[4:5] neg_lo:[0,0,1] neg_hi:[0,0,1]
	v_pk_fma_f32 v[4:5], v[10:11], v[58:59], v[4:5] op_sel_hi:[1,0,1]
	s_nop 0
	v_mov_b32_e32 v7, v5
	v_pk_add_f32 v[2:3], v[2:3], v[6:7]
	s_waitcnt vmcnt(0)
	v_pk_add_f32 v[2:3], v[100:101], v[2:3] neg_lo:[0,1] neg_hi:[0,1]
	scratch_store_dwordx2 off, v[2:3], off offset:96
	s_and_saveexec_b64 s[0:1], vcc
	s_cbranch_execz .LBB41_243
; %bb.242:
	scratch_load_dwordx2 v[2:3], off, off offset:88
	v_mov_b32_e32 v103, v102
	scratch_store_dwordx2 off, v[102:103], off offset:88
	s_waitcnt vmcnt(1)
	ds_write_b64 v1, v[2:3]
.LBB41_243:
	s_or_b64 exec, exec, s[0:1]
	s_waitcnt lgkmcnt(0)
	; wave barrier
	scratch_load_dwordx4 v[22:25], off, off offset:96
	scratch_load_dwordx4 v[2:5], off, off offset:112
	;; [unrolled: 1-line block ×11, first 2 shown]
	ds_read_b128 v[104:107], v102 offset:432
	ds_read_b128 v[98:101], v102 offset:448
	;; [unrolled: 1-line block ×10, first 2 shown]
	scratch_load_dwordx4 v[58:61], off, off offset:272
	scratch_load_dwordx4 v[50:53], off, off offset:288
	;; [unrolled: 1-line block ×4, first 2 shown]
	ds_read_b128 v[78:81], v102 offset:592
	ds_read_b128 v[108:111], v102 offset:608
	scratch_load_dwordx2 v[112:113], off, off offset:88
	v_cmp_lt_u32_e32 vcc, 10, v0
	s_waitcnt vmcnt(15) lgkmcnt(11)
	v_mul_f32_e32 v103, v104, v23
	v_mul_f32_e32 v114, v106, v25
	s_waitcnt vmcnt(14) lgkmcnt(10)
	v_mul_f32_e32 v116, v98, v3
	v_mul_f32_e32 v3, v99, v3
	v_fmac_f32_e32 v103, v105, v22
	v_fmac_f32_e32 v114, v107, v24
	;; [unrolled: 1-line block ×3, first 2 shown]
	v_fma_f32 v2, v98, v2, -v3
	v_add_f32_e32 v3, 0, v103
	v_mul_f32_e32 v118, v100, v5
	v_add_f32_e32 v3, v3, v114
	s_waitcnt vmcnt(13) lgkmcnt(9)
	v_mul_f32_e32 v119, v94, v7
	v_fmac_f32_e32 v118, v101, v4
	v_add_f32_e32 v3, v3, v116
	v_mul_f32_e32 v120, v96, v9
	v_fmac_f32_e32 v119, v95, v6
	v_add_f32_e32 v3, v3, v118
	s_waitcnt vmcnt(12) lgkmcnt(8)
	v_mul_f32_e32 v121, v90, v11
	v_fmac_f32_e32 v120, v97, v8
	v_add_f32_e32 v3, v3, v119
	v_mul_f32_e32 v206, v92, v13
	v_fmac_f32_e32 v121, v91, v10
	;; [unrolled: 7-line block ×7, first 2 shown]
	v_add_f32_e32 v3, v3, v214
	s_waitcnt vmcnt(6) lgkmcnt(2)
	v_mul_f32_e32 v217, v62, v47
	v_mul_f32_e32 v23, v105, v23
	v_fmac_f32_e32 v216, v69, v44
	v_add_f32_e32 v3, v3, v215
	v_mul_f32_e32 v218, v64, v49
	v_mul_f32_e32 v25, v107, v25
	v_fmac_f32_e32 v217, v63, v46
	v_fma_f32 v22, v104, v22, -v23
	v_add_f32_e32 v3, v3, v216
	v_fmac_f32_e32 v218, v65, v48
	v_fma_f32 v23, v106, v24, -v25
	v_add_f32_e32 v22, 0, v22
	v_add_f32_e32 v3, v3, v217
	;; [unrolled: 1-line block ×4, first 2 shown]
	v_mul_f32_e32 v3, v101, v5
	v_add_f32_e32 v2, v22, v2
	v_fma_f32 v3, v100, v4, -v3
	v_add_f32_e32 v2, v2, v3
	v_mul_f32_e32 v3, v95, v7
	v_fma_f32 v3, v94, v6, -v3
	v_add_f32_e32 v2, v2, v3
	v_mul_f32_e32 v3, v97, v9
	;; [unrolled: 3-line block ×16, first 2 shown]
	v_fma_f32 v3, v64, v48, -v3
	s_waitcnt vmcnt(5) lgkmcnt(1)
	v_mul_f32_e32 v115, v78, v55
	v_add_f32_e32 v22, v2, v3
	v_mul_f32_e32 v2, v79, v55
	s_waitcnt vmcnt(4) lgkmcnt(0)
	v_pk_mul_f32 v[16:17], v[108:109], v[58:59] op_sel:[1,1] op_sel_hi:[0,1]
	v_mul_f32_e32 v117, v80, v57
	v_fmac_f32_e32 v115, v79, v54
	v_fma_f32 v114, v78, v54, -v2
	v_mul_f32_e32 v2, v81, v57
	v_pk_fma_f32 v[18:19], v[108:109], v[58:59], v[16:17] neg_lo:[0,0,1] neg_hi:[0,0,1]
	v_pk_fma_f32 v[16:17], v[108:109], v[58:59], v[16:17] op_sel_hi:[1,0,1]
	v_fmac_f32_e32 v117, v81, v56
	v_fma_f32 v116, v80, v56, -v2
	ds_read_b128 v[2:5], v102 offset:624
	ds_read_b128 v[6:9], v102 offset:640
	;; [unrolled: 1-line block ×3, first 2 shown]
	v_pk_add_f32 v[14:15], v[22:23], v[114:115]
	v_mov_b32_e32 v16, v61
	v_pk_add_f32 v[14:15], v[14:15], v[116:117]
	v_mov_b32_e32 v19, v17
	v_pk_mul_f32 v[16:17], v[110:111], v[16:17] op_sel:[1,0] op_sel_hi:[0,0]
	v_pk_add_f32 v[14:15], v[14:15], v[18:19]
	v_pk_fma_f32 v[18:19], v[110:111], v[60:61], v[16:17] neg_lo:[0,0,1] neg_hi:[0,0,1]
	v_pk_fma_f32 v[16:17], v[110:111], v[60:61], v[16:17] op_sel_hi:[1,0,1]
	s_nop 0
	v_mov_b32_e32 v19, v17
	s_waitcnt vmcnt(3) lgkmcnt(2)
	v_pk_mul_f32 v[16:17], v[2:3], v[50:51] op_sel:[1,1] op_sel_hi:[0,1]
	v_pk_add_f32 v[14:15], v[14:15], v[18:19]
	v_pk_fma_f32 v[18:19], v[2:3], v[50:51], v[16:17] neg_lo:[0,0,1] neg_hi:[0,0,1]
	v_pk_fma_f32 v[2:3], v[2:3], v[50:51], v[16:17] op_sel_hi:[1,0,1]
	s_nop 0
	v_mov_b32_e32 v19, v3
	v_pk_add_f32 v[2:3], v[14:15], v[18:19]
	v_mov_b32_e32 v14, v53
	v_pk_mul_f32 v[14:15], v[4:5], v[14:15] op_sel:[1,0] op_sel_hi:[0,0]
	v_pk_fma_f32 v[16:17], v[4:5], v[52:53], v[14:15] neg_lo:[0,0,1] neg_hi:[0,0,1]
	v_pk_fma_f32 v[4:5], v[4:5], v[52:53], v[14:15] op_sel_hi:[1,0,1]
	s_nop 0
	v_mov_b32_e32 v17, v5
	s_waitcnt vmcnt(2) lgkmcnt(1)
	v_pk_mul_f32 v[4:5], v[6:7], v[38:39] op_sel:[1,1] op_sel_hi:[0,1]
	v_pk_fma_f32 v[14:15], v[6:7], v[38:39], v[4:5] neg_lo:[0,0,1] neg_hi:[0,0,1]
	v_pk_fma_f32 v[4:5], v[6:7], v[38:39], v[4:5] op_sel_hi:[1,0,1]
	v_pk_add_f32 v[2:3], v[2:3], v[16:17]
	v_mov_b32_e32 v4, v41
	v_mov_b32_e32 v15, v5
	v_pk_mul_f32 v[4:5], v[8:9], v[4:5] op_sel:[1,0] op_sel_hi:[0,0]
	v_pk_fma_f32 v[6:7], v[8:9], v[40:41], v[4:5] neg_lo:[0,0,1] neg_hi:[0,0,1]
	v_pk_fma_f32 v[4:5], v[8:9], v[40:41], v[4:5] op_sel_hi:[1,0,1]
	v_pk_add_f32 v[2:3], v[2:3], v[14:15]
	v_mov_b32_e32 v7, v5
	s_waitcnt vmcnt(1) lgkmcnt(0)
	v_pk_mul_f32 v[4:5], v[10:11], v[26:27] op_sel:[1,1] op_sel_hi:[0,1]
	v_pk_add_f32 v[2:3], v[2:3], v[6:7]
	v_pk_fma_f32 v[6:7], v[10:11], v[26:27], v[4:5] neg_lo:[0,0,1] neg_hi:[0,0,1]
	v_pk_fma_f32 v[4:5], v[10:11], v[26:27], v[4:5] op_sel_hi:[1,0,1]
	s_nop 0
	v_mov_b32_e32 v4, v29
	v_mov_b32_e32 v7, v5
	v_pk_mul_f32 v[4:5], v[12:13], v[4:5] op_sel:[1,0] op_sel_hi:[0,0]
	v_pk_add_f32 v[2:3], v[2:3], v[6:7]
	v_pk_fma_f32 v[6:7], v[12:13], v[28:29], v[4:5] neg_lo:[0,0,1] neg_hi:[0,0,1]
	v_pk_fma_f32 v[4:5], v[12:13], v[28:29], v[4:5] op_sel_hi:[1,0,1]
	s_nop 0
	v_mov_b32_e32 v7, v5
	v_pk_add_f32 v[2:3], v[2:3], v[6:7]
	s_waitcnt vmcnt(0)
	v_pk_add_f32 v[2:3], v[112:113], v[2:3] neg_lo:[0,1] neg_hi:[0,1]
	scratch_store_dwordx2 off, v[2:3], off offset:88
	s_and_saveexec_b64 s[0:1], vcc
	s_cbranch_execz .LBB41_245
; %bb.244:
	scratch_load_dwordx2 v[2:3], off, off offset:80
	v_mov_b32_e32 v4, 0
	v_mov_b32_e32 v5, v4
	scratch_store_dwordx2 off, v[4:5], off offset:80
	s_waitcnt vmcnt(1)
	ds_write_b64 v1, v[2:3]
.LBB41_245:
	s_or_b64 exec, exec, s[0:1]
	s_waitcnt lgkmcnt(0)
	; wave barrier
	scratch_load_dwordx4 v[2:5], off, off offset:88
	scratch_load_dwordx4 v[6:9], off, off offset:104
	;; [unrolled: 1-line block ×15, first 2 shown]
	scratch_load_dwordx2 v[62:63], off, off offset:328
	scratch_load_dwordx2 v[112:113], off, off offset:80
	v_mov_b32_e32 v114, 0
	ds_read2_b64 v[64:67], v114 offset0:53 offset1:54
	ds_read2_b64 v[68:71], v114 offset0:55 offset1:56
	;; [unrolled: 1-line block ×12, first 2 shown]
	v_cmp_lt_u32_e32 vcc, 9, v0
	s_waitcnt vmcnt(16) lgkmcnt(11)
	v_mul_f32_e32 v115, v64, v3
	v_mul_f32_e32 v116, v66, v5
	;; [unrolled: 1-line block ×3, first 2 shown]
	v_fmac_f32_e32 v115, v65, v2
	s_waitcnt vmcnt(15) lgkmcnt(10)
	v_mul_f32_e32 v118, v68, v7
	v_fmac_f32_e32 v116, v67, v4
	v_fma_f32 v2, v64, v2, -v3
	v_add_f32_e32 v3, 0, v115
	v_mul_f32_e32 v120, v70, v9
	v_fmac_f32_e32 v118, v69, v6
	v_add_f32_e32 v3, v3, v116
	s_waitcnt vmcnt(14) lgkmcnt(9)
	v_mul_f32_e32 v121, v72, v11
	v_fmac_f32_e32 v120, v71, v8
	v_add_f32_e32 v3, v3, v118
	v_mul_f32_e32 v206, v74, v13
	v_fmac_f32_e32 v121, v73, v10
	v_add_f32_e32 v3, v3, v120
	s_waitcnt vmcnt(13) lgkmcnt(8)
	v_mul_f32_e32 v207, v76, v15
	v_fmac_f32_e32 v206, v75, v12
	;; [unrolled: 7-line block ×9, first 2 shown]
	v_add_f32_e32 v3, v3, v219
	v_mul_f32_e32 v5, v67, v5
	v_fmac_f32_e32 v221, v105, v58
	v_add_f32_e32 v3, v3, v220
	v_add_f32_e32 v2, 0, v2
	;; [unrolled: 1-line block ×3, first 2 shown]
	v_fma_f32 v3, v66, v4, -v5
	v_add_f32_e32 v2, v2, v3
	v_mul_f32_e32 v3, v69, v7
	v_fma_f32 v3, v68, v6, -v3
	v_add_f32_e32 v2, v2, v3
	v_mul_f32_e32 v3, v71, v9
	v_fma_f32 v3, v70, v8, -v3
	v_add_f32_e32 v2, v2, v3
	v_mul_f32_e32 v3, v73, v11
	v_fma_f32 v3, v72, v10, -v3
	v_add_f32_e32 v2, v2, v3
	v_mul_f32_e32 v3, v75, v13
	v_fma_f32 v3, v74, v12, -v3
	v_add_f32_e32 v2, v2, v3
	v_mul_f32_e32 v3, v77, v15
	v_fma_f32 v3, v76, v14, -v3
	v_add_f32_e32 v2, v2, v3
	v_mul_f32_e32 v3, v79, v17
	v_fma_f32 v3, v78, v16, -v3
	v_add_f32_e32 v2, v2, v3
	v_mul_f32_e32 v3, v81, v19
	v_fma_f32 v3, v80, v18, -v3
	v_add_f32_e32 v2, v2, v3
	v_mul_f32_e32 v3, v83, v21
	v_fma_f32 v3, v82, v20, -v3
	v_add_f32_e32 v2, v2, v3
	v_mul_f32_e32 v3, v85, v23
	v_fma_f32 v3, v84, v22, -v3
	v_add_f32_e32 v2, v2, v3
	v_mul_f32_e32 v3, v87, v25
	v_fma_f32 v3, v86, v24, -v3
	v_add_f32_e32 v2, v2, v3
	v_mul_f32_e32 v3, v89, v31
	v_fma_f32 v3, v88, v30, -v3
	v_add_f32_e32 v2, v2, v3
	v_mul_f32_e32 v3, v91, v33
	v_fma_f32 v3, v90, v32, -v3
	v_add_f32_e32 v2, v2, v3
	v_mul_f32_e32 v3, v93, v35
	v_fma_f32 v3, v92, v34, -v3
	v_add_f32_e32 v2, v2, v3
	v_mul_f32_e32 v3, v95, v37
	v_fma_f32 v3, v94, v36, -v3
	v_add_f32_e32 v2, v2, v3
	v_mul_f32_e32 v3, v97, v43
	v_fma_f32 v3, v96, v42, -v3
	v_add_f32_e32 v2, v2, v3
	v_mul_f32_e32 v3, v99, v45
	v_fma_f32 v3, v98, v44, -v3
	v_add_f32_e32 v2, v2, v3
	v_mul_f32_e32 v3, v101, v47
	v_fma_f32 v3, v100, v46, -v3
	v_add_f32_e32 v2, v2, v3
	v_mul_f32_e32 v3, v103, v49
	v_fma_f32 v3, v102, v48, -v3
	v_add_f32_e32 v2, v2, v3
	v_mul_f32_e32 v3, v105, v59
	v_fma_f32 v3, v104, v58, -v3
	v_add_f32_e32 v64, v2, v3
	v_mul_f32_e32 v2, v107, v61
	v_mul_f32_e32 v117, v106, v61
	v_fma_f32 v116, v106, v60, -v2
	s_waitcnt vmcnt(5) lgkmcnt(0)
	v_mul_f32_e32 v2, v109, v55
	v_mov_b32_e32 v18, v57
	v_mul_f32_e32 v119, v108, v55
	v_fmac_f32_e32 v117, v107, v60
	v_fma_f32 v118, v108, v54, -v2
	ds_read2_b64 v[2:5], v114 offset0:77 offset1:78
	ds_read2_b64 v[6:9], v114 offset0:79 offset1:80
	;; [unrolled: 1-line block ×3, first 2 shown]
	ds_read_b64 v[14:15], v114 offset:664
	v_pk_mul_f32 v[18:19], v[110:111], v[18:19] op_sel:[1,0] op_sel_hi:[0,0]
	v_fmac_f32_e32 v119, v109, v54
	v_pk_add_f32 v[16:17], v[64:65], v[116:117]
	v_pk_fma_f32 v[20:21], v[110:111], v[56:57], v[18:19] neg_lo:[0,0,1] neg_hi:[0,0,1]
	v_pk_fma_f32 v[18:19], v[110:111], v[56:57], v[18:19] op_sel_hi:[1,0,1]
	v_pk_add_f32 v[16:17], v[16:17], v[118:119]
	v_mov_b32_e32 v21, v19
	s_waitcnt vmcnt(4) lgkmcnt(3)
	v_pk_mul_f32 v[18:19], v[2:3], v[50:51] op_sel:[1,1] op_sel_hi:[0,1]
	v_pk_add_f32 v[16:17], v[16:17], v[20:21]
	v_pk_fma_f32 v[20:21], v[2:3], v[50:51], v[18:19] neg_lo:[0,0,1] neg_hi:[0,0,1]
	v_pk_fma_f32 v[2:3], v[2:3], v[50:51], v[18:19] op_sel_hi:[1,0,1]
	s_nop 0
	v_mov_b32_e32 v21, v3
	v_pk_add_f32 v[2:3], v[16:17], v[20:21]
	v_mov_b32_e32 v16, v53
	v_pk_mul_f32 v[16:17], v[4:5], v[16:17] op_sel:[1,0] op_sel_hi:[0,0]
	v_pk_fma_f32 v[18:19], v[4:5], v[52:53], v[16:17] neg_lo:[0,0,1] neg_hi:[0,0,1]
	v_pk_fma_f32 v[4:5], v[4:5], v[52:53], v[16:17] op_sel_hi:[1,0,1]
	s_nop 0
	v_mov_b32_e32 v19, v5
	s_waitcnt vmcnt(3) lgkmcnt(2)
	v_pk_mul_f32 v[4:5], v[6:7], v[38:39] op_sel:[1,1] op_sel_hi:[0,1]
	v_pk_fma_f32 v[16:17], v[6:7], v[38:39], v[4:5] neg_lo:[0,0,1] neg_hi:[0,0,1]
	v_pk_fma_f32 v[4:5], v[6:7], v[38:39], v[4:5] op_sel_hi:[1,0,1]
	v_pk_add_f32 v[2:3], v[2:3], v[18:19]
	v_mov_b32_e32 v4, v41
	v_mov_b32_e32 v17, v5
	v_pk_mul_f32 v[4:5], v[8:9], v[4:5] op_sel:[1,0] op_sel_hi:[0,0]
	v_pk_fma_f32 v[6:7], v[8:9], v[40:41], v[4:5] neg_lo:[0,0,1] neg_hi:[0,0,1]
	v_pk_fma_f32 v[4:5], v[8:9], v[40:41], v[4:5] op_sel_hi:[1,0,1]
	v_pk_add_f32 v[2:3], v[2:3], v[16:17]
	v_mov_b32_e32 v7, v5
	s_waitcnt vmcnt(2) lgkmcnt(1)
	v_pk_mul_f32 v[4:5], v[10:11], v[26:27] op_sel:[1,1] op_sel_hi:[0,1]
	v_pk_add_f32 v[2:3], v[2:3], v[6:7]
	v_pk_fma_f32 v[6:7], v[10:11], v[26:27], v[4:5] neg_lo:[0,0,1] neg_hi:[0,0,1]
	v_pk_fma_f32 v[4:5], v[10:11], v[26:27], v[4:5] op_sel_hi:[1,0,1]
	s_nop 0
	v_mov_b32_e32 v4, v29
	v_mov_b32_e32 v7, v5
	v_pk_mul_f32 v[4:5], v[12:13], v[4:5] op_sel:[1,0] op_sel_hi:[0,0]
	v_pk_add_f32 v[2:3], v[2:3], v[6:7]
	v_pk_fma_f32 v[6:7], v[12:13], v[28:29], v[4:5] neg_lo:[0,0,1] neg_hi:[0,0,1]
	v_pk_fma_f32 v[4:5], v[12:13], v[28:29], v[4:5] op_sel_hi:[1,0,1]
	s_nop 0
	v_mov_b32_e32 v7, v5
	s_waitcnt vmcnt(1) lgkmcnt(0)
	v_pk_mul_f32 v[4:5], v[14:15], v[62:63] op_sel:[1,1] op_sel_hi:[0,1]
	v_pk_add_f32 v[2:3], v[2:3], v[6:7]
	v_pk_fma_f32 v[6:7], v[14:15], v[62:63], v[4:5] neg_lo:[0,0,1] neg_hi:[0,0,1]
	v_pk_fma_f32 v[4:5], v[14:15], v[62:63], v[4:5] op_sel_hi:[1,0,1]
	s_nop 0
	v_mov_b32_e32 v7, v5
	v_pk_add_f32 v[2:3], v[2:3], v[6:7]
	s_waitcnt vmcnt(0)
	v_pk_add_f32 v[2:3], v[112:113], v[2:3] neg_lo:[0,1] neg_hi:[0,1]
	scratch_store_dwordx2 off, v[2:3], off offset:80
	s_and_saveexec_b64 s[0:1], vcc
	s_cbranch_execz .LBB41_247
; %bb.246:
	scratch_load_dwordx2 v[2:3], off, off offset:72
	v_mov_b32_e32 v115, v114
	scratch_store_dwordx2 off, v[114:115], off offset:72
	s_waitcnt vmcnt(1)
	ds_write_b64 v1, v[2:3]
.LBB41_247:
	s_or_b64 exec, exec, s[0:1]
	s_waitcnt lgkmcnt(0)
	; wave barrier
	scratch_load_dwordx4 v[2:5], off, off offset:80
	scratch_load_dwordx4 v[6:9], off, off offset:96
	;; [unrolled: 1-line block ×12, first 2 shown]
	ds_read_b128 v[110:113], v114 offset:416
	ds_read_b128 v[106:109], v114 offset:432
	ds_read_b128 v[102:105], v114 offset:448
	ds_read_b128 v[98:101], v114 offset:464
	ds_read_b128 v[94:97], v114 offset:480
	ds_read_b128 v[90:93], v114 offset:496
	ds_read_b128 v[86:89], v114 offset:512
	ds_read_b128 v[82:85], v114 offset:528
	ds_read_b128 v[78:81], v114 offset:544
	ds_read_b128 v[74:77], v114 offset:560
	ds_read_b128 v[70:73], v114 offset:576
	ds_read_b128 v[66:69], v114 offset:592
	scratch_load_dwordx4 v[62:65], off, off offset:272
	scratch_load_dwordx4 v[54:57], off, off offset:288
	;; [unrolled: 1-line block ×4, first 2 shown]
	scratch_load_dwordx2 v[116:117], off, off offset:72
	v_cmp_lt_u32_e32 vcc, 8, v0
	s_waitcnt vmcnt(16) lgkmcnt(11)
	v_mul_f32_e32 v115, v110, v3
	v_mul_f32_e32 v118, v112, v5
	;; [unrolled: 1-line block ×3, first 2 shown]
	v_fmac_f32_e32 v115, v111, v2
	s_waitcnt vmcnt(15) lgkmcnt(10)
	v_mul_f32_e32 v120, v106, v7
	v_fmac_f32_e32 v118, v113, v4
	v_fma_f32 v2, v110, v2, -v3
	v_add_f32_e32 v3, 0, v115
	v_mul_f32_e32 v206, v108, v9
	v_fmac_f32_e32 v120, v107, v6
	v_add_f32_e32 v3, v3, v118
	s_waitcnt vmcnt(14) lgkmcnt(9)
	v_mul_f32_e32 v207, v102, v11
	v_fmac_f32_e32 v206, v109, v8
	v_add_f32_e32 v3, v3, v120
	v_mul_f32_e32 v208, v104, v13
	v_fmac_f32_e32 v207, v103, v10
	v_add_f32_e32 v3, v3, v206
	s_waitcnt vmcnt(13) lgkmcnt(8)
	v_mul_f32_e32 v209, v98, v15
	v_fmac_f32_e32 v208, v105, v12
	;; [unrolled: 7-line block ×9, first 2 shown]
	v_add_f32_e32 v3, v3, v221
	v_mul_f32_e32 v224, v72, v53
	v_fmac_f32_e32 v223, v71, v50
	v_add_f32_e32 v3, v3, v222
	v_fmac_f32_e32 v224, v73, v52
	v_add_f32_e32 v3, v3, v223
	v_add_f32_e32 v111, v3, v224
	v_mul_f32_e32 v3, v113, v5
	v_add_f32_e32 v2, 0, v2
	v_fma_f32 v3, v112, v4, -v3
	v_add_f32_e32 v2, v2, v3
	v_mul_f32_e32 v3, v107, v7
	v_fma_f32 v3, v106, v6, -v3
	v_add_f32_e32 v2, v2, v3
	v_mul_f32_e32 v3, v109, v9
	;; [unrolled: 3-line block ×20, first 2 shown]
	v_fma_f32 v3, v72, v52, -v3
	v_add_f32_e32 v110, v2, v3
	s_waitcnt vmcnt(5) lgkmcnt(0)
	v_mul_f32_e32 v2, v67, v59
	v_fma_f32 v118, v66, v58, -v2
	v_mul_f32_e32 v2, v69, v61
	v_fma_f32 v120, v68, v60, -v2
	ds_read_b128 v[2:5], v114 offset:608
	ds_read_b128 v[6:9], v114 offset:624
	;; [unrolled: 1-line block ×4, first 2 shown]
	v_mul_f32_e32 v119, v66, v59
	v_mul_f32_e32 v121, v68, v61
	v_fmac_f32_e32 v119, v67, v58
	s_waitcnt vmcnt(4) lgkmcnt(3)
	v_pk_mul_f32 v[20:21], v[2:3], v[62:63] op_sel:[1,1] op_sel_hi:[0,1]
	v_fmac_f32_e32 v121, v69, v60
	v_pk_add_f32 v[18:19], v[110:111], v[118:119]
	v_pk_fma_f32 v[22:23], v[2:3], v[62:63], v[20:21] neg_lo:[0,0,1] neg_hi:[0,0,1]
	v_pk_fma_f32 v[2:3], v[2:3], v[62:63], v[20:21] op_sel_hi:[1,0,1]
	v_pk_add_f32 v[18:19], v[18:19], v[120:121]
	v_mov_b32_e32 v23, v3
	v_pk_add_f32 v[2:3], v[18:19], v[22:23]
	v_mov_b32_e32 v18, v65
	v_pk_mul_f32 v[18:19], v[4:5], v[18:19] op_sel:[1,0] op_sel_hi:[0,0]
	v_pk_fma_f32 v[20:21], v[4:5], v[64:65], v[18:19] neg_lo:[0,0,1] neg_hi:[0,0,1]
	v_pk_fma_f32 v[4:5], v[4:5], v[64:65], v[18:19] op_sel_hi:[1,0,1]
	s_nop 0
	v_mov_b32_e32 v21, v5
	s_waitcnt vmcnt(3) lgkmcnt(2)
	v_pk_mul_f32 v[4:5], v[6:7], v[54:55] op_sel:[1,1] op_sel_hi:[0,1]
	v_pk_fma_f32 v[18:19], v[6:7], v[54:55], v[4:5] neg_lo:[0,0,1] neg_hi:[0,0,1]
	v_pk_fma_f32 v[4:5], v[6:7], v[54:55], v[4:5] op_sel_hi:[1,0,1]
	v_pk_add_f32 v[2:3], v[2:3], v[20:21]
	v_mov_b32_e32 v4, v57
	v_mov_b32_e32 v19, v5
	v_pk_mul_f32 v[4:5], v[8:9], v[4:5] op_sel:[1,0] op_sel_hi:[0,0]
	v_pk_fma_f32 v[6:7], v[8:9], v[56:57], v[4:5] neg_lo:[0,0,1] neg_hi:[0,0,1]
	v_pk_fma_f32 v[4:5], v[8:9], v[56:57], v[4:5] op_sel_hi:[1,0,1]
	v_pk_add_f32 v[2:3], v[2:3], v[18:19]
	v_mov_b32_e32 v7, v5
	s_waitcnt vmcnt(2) lgkmcnt(1)
	v_pk_mul_f32 v[4:5], v[10:11], v[42:43] op_sel:[1,1] op_sel_hi:[0,1]
	v_pk_add_f32 v[2:3], v[2:3], v[6:7]
	v_pk_fma_f32 v[6:7], v[10:11], v[42:43], v[4:5] neg_lo:[0,0,1] neg_hi:[0,0,1]
	v_pk_fma_f32 v[4:5], v[10:11], v[42:43], v[4:5] op_sel_hi:[1,0,1]
	s_nop 0
	v_mov_b32_e32 v4, v45
	v_mov_b32_e32 v7, v5
	v_pk_mul_f32 v[4:5], v[12:13], v[4:5] op_sel:[1,0] op_sel_hi:[0,0]
	v_pk_add_f32 v[2:3], v[2:3], v[6:7]
	v_pk_fma_f32 v[6:7], v[12:13], v[44:45], v[4:5] neg_lo:[0,0,1] neg_hi:[0,0,1]
	v_pk_fma_f32 v[4:5], v[12:13], v[44:45], v[4:5] op_sel_hi:[1,0,1]
	s_nop 0
	v_mov_b32_e32 v7, v5
	s_waitcnt vmcnt(1) lgkmcnt(0)
	v_pk_mul_f32 v[4:5], v[14:15], v[34:35] op_sel:[1,1] op_sel_hi:[0,1]
	v_pk_add_f32 v[2:3], v[2:3], v[6:7]
	v_pk_fma_f32 v[6:7], v[14:15], v[34:35], v[4:5] neg_lo:[0,0,1] neg_hi:[0,0,1]
	v_pk_fma_f32 v[4:5], v[14:15], v[34:35], v[4:5] op_sel_hi:[1,0,1]
	s_nop 0
	v_mov_b32_e32 v4, v37
	v_mov_b32_e32 v7, v5
	v_pk_mul_f32 v[4:5], v[16:17], v[4:5] op_sel:[1,0] op_sel_hi:[0,0]
	v_pk_add_f32 v[2:3], v[2:3], v[6:7]
	v_pk_fma_f32 v[6:7], v[16:17], v[36:37], v[4:5] neg_lo:[0,0,1] neg_hi:[0,0,1]
	v_pk_fma_f32 v[4:5], v[16:17], v[36:37], v[4:5] op_sel_hi:[1,0,1]
	s_nop 0
	v_mov_b32_e32 v7, v5
	v_pk_add_f32 v[2:3], v[2:3], v[6:7]
	s_waitcnt vmcnt(0)
	v_pk_add_f32 v[2:3], v[116:117], v[2:3] neg_lo:[0,1] neg_hi:[0,1]
	scratch_store_dwordx2 off, v[2:3], off offset:72
	s_and_saveexec_b64 s[0:1], vcc
	s_cbranch_execz .LBB41_249
; %bb.248:
	scratch_load_dwordx2 v[2:3], off, off offset:64
	v_mov_b32_e32 v4, 0
	v_mov_b32_e32 v5, v4
	scratch_store_dwordx2 off, v[4:5], off offset:64
	s_waitcnt vmcnt(1)
	ds_write_b64 v1, v[2:3]
.LBB41_249:
	s_or_b64 exec, exec, s[0:1]
	s_waitcnt lgkmcnt(0)
	; wave barrier
	scratch_load_dwordx4 v[2:5], off, off offset:72
	scratch_load_dwordx4 v[6:9], off, off offset:88
	;; [unrolled: 1-line block ×13, first 2 shown]
	v_mov_b32_e32 v106, 0
	scratch_load_dwordx2 v[120:121], off, off offset:64
	ds_read2_b64 v[54:57], v106 offset0:51 offset1:52
	ds_read2_b64 v[58:61], v106 offset0:53 offset1:54
	ds_read2_b64 v[62:65], v106 offset0:55 offset1:56
	ds_read2_b64 v[66:69], v106 offset0:57 offset1:58
	ds_read2_b64 v[70:73], v106 offset0:59 offset1:60
	ds_read2_b64 v[74:77], v106 offset0:61 offset1:62
	ds_read2_b64 v[78:81], v106 offset0:63 offset1:64
	ds_read2_b64 v[82:85], v106 offset0:65 offset1:66
	ds_read2_b64 v[86:89], v106 offset0:67 offset1:68
	ds_read2_b64 v[90:93], v106 offset0:69 offset1:70
	ds_read2_b64 v[94:97], v106 offset0:71 offset1:72
	ds_read2_b64 v[98:101], v106 offset0:73 offset1:74
	ds_read2_b64 v[102:105], v106 offset0:75 offset1:76
	ds_read2_b64 v[108:111], v106 offset0:77 offset1:78
	v_cmp_lt_u32_e32 vcc, 7, v0
	s_waitcnt vmcnt(13) lgkmcnt(13)
	v_mul_f32_e32 v107, v54, v3
	v_mul_f32_e32 v112, v56, v5
	v_fmac_f32_e32 v107, v55, v2
	s_waitcnt vmcnt(12) lgkmcnt(12)
	v_mul_f32_e32 v113, v58, v7
	v_fmac_f32_e32 v112, v57, v4
	v_add_f32_e32 v107, 0, v107
	v_mul_f32_e32 v114, v60, v9
	v_fmac_f32_e32 v113, v59, v6
	v_add_f32_e32 v107, v107, v112
	s_waitcnt vmcnt(11) lgkmcnt(11)
	v_mul_f32_e32 v115, v62, v11
	v_fmac_f32_e32 v114, v61, v8
	v_add_f32_e32 v107, v107, v113
	v_mul_f32_e32 v116, v64, v13
	v_fmac_f32_e32 v115, v63, v10
	v_add_f32_e32 v107, v107, v114
	;; [unrolled: 7-line block ×8, first 2 shown]
	s_waitcnt vmcnt(4) lgkmcnt(4)
	v_mul_f32_e32 v217, v90, v39
	v_fmac_f32_e32 v216, v89, v36
	v_add_f32_e32 v107, v107, v215
	v_fmac_f32_e32 v217, v91, v38
	v_add_f32_e32 v107, v107, v216
	v_add_f32_e32 v107, v107, v217
	scratch_load_dwordx4 v[112:115], off, off offset:280
	scratch_load_dwordx4 v[116:119], off, off offset:296
	;; [unrolled: 1-line block ×3, first 2 shown]
	scratch_load_dwordx2 v[216:217], off, off offset:328
	v_mul_f32_e32 v3, v55, v3
	v_fma_f32 v2, v54, v2, -v3
	v_mul_f32_e32 v3, v57, v5
	v_add_f32_e32 v2, 0, v2
	v_fma_f32 v3, v56, v4, -v3
	v_add_f32_e32 v2, v2, v3
	v_mul_f32_e32 v3, v59, v7
	v_fma_f32 v3, v58, v6, -v3
	v_add_f32_e32 v2, v2, v3
	v_mul_f32_e32 v3, v61, v9
	v_fma_f32 v3, v60, v8, -v3
	v_add_f32_e32 v2, v2, v3
	v_mul_f32_e32 v3, v63, v11
	v_fma_f32 v3, v62, v10, -v3
	v_add_f32_e32 v2, v2, v3
	v_mul_f32_e32 v3, v65, v13
	v_fma_f32 v3, v64, v12, -v3
	v_add_f32_e32 v2, v2, v3
	v_mul_f32_e32 v3, v67, v15
	v_fma_f32 v3, v66, v14, -v3
	v_add_f32_e32 v2, v2, v3
	v_mul_f32_e32 v3, v69, v17
	v_fma_f32 v3, v68, v16, -v3
	v_add_f32_e32 v2, v2, v3
	v_mul_f32_e32 v3, v71, v19
	v_fma_f32 v3, v70, v18, -v3
	v_add_f32_e32 v2, v2, v3
	v_mul_f32_e32 v3, v73, v21
	v_fma_f32 v3, v72, v20, -v3
	v_add_f32_e32 v2, v2, v3
	v_mul_f32_e32 v3, v75, v23
	v_fma_f32 v3, v74, v22, -v3
	v_add_f32_e32 v2, v2, v3
	v_mul_f32_e32 v3, v77, v25
	v_fma_f32 v3, v76, v24, -v3
	v_add_f32_e32 v2, v2, v3
	v_mul_f32_e32 v3, v79, v27
	v_fma_f32 v3, v78, v26, -v3
	v_add_f32_e32 v2, v2, v3
	v_mul_f32_e32 v3, v81, v29
	v_fma_f32 v3, v80, v28, -v3
	v_add_f32_e32 v2, v2, v3
	v_mul_f32_e32 v3, v83, v31
	v_fma_f32 v3, v82, v30, -v3
	v_add_f32_e32 v2, v2, v3
	v_mul_f32_e32 v3, v85, v33
	v_fma_f32 v3, v84, v32, -v3
	v_add_f32_e32 v2, v2, v3
	v_mul_f32_e32 v3, v87, v35
	v_fma_f32 v3, v86, v34, -v3
	v_add_f32_e32 v2, v2, v3
	v_mul_f32_e32 v3, v89, v37
	v_fma_f32 v3, v88, v36, -v3
	v_add_f32_e32 v2, v2, v3
	v_mul_f32_e32 v3, v91, v39
	v_fma_f32 v3, v90, v38, -v3
	v_add_f32_e32 v2, v2, v3
	v_mul_f32_e32 v3, v93, v41
	v_fma_f32 v3, v92, v40, -v3
	v_add_f32_e32 v2, v2, v3
	s_waitcnt vmcnt(7) lgkmcnt(3)
	v_mul_f32_e32 v3, v95, v43
	v_fma_f32 v3, v94, v42, -v3
	v_mul_f32_e32 v218, v92, v41
	v_add_f32_e32 v2, v2, v3
	v_mul_f32_e32 v3, v97, v45
	v_mul_f32_e32 v219, v94, v43
	v_fmac_f32_e32 v218, v93, v40
	v_fma_f32 v3, v96, v44, -v3
	v_mul_f32_e32 v220, v96, v45
	v_fmac_f32_e32 v219, v95, v42
	v_add_f32_e32 v107, v107, v218
	v_add_f32_e32 v2, v2, v3
	s_waitcnt vmcnt(6) lgkmcnt(2)
	v_mul_f32_e32 v3, v99, v47
	v_mul_f32_e32 v221, v98, v47
	v_fmac_f32_e32 v220, v97, v44
	v_add_f32_e32 v107, v107, v219
	v_fma_f32 v3, v98, v46, -v3
	v_mul_f32_e32 v211, v100, v49
	v_fmac_f32_e32 v221, v99, v46
	v_add_f32_e32 v107, v107, v220
	v_add_f32_e32 v214, v2, v3
	v_mul_f32_e32 v2, v101, v49
	s_waitcnt vmcnt(5)
	v_mov_b32_e32 v14, v53
	s_waitcnt lgkmcnt(1)
	v_mul_f32_e32 v213, v102, v51
	v_fmac_f32_e32 v211, v101, v48
	v_add_f32_e32 v215, v107, v221
	v_fma_f32 v210, v100, v48, -v2
	v_mul_f32_e32 v2, v103, v51
	v_pk_mul_f32 v[14:15], v[104:105], v[14:15] op_sel:[1,0] op_sel_hi:[0,0]
	v_fmac_f32_e32 v213, v103, v50
	v_fma_f32 v212, v102, v50, -v2
	v_pk_add_f32 v[12:13], v[214:215], v[210:211]
	v_pk_fma_f32 v[16:17], v[104:105], v[52:53], v[14:15] neg_lo:[0,0,1] neg_hi:[0,0,1]
	v_pk_fma_f32 v[14:15], v[104:105], v[52:53], v[14:15] op_sel_hi:[1,0,1]
	v_pk_add_f32 v[12:13], v[12:13], v[212:213]
	v_mov_b32_e32 v17, v15
	s_waitcnt vmcnt(3) lgkmcnt(0)
	v_pk_mul_f32 v[14:15], v[108:109], v[112:113] op_sel:[1,1] op_sel_hi:[0,1]
	v_pk_add_f32 v[12:13], v[12:13], v[16:17]
	v_pk_fma_f32 v[16:17], v[108:109], v[112:113], v[14:15] neg_lo:[0,0,1] neg_hi:[0,0,1]
	v_pk_fma_f32 v[14:15], v[108:109], v[112:113], v[14:15] op_sel_hi:[1,0,1]
	ds_read2_b64 v[2:5], v106 offset0:79 offset1:80
	ds_read2_b64 v[6:9], v106 offset0:81 offset1:82
	ds_read_b64 v[10:11], v106 offset:664
	v_mov_b32_e32 v14, v115
	v_mov_b32_e32 v17, v15
	v_pk_mul_f32 v[14:15], v[110:111], v[14:15] op_sel:[1,0] op_sel_hi:[0,0]
	v_pk_add_f32 v[12:13], v[12:13], v[16:17]
	v_pk_fma_f32 v[16:17], v[110:111], v[114:115], v[14:15] neg_lo:[0,0,1] neg_hi:[0,0,1]
	v_pk_fma_f32 v[14:15], v[110:111], v[114:115], v[14:15] op_sel_hi:[1,0,1]
	s_nop 0
	v_mov_b32_e32 v17, v15
	s_waitcnt vmcnt(2) lgkmcnt(2)
	v_pk_mul_f32 v[14:15], v[2:3], v[116:117] op_sel:[1,1] op_sel_hi:[0,1]
	v_pk_add_f32 v[12:13], v[12:13], v[16:17]
	v_pk_fma_f32 v[16:17], v[2:3], v[116:117], v[14:15] neg_lo:[0,0,1] neg_hi:[0,0,1]
	v_pk_fma_f32 v[2:3], v[2:3], v[116:117], v[14:15] op_sel_hi:[1,0,1]
	s_nop 0
	v_mov_b32_e32 v17, v3
	v_pk_add_f32 v[2:3], v[12:13], v[16:17]
	v_mov_b32_e32 v12, v119
	v_pk_mul_f32 v[12:13], v[4:5], v[12:13] op_sel:[1,0] op_sel_hi:[0,0]
	v_pk_fma_f32 v[14:15], v[4:5], v[118:119], v[12:13] neg_lo:[0,0,1] neg_hi:[0,0,1]
	v_pk_fma_f32 v[4:5], v[4:5], v[118:119], v[12:13] op_sel_hi:[1,0,1]
	s_nop 0
	v_mov_b32_e32 v15, v5
	s_waitcnt vmcnt(1) lgkmcnt(1)
	v_pk_mul_f32 v[4:5], v[6:7], v[206:207] op_sel:[1,1] op_sel_hi:[0,1]
	v_pk_fma_f32 v[12:13], v[6:7], v[206:207], v[4:5] neg_lo:[0,0,1] neg_hi:[0,0,1]
	v_pk_fma_f32 v[4:5], v[6:7], v[206:207], v[4:5] op_sel_hi:[1,0,1]
	v_pk_add_f32 v[2:3], v[2:3], v[14:15]
	v_mov_b32_e32 v4, v209
	v_mov_b32_e32 v13, v5
	v_pk_mul_f32 v[4:5], v[8:9], v[4:5] op_sel:[1,0] op_sel_hi:[0,0]
	v_pk_fma_f32 v[6:7], v[8:9], v[208:209], v[4:5] neg_lo:[0,0,1] neg_hi:[0,0,1]
	v_pk_fma_f32 v[4:5], v[8:9], v[208:209], v[4:5] op_sel_hi:[1,0,1]
	v_pk_add_f32 v[2:3], v[2:3], v[12:13]
	v_mov_b32_e32 v7, v5
	s_waitcnt vmcnt(0) lgkmcnt(0)
	v_pk_mul_f32 v[4:5], v[10:11], v[216:217] op_sel:[1,1] op_sel_hi:[0,1]
	v_pk_add_f32 v[2:3], v[2:3], v[6:7]
	v_pk_fma_f32 v[6:7], v[10:11], v[216:217], v[4:5] neg_lo:[0,0,1] neg_hi:[0,0,1]
	v_pk_fma_f32 v[4:5], v[10:11], v[216:217], v[4:5] op_sel_hi:[1,0,1]
	s_nop 0
	v_mov_b32_e32 v7, v5
	v_pk_add_f32 v[2:3], v[2:3], v[6:7]
	s_nop 0
	v_pk_add_f32 v[2:3], v[120:121], v[2:3] neg_lo:[0,1] neg_hi:[0,1]
	scratch_store_dwordx2 off, v[2:3], off offset:64
	s_and_saveexec_b64 s[0:1], vcc
	s_cbranch_execz .LBB41_251
; %bb.250:
	scratch_load_dwordx2 v[2:3], off, off offset:56
	v_mov_b32_e32 v107, v106
	scratch_store_dwordx2 off, v[106:107], off offset:56
	s_waitcnt vmcnt(1)
	ds_write_b64 v1, v[2:3]
.LBB41_251:
	s_or_b64 exec, exec, s[0:1]
	s_waitcnt lgkmcnt(0)
	; wave barrier
	scratch_load_dwordx4 v[2:5], off, off offset:64
	scratch_load_dwordx4 v[6:9], off, off offset:80
	;; [unrolled: 1-line block ×13, first 2 shown]
	ds_read_b128 v[102:105], v106 offset:400
	ds_read_b128 v[98:101], v106 offset:416
	;; [unrolled: 1-line block ×14, first 2 shown]
	scratch_load_dwordx2 v[120:121], off, off offset:56
	v_cmp_lt_u32_e32 vcc, 6, v0
	s_waitcnt vmcnt(13) lgkmcnt(13)
	v_mul_f32_e32 v107, v102, v3
	v_mul_f32_e32 v112, v104, v5
	v_fmac_f32_e32 v107, v103, v2
	s_waitcnt vmcnt(12) lgkmcnt(12)
	v_mul_f32_e32 v113, v98, v7
	v_fmac_f32_e32 v112, v105, v4
	v_add_f32_e32 v107, 0, v107
	v_mul_f32_e32 v114, v100, v9
	v_fmac_f32_e32 v113, v99, v6
	v_add_f32_e32 v107, v107, v112
	s_waitcnt vmcnt(11) lgkmcnt(11)
	v_mul_f32_e32 v115, v94, v11
	v_fmac_f32_e32 v114, v101, v8
	v_add_f32_e32 v107, v107, v113
	v_mul_f32_e32 v116, v96, v13
	v_fmac_f32_e32 v115, v95, v10
	v_add_f32_e32 v107, v107, v114
	s_waitcnt vmcnt(10) lgkmcnt(10)
	v_mul_f32_e32 v117, v90, v15
	v_fmac_f32_e32 v116, v97, v12
	v_add_f32_e32 v107, v107, v115
	v_mul_f32_e32 v118, v92, v17
	v_fmac_f32_e32 v117, v91, v14
	v_add_f32_e32 v107, v107, v116
	s_waitcnt vmcnt(9) lgkmcnt(9)
	v_mul_f32_e32 v119, v86, v19
	v_fmac_f32_e32 v118, v93, v16
	v_add_f32_e32 v107, v107, v117
	v_mul_f32_e32 v206, v88, v21
	v_fmac_f32_e32 v119, v87, v18
	v_add_f32_e32 v107, v107, v118
	s_waitcnt vmcnt(8) lgkmcnt(8)
	v_mul_f32_e32 v207, v82, v23
	v_fmac_f32_e32 v206, v89, v20
	v_add_f32_e32 v107, v107, v119
	v_mul_f32_e32 v208, v84, v25
	v_fmac_f32_e32 v207, v83, v22
	v_add_f32_e32 v107, v107, v206
	s_waitcnt vmcnt(7) lgkmcnt(7)
	v_mul_f32_e32 v209, v78, v27
	v_fmac_f32_e32 v208, v85, v24
	v_add_f32_e32 v107, v107, v207
	v_mul_f32_e32 v210, v80, v29
	v_fmac_f32_e32 v209, v79, v26
	v_add_f32_e32 v107, v107, v208
	s_waitcnt vmcnt(6) lgkmcnt(6)
	v_mul_f32_e32 v211, v74, v31
	v_fmac_f32_e32 v210, v81, v28
	v_add_f32_e32 v107, v107, v209
	v_mul_f32_e32 v212, v76, v33
	v_fmac_f32_e32 v211, v75, v30
	v_add_f32_e32 v107, v107, v210
	s_waitcnt vmcnt(5) lgkmcnt(5)
	v_mul_f32_e32 v213, v70, v35
	v_fmac_f32_e32 v212, v77, v32
	v_add_f32_e32 v107, v107, v211
	v_fmac_f32_e32 v213, v71, v34
	v_add_f32_e32 v107, v107, v212
	v_add_f32_e32 v107, v107, v213
	scratch_load_dwordx4 v[112:115], off, off offset:272
	scratch_load_dwordx4 v[116:119], off, off offset:288
	;; [unrolled: 1-line block ×4, first 2 shown]
	v_mul_f32_e32 v3, v103, v3
	v_fma_f32 v2, v102, v2, -v3
	v_mul_f32_e32 v3, v105, v5
	v_add_f32_e32 v2, 0, v2
	v_fma_f32 v3, v104, v4, -v3
	v_add_f32_e32 v2, v2, v3
	v_mul_f32_e32 v3, v99, v7
	v_fma_f32 v3, v98, v6, -v3
	v_add_f32_e32 v2, v2, v3
	v_mul_f32_e32 v3, v101, v9
	;; [unrolled: 3-line block ×16, first 2 shown]
	v_fma_f32 v3, v72, v36, -v3
	v_add_f32_e32 v2, v2, v3
	s_waitcnt vmcnt(8) lgkmcnt(4)
	v_mul_f32_e32 v3, v67, v39
	v_fma_f32 v3, v66, v38, -v3
	v_add_f32_e32 v2, v2, v3
	v_mul_f32_e32 v3, v69, v41
	v_fma_f32 v3, v68, v40, -v3
	v_add_f32_e32 v2, v2, v3
	s_waitcnt vmcnt(7) lgkmcnt(3)
	v_mul_f32_e32 v3, v63, v43
	v_mul_f32_e32 v214, v72, v37
	v_fma_f32 v3, v62, v42, -v3
	v_mul_f32_e32 v216, v66, v39
	v_fmac_f32_e32 v214, v73, v36
	v_add_f32_e32 v2, v2, v3
	v_mul_f32_e32 v3, v65, v45
	v_mul_f32_e32 v218, v68, v41
	v_fmac_f32_e32 v216, v67, v38
	v_add_f32_e32 v107, v107, v214
	v_fma_f32 v3, v64, v44, -v3
	v_mul_f32_e32 v219, v62, v43
	v_fmac_f32_e32 v218, v69, v40
	v_add_f32_e32 v107, v107, v216
	v_add_f32_e32 v2, v2, v3
	s_waitcnt vmcnt(6) lgkmcnt(2)
	v_mul_f32_e32 v3, v59, v47
	v_mul_f32_e32 v220, v64, v45
	v_fmac_f32_e32 v219, v63, v42
	v_add_f32_e32 v107, v107, v218
	v_fma_f32 v3, v58, v46, -v3
	v_mul_f32_e32 v221, v58, v47
	v_fmac_f32_e32 v220, v65, v44
	v_add_f32_e32 v107, v107, v219
	v_add_f32_e32 v2, v2, v3
	v_mul_f32_e32 v3, v61, v49
	v_mul_f32_e32 v222, v60, v49
	v_fmac_f32_e32 v221, v59, v46
	v_add_f32_e32 v107, v107, v220
	v_fma_f32 v3, v60, v48, -v3
	s_waitcnt vmcnt(5) lgkmcnt(1)
	v_mul_f32_e32 v215, v54, v51
	v_fmac_f32_e32 v222, v61, v48
	v_add_f32_e32 v107, v107, v221
	v_add_f32_e32 v218, v2, v3
	v_mul_f32_e32 v2, v55, v51
	s_waitcnt vmcnt(3) lgkmcnt(0)
	v_pk_mul_f32 v[16:17], v[108:109], v[112:113] op_sel:[1,1] op_sel_hi:[0,1]
	v_mul_f32_e32 v217, v56, v53
	v_fmac_f32_e32 v215, v55, v50
	v_add_f32_e32 v219, v107, v222
	v_fma_f32 v214, v54, v50, -v2
	v_mul_f32_e32 v2, v57, v53
	v_pk_fma_f32 v[18:19], v[108:109], v[112:113], v[16:17] neg_lo:[0,0,1] neg_hi:[0,0,1]
	v_pk_fma_f32 v[16:17], v[108:109], v[112:113], v[16:17] op_sel_hi:[1,0,1]
	v_fmac_f32_e32 v217, v57, v52
	v_fma_f32 v216, v56, v52, -v2
	ds_read_b128 v[2:5], v106 offset:624
	ds_read_b128 v[6:9], v106 offset:640
	;; [unrolled: 1-line block ×3, first 2 shown]
	v_pk_add_f32 v[14:15], v[218:219], v[214:215]
	v_mov_b32_e32 v16, v115
	v_pk_add_f32 v[14:15], v[14:15], v[216:217]
	v_mov_b32_e32 v19, v17
	v_pk_mul_f32 v[16:17], v[110:111], v[16:17] op_sel:[1,0] op_sel_hi:[0,0]
	v_pk_add_f32 v[14:15], v[14:15], v[18:19]
	v_pk_fma_f32 v[18:19], v[110:111], v[114:115], v[16:17] neg_lo:[0,0,1] neg_hi:[0,0,1]
	v_pk_fma_f32 v[16:17], v[110:111], v[114:115], v[16:17] op_sel_hi:[1,0,1]
	s_nop 0
	v_mov_b32_e32 v19, v17
	s_waitcnt vmcnt(2) lgkmcnt(2)
	v_pk_mul_f32 v[16:17], v[2:3], v[116:117] op_sel:[1,1] op_sel_hi:[0,1]
	v_pk_add_f32 v[14:15], v[14:15], v[18:19]
	v_pk_fma_f32 v[18:19], v[2:3], v[116:117], v[16:17] neg_lo:[0,0,1] neg_hi:[0,0,1]
	v_pk_fma_f32 v[2:3], v[2:3], v[116:117], v[16:17] op_sel_hi:[1,0,1]
	s_nop 0
	v_mov_b32_e32 v19, v3
	v_pk_add_f32 v[2:3], v[14:15], v[18:19]
	v_mov_b32_e32 v14, v119
	v_pk_mul_f32 v[14:15], v[4:5], v[14:15] op_sel:[1,0] op_sel_hi:[0,0]
	v_pk_fma_f32 v[16:17], v[4:5], v[118:119], v[14:15] neg_lo:[0,0,1] neg_hi:[0,0,1]
	v_pk_fma_f32 v[4:5], v[4:5], v[118:119], v[14:15] op_sel_hi:[1,0,1]
	s_nop 0
	v_mov_b32_e32 v17, v5
	s_waitcnt vmcnt(1) lgkmcnt(1)
	v_pk_mul_f32 v[4:5], v[6:7], v[206:207] op_sel:[1,1] op_sel_hi:[0,1]
	v_pk_fma_f32 v[14:15], v[6:7], v[206:207], v[4:5] neg_lo:[0,0,1] neg_hi:[0,0,1]
	v_pk_fma_f32 v[4:5], v[6:7], v[206:207], v[4:5] op_sel_hi:[1,0,1]
	v_pk_add_f32 v[2:3], v[2:3], v[16:17]
	v_mov_b32_e32 v4, v209
	v_mov_b32_e32 v15, v5
	v_pk_mul_f32 v[4:5], v[8:9], v[4:5] op_sel:[1,0] op_sel_hi:[0,0]
	v_pk_fma_f32 v[6:7], v[8:9], v[208:209], v[4:5] neg_lo:[0,0,1] neg_hi:[0,0,1]
	v_pk_fma_f32 v[4:5], v[8:9], v[208:209], v[4:5] op_sel_hi:[1,0,1]
	v_pk_add_f32 v[2:3], v[2:3], v[14:15]
	v_mov_b32_e32 v7, v5
	s_waitcnt vmcnt(0) lgkmcnt(0)
	v_pk_mul_f32 v[4:5], v[10:11], v[210:211] op_sel:[1,1] op_sel_hi:[0,1]
	v_pk_add_f32 v[2:3], v[2:3], v[6:7]
	v_pk_fma_f32 v[6:7], v[10:11], v[210:211], v[4:5] neg_lo:[0,0,1] neg_hi:[0,0,1]
	v_pk_fma_f32 v[4:5], v[10:11], v[210:211], v[4:5] op_sel_hi:[1,0,1]
	s_nop 0
	v_mov_b32_e32 v4, v213
	v_mov_b32_e32 v7, v5
	v_pk_mul_f32 v[4:5], v[12:13], v[4:5] op_sel:[1,0] op_sel_hi:[0,0]
	v_pk_add_f32 v[2:3], v[2:3], v[6:7]
	v_pk_fma_f32 v[6:7], v[12:13], v[212:213], v[4:5] neg_lo:[0,0,1] neg_hi:[0,0,1]
	v_pk_fma_f32 v[4:5], v[12:13], v[212:213], v[4:5] op_sel_hi:[1,0,1]
	s_nop 0
	v_mov_b32_e32 v7, v5
	v_pk_add_f32 v[2:3], v[2:3], v[6:7]
	s_nop 0
	v_pk_add_f32 v[2:3], v[120:121], v[2:3] neg_lo:[0,1] neg_hi:[0,1]
	scratch_store_dwordx2 off, v[2:3], off offset:56
	s_and_saveexec_b64 s[0:1], vcc
	s_cbranch_execz .LBB41_253
; %bb.252:
	scratch_load_dwordx2 v[2:3], off, off offset:48
	v_mov_b32_e32 v4, 0
	v_mov_b32_e32 v5, v4
	scratch_store_dwordx2 off, v[4:5], off offset:48
	s_waitcnt vmcnt(1)
	ds_write_b64 v1, v[2:3]
.LBB41_253:
	s_or_b64 exec, exec, s[0:1]
	s_waitcnt lgkmcnt(0)
	; wave barrier
	scratch_load_dwordx4 v[2:5], off, off offset:56
	scratch_load_dwordx4 v[6:9], off, off offset:72
	;; [unrolled: 1-line block ×13, first 2 shown]
	v_mov_b32_e32 v114, 0
	scratch_load_dwordx4 v[54:57], off, off offset:264
	scratch_load_dwordx2 v[120:121], off, off offset:48
	ds_read2_b64 v[58:61], v114 offset0:49 offset1:50
	ds_read2_b64 v[62:65], v114 offset0:51 offset1:52
	;; [unrolled: 1-line block ×14, first 2 shown]
	v_cmp_lt_u32_e32 vcc, 5, v0
	s_waitcnt vmcnt(14) lgkmcnt(13)
	v_mul_f32_e32 v115, v58, v3
	v_mul_f32_e32 v116, v60, v5
	v_fmac_f32_e32 v115, v59, v2
	s_waitcnt vmcnt(13) lgkmcnt(12)
	v_mul_f32_e32 v117, v62, v7
	v_fmac_f32_e32 v116, v61, v4
	v_add_f32_e32 v115, 0, v115
	v_mul_f32_e32 v118, v64, v9
	v_fmac_f32_e32 v117, v63, v6
	v_add_f32_e32 v115, v115, v116
	s_waitcnt vmcnt(12) lgkmcnt(11)
	v_mul_f32_e32 v119, v66, v11
	v_fmac_f32_e32 v118, v65, v8
	v_add_f32_e32 v115, v115, v117
	v_mul_f32_e32 v206, v68, v13
	v_fmac_f32_e32 v119, v67, v10
	v_add_f32_e32 v115, v115, v118
	;; [unrolled: 7-line block ×6, first 2 shown]
	s_waitcnt vmcnt(7) lgkmcnt(6)
	v_mul_f32_e32 v215, v86, v31
	v_fmac_f32_e32 v214, v85, v28
	v_add_f32_e32 v115, v115, v213
	scratch_load_dwordx4 v[116:119], off, off offset:280
	v_mul_f32_e32 v216, v88, v33
	v_fmac_f32_e32 v215, v87, v30
	v_add_f32_e32 v115, v115, v214
	s_waitcnt vmcnt(7) lgkmcnt(5)
	v_mul_f32_e32 v217, v90, v35
	v_fmac_f32_e32 v216, v89, v32
	v_add_f32_e32 v115, v115, v215
	v_mul_f32_e32 v218, v92, v37
	v_fmac_f32_e32 v217, v91, v34
	v_add_f32_e32 v115, v115, v216
	s_waitcnt vmcnt(6) lgkmcnt(4)
	v_mul_f32_e32 v219, v94, v39
	v_fmac_f32_e32 v218, v93, v36
	v_add_f32_e32 v115, v115, v217
	;; [unrolled: 7-line block ×3, first 2 shown]
	v_fmac_f32_e32 v221, v99, v42
	v_add_f32_e32 v115, v115, v220
	v_add_f32_e32 v115, v115, v221
	scratch_load_dwordx4 v[206:209], off, off offset:296
	scratch_load_dwordx4 v[210:213], off, off offset:312
	scratch_load_dwordx2 v[220:221], off, off offset:328
	v_mul_f32_e32 v3, v59, v3
	v_fma_f32 v2, v58, v2, -v3
	v_mul_f32_e32 v3, v61, v5
	v_add_f32_e32 v2, 0, v2
	v_fma_f32 v3, v60, v4, -v3
	v_add_f32_e32 v2, v2, v3
	v_mul_f32_e32 v3, v63, v7
	v_fma_f32 v3, v62, v6, -v3
	v_add_f32_e32 v2, v2, v3
	v_mul_f32_e32 v3, v65, v9
	v_fma_f32 v3, v64, v8, -v3
	v_add_f32_e32 v2, v2, v3
	v_mul_f32_e32 v3, v67, v11
	v_fma_f32 v3, v66, v10, -v3
	v_add_f32_e32 v2, v2, v3
	v_mul_f32_e32 v3, v69, v13
	v_fma_f32 v3, v68, v12, -v3
	v_add_f32_e32 v2, v2, v3
	v_mul_f32_e32 v3, v71, v15
	v_fma_f32 v3, v70, v14, -v3
	v_add_f32_e32 v2, v2, v3
	v_mul_f32_e32 v3, v73, v17
	v_fma_f32 v3, v72, v16, -v3
	v_add_f32_e32 v2, v2, v3
	v_mul_f32_e32 v3, v75, v19
	v_fma_f32 v3, v74, v18, -v3
	v_add_f32_e32 v2, v2, v3
	v_mul_f32_e32 v3, v77, v21
	v_fma_f32 v3, v76, v20, -v3
	v_add_f32_e32 v2, v2, v3
	v_mul_f32_e32 v3, v79, v23
	v_fma_f32 v3, v78, v22, -v3
	v_add_f32_e32 v2, v2, v3
	v_mul_f32_e32 v3, v81, v25
	v_fma_f32 v3, v80, v24, -v3
	v_add_f32_e32 v2, v2, v3
	v_mul_f32_e32 v3, v83, v27
	v_fma_f32 v3, v82, v26, -v3
	v_add_f32_e32 v2, v2, v3
	v_mul_f32_e32 v3, v85, v29
	v_fma_f32 v3, v84, v28, -v3
	v_add_f32_e32 v2, v2, v3
	v_mul_f32_e32 v3, v87, v31
	v_fma_f32 v3, v86, v30, -v3
	v_add_f32_e32 v2, v2, v3
	v_mul_f32_e32 v3, v89, v33
	v_fma_f32 v3, v88, v32, -v3
	v_add_f32_e32 v2, v2, v3
	v_mul_f32_e32 v3, v91, v35
	v_fma_f32 v3, v90, v34, -v3
	v_add_f32_e32 v2, v2, v3
	v_mul_f32_e32 v3, v93, v37
	v_fma_f32 v3, v92, v36, -v3
	v_add_f32_e32 v2, v2, v3
	v_mul_f32_e32 v3, v95, v39
	v_fma_f32 v3, v94, v38, -v3
	v_add_f32_e32 v2, v2, v3
	v_mul_f32_e32 v3, v97, v41
	v_fma_f32 v3, v96, v40, -v3
	v_add_f32_e32 v2, v2, v3
	v_mul_f32_e32 v3, v99, v43
	v_fma_f32 v3, v98, v42, -v3
	v_add_f32_e32 v2, v2, v3
	v_mul_f32_e32 v3, v101, v45
	v_fma_f32 v3, v100, v44, -v3
	v_add_f32_e32 v2, v2, v3
	s_waitcnt vmcnt(7) lgkmcnt(2)
	v_mul_f32_e32 v3, v103, v47
	v_fma_f32 v3, v102, v46, -v3
	v_add_f32_e32 v2, v2, v3
	v_mul_f32_e32 v3, v105, v49
	v_mul_f32_e32 v222, v100, v45
	v_fma_f32 v3, v104, v48, -v3
	v_mul_f32_e32 v223, v102, v47
	v_fmac_f32_e32 v222, v101, v44
	v_add_f32_e32 v2, v2, v3
	s_waitcnt vmcnt(6) lgkmcnt(1)
	v_mul_f32_e32 v3, v107, v51
	v_mul_f32_e32 v224, v104, v49
	v_fmac_f32_e32 v223, v103, v46
	v_add_f32_e32 v115, v115, v222
	v_fma_f32 v3, v106, v50, -v3
	v_mul_f32_e32 v225, v106, v51
	v_fmac_f32_e32 v224, v105, v48
	v_add_f32_e32 v115, v115, v223
	v_add_f32_e32 v214, v2, v3
	v_mul_f32_e32 v2, v109, v53
	v_fmac_f32_e32 v225, v107, v50
	v_add_f32_e32 v115, v115, v224
	v_mul_f32_e32 v217, v108, v53
	v_fma_f32 v216, v108, v52, -v2
	s_waitcnt vmcnt(5) lgkmcnt(0)
	v_mul_f32_e32 v2, v111, v55
	v_mov_b32_e32 v18, v57
	v_add_f32_e32 v215, v115, v225
	v_fmac_f32_e32 v217, v109, v52
	v_mul_f32_e32 v219, v110, v55
	v_fma_f32 v218, v110, v54, -v2
	ds_read2_b64 v[2:5], v114 offset0:77 offset1:78
	ds_read2_b64 v[6:9], v114 offset0:79 offset1:80
	;; [unrolled: 1-line block ×3, first 2 shown]
	ds_read_b64 v[14:15], v114 offset:664
	v_pk_mul_f32 v[18:19], v[112:113], v[18:19] op_sel:[1,0] op_sel_hi:[0,0]
	v_fmac_f32_e32 v219, v111, v54
	v_pk_add_f32 v[16:17], v[214:215], v[216:217]
	v_pk_fma_f32 v[20:21], v[112:113], v[56:57], v[18:19] neg_lo:[0,0,1] neg_hi:[0,0,1]
	v_pk_fma_f32 v[18:19], v[112:113], v[56:57], v[18:19] op_sel_hi:[1,0,1]
	v_pk_add_f32 v[16:17], v[16:17], v[218:219]
	v_mov_b32_e32 v21, v19
	s_waitcnt vmcnt(3) lgkmcnt(3)
	v_pk_mul_f32 v[18:19], v[2:3], v[116:117] op_sel:[1,1] op_sel_hi:[0,1]
	v_pk_add_f32 v[16:17], v[16:17], v[20:21]
	v_pk_fma_f32 v[20:21], v[2:3], v[116:117], v[18:19] neg_lo:[0,0,1] neg_hi:[0,0,1]
	v_pk_fma_f32 v[2:3], v[2:3], v[116:117], v[18:19] op_sel_hi:[1,0,1]
	s_nop 0
	v_mov_b32_e32 v21, v3
	v_pk_add_f32 v[2:3], v[16:17], v[20:21]
	v_mov_b32_e32 v16, v119
	v_pk_mul_f32 v[16:17], v[4:5], v[16:17] op_sel:[1,0] op_sel_hi:[0,0]
	v_pk_fma_f32 v[18:19], v[4:5], v[118:119], v[16:17] neg_lo:[0,0,1] neg_hi:[0,0,1]
	v_pk_fma_f32 v[4:5], v[4:5], v[118:119], v[16:17] op_sel_hi:[1,0,1]
	s_nop 0
	v_mov_b32_e32 v19, v5
	s_waitcnt vmcnt(2) lgkmcnt(2)
	v_pk_mul_f32 v[4:5], v[6:7], v[206:207] op_sel:[1,1] op_sel_hi:[0,1]
	v_pk_fma_f32 v[16:17], v[6:7], v[206:207], v[4:5] neg_lo:[0,0,1] neg_hi:[0,0,1]
	v_pk_fma_f32 v[4:5], v[6:7], v[206:207], v[4:5] op_sel_hi:[1,0,1]
	v_pk_add_f32 v[2:3], v[2:3], v[18:19]
	v_mov_b32_e32 v4, v209
	v_mov_b32_e32 v17, v5
	v_pk_mul_f32 v[4:5], v[8:9], v[4:5] op_sel:[1,0] op_sel_hi:[0,0]
	v_pk_fma_f32 v[6:7], v[8:9], v[208:209], v[4:5] neg_lo:[0,0,1] neg_hi:[0,0,1]
	v_pk_fma_f32 v[4:5], v[8:9], v[208:209], v[4:5] op_sel_hi:[1,0,1]
	v_pk_add_f32 v[2:3], v[2:3], v[16:17]
	v_mov_b32_e32 v7, v5
	s_waitcnt vmcnt(1) lgkmcnt(1)
	v_pk_mul_f32 v[4:5], v[10:11], v[210:211] op_sel:[1,1] op_sel_hi:[0,1]
	v_pk_add_f32 v[2:3], v[2:3], v[6:7]
	v_pk_fma_f32 v[6:7], v[10:11], v[210:211], v[4:5] neg_lo:[0,0,1] neg_hi:[0,0,1]
	v_pk_fma_f32 v[4:5], v[10:11], v[210:211], v[4:5] op_sel_hi:[1,0,1]
	s_nop 0
	v_mov_b32_e32 v4, v213
	v_mov_b32_e32 v7, v5
	v_pk_mul_f32 v[4:5], v[12:13], v[4:5] op_sel:[1,0] op_sel_hi:[0,0]
	v_pk_add_f32 v[2:3], v[2:3], v[6:7]
	v_pk_fma_f32 v[6:7], v[12:13], v[212:213], v[4:5] neg_lo:[0,0,1] neg_hi:[0,0,1]
	v_pk_fma_f32 v[4:5], v[12:13], v[212:213], v[4:5] op_sel_hi:[1,0,1]
	s_nop 0
	v_mov_b32_e32 v7, v5
	s_waitcnt vmcnt(0) lgkmcnt(0)
	v_pk_mul_f32 v[4:5], v[14:15], v[220:221] op_sel:[1,1] op_sel_hi:[0,1]
	v_pk_add_f32 v[2:3], v[2:3], v[6:7]
	v_pk_fma_f32 v[6:7], v[14:15], v[220:221], v[4:5] neg_lo:[0,0,1] neg_hi:[0,0,1]
	v_pk_fma_f32 v[4:5], v[14:15], v[220:221], v[4:5] op_sel_hi:[1,0,1]
	s_nop 0
	v_mov_b32_e32 v7, v5
	v_pk_add_f32 v[2:3], v[2:3], v[6:7]
	s_nop 0
	v_pk_add_f32 v[2:3], v[120:121], v[2:3] neg_lo:[0,1] neg_hi:[0,1]
	scratch_store_dwordx2 off, v[2:3], off offset:48
	s_and_saveexec_b64 s[0:1], vcc
	s_cbranch_execz .LBB41_255
; %bb.254:
	scratch_load_dwordx2 v[2:3], off, off offset:40
	v_mov_b32_e32 v115, v114
	scratch_store_dwordx2 off, v[114:115], off offset:40
	s_waitcnt vmcnt(1)
	ds_write_b64 v1, v[2:3]
.LBB41_255:
	s_or_b64 exec, exec, s[0:1]
	s_waitcnt lgkmcnt(0)
	; wave barrier
	scratch_load_dwordx4 v[2:5], off, off offset:48
	scratch_load_dwordx4 v[6:9], off, off offset:64
	scratch_load_dwordx4 v[10:13], off, off offset:80
	scratch_load_dwordx4 v[14:17], off, off offset:96
	scratch_load_dwordx4 v[18:21], off, off offset:112
	scratch_load_dwordx4 v[22:25], off, off offset:128
	scratch_load_dwordx4 v[26:29], off, off offset:144
	scratch_load_dwordx4 v[30:33], off, off offset:160
	scratch_load_dwordx4 v[34:37], off, off offset:176
	scratch_load_dwordx4 v[38:41], off, off offset:192
	scratch_load_dwordx4 v[42:45], off, off offset:208
	scratch_load_dwordx4 v[46:49], off, off offset:224
	scratch_load_dwordx4 v[50:53], off, off offset:240
	ds_read_b128 v[110:113], v114 offset:384
	ds_read_b128 v[106:109], v114 offset:400
	;; [unrolled: 1-line block ×14, first 2 shown]
	scratch_load_dwordx4 v[66:69], off, off offset:256
	scratch_load_dwordx2 v[120:121], off, off offset:40
	v_cmp_lt_u32_e32 vcc, 4, v0
	s_waitcnt vmcnt(14) lgkmcnt(13)
	v_mul_f32_e32 v115, v110, v3
	v_mul_f32_e32 v116, v112, v5
	v_fmac_f32_e32 v115, v111, v2
	s_waitcnt vmcnt(13) lgkmcnt(12)
	v_mul_f32_e32 v117, v106, v7
	v_fmac_f32_e32 v116, v113, v4
	v_add_f32_e32 v115, 0, v115
	v_mul_f32_e32 v118, v108, v9
	v_fmac_f32_e32 v117, v107, v6
	v_add_f32_e32 v115, v115, v116
	s_waitcnt vmcnt(12) lgkmcnt(11)
	v_mul_f32_e32 v119, v102, v11
	v_fmac_f32_e32 v118, v109, v8
	v_add_f32_e32 v115, v115, v117
	v_mul_f32_e32 v206, v104, v13
	v_fmac_f32_e32 v119, v103, v10
	v_add_f32_e32 v115, v115, v118
	;; [unrolled: 7-line block ×4, first 2 shown]
	s_waitcnt vmcnt(9) lgkmcnt(8)
	v_mul_f32_e32 v211, v90, v23
	v_fmac_f32_e32 v210, v97, v20
	v_add_f32_e32 v115, v115, v209
	scratch_load_dwordx4 v[116:119], off, off offset:272
	v_mul_f32_e32 v212, v92, v25
	v_fmac_f32_e32 v211, v91, v22
	v_add_f32_e32 v115, v115, v210
	s_waitcnt vmcnt(9) lgkmcnt(7)
	v_mul_f32_e32 v213, v86, v27
	v_fmac_f32_e32 v212, v93, v24
	v_add_f32_e32 v115, v115, v211
	v_mul_f32_e32 v214, v88, v29
	v_fmac_f32_e32 v213, v87, v26
	v_add_f32_e32 v115, v115, v212
	s_waitcnt vmcnt(8) lgkmcnt(6)
	v_mul_f32_e32 v215, v82, v31
	v_fmac_f32_e32 v214, v89, v28
	v_add_f32_e32 v115, v115, v213
	;; [unrolled: 7-line block ×3, first 2 shown]
	v_fmac_f32_e32 v217, v79, v34
	v_add_f32_e32 v115, v115, v216
	v_add_f32_e32 v115, v115, v217
	scratch_load_dwordx4 v[206:209], off, off offset:288
	scratch_load_dwordx4 v[210:213], off, off offset:304
	;; [unrolled: 1-line block ×3, first 2 shown]
	v_mul_f32_e32 v3, v111, v3
	v_fma_f32 v2, v110, v2, -v3
	v_mul_f32_e32 v3, v113, v5
	v_add_f32_e32 v2, 0, v2
	v_fma_f32 v3, v112, v4, -v3
	v_add_f32_e32 v2, v2, v3
	v_mul_f32_e32 v3, v107, v7
	v_fma_f32 v3, v106, v6, -v3
	v_add_f32_e32 v2, v2, v3
	v_mul_f32_e32 v3, v109, v9
	;; [unrolled: 3-line block ×16, first 2 shown]
	v_fma_f32 v3, v80, v36, -v3
	v_add_f32_e32 v2, v2, v3
	s_waitcnt vmcnt(9) lgkmcnt(4)
	v_mul_f32_e32 v3, v75, v39
	v_fma_f32 v3, v74, v38, -v3
	v_add_f32_e32 v2, v2, v3
	v_mul_f32_e32 v3, v77, v41
	v_fma_f32 v3, v76, v40, -v3
	v_add_f32_e32 v2, v2, v3
	s_waitcnt vmcnt(8) lgkmcnt(3)
	v_mul_f32_e32 v3, v71, v43
	v_fma_f32 v3, v70, v42, -v3
	v_add_f32_e32 v2, v2, v3
	v_mul_f32_e32 v3, v73, v45
	v_fma_f32 v3, v72, v44, -v3
	v_add_f32_e32 v2, v2, v3
	s_waitcnt vmcnt(7) lgkmcnt(2)
	v_mul_f32_e32 v3, v63, v47
	v_fma_f32 v3, v62, v46, -v3
	v_mul_f32_e32 v218, v80, v37
	v_add_f32_e32 v2, v2, v3
	v_mul_f32_e32 v3, v65, v49
	v_mul_f32_e32 v219, v74, v39
	v_fmac_f32_e32 v218, v81, v36
	v_fma_f32 v3, v64, v48, -v3
	v_mul_f32_e32 v220, v76, v41
	v_fmac_f32_e32 v219, v75, v38
	v_add_f32_e32 v115, v115, v218
	v_add_f32_e32 v2, v2, v3
	s_waitcnt vmcnt(6) lgkmcnt(1)
	v_mul_f32_e32 v3, v55, v51
	v_mul_f32_e32 v221, v70, v43
	v_fmac_f32_e32 v220, v77, v40
	v_add_f32_e32 v115, v115, v219
	v_fma_f32 v3, v54, v50, -v3
	v_mul_f32_e32 v222, v72, v45
	v_fmac_f32_e32 v221, v71, v42
	v_add_f32_e32 v115, v115, v220
	v_add_f32_e32 v2, v2, v3
	v_mul_f32_e32 v3, v57, v53
	v_mul_f32_e32 v223, v62, v47
	v_fmac_f32_e32 v222, v73, v44
	v_add_f32_e32 v115, v115, v221
	v_fma_f32 v3, v56, v52, -v3
	v_mul_f32_e32 v224, v64, v49
	v_fmac_f32_e32 v223, v63, v46
	v_add_f32_e32 v115, v115, v222
	v_add_f32_e32 v218, v2, v3
	s_waitcnt vmcnt(5) lgkmcnt(0)
	v_mul_f32_e32 v2, v59, v67
	v_mul_f32_e32 v225, v54, v51
	v_fmac_f32_e32 v224, v65, v48
	v_add_f32_e32 v115, v115, v223
	v_fma_f32 v220, v58, v66, -v2
	v_mul_f32_e32 v2, v61, v69
	v_mul_f32_e32 v226, v56, v53
	v_fmac_f32_e32 v225, v55, v50
	v_add_f32_e32 v115, v115, v224
	v_fma_f32 v222, v60, v68, -v2
	ds_read_b128 v[2:5], v114 offset:608
	ds_read_b128 v[6:9], v114 offset:624
	;; [unrolled: 1-line block ×4, first 2 shown]
	v_add_f32_e32 v115, v115, v225
	v_fmac_f32_e32 v226, v57, v52
	v_mul_f32_e32 v221, v58, v67
	v_add_f32_e32 v219, v115, v226
	v_fmac_f32_e32 v221, v59, v66
	v_mul_f32_e32 v223, v60, v69
	s_waitcnt vmcnt(3) lgkmcnt(3)
	v_pk_mul_f32 v[20:21], v[2:3], v[116:117] op_sel:[1,1] op_sel_hi:[0,1]
	v_fmac_f32_e32 v223, v61, v68
	v_pk_add_f32 v[18:19], v[218:219], v[220:221]
	v_pk_fma_f32 v[22:23], v[2:3], v[116:117], v[20:21] neg_lo:[0,0,1] neg_hi:[0,0,1]
	v_pk_fma_f32 v[2:3], v[2:3], v[116:117], v[20:21] op_sel_hi:[1,0,1]
	v_pk_add_f32 v[18:19], v[18:19], v[222:223]
	v_mov_b32_e32 v23, v3
	v_pk_add_f32 v[2:3], v[18:19], v[22:23]
	v_mov_b32_e32 v18, v119
	v_pk_mul_f32 v[18:19], v[4:5], v[18:19] op_sel:[1,0] op_sel_hi:[0,0]
	v_pk_fma_f32 v[20:21], v[4:5], v[118:119], v[18:19] neg_lo:[0,0,1] neg_hi:[0,0,1]
	v_pk_fma_f32 v[4:5], v[4:5], v[118:119], v[18:19] op_sel_hi:[1,0,1]
	s_nop 0
	v_mov_b32_e32 v21, v5
	s_waitcnt vmcnt(2) lgkmcnt(2)
	v_pk_mul_f32 v[4:5], v[6:7], v[206:207] op_sel:[1,1] op_sel_hi:[0,1]
	v_pk_fma_f32 v[18:19], v[6:7], v[206:207], v[4:5] neg_lo:[0,0,1] neg_hi:[0,0,1]
	v_pk_fma_f32 v[4:5], v[6:7], v[206:207], v[4:5] op_sel_hi:[1,0,1]
	v_pk_add_f32 v[2:3], v[2:3], v[20:21]
	v_mov_b32_e32 v4, v209
	v_mov_b32_e32 v19, v5
	v_pk_mul_f32 v[4:5], v[8:9], v[4:5] op_sel:[1,0] op_sel_hi:[0,0]
	v_pk_fma_f32 v[6:7], v[8:9], v[208:209], v[4:5] neg_lo:[0,0,1] neg_hi:[0,0,1]
	v_pk_fma_f32 v[4:5], v[8:9], v[208:209], v[4:5] op_sel_hi:[1,0,1]
	v_pk_add_f32 v[2:3], v[2:3], v[18:19]
	v_mov_b32_e32 v7, v5
	s_waitcnt vmcnt(1) lgkmcnt(1)
	v_pk_mul_f32 v[4:5], v[10:11], v[210:211] op_sel:[1,1] op_sel_hi:[0,1]
	v_pk_add_f32 v[2:3], v[2:3], v[6:7]
	v_pk_fma_f32 v[6:7], v[10:11], v[210:211], v[4:5] neg_lo:[0,0,1] neg_hi:[0,0,1]
	v_pk_fma_f32 v[4:5], v[10:11], v[210:211], v[4:5] op_sel_hi:[1,0,1]
	s_nop 0
	v_mov_b32_e32 v4, v213
	v_mov_b32_e32 v7, v5
	v_pk_mul_f32 v[4:5], v[12:13], v[4:5] op_sel:[1,0] op_sel_hi:[0,0]
	v_pk_add_f32 v[2:3], v[2:3], v[6:7]
	v_pk_fma_f32 v[6:7], v[12:13], v[212:213], v[4:5] neg_lo:[0,0,1] neg_hi:[0,0,1]
	v_pk_fma_f32 v[4:5], v[12:13], v[212:213], v[4:5] op_sel_hi:[1,0,1]
	s_nop 0
	v_mov_b32_e32 v7, v5
	s_waitcnt vmcnt(0) lgkmcnt(0)
	v_pk_mul_f32 v[4:5], v[14:15], v[214:215] op_sel:[1,1] op_sel_hi:[0,1]
	v_pk_add_f32 v[2:3], v[2:3], v[6:7]
	v_pk_fma_f32 v[6:7], v[14:15], v[214:215], v[4:5] neg_lo:[0,0,1] neg_hi:[0,0,1]
	v_pk_fma_f32 v[4:5], v[14:15], v[214:215], v[4:5] op_sel_hi:[1,0,1]
	s_nop 0
	v_mov_b32_e32 v4, v217
	v_mov_b32_e32 v7, v5
	v_pk_mul_f32 v[4:5], v[16:17], v[4:5] op_sel:[1,0] op_sel_hi:[0,0]
	v_pk_add_f32 v[2:3], v[2:3], v[6:7]
	v_pk_fma_f32 v[6:7], v[16:17], v[216:217], v[4:5] neg_lo:[0,0,1] neg_hi:[0,0,1]
	v_pk_fma_f32 v[4:5], v[16:17], v[216:217], v[4:5] op_sel_hi:[1,0,1]
	s_nop 0
	v_mov_b32_e32 v7, v5
	v_pk_add_f32 v[2:3], v[2:3], v[6:7]
	s_nop 0
	v_pk_add_f32 v[2:3], v[120:121], v[2:3] neg_lo:[0,1] neg_hi:[0,1]
	scratch_store_dwordx2 off, v[2:3], off offset:40
	s_and_saveexec_b64 s[0:1], vcc
	s_cbranch_execz .LBB41_257
; %bb.256:
	scratch_load_dwordx2 v[2:3], off, off offset:32
	v_mov_b32_e32 v4, 0
	v_mov_b32_e32 v5, v4
	scratch_store_dwordx2 off, v[4:5], off offset:32
	s_waitcnt vmcnt(1)
	ds_write_b64 v1, v[2:3]
.LBB41_257:
	s_or_b64 exec, exec, s[0:1]
	s_waitcnt lgkmcnt(0)
	; wave barrier
	scratch_load_dwordx4 v[2:5], off, off offset:40
	scratch_load_dwordx4 v[6:9], off, off offset:56
	;; [unrolled: 1-line block ×15, first 2 shown]
	scratch_load_dwordx2 v[120:121], off, off offset:32
	v_mov_b32_e32 v118, 0
	ds_read2_b64 v[62:65], v118 offset0:47 offset1:48
	ds_read2_b64 v[66:69], v118 offset0:49 offset1:50
	ds_read2_b64 v[70:73], v118 offset0:51 offset1:52
	ds_read2_b64 v[74:77], v118 offset0:53 offset1:54
	ds_read2_b64 v[78:81], v118 offset0:55 offset1:56
	ds_read2_b64 v[82:85], v118 offset0:57 offset1:58
	ds_read2_b64 v[86:89], v118 offset0:59 offset1:60
	ds_read2_b64 v[90:93], v118 offset0:61 offset1:62
	ds_read2_b64 v[94:97], v118 offset0:63 offset1:64
	ds_read2_b64 v[98:101], v118 offset0:65 offset1:66
	ds_read2_b64 v[102:105], v118 offset0:67 offset1:68
	ds_read2_b64 v[106:109], v118 offset0:69 offset1:70
	ds_read2_b64 v[110:113], v118 offset0:71 offset1:72
	ds_read2_b64 v[114:117], v118 offset0:73 offset1:74
	v_cmp_lt_u32_e32 vcc, 3, v0
	s_waitcnt vmcnt(15) lgkmcnt(13)
	v_mul_f32_e32 v119, v62, v3
	v_mul_f32_e32 v206, v64, v5
	v_fmac_f32_e32 v119, v63, v2
	s_waitcnt vmcnt(14) lgkmcnt(12)
	v_mul_f32_e32 v207, v66, v7
	v_fmac_f32_e32 v206, v65, v4
	v_add_f32_e32 v119, 0, v119
	v_mul_f32_e32 v208, v68, v9
	v_fmac_f32_e32 v207, v67, v6
	v_add_f32_e32 v119, v119, v206
	s_waitcnt vmcnt(13) lgkmcnt(11)
	v_mul_f32_e32 v209, v70, v11
	v_fmac_f32_e32 v208, v69, v8
	v_add_f32_e32 v119, v119, v207
	v_mul_f32_e32 v210, v72, v13
	v_fmac_f32_e32 v209, v71, v10
	v_add_f32_e32 v119, v119, v208
	s_waitcnt vmcnt(12) lgkmcnt(10)
	v_mul_f32_e32 v211, v74, v15
	v_fmac_f32_e32 v210, v73, v12
	v_add_f32_e32 v119, v119, v209
	v_mul_f32_e32 v212, v76, v17
	v_fmac_f32_e32 v211, v75, v14
	v_add_f32_e32 v119, v119, v210
	s_waitcnt vmcnt(11) lgkmcnt(9)
	v_mul_f32_e32 v213, v78, v19
	v_fmac_f32_e32 v212, v77, v16
	v_add_f32_e32 v119, v119, v211
	v_mul_f32_e32 v214, v80, v21
	v_fmac_f32_e32 v213, v79, v18
	v_add_f32_e32 v119, v119, v212
	s_waitcnt vmcnt(10) lgkmcnt(8)
	v_mul_f32_e32 v215, v82, v23
	v_fmac_f32_e32 v214, v81, v20
	v_add_f32_e32 v119, v119, v213
	v_mul_f32_e32 v216, v84, v25
	v_fmac_f32_e32 v215, v83, v22
	v_add_f32_e32 v119, v119, v214
	s_waitcnt vmcnt(9) lgkmcnt(7)
	v_mul_f32_e32 v217, v86, v27
	v_fmac_f32_e32 v216, v85, v24
	v_add_f32_e32 v119, v119, v215
	v_mul_f32_e32 v218, v88, v29
	v_fmac_f32_e32 v217, v87, v26
	v_add_f32_e32 v119, v119, v216
	s_waitcnt vmcnt(8) lgkmcnt(6)
	v_mul_f32_e32 v219, v90, v31
	v_fmac_f32_e32 v218, v89, v28
	v_add_f32_e32 v119, v119, v217
	v_mul_f32_e32 v220, v92, v33
	v_fmac_f32_e32 v219, v91, v30
	v_add_f32_e32 v119, v119, v218
	s_waitcnt vmcnt(7) lgkmcnt(5)
	v_mul_f32_e32 v221, v94, v35
	v_fmac_f32_e32 v220, v93, v32
	v_add_f32_e32 v119, v119, v219
	v_mul_f32_e32 v222, v96, v37
	v_fmac_f32_e32 v221, v95, v34
	v_add_f32_e32 v119, v119, v220
	s_waitcnt vmcnt(6) lgkmcnt(4)
	v_mul_f32_e32 v223, v98, v39
	v_fmac_f32_e32 v222, v97, v36
	v_add_f32_e32 v119, v119, v221
	v_mul_f32_e32 v224, v100, v41
	v_fmac_f32_e32 v223, v99, v38
	v_add_f32_e32 v119, v119, v222
	s_waitcnt vmcnt(5) lgkmcnt(3)
	v_mul_f32_e32 v225, v102, v43
	v_fmac_f32_e32 v224, v101, v40
	v_add_f32_e32 v119, v119, v223
	v_mul_f32_e32 v226, v104, v45
	v_fmac_f32_e32 v225, v103, v42
	v_add_f32_e32 v119, v119, v224
	s_waitcnt vmcnt(4) lgkmcnt(2)
	v_mul_f32_e32 v227, v106, v47
	v_fmac_f32_e32 v226, v105, v44
	v_add_f32_e32 v119, v119, v225
	v_mul_f32_e32 v228, v108, v49
	v_fmac_f32_e32 v227, v107, v46
	v_add_f32_e32 v119, v119, v226
	s_waitcnt vmcnt(3) lgkmcnt(1)
	v_mul_f32_e32 v229, v110, v51
	v_fmac_f32_e32 v228, v109, v48
	v_add_f32_e32 v119, v119, v227
	v_add_f32_e32 v119, v119, v228
	v_fmac_f32_e32 v229, v111, v50
	v_mul_f32_e32 v206, v112, v53
	v_add_f32_e32 v119, v119, v229
	v_fmac_f32_e32 v206, v113, v52
	s_waitcnt vmcnt(2) lgkmcnt(0)
	v_mul_f32_e32 v210, v114, v55
	v_add_f32_e32 v119, v119, v206
	v_fmac_f32_e32 v210, v115, v54
	ds_read2_b64 v[206:209], v118 offset0:75 offset1:76
	v_add_f32_e32 v227, v119, v210
	ds_read2_b64 v[210:213], v118 offset0:77 offset1:78
	scratch_load_dwordx4 v[214:217], off, off offset:280
	scratch_load_dwordx4 v[218:221], off, off offset:296
	;; [unrolled: 1-line block ×3, first 2 shown]
	scratch_load_dwordx2 v[232:233], off, off offset:328
	v_mul_f32_e32 v3, v63, v3
	v_fma_f32 v2, v62, v2, -v3
	v_mul_f32_e32 v3, v65, v5
	v_add_f32_e32 v2, 0, v2
	v_fma_f32 v3, v64, v4, -v3
	v_add_f32_e32 v2, v2, v3
	v_mul_f32_e32 v3, v67, v7
	v_fma_f32 v3, v66, v6, -v3
	v_add_f32_e32 v2, v2, v3
	v_mul_f32_e32 v3, v69, v9
	;; [unrolled: 3-line block ×25, first 2 shown]
	v_fma_f32 v3, v114, v54, -v3
	v_mul_f32_e32 v229, v116, v57
	v_add_f32_e32 v226, v2, v3
	v_mul_f32_e32 v2, v117, v57
	s_waitcnt vmcnt(5)
	v_mov_b32_e32 v14, v61
	v_fmac_f32_e32 v229, v117, v56
	s_waitcnt lgkmcnt(1)
	v_mul_f32_e32 v231, v206, v59
	v_fma_f32 v228, v116, v56, -v2
	v_mul_f32_e32 v2, v207, v59
	v_pk_mul_f32 v[14:15], v[208:209], v[14:15] op_sel:[1,0] op_sel_hi:[0,0]
	v_fmac_f32_e32 v231, v207, v58
	v_fma_f32 v230, v206, v58, -v2
	v_pk_add_f32 v[12:13], v[226:227], v[228:229]
	v_pk_fma_f32 v[16:17], v[208:209], v[60:61], v[14:15] neg_lo:[0,0,1] neg_hi:[0,0,1]
	v_pk_fma_f32 v[14:15], v[208:209], v[60:61], v[14:15] op_sel_hi:[1,0,1]
	v_pk_add_f32 v[12:13], v[12:13], v[230:231]
	v_mov_b32_e32 v17, v15
	s_waitcnt vmcnt(3) lgkmcnt(0)
	v_pk_mul_f32 v[14:15], v[210:211], v[214:215] op_sel:[1,1] op_sel_hi:[0,1]
	v_pk_add_f32 v[12:13], v[12:13], v[16:17]
	v_pk_fma_f32 v[16:17], v[210:211], v[214:215], v[14:15] neg_lo:[0,0,1] neg_hi:[0,0,1]
	v_pk_fma_f32 v[14:15], v[210:211], v[214:215], v[14:15] op_sel_hi:[1,0,1]
	ds_read2_b64 v[2:5], v118 offset0:79 offset1:80
	ds_read2_b64 v[6:9], v118 offset0:81 offset1:82
	ds_read_b64 v[10:11], v118 offset:664
	v_mov_b32_e32 v14, v217
	v_mov_b32_e32 v17, v15
	v_pk_mul_f32 v[14:15], v[212:213], v[14:15] op_sel:[1,0] op_sel_hi:[0,0]
	v_pk_add_f32 v[12:13], v[12:13], v[16:17]
	v_pk_fma_f32 v[16:17], v[212:213], v[216:217], v[14:15] neg_lo:[0,0,1] neg_hi:[0,0,1]
	v_pk_fma_f32 v[14:15], v[212:213], v[216:217], v[14:15] op_sel_hi:[1,0,1]
	s_nop 0
	v_mov_b32_e32 v17, v15
	s_waitcnt vmcnt(2) lgkmcnt(2)
	v_pk_mul_f32 v[14:15], v[2:3], v[218:219] op_sel:[1,1] op_sel_hi:[0,1]
	v_pk_add_f32 v[12:13], v[12:13], v[16:17]
	v_pk_fma_f32 v[16:17], v[2:3], v[218:219], v[14:15] neg_lo:[0,0,1] neg_hi:[0,0,1]
	v_pk_fma_f32 v[2:3], v[2:3], v[218:219], v[14:15] op_sel_hi:[1,0,1]
	s_nop 0
	v_mov_b32_e32 v17, v3
	v_pk_add_f32 v[2:3], v[12:13], v[16:17]
	v_mov_b32_e32 v12, v221
	v_pk_mul_f32 v[12:13], v[4:5], v[12:13] op_sel:[1,0] op_sel_hi:[0,0]
	v_pk_fma_f32 v[14:15], v[4:5], v[220:221], v[12:13] neg_lo:[0,0,1] neg_hi:[0,0,1]
	v_pk_fma_f32 v[4:5], v[4:5], v[220:221], v[12:13] op_sel_hi:[1,0,1]
	s_nop 0
	v_mov_b32_e32 v15, v5
	s_waitcnt vmcnt(1) lgkmcnt(1)
	v_pk_mul_f32 v[4:5], v[6:7], v[222:223] op_sel:[1,1] op_sel_hi:[0,1]
	v_pk_fma_f32 v[12:13], v[6:7], v[222:223], v[4:5] neg_lo:[0,0,1] neg_hi:[0,0,1]
	v_pk_fma_f32 v[4:5], v[6:7], v[222:223], v[4:5] op_sel_hi:[1,0,1]
	v_pk_add_f32 v[2:3], v[2:3], v[14:15]
	v_mov_b32_e32 v4, v225
	v_mov_b32_e32 v13, v5
	v_pk_mul_f32 v[4:5], v[8:9], v[4:5] op_sel:[1,0] op_sel_hi:[0,0]
	v_pk_fma_f32 v[6:7], v[8:9], v[224:225], v[4:5] neg_lo:[0,0,1] neg_hi:[0,0,1]
	v_pk_fma_f32 v[4:5], v[8:9], v[224:225], v[4:5] op_sel_hi:[1,0,1]
	v_pk_add_f32 v[2:3], v[2:3], v[12:13]
	v_mov_b32_e32 v7, v5
	s_waitcnt vmcnt(0) lgkmcnt(0)
	v_pk_mul_f32 v[4:5], v[10:11], v[232:233] op_sel:[1,1] op_sel_hi:[0,1]
	v_pk_add_f32 v[2:3], v[2:3], v[6:7]
	v_pk_fma_f32 v[6:7], v[10:11], v[232:233], v[4:5] neg_lo:[0,0,1] neg_hi:[0,0,1]
	v_pk_fma_f32 v[4:5], v[10:11], v[232:233], v[4:5] op_sel_hi:[1,0,1]
	s_nop 0
	v_mov_b32_e32 v7, v5
	v_pk_add_f32 v[2:3], v[2:3], v[6:7]
	s_nop 0
	v_pk_add_f32 v[2:3], v[120:121], v[2:3] neg_lo:[0,1] neg_hi:[0,1]
	scratch_store_dwordx2 off, v[2:3], off offset:32
	s_and_saveexec_b64 s[0:1], vcc
	s_cbranch_execz .LBB41_259
; %bb.258:
	scratch_load_dwordx2 v[2:3], off, off offset:24
	v_mov_b32_e32 v119, v118
	scratch_store_dwordx2 off, v[118:119], off offset:24
	s_waitcnt vmcnt(1)
	ds_write_b64 v1, v[2:3]
.LBB41_259:
	s_or_b64 exec, exec, s[0:1]
	s_waitcnt lgkmcnt(0)
	; wave barrier
	scratch_load_dwordx4 v[2:5], off, off offset:32
	scratch_load_dwordx4 v[6:9], off, off offset:48
	;; [unrolled: 1-line block ×13, first 2 shown]
	ds_read_b128 v[114:117], v118 offset:368
	ds_read_b128 v[110:113], v118 offset:384
	ds_read_b128 v[106:109], v118 offset:400
	ds_read_b128 v[102:105], v118 offset:416
	ds_read_b128 v[98:101], v118 offset:432
	ds_read_b128 v[94:97], v118 offset:448
	ds_read_b128 v[90:93], v118 offset:464
	ds_read_b128 v[86:89], v118 offset:480
	ds_read_b128 v[82:85], v118 offset:496
	ds_read_b128 v[78:81], v118 offset:512
	ds_read_b128 v[74:77], v118 offset:528
	ds_read_b128 v[66:69], v118 offset:544
	ds_read_b128 v[54:57], v118 offset:560
	ds_read_b128 v[58:61], v118 offset:576
	scratch_load_dwordx4 v[62:65], off, off offset:240
	scratch_load_dwordx4 v[70:73], off, off offset:256
	scratch_load_dwordx2 v[120:121], off, off offset:24
	v_cmp_lt_u32_e32 vcc, 2, v0
	s_waitcnt vmcnt(15) lgkmcnt(13)
	v_mul_f32_e32 v119, v114, v3
	v_mul_f32_e32 v206, v116, v5
	v_fmac_f32_e32 v119, v115, v2
	s_waitcnt vmcnt(14) lgkmcnt(12)
	v_mul_f32_e32 v207, v110, v7
	v_fmac_f32_e32 v206, v117, v4
	v_add_f32_e32 v119, 0, v119
	v_mul_f32_e32 v208, v112, v9
	v_fmac_f32_e32 v207, v111, v6
	v_add_f32_e32 v119, v119, v206
	s_waitcnt vmcnt(13) lgkmcnt(11)
	v_mul_f32_e32 v209, v106, v11
	v_fmac_f32_e32 v208, v113, v8
	v_add_f32_e32 v119, v119, v207
	v_mul_f32_e32 v210, v108, v13
	v_fmac_f32_e32 v209, v107, v10
	v_add_f32_e32 v119, v119, v208
	;; [unrolled: 7-line block ×11, first 2 shown]
	s_waitcnt vmcnt(3) lgkmcnt(1)
	v_mul_f32_e32 v229, v54, v51
	v_fmac_f32_e32 v228, v69, v48
	v_add_f32_e32 v119, v119, v227
	v_fmac_f32_e32 v229, v55, v50
	v_add_f32_e32 v119, v119, v228
	v_mul_f32_e32 v206, v56, v53
	v_add_f32_e32 v119, v119, v229
	v_fmac_f32_e32 v206, v57, v52
	v_add_f32_e32 v119, v119, v206
	s_waitcnt vmcnt(2) lgkmcnt(0)
	v_mul_f32_e32 v206, v58, v63
	v_fmac_f32_e32 v206, v59, v62
	v_mul_f32_e32 v210, v60, v65
	v_add_f32_e32 v119, v119, v206
	v_fmac_f32_e32 v210, v61, v64
	ds_read_b128 v[206:209], v118 offset:592
	v_add_f32_e32 v231, v119, v210
	ds_read_b128 v[210:213], v118 offset:608
	scratch_load_dwordx4 v[214:217], off, off offset:272
	scratch_load_dwordx4 v[218:221], off, off offset:288
	;; [unrolled: 1-line block ×4, first 2 shown]
	v_mul_f32_e32 v3, v115, v3
	v_fma_f32 v2, v114, v2, -v3
	v_mul_f32_e32 v3, v117, v5
	v_add_f32_e32 v2, 0, v2
	v_fma_f32 v3, v116, v4, -v3
	v_add_f32_e32 v2, v2, v3
	v_mul_f32_e32 v3, v111, v7
	v_fma_f32 v3, v110, v6, -v3
	v_add_f32_e32 v2, v2, v3
	v_mul_f32_e32 v3, v113, v9
	;; [unrolled: 3-line block ×26, first 2 shown]
	v_fma_f32 v3, v60, v64, -v3
	s_waitcnt vmcnt(5) lgkmcnt(1)
	v_mul_f32_e32 v233, v206, v71
	v_add_f32_e32 v230, v2, v3
	v_mul_f32_e32 v2, v207, v71
	s_waitcnt vmcnt(3) lgkmcnt(0)
	v_pk_mul_f32 v[16:17], v[210:211], v[214:215] op_sel:[1,1] op_sel_hi:[0,1]
	v_fmac_f32_e32 v233, v207, v70
	v_mul_f32_e32 v235, v208, v73
	v_fma_f32 v232, v206, v70, -v2
	v_mul_f32_e32 v2, v209, v73
	v_pk_fma_f32 v[18:19], v[210:211], v[214:215], v[16:17] neg_lo:[0,0,1] neg_hi:[0,0,1]
	v_pk_fma_f32 v[16:17], v[210:211], v[214:215], v[16:17] op_sel_hi:[1,0,1]
	v_fmac_f32_e32 v235, v209, v72
	v_fma_f32 v234, v208, v72, -v2
	ds_read_b128 v[2:5], v118 offset:624
	ds_read_b128 v[6:9], v118 offset:640
	;; [unrolled: 1-line block ×3, first 2 shown]
	v_pk_add_f32 v[14:15], v[230:231], v[232:233]
	v_mov_b32_e32 v16, v217
	v_pk_add_f32 v[14:15], v[14:15], v[234:235]
	v_mov_b32_e32 v19, v17
	v_pk_mul_f32 v[16:17], v[212:213], v[16:17] op_sel:[1,0] op_sel_hi:[0,0]
	v_pk_add_f32 v[14:15], v[14:15], v[18:19]
	v_pk_fma_f32 v[18:19], v[212:213], v[216:217], v[16:17] neg_lo:[0,0,1] neg_hi:[0,0,1]
	v_pk_fma_f32 v[16:17], v[212:213], v[216:217], v[16:17] op_sel_hi:[1,0,1]
	s_nop 0
	v_mov_b32_e32 v19, v17
	s_waitcnt vmcnt(2) lgkmcnt(2)
	v_pk_mul_f32 v[16:17], v[2:3], v[218:219] op_sel:[1,1] op_sel_hi:[0,1]
	v_pk_add_f32 v[14:15], v[14:15], v[18:19]
	v_pk_fma_f32 v[18:19], v[2:3], v[218:219], v[16:17] neg_lo:[0,0,1] neg_hi:[0,0,1]
	v_pk_fma_f32 v[2:3], v[2:3], v[218:219], v[16:17] op_sel_hi:[1,0,1]
	s_nop 0
	v_mov_b32_e32 v19, v3
	v_pk_add_f32 v[2:3], v[14:15], v[18:19]
	v_mov_b32_e32 v14, v221
	v_pk_mul_f32 v[14:15], v[4:5], v[14:15] op_sel:[1,0] op_sel_hi:[0,0]
	v_pk_fma_f32 v[16:17], v[4:5], v[220:221], v[14:15] neg_lo:[0,0,1] neg_hi:[0,0,1]
	v_pk_fma_f32 v[4:5], v[4:5], v[220:221], v[14:15] op_sel_hi:[1,0,1]
	s_nop 0
	v_mov_b32_e32 v17, v5
	s_waitcnt vmcnt(1) lgkmcnt(1)
	v_pk_mul_f32 v[4:5], v[6:7], v[222:223] op_sel:[1,1] op_sel_hi:[0,1]
	v_pk_fma_f32 v[14:15], v[6:7], v[222:223], v[4:5] neg_lo:[0,0,1] neg_hi:[0,0,1]
	v_pk_fma_f32 v[4:5], v[6:7], v[222:223], v[4:5] op_sel_hi:[1,0,1]
	v_pk_add_f32 v[2:3], v[2:3], v[16:17]
	v_mov_b32_e32 v4, v225
	v_mov_b32_e32 v15, v5
	v_pk_mul_f32 v[4:5], v[8:9], v[4:5] op_sel:[1,0] op_sel_hi:[0,0]
	v_pk_fma_f32 v[6:7], v[8:9], v[224:225], v[4:5] neg_lo:[0,0,1] neg_hi:[0,0,1]
	v_pk_fma_f32 v[4:5], v[8:9], v[224:225], v[4:5] op_sel_hi:[1,0,1]
	v_pk_add_f32 v[2:3], v[2:3], v[14:15]
	v_mov_b32_e32 v7, v5
	s_waitcnt vmcnt(0) lgkmcnt(0)
	v_pk_mul_f32 v[4:5], v[10:11], v[226:227] op_sel:[1,1] op_sel_hi:[0,1]
	v_pk_add_f32 v[2:3], v[2:3], v[6:7]
	v_pk_fma_f32 v[6:7], v[10:11], v[226:227], v[4:5] neg_lo:[0,0,1] neg_hi:[0,0,1]
	v_pk_fma_f32 v[4:5], v[10:11], v[226:227], v[4:5] op_sel_hi:[1,0,1]
	s_nop 0
	v_mov_b32_e32 v4, v229
	v_mov_b32_e32 v7, v5
	v_pk_mul_f32 v[4:5], v[12:13], v[4:5] op_sel:[1,0] op_sel_hi:[0,0]
	v_pk_add_f32 v[2:3], v[2:3], v[6:7]
	v_pk_fma_f32 v[6:7], v[12:13], v[228:229], v[4:5] neg_lo:[0,0,1] neg_hi:[0,0,1]
	v_pk_fma_f32 v[4:5], v[12:13], v[228:229], v[4:5] op_sel_hi:[1,0,1]
	s_nop 0
	v_mov_b32_e32 v7, v5
	v_pk_add_f32 v[2:3], v[2:3], v[6:7]
	s_nop 0
	v_pk_add_f32 v[2:3], v[120:121], v[2:3] neg_lo:[0,1] neg_hi:[0,1]
	scratch_store_dwordx2 off, v[2:3], off offset:24
	s_and_saveexec_b64 s[0:1], vcc
	s_cbranch_execz .LBB41_261
; %bb.260:
	scratch_load_dwordx2 v[2:3], off, off offset:16
	v_mov_b32_e32 v4, 0
	v_mov_b32_e32 v5, v4
	scratch_store_dwordx2 off, v[4:5], off offset:16
	s_waitcnt vmcnt(1)
	ds_write_b64 v1, v[2:3]
.LBB41_261:
	s_or_b64 exec, exec, s[0:1]
	s_waitcnt lgkmcnt(0)
	; wave barrier
	scratch_load_dwordx4 v[2:5], off, off offset:24
	scratch_load_dwordx4 v[6:9], off, off offset:40
	;; [unrolled: 1-line block ×16, first 2 shown]
	scratch_load_dwordx2 v[228:229], off, off offset:16
	v_mov_b32_e32 v206, 0
	ds_read2_b64 v[66:69], v206 offset0:45 offset1:46
	ds_read2_b64 v[70:73], v206 offset0:47 offset1:48
	;; [unrolled: 1-line block ×14, first 2 shown]
	v_cmp_lt_u32_e32 vcc, 1, v0
	s_waitcnt vmcnt(16) lgkmcnt(13)
	v_mul_f32_e32 v207, v66, v3
	v_mul_f32_e32 v208, v68, v5
	v_fmac_f32_e32 v207, v67, v2
	s_waitcnt vmcnt(15) lgkmcnt(12)
	v_mul_f32_e32 v209, v70, v7
	v_fmac_f32_e32 v208, v69, v4
	v_add_f32_e32 v207, 0, v207
	v_mul_f32_e32 v210, v72, v9
	v_fmac_f32_e32 v209, v71, v6
	v_add_f32_e32 v207, v207, v208
	s_waitcnt vmcnt(14) lgkmcnt(11)
	v_mul_f32_e32 v211, v74, v11
	v_fmac_f32_e32 v210, v73, v8
	v_add_f32_e32 v207, v207, v209
	v_mul_f32_e32 v212, v76, v13
	v_fmac_f32_e32 v211, v75, v10
	v_add_f32_e32 v207, v207, v210
	;; [unrolled: 7-line block ×11, first 2 shown]
	v_fmac_f32_e32 v232, v113, v48
	v_add_f32_e32 v207, v207, v231
	s_waitcnt vmcnt(4) lgkmcnt(1)
	v_mul_f32_e32 v208, v114, v51
	v_add_f32_e32 v207, v207, v232
	v_fmac_f32_e32 v208, v115, v50
	v_add_f32_e32 v207, v207, v208
	v_mul_f32_e32 v208, v116, v53
	v_fmac_f32_e32 v208, v117, v52
	v_add_f32_e32 v207, v207, v208
	s_waitcnt vmcnt(3) lgkmcnt(0)
	v_mul_f32_e32 v208, v118, v55
	v_fmac_f32_e32 v208, v119, v54
	v_add_f32_e32 v207, v207, v208
	ds_read2_b64 v[208:211], v206 offset0:73 offset1:74
	v_mul_f32_e32 v212, v120, v57
	v_fmac_f32_e32 v212, v121, v56
	v_add_f32_e32 v207, v207, v212
	ds_read2_b64 v[212:215], v206 offset0:75 offset1:76
	s_waitcnt vmcnt(2) lgkmcnt(1)
	v_mul_f32_e32 v216, v208, v63
	v_fmac_f32_e32 v216, v209, v62
	v_add_f32_e32 v231, v207, v216
	scratch_load_dwordx4 v[216:219], off, off offset:280
	scratch_load_dwordx4 v[220:223], off, off offset:296
	;; [unrolled: 1-line block ×3, first 2 shown]
	scratch_load_dwordx2 v[236:237], off, off offset:328
	v_mul_f32_e32 v3, v67, v3
	v_fma_f32 v2, v66, v2, -v3
	v_mul_f32_e32 v3, v69, v5
	v_add_f32_e32 v2, 0, v2
	v_fma_f32 v3, v68, v4, -v3
	v_add_f32_e32 v2, v2, v3
	v_mul_f32_e32 v3, v71, v7
	v_fma_f32 v3, v70, v6, -v3
	v_add_f32_e32 v2, v2, v3
	v_mul_f32_e32 v3, v73, v9
	;; [unrolled: 3-line block ×28, first 2 shown]
	v_mul_f32_e32 v233, v210, v65
	v_fma_f32 v232, v210, v64, -v2
	s_waitcnt vmcnt(5) lgkmcnt(0)
	v_mul_f32_e32 v2, v213, v59
	v_mov_b32_e32 v18, v61
	v_fmac_f32_e32 v233, v211, v64
	v_mul_f32_e32 v235, v212, v59
	v_fma_f32 v234, v212, v58, -v2
	ds_read2_b64 v[2:5], v206 offset0:77 offset1:78
	ds_read2_b64 v[6:9], v206 offset0:79 offset1:80
	;; [unrolled: 1-line block ×3, first 2 shown]
	ds_read_b64 v[14:15], v206 offset:664
	v_pk_mul_f32 v[18:19], v[214:215], v[18:19] op_sel:[1,0] op_sel_hi:[0,0]
	v_fmac_f32_e32 v235, v213, v58
	v_pk_add_f32 v[16:17], v[230:231], v[232:233]
	v_pk_fma_f32 v[20:21], v[214:215], v[60:61], v[18:19] neg_lo:[0,0,1] neg_hi:[0,0,1]
	v_pk_fma_f32 v[18:19], v[214:215], v[60:61], v[18:19] op_sel_hi:[1,0,1]
	v_pk_add_f32 v[16:17], v[16:17], v[234:235]
	v_mov_b32_e32 v21, v19
	s_waitcnt vmcnt(3) lgkmcnt(3)
	v_pk_mul_f32 v[18:19], v[2:3], v[216:217] op_sel:[1,1] op_sel_hi:[0,1]
	v_pk_add_f32 v[16:17], v[16:17], v[20:21]
	v_pk_fma_f32 v[20:21], v[2:3], v[216:217], v[18:19] neg_lo:[0,0,1] neg_hi:[0,0,1]
	v_pk_fma_f32 v[2:3], v[2:3], v[216:217], v[18:19] op_sel_hi:[1,0,1]
	s_nop 0
	v_mov_b32_e32 v21, v3
	v_pk_add_f32 v[2:3], v[16:17], v[20:21]
	v_mov_b32_e32 v16, v219
	v_pk_mul_f32 v[16:17], v[4:5], v[16:17] op_sel:[1,0] op_sel_hi:[0,0]
	v_pk_fma_f32 v[18:19], v[4:5], v[218:219], v[16:17] neg_lo:[0,0,1] neg_hi:[0,0,1]
	v_pk_fma_f32 v[4:5], v[4:5], v[218:219], v[16:17] op_sel_hi:[1,0,1]
	s_nop 0
	v_mov_b32_e32 v19, v5
	s_waitcnt vmcnt(2) lgkmcnt(2)
	v_pk_mul_f32 v[4:5], v[6:7], v[220:221] op_sel:[1,1] op_sel_hi:[0,1]
	v_pk_fma_f32 v[16:17], v[6:7], v[220:221], v[4:5] neg_lo:[0,0,1] neg_hi:[0,0,1]
	v_pk_fma_f32 v[4:5], v[6:7], v[220:221], v[4:5] op_sel_hi:[1,0,1]
	v_pk_add_f32 v[2:3], v[2:3], v[18:19]
	v_mov_b32_e32 v4, v223
	v_mov_b32_e32 v17, v5
	v_pk_mul_f32 v[4:5], v[8:9], v[4:5] op_sel:[1,0] op_sel_hi:[0,0]
	v_pk_fma_f32 v[6:7], v[8:9], v[222:223], v[4:5] neg_lo:[0,0,1] neg_hi:[0,0,1]
	v_pk_fma_f32 v[4:5], v[8:9], v[222:223], v[4:5] op_sel_hi:[1,0,1]
	v_pk_add_f32 v[2:3], v[2:3], v[16:17]
	v_mov_b32_e32 v7, v5
	s_waitcnt vmcnt(1) lgkmcnt(1)
	v_pk_mul_f32 v[4:5], v[10:11], v[224:225] op_sel:[1,1] op_sel_hi:[0,1]
	v_pk_add_f32 v[2:3], v[2:3], v[6:7]
	v_pk_fma_f32 v[6:7], v[10:11], v[224:225], v[4:5] neg_lo:[0,0,1] neg_hi:[0,0,1]
	v_pk_fma_f32 v[4:5], v[10:11], v[224:225], v[4:5] op_sel_hi:[1,0,1]
	s_nop 0
	v_mov_b32_e32 v4, v227
	v_mov_b32_e32 v7, v5
	v_pk_mul_f32 v[4:5], v[12:13], v[4:5] op_sel:[1,0] op_sel_hi:[0,0]
	v_pk_add_f32 v[2:3], v[2:3], v[6:7]
	v_pk_fma_f32 v[6:7], v[12:13], v[226:227], v[4:5] neg_lo:[0,0,1] neg_hi:[0,0,1]
	v_pk_fma_f32 v[4:5], v[12:13], v[226:227], v[4:5] op_sel_hi:[1,0,1]
	s_nop 0
	v_mov_b32_e32 v7, v5
	s_waitcnt vmcnt(0) lgkmcnt(0)
	v_pk_mul_f32 v[4:5], v[14:15], v[236:237] op_sel:[1,1] op_sel_hi:[0,1]
	v_pk_add_f32 v[2:3], v[2:3], v[6:7]
	v_pk_fma_f32 v[6:7], v[14:15], v[236:237], v[4:5] neg_lo:[0,0,1] neg_hi:[0,0,1]
	v_pk_fma_f32 v[4:5], v[14:15], v[236:237], v[4:5] op_sel_hi:[1,0,1]
	s_nop 0
	v_mov_b32_e32 v7, v5
	v_pk_add_f32 v[2:3], v[2:3], v[6:7]
	s_nop 0
	v_pk_add_f32 v[2:3], v[228:229], v[2:3] neg_lo:[0,1] neg_hi:[0,1]
	scratch_store_dwordx2 off, v[2:3], off offset:16
	s_and_saveexec_b64 s[0:1], vcc
	s_cbranch_execz .LBB41_263
; %bb.262:
	scratch_load_dwordx2 v[2:3], off, off offset:8
	v_mov_b32_e32 v207, v206
	scratch_store_dwordx2 off, v[206:207], off offset:8
	s_waitcnt vmcnt(1)
	ds_write_b64 v1, v[2:3]
.LBB41_263:
	s_or_b64 exec, exec, s[0:1]
	s_waitcnt lgkmcnt(0)
	; wave barrier
	scratch_load_dwordx4 v[2:5], off, off offset:16
	scratch_load_dwordx4 v[6:9], off, off offset:32
	;; [unrolled: 1-line block ×13, first 2 shown]
	ds_read_b128 v[118:121], v206 offset:352
	ds_read_b128 v[114:117], v206 offset:368
	ds_read_b128 v[110:113], v206 offset:384
	ds_read_b128 v[106:109], v206 offset:400
	ds_read_b128 v[102:105], v206 offset:416
	ds_read_b128 v[98:101], v206 offset:432
	ds_read_b128 v[94:97], v206 offset:448
	ds_read_b128 v[90:93], v206 offset:464
	ds_read_b128 v[86:89], v206 offset:480
	ds_read_b128 v[82:85], v206 offset:496
	ds_read_b128 v[74:77], v206 offset:512
	ds_read_b128 v[66:69], v206 offset:528
	ds_read_b128 v[54:57], v206 offset:544
	ds_read_b128 v[58:61], v206 offset:560
	scratch_load_dwordx4 v[62:65], off, off offset:224
	scratch_load_dwordx4 v[70:73], off, off offset:240
	;; [unrolled: 1-line block ×3, first 2 shown]
	scratch_load_dwordx2 v[232:233], off, off offset:8
	v_cmp_ne_u32_e32 vcc, 0, v0
	s_waitcnt vmcnt(16) lgkmcnt(13)
	v_mul_f32_e32 v207, v118, v3
	v_mul_f32_e32 v208, v120, v5
	v_fmac_f32_e32 v207, v119, v2
	s_waitcnt vmcnt(15) lgkmcnt(12)
	v_mul_f32_e32 v209, v114, v7
	v_fmac_f32_e32 v208, v121, v4
	v_add_f32_e32 v207, 0, v207
	v_mul_f32_e32 v210, v116, v9
	v_fmac_f32_e32 v209, v115, v6
	v_add_f32_e32 v207, v207, v208
	s_waitcnt vmcnt(14) lgkmcnt(11)
	v_mul_f32_e32 v211, v110, v11
	v_fmac_f32_e32 v210, v117, v8
	v_add_f32_e32 v207, v207, v209
	v_mul_f32_e32 v212, v112, v13
	v_fmac_f32_e32 v211, v111, v10
	v_add_f32_e32 v207, v207, v210
	;; [unrolled: 7-line block ×11, first 2 shown]
	s_waitcnt vmcnt(4) lgkmcnt(1)
	v_mul_f32_e32 v231, v54, v51
	v_fmac_f32_e32 v230, v69, v48
	v_add_f32_e32 v207, v207, v229
	v_add_f32_e32 v207, v207, v230
	v_fmac_f32_e32 v231, v55, v50
	v_mul_f32_e32 v208, v56, v53
	v_add_f32_e32 v207, v207, v231
	v_fmac_f32_e32 v208, v57, v52
	v_add_f32_e32 v207, v207, v208
	s_waitcnt vmcnt(3) lgkmcnt(0)
	v_mul_f32_e32 v208, v58, v63
	v_fmac_f32_e32 v208, v59, v62
	v_add_f32_e32 v207, v207, v208
	ds_read_b128 v[208:211], v206 offset:576
	v_mul_f32_e32 v212, v60, v65
	v_fmac_f32_e32 v212, v61, v64
	v_add_f32_e32 v207, v207, v212
	ds_read_b128 v[212:215], v206 offset:592
	s_waitcnt vmcnt(2) lgkmcnt(1)
	v_mul_f32_e32 v216, v208, v71
	v_fmac_f32_e32 v216, v209, v70
	v_add_f32_e32 v207, v207, v216
	v_mul_f32_e32 v216, v210, v73
	v_fmac_f32_e32 v216, v211, v72
	v_add_f32_e32 v235, v207, v216
	scratch_load_dwordx4 v[216:219], off, off offset:272
	scratch_load_dwordx4 v[220:223], off, off offset:288
	;; [unrolled: 1-line block ×4, first 2 shown]
	v_mul_f32_e32 v3, v119, v3
	v_fma_f32 v2, v118, v2, -v3
	v_mul_f32_e32 v3, v121, v5
	v_add_f32_e32 v2, 0, v2
	v_fma_f32 v3, v120, v4, -v3
	v_add_f32_e32 v2, v2, v3
	v_mul_f32_e32 v3, v115, v7
	v_fma_f32 v3, v114, v6, -v3
	v_add_f32_e32 v2, v2, v3
	v_mul_f32_e32 v3, v117, v9
	;; [unrolled: 3-line block ×28, first 2 shown]
	v_fma_f32 v3, v210, v72, -v3
	v_add_f32_e32 v234, v2, v3
	s_waitcnt vmcnt(5) lgkmcnt(0)
	v_mul_f32_e32 v2, v213, v79
	v_fma_f32 v236, v212, v78, -v2
	v_mul_f32_e32 v2, v215, v81
	v_fma_f32 v238, v214, v80, -v2
	ds_read_b128 v[2:5], v206 offset:608
	ds_read_b128 v[6:9], v206 offset:624
	;; [unrolled: 1-line block ×4, first 2 shown]
	v_mul_f32_e32 v237, v212, v79
	v_fmac_f32_e32 v237, v213, v78
	v_mul_f32_e32 v239, v214, v81
	s_waitcnt vmcnt(3) lgkmcnt(3)
	v_pk_mul_f32 v[20:21], v[2:3], v[216:217] op_sel:[1,1] op_sel_hi:[0,1]
	v_fmac_f32_e32 v239, v215, v80
	v_pk_add_f32 v[18:19], v[234:235], v[236:237]
	v_pk_fma_f32 v[22:23], v[2:3], v[216:217], v[20:21] neg_lo:[0,0,1] neg_hi:[0,0,1]
	v_pk_fma_f32 v[2:3], v[2:3], v[216:217], v[20:21] op_sel_hi:[1,0,1]
	v_pk_add_f32 v[18:19], v[18:19], v[238:239]
	v_mov_b32_e32 v23, v3
	v_pk_add_f32 v[2:3], v[18:19], v[22:23]
	v_mov_b32_e32 v18, v219
	v_pk_mul_f32 v[18:19], v[4:5], v[18:19] op_sel:[1,0] op_sel_hi:[0,0]
	v_pk_fma_f32 v[20:21], v[4:5], v[218:219], v[18:19] neg_lo:[0,0,1] neg_hi:[0,0,1]
	v_pk_fma_f32 v[4:5], v[4:5], v[218:219], v[18:19] op_sel_hi:[1,0,1]
	s_nop 0
	v_mov_b32_e32 v21, v5
	s_waitcnt vmcnt(2) lgkmcnt(2)
	v_pk_mul_f32 v[4:5], v[6:7], v[220:221] op_sel:[1,1] op_sel_hi:[0,1]
	v_pk_fma_f32 v[18:19], v[6:7], v[220:221], v[4:5] neg_lo:[0,0,1] neg_hi:[0,0,1]
	v_pk_fma_f32 v[4:5], v[6:7], v[220:221], v[4:5] op_sel_hi:[1,0,1]
	v_pk_add_f32 v[2:3], v[2:3], v[20:21]
	v_mov_b32_e32 v4, v223
	v_mov_b32_e32 v19, v5
	v_pk_mul_f32 v[4:5], v[8:9], v[4:5] op_sel:[1,0] op_sel_hi:[0,0]
	v_pk_fma_f32 v[6:7], v[8:9], v[222:223], v[4:5] neg_lo:[0,0,1] neg_hi:[0,0,1]
	v_pk_fma_f32 v[4:5], v[8:9], v[222:223], v[4:5] op_sel_hi:[1,0,1]
	v_pk_add_f32 v[2:3], v[2:3], v[18:19]
	v_mov_b32_e32 v7, v5
	s_waitcnt vmcnt(1) lgkmcnt(1)
	v_pk_mul_f32 v[4:5], v[10:11], v[224:225] op_sel:[1,1] op_sel_hi:[0,1]
	v_pk_add_f32 v[2:3], v[2:3], v[6:7]
	v_pk_fma_f32 v[6:7], v[10:11], v[224:225], v[4:5] neg_lo:[0,0,1] neg_hi:[0,0,1]
	v_pk_fma_f32 v[4:5], v[10:11], v[224:225], v[4:5] op_sel_hi:[1,0,1]
	s_nop 0
	v_mov_b32_e32 v4, v227
	v_mov_b32_e32 v7, v5
	v_pk_mul_f32 v[4:5], v[12:13], v[4:5] op_sel:[1,0] op_sel_hi:[0,0]
	v_pk_add_f32 v[2:3], v[2:3], v[6:7]
	v_pk_fma_f32 v[6:7], v[12:13], v[226:227], v[4:5] neg_lo:[0,0,1] neg_hi:[0,0,1]
	v_pk_fma_f32 v[4:5], v[12:13], v[226:227], v[4:5] op_sel_hi:[1,0,1]
	s_nop 0
	v_mov_b32_e32 v7, v5
	s_waitcnt vmcnt(0) lgkmcnt(0)
	v_pk_mul_f32 v[4:5], v[14:15], v[228:229] op_sel:[1,1] op_sel_hi:[0,1]
	v_pk_add_f32 v[2:3], v[2:3], v[6:7]
	v_pk_fma_f32 v[6:7], v[14:15], v[228:229], v[4:5] neg_lo:[0,0,1] neg_hi:[0,0,1]
	v_pk_fma_f32 v[4:5], v[14:15], v[228:229], v[4:5] op_sel_hi:[1,0,1]
	s_nop 0
	v_mov_b32_e32 v4, v231
	v_mov_b32_e32 v7, v5
	v_pk_mul_f32 v[4:5], v[16:17], v[4:5] op_sel:[1,0] op_sel_hi:[0,0]
	v_pk_add_f32 v[2:3], v[2:3], v[6:7]
	v_pk_fma_f32 v[6:7], v[16:17], v[230:231], v[4:5] neg_lo:[0,0,1] neg_hi:[0,0,1]
	v_pk_fma_f32 v[4:5], v[16:17], v[230:231], v[4:5] op_sel_hi:[1,0,1]
	s_nop 0
	v_mov_b32_e32 v7, v5
	v_pk_add_f32 v[2:3], v[2:3], v[6:7]
	s_nop 0
	v_pk_add_f32 v[2:3], v[232:233], v[2:3] neg_lo:[0,1] neg_hi:[0,1]
	scratch_store_dwordx2 off, v[2:3], off offset:8
	s_and_saveexec_b64 s[0:1], vcc
	s_cbranch_execz .LBB41_265
; %bb.264:
	scratch_load_dwordx2 v[2:3], off, off
	v_mov_b32_e32 v4, 0
	v_mov_b32_e32 v5, v4
	scratch_store_dwordx2 off, v[4:5], off
	s_waitcnt vmcnt(1)
	ds_write_b64 v1, v[2:3]
.LBB41_265:
	s_or_b64 exec, exec, s[0:1]
	s_waitcnt lgkmcnt(0)
	; wave barrier
	scratch_load_dwordx4 v[0:3], off, off offset:8
	scratch_load_dwordx4 v[4:7], off, off offset:24
	;; [unrolled: 1-line block ×12, first 2 shown]
	v_mov_b32_e32 v70, 0
	scratch_load_dwordx4 v[48:51], off, off offset:200
	scratch_load_dwordx4 v[52:55], off, off offset:216
	scratch_load_dwordx4 v[56:59], off, off offset:232
	scratch_load_dwordx4 v[60:63], off, off offset:248
	scratch_load_dwordx4 v[64:67], off, off offset:264
	scratch_load_dwordx2 v[68:69], off, off
	ds_read2_b64 v[72:75], v70 offset0:43 offset1:44
	ds_read2_b64 v[76:79], v70 offset0:45 offset1:46
	;; [unrolled: 1-line block ×13, first 2 shown]
	s_and_b64 vcc, exec, s[18:19]
	s_waitcnt vmcnt(17) lgkmcnt(12)
	v_mul_f32_e32 v71, v72, v1
	v_mul_f32_e32 v120, v74, v3
	v_fmac_f32_e32 v71, v73, v0
	s_waitcnt vmcnt(16) lgkmcnt(11)
	v_mul_f32_e32 v121, v76, v5
	v_fmac_f32_e32 v120, v75, v2
	v_add_f32_e32 v71, 0, v71
	v_mul_f32_e32 v210, v78, v7
	v_fmac_f32_e32 v121, v77, v4
	v_add_f32_e32 v71, v71, v120
	s_waitcnt vmcnt(15) lgkmcnt(10)
	v_mul_f32_e32 v211, v80, v9
	v_fmac_f32_e32 v210, v79, v6
	v_add_f32_e32 v71, v71, v121
	v_mul_f32_e32 v212, v82, v11
	v_fmac_f32_e32 v211, v81, v8
	v_add_f32_e32 v71, v71, v210
	;; [unrolled: 7-line block ×11, first 2 shown]
	v_fmac_f32_e32 v230, v119, v46
	v_add_f32_e32 v71, v71, v229
	v_add_f32_e32 v71, v71, v230
	ds_read2_b64 v[210:213], v70 offset0:69 offset1:70
	ds_read2_b64 v[214:217], v70 offset0:71 offset1:72
	;; [unrolled: 1-line block ×5, first 2 shown]
	scratch_load_dwordx4 v[230:233], off, off offset:280
	scratch_load_dwordx4 v[234:237], off, off offset:296
	;; [unrolled: 1-line block ×3, first 2 shown]
	scratch_load_dwordx2 v[246:247], off, off offset:328
	v_mul_f32_e32 v1, v73, v1
	v_fma_f32 v0, v72, v0, -v1
	v_mul_f32_e32 v1, v75, v3
	v_add_f32_e32 v0, 0, v0
	v_fma_f32 v1, v74, v2, -v1
	v_add_f32_e32 v0, v0, v1
	v_mul_f32_e32 v1, v77, v5
	v_fma_f32 v1, v76, v4, -v1
	v_add_f32_e32 v0, v0, v1
	v_mul_f32_e32 v1, v79, v7
	;; [unrolled: 3-line block ×22, first 2 shown]
	v_fma_f32 v1, v118, v46, -v1
	s_waitcnt vmcnt(9) lgkmcnt(5)
	v_mul_f32_e32 v120, v206, v49
	v_add_f32_e32 v0, v0, v1
	v_mul_f32_e32 v1, v207, v49
	v_fmac_f32_e32 v120, v207, v48
	v_fma_f32 v1, v206, v48, -v1
	v_add_f32_e32 v71, v71, v120
	v_mul_f32_e32 v120, v208, v51
	v_add_f32_e32 v0, v0, v1
	v_mul_f32_e32 v1, v209, v51
	v_fmac_f32_e32 v120, v209, v50
	v_fma_f32 v1, v208, v50, -v1
	v_add_f32_e32 v71, v71, v120
	s_waitcnt vmcnt(8) lgkmcnt(4)
	v_mul_f32_e32 v120, v210, v53
	v_add_f32_e32 v0, v0, v1
	v_mul_f32_e32 v1, v211, v53
	v_fmac_f32_e32 v120, v211, v52
	v_fma_f32 v1, v210, v52, -v1
	v_add_f32_e32 v71, v71, v120
	v_mul_f32_e32 v120, v212, v55
	v_add_f32_e32 v0, v0, v1
	v_mul_f32_e32 v1, v213, v55
	v_fmac_f32_e32 v120, v213, v54
	v_fma_f32 v1, v212, v54, -v1
	v_add_f32_e32 v71, v71, v120
	;; [unrolled: 13-line block ×3, first 2 shown]
	s_waitcnt vmcnt(6) lgkmcnt(2)
	v_mul_f32_e32 v120, v218, v61
	v_add_f32_e32 v0, v0, v1
	v_mul_f32_e32 v1, v219, v61
	v_fmac_f32_e32 v120, v219, v60
	v_fma_f32 v1, v218, v60, -v1
	v_add_f32_e32 v121, v71, v120
	v_mul_f32_e32 v243, v220, v63
	v_add_f32_e32 v120, v0, v1
	v_mul_f32_e32 v0, v221, v63
	s_waitcnt vmcnt(5)
	v_mov_b32_e32 v12, v67
	v_fmac_f32_e32 v243, v221, v62
	s_waitcnt lgkmcnt(1)
	v_mul_f32_e32 v245, v222, v65
	v_fma_f32 v242, v220, v62, -v0
	v_mul_f32_e32 v0, v223, v65
	v_pk_mul_f32 v[12:13], v[224:225], v[12:13] op_sel:[1,0] op_sel_hi:[0,0]
	v_fmac_f32_e32 v245, v223, v64
	v_fma_f32 v244, v222, v64, -v0
	v_pk_add_f32 v[10:11], v[120:121], v[242:243]
	v_pk_fma_f32 v[14:15], v[224:225], v[66:67], v[12:13] neg_lo:[0,0,1] neg_hi:[0,0,1]
	v_pk_fma_f32 v[12:13], v[224:225], v[66:67], v[12:13] op_sel_hi:[1,0,1]
	v_pk_add_f32 v[10:11], v[10:11], v[244:245]
	v_mov_b32_e32 v15, v13
	s_waitcnt vmcnt(3) lgkmcnt(0)
	v_pk_mul_f32 v[12:13], v[226:227], v[230:231] op_sel:[1,1] op_sel_hi:[0,1]
	v_pk_add_f32 v[10:11], v[10:11], v[14:15]
	v_pk_fma_f32 v[14:15], v[226:227], v[230:231], v[12:13] neg_lo:[0,0,1] neg_hi:[0,0,1]
	v_pk_fma_f32 v[12:13], v[226:227], v[230:231], v[12:13] op_sel_hi:[1,0,1]
	ds_read2_b64 v[0:3], v70 offset0:79 offset1:80
	ds_read2_b64 v[4:7], v70 offset0:81 offset1:82
	ds_read_b64 v[8:9], v70 offset:664
	v_mov_b32_e32 v12, v233
	v_mov_b32_e32 v15, v13
	v_pk_mul_f32 v[12:13], v[228:229], v[12:13] op_sel:[1,0] op_sel_hi:[0,0]
	v_pk_add_f32 v[10:11], v[10:11], v[14:15]
	v_pk_fma_f32 v[14:15], v[228:229], v[232:233], v[12:13] neg_lo:[0,0,1] neg_hi:[0,0,1]
	v_pk_fma_f32 v[12:13], v[228:229], v[232:233], v[12:13] op_sel_hi:[1,0,1]
	s_nop 0
	v_mov_b32_e32 v15, v13
	s_waitcnt vmcnt(2) lgkmcnt(2)
	v_pk_mul_f32 v[12:13], v[0:1], v[234:235] op_sel:[1,1] op_sel_hi:[0,1]
	v_pk_add_f32 v[10:11], v[10:11], v[14:15]
	v_pk_fma_f32 v[14:15], v[0:1], v[234:235], v[12:13] neg_lo:[0,0,1] neg_hi:[0,0,1]
	v_pk_fma_f32 v[0:1], v[0:1], v[234:235], v[12:13] op_sel_hi:[1,0,1]
	s_nop 0
	v_mov_b32_e32 v15, v1
	v_pk_add_f32 v[0:1], v[10:11], v[14:15]
	v_mov_b32_e32 v10, v237
	v_pk_mul_f32 v[10:11], v[2:3], v[10:11] op_sel:[1,0] op_sel_hi:[0,0]
	v_pk_fma_f32 v[12:13], v[2:3], v[236:237], v[10:11] neg_lo:[0,0,1] neg_hi:[0,0,1]
	v_pk_fma_f32 v[2:3], v[2:3], v[236:237], v[10:11] op_sel_hi:[1,0,1]
	s_nop 0
	v_mov_b32_e32 v13, v3
	s_waitcnt vmcnt(1) lgkmcnt(1)
	v_pk_mul_f32 v[2:3], v[4:5], v[238:239] op_sel:[1,1] op_sel_hi:[0,1]
	v_pk_fma_f32 v[10:11], v[4:5], v[238:239], v[2:3] neg_lo:[0,0,1] neg_hi:[0,0,1]
	v_pk_fma_f32 v[2:3], v[4:5], v[238:239], v[2:3] op_sel_hi:[1,0,1]
	v_pk_add_f32 v[0:1], v[0:1], v[12:13]
	v_mov_b32_e32 v2, v241
	v_mov_b32_e32 v11, v3
	v_pk_mul_f32 v[2:3], v[6:7], v[2:3] op_sel:[1,0] op_sel_hi:[0,0]
	v_pk_fma_f32 v[4:5], v[6:7], v[240:241], v[2:3] neg_lo:[0,0,1] neg_hi:[0,0,1]
	v_pk_fma_f32 v[2:3], v[6:7], v[240:241], v[2:3] op_sel_hi:[1,0,1]
	v_pk_add_f32 v[0:1], v[0:1], v[10:11]
	v_mov_b32_e32 v5, v3
	s_waitcnt vmcnt(0) lgkmcnt(0)
	v_pk_mul_f32 v[2:3], v[8:9], v[246:247] op_sel:[1,1] op_sel_hi:[0,1]
	v_pk_add_f32 v[0:1], v[0:1], v[4:5]
	v_pk_fma_f32 v[4:5], v[8:9], v[246:247], v[2:3] neg_lo:[0,0,1] neg_hi:[0,0,1]
	v_pk_fma_f32 v[2:3], v[8:9], v[246:247], v[2:3] op_sel_hi:[1,0,1]
	s_nop 0
	v_mov_b32_e32 v5, v3
	v_pk_add_f32 v[0:1], v[0:1], v[4:5]
	s_nop 0
	v_pk_add_f32 v[0:1], v[68:69], v[0:1] neg_lo:[0,1] neg_hi:[0,1]
	scratch_store_dwordx2 off, v[0:1], off
	s_cbranch_vccz .LBB41_348
; %bb.266:
	global_load_dword v0, v70, s[16:17] offset:160
	s_waitcnt vmcnt(0)
	v_readfirstlane_b32 s0, v0
	s_add_i32 s0, s0, -1
	s_cmp_lg_u32 s0, 40
	s_cbranch_scc0 .LBB41_268
; %bb.267:
	s_lshl_b32 s0, s0, 3
	s_nop 0
	scratch_load_dwordx2 v[0:1], off, s0
	scratch_load_dwordx2 v[2:3], off, off offset:320
	s_waitcnt vmcnt(1)
	scratch_store_dwordx2 off, v[0:1], off offset:320
	s_waitcnt vmcnt(1)
	scratch_store_dwordx2 off, v[2:3], s0
.LBB41_268:
	v_mov_b32_e32 v0, 0
	global_load_dword v1, v0, s[16:17] offset:156
	s_waitcnt vmcnt(0)
	v_readfirstlane_b32 s0, v1
	s_add_i32 s0, s0, -1
	s_cmp_eq_u32 s0, 39
	s_cbranch_scc1 .LBB41_270
; %bb.269:
	s_lshl_b32 s0, s0, 3
	s_nop 0
	scratch_load_dwordx2 v[2:3], off, s0
	scratch_load_dwordx2 v[4:5], off, off offset:312
	s_waitcnt vmcnt(1)
	scratch_store_dwordx2 off, v[2:3], off offset:312
	s_waitcnt vmcnt(1)
	scratch_store_dwordx2 off, v[4:5], s0
.LBB41_270:
	global_load_dword v0, v0, s[16:17] offset:152
	s_waitcnt vmcnt(0)
	v_readfirstlane_b32 s0, v0
	s_add_i32 s0, s0, -1
	s_cmp_eq_u32 s0, 38
	s_cbranch_scc1 .LBB41_272
; %bb.271:
	s_lshl_b32 s0, s0, 3
	s_nop 0
	scratch_load_dwordx2 v[0:1], off, s0
	scratch_load_dwordx2 v[2:3], off, off offset:304
	s_waitcnt vmcnt(1)
	scratch_store_dwordx2 off, v[0:1], off offset:304
	s_waitcnt vmcnt(1)
	scratch_store_dwordx2 off, v[2:3], s0
.LBB41_272:
	v_mov_b32_e32 v0, 0
	global_load_dword v1, v0, s[16:17] offset:148
	s_waitcnt vmcnt(0)
	v_readfirstlane_b32 s0, v1
	s_add_i32 s0, s0, -1
	s_cmp_eq_u32 s0, 37
	s_cbranch_scc1 .LBB41_274
; %bb.273:
	s_lshl_b32 s0, s0, 3
	s_nop 0
	scratch_load_dwordx2 v[2:3], off, s0
	scratch_load_dwordx2 v[4:5], off, off offset:296
	s_waitcnt vmcnt(1)
	scratch_store_dwordx2 off, v[2:3], off offset:296
	s_waitcnt vmcnt(1)
	scratch_store_dwordx2 off, v[4:5], s0
.LBB41_274:
	global_load_dword v0, v0, s[16:17] offset:144
	s_waitcnt vmcnt(0)
	v_readfirstlane_b32 s0, v0
	s_add_i32 s0, s0, -1
	s_cmp_eq_u32 s0, 36
	s_cbranch_scc1 .LBB41_276
; %bb.275:
	s_lshl_b32 s0, s0, 3
	s_nop 0
	scratch_load_dwordx2 v[0:1], off, s0
	scratch_load_dwordx2 v[2:3], off, off offset:288
	s_waitcnt vmcnt(1)
	scratch_store_dwordx2 off, v[0:1], off offset:288
	s_waitcnt vmcnt(1)
	scratch_store_dwordx2 off, v[2:3], s0
.LBB41_276:
	;; [unrolled: 33-line block ×19, first 2 shown]
	v_mov_b32_e32 v0, 0
	global_load_dword v1, v0, s[16:17] offset:4
	s_waitcnt vmcnt(0)
	v_readfirstlane_b32 s0, v1
	s_add_i32 s0, s0, -1
	s_cmp_eq_u32 s0, 1
	s_cbranch_scc1 .LBB41_346
; %bb.345:
	s_lshl_b32 s0, s0, 3
	s_nop 0
	scratch_load_dwordx2 v[2:3], off, s0
	scratch_load_dwordx2 v[4:5], off, off offset:8
	s_waitcnt vmcnt(1)
	scratch_store_dwordx2 off, v[2:3], off offset:8
	s_waitcnt vmcnt(1)
	scratch_store_dwordx2 off, v[4:5], s0
.LBB41_346:
	global_load_dword v2, v0, s[16:17]
	s_nop 0
	scratch_load_dwordx2 v[0:1], off, off
	s_waitcnt vmcnt(1)
	v_readfirstlane_b32 s0, v2
	s_add_i32 s0, s0, -1
	s_cmp_eq_u32 s0, 0
	s_cbranch_scc1 .LBB41_348
; %bb.347:
	s_lshl_b32 s0, s0, 3
	s_nop 0
	scratch_load_dwordx2 v[2:3], off, s0
	s_waitcnt vmcnt(0)
	scratch_store_dwordx2 off, v[2:3], off
	scratch_store_dwordx2 off, v[0:1], s0
	scratch_load_dwordx2 v[0:1], off, off
.LBB41_348:
	s_nop 0
	scratch_load_dwordx4 v[4:7], off, off offset:8
	scratch_load_dwordx4 v[8:11], off, off offset:24
	;; [unrolled: 1-line block ×20, first 2 shown]
	scratch_load_dwordx2 v[2:3], off, off offset:328
	s_waitcnt vmcnt(21)
	global_store_dwordx2 v[122:123], v[0:1], off
	s_waitcnt vmcnt(21)
	global_store_dwordx2 v[124:125], v[4:5], off
	global_store_dwordx2 v[126:127], v[6:7], off
	s_waitcnt vmcnt(22)
	global_store_dwordx2 v[128:129], v[8:9], off
	;; [unrolled: 3-line block ×21, first 2 shown]
	s_endpgm
	.section	.rodata,"a",@progbits
	.p2align	6, 0x0
	.amdhsa_kernel _ZN9rocsolver6v33100L18getri_kernel_smallILi42E19rocblas_complex_numIfEPS3_EEvT1_iilPiilS6_bb
		.amdhsa_group_segment_fixed_size 676
		.amdhsa_private_segment_fixed_size 352
		.amdhsa_kernarg_size 60
		.amdhsa_user_sgpr_count 2
		.amdhsa_user_sgpr_dispatch_ptr 0
		.amdhsa_user_sgpr_queue_ptr 0
		.amdhsa_user_sgpr_kernarg_segment_ptr 1
		.amdhsa_user_sgpr_dispatch_id 0
		.amdhsa_user_sgpr_kernarg_preload_length 0
		.amdhsa_user_sgpr_kernarg_preload_offset 0
		.amdhsa_user_sgpr_private_segment_size 0
		.amdhsa_uses_dynamic_stack 0
		.amdhsa_enable_private_segment 1
		.amdhsa_system_sgpr_workgroup_id_x 1
		.amdhsa_system_sgpr_workgroup_id_y 0
		.amdhsa_system_sgpr_workgroup_id_z 0
		.amdhsa_system_sgpr_workgroup_info 0
		.amdhsa_system_vgpr_workitem_id 0
		.amdhsa_next_free_vgpr 248
		.amdhsa_next_free_sgpr 20
		.amdhsa_accum_offset 248
		.amdhsa_reserve_vcc 1
		.amdhsa_float_round_mode_32 0
		.amdhsa_float_round_mode_16_64 0
		.amdhsa_float_denorm_mode_32 3
		.amdhsa_float_denorm_mode_16_64 3
		.amdhsa_dx10_clamp 1
		.amdhsa_ieee_mode 1
		.amdhsa_fp16_overflow 0
		.amdhsa_tg_split 0
		.amdhsa_exception_fp_ieee_invalid_op 0
		.amdhsa_exception_fp_denorm_src 0
		.amdhsa_exception_fp_ieee_div_zero 0
		.amdhsa_exception_fp_ieee_overflow 0
		.amdhsa_exception_fp_ieee_underflow 0
		.amdhsa_exception_fp_ieee_inexact 0
		.amdhsa_exception_int_div_zero 0
	.end_amdhsa_kernel
	.section	.text._ZN9rocsolver6v33100L18getri_kernel_smallILi42E19rocblas_complex_numIfEPS3_EEvT1_iilPiilS6_bb,"axG",@progbits,_ZN9rocsolver6v33100L18getri_kernel_smallILi42E19rocblas_complex_numIfEPS3_EEvT1_iilPiilS6_bb,comdat
.Lfunc_end41:
	.size	_ZN9rocsolver6v33100L18getri_kernel_smallILi42E19rocblas_complex_numIfEPS3_EEvT1_iilPiilS6_bb, .Lfunc_end41-_ZN9rocsolver6v33100L18getri_kernel_smallILi42E19rocblas_complex_numIfEPS3_EEvT1_iilPiilS6_bb
                                        ; -- End function
	.set _ZN9rocsolver6v33100L18getri_kernel_smallILi42E19rocblas_complex_numIfEPS3_EEvT1_iilPiilS6_bb.num_vgpr, 248
	.set _ZN9rocsolver6v33100L18getri_kernel_smallILi42E19rocblas_complex_numIfEPS3_EEvT1_iilPiilS6_bb.num_agpr, 0
	.set _ZN9rocsolver6v33100L18getri_kernel_smallILi42E19rocblas_complex_numIfEPS3_EEvT1_iilPiilS6_bb.numbered_sgpr, 20
	.set _ZN9rocsolver6v33100L18getri_kernel_smallILi42E19rocblas_complex_numIfEPS3_EEvT1_iilPiilS6_bb.num_named_barrier, 0
	.set _ZN9rocsolver6v33100L18getri_kernel_smallILi42E19rocblas_complex_numIfEPS3_EEvT1_iilPiilS6_bb.private_seg_size, 352
	.set _ZN9rocsolver6v33100L18getri_kernel_smallILi42E19rocblas_complex_numIfEPS3_EEvT1_iilPiilS6_bb.uses_vcc, 1
	.set _ZN9rocsolver6v33100L18getri_kernel_smallILi42E19rocblas_complex_numIfEPS3_EEvT1_iilPiilS6_bb.uses_flat_scratch, 0
	.set _ZN9rocsolver6v33100L18getri_kernel_smallILi42E19rocblas_complex_numIfEPS3_EEvT1_iilPiilS6_bb.has_dyn_sized_stack, 0
	.set _ZN9rocsolver6v33100L18getri_kernel_smallILi42E19rocblas_complex_numIfEPS3_EEvT1_iilPiilS6_bb.has_recursion, 0
	.set _ZN9rocsolver6v33100L18getri_kernel_smallILi42E19rocblas_complex_numIfEPS3_EEvT1_iilPiilS6_bb.has_indirect_call, 0
	.section	.AMDGPU.csdata,"",@progbits
; Kernel info:
; codeLenInByte = 54760
; TotalNumSgprs: 26
; NumVgprs: 248
; NumAgprs: 0
; TotalNumVgprs: 248
; ScratchSize: 352
; MemoryBound: 0
; FloatMode: 240
; IeeeMode: 1
; LDSByteSize: 676 bytes/workgroup (compile time only)
; SGPRBlocks: 3
; VGPRBlocks: 30
; NumSGPRsForWavesPerEU: 26
; NumVGPRsForWavesPerEU: 248
; AccumOffset: 248
; Occupancy: 2
; WaveLimiterHint : 1
; COMPUTE_PGM_RSRC2:SCRATCH_EN: 1
; COMPUTE_PGM_RSRC2:USER_SGPR: 2
; COMPUTE_PGM_RSRC2:TRAP_HANDLER: 0
; COMPUTE_PGM_RSRC2:TGID_X_EN: 1
; COMPUTE_PGM_RSRC2:TGID_Y_EN: 0
; COMPUTE_PGM_RSRC2:TGID_Z_EN: 0
; COMPUTE_PGM_RSRC2:TIDIG_COMP_CNT: 0
; COMPUTE_PGM_RSRC3_GFX90A:ACCUM_OFFSET: 61
; COMPUTE_PGM_RSRC3_GFX90A:TG_SPLIT: 0
	.section	.text._ZN9rocsolver6v33100L18getri_kernel_smallILi43E19rocblas_complex_numIfEPS3_EEvT1_iilPiilS6_bb,"axG",@progbits,_ZN9rocsolver6v33100L18getri_kernel_smallILi43E19rocblas_complex_numIfEPS3_EEvT1_iilPiilS6_bb,comdat
	.globl	_ZN9rocsolver6v33100L18getri_kernel_smallILi43E19rocblas_complex_numIfEPS3_EEvT1_iilPiilS6_bb ; -- Begin function _ZN9rocsolver6v33100L18getri_kernel_smallILi43E19rocblas_complex_numIfEPS3_EEvT1_iilPiilS6_bb
	.p2align	8
	.type	_ZN9rocsolver6v33100L18getri_kernel_smallILi43E19rocblas_complex_numIfEPS3_EEvT1_iilPiilS6_bb,@function
_ZN9rocsolver6v33100L18getri_kernel_smallILi43E19rocblas_complex_numIfEPS3_EEvT1_iilPiilS6_bb: ; @_ZN9rocsolver6v33100L18getri_kernel_smallILi43E19rocblas_complex_numIfEPS3_EEvT1_iilPiilS6_bb
; %bb.0:
	v_cmp_gt_u32_e32 vcc, 43, v0
	s_and_saveexec_b64 s[4:5], vcc
	s_cbranch_execz .LBB42_186
; %bb.1:
	s_load_dword s8, s[0:1], 0x38
	s_load_dwordx4 s[12:15], s[0:1], 0x10
	s_load_dwordx4 s[4:7], s[0:1], 0x28
                                        ; implicit-def: $sgpr16_sgpr17
	s_waitcnt lgkmcnt(0)
	s_bitcmp1_b32 s8, 8
	s_cselect_b64 s[18:19], -1, 0
	s_ashr_i32 s3, s2, 31
	s_bfe_u32 s8, s8, 0x10008
	s_cmp_eq_u32 s8, 0
	s_cbranch_scc1 .LBB42_3
; %bb.2:
	s_load_dword s8, s[0:1], 0x20
	s_mul_i32 s9, s4, s3
	s_mul_hi_u32 s10, s4, s2
	s_mul_i32 s5, s5, s2
	s_add_i32 s10, s10, s9
	s_add_i32 s5, s10, s5
	s_mul_i32 s4, s4, s2
	s_waitcnt lgkmcnt(0)
	s_ashr_i32 s9, s8, 31
	s_lshl_b64 s[4:5], s[4:5], 2
	s_add_u32 s10, s14, s4
	s_addc_u32 s11, s15, s5
	s_lshl_b64 s[4:5], s[8:9], 2
	s_add_u32 s16, s10, s4
	s_addc_u32 s17, s11, s5
.LBB42_3:
	s_load_dwordx4 s[8:11], s[0:1], 0x0
	s_load_dword s4, s[0:1], 0x38
	s_mul_i32 s5, s12, s3
	s_mul_hi_u32 s14, s12, s2
	s_add_i32 s5, s14, s5
	s_waitcnt lgkmcnt(0)
	s_ashr_i32 s1, s10, 31
	s_mov_b32 s0, s10
	s_mul_i32 s10, s13, s2
	s_add_i32 s13, s5, s10
	s_mul_i32 s12, s12, s2
	s_lshl_b64 s[12:13], s[12:13], 3
	s_add_u32 s5, s8, s12
	s_addc_u32 s8, s9, s13
	s_lshl_b64 s[0:1], s[0:1], 3
	s_add_u32 s0, s5, s0
	s_addc_u32 s1, s8, s1
	s_add_i32 s5, s11, s11
	v_add_u32_e32 v6, s5, v0
	v_ashrrev_i32_e32 v7, 31, v6
	v_lshl_add_u64 v[128:129], v[6:7], 3, s[0:1]
	v_add_u32_e32 v6, s11, v6
	v_add_u32_e32 v8, s11, v6
	v_ashrrev_i32_e32 v9, 31, v8
	v_lshl_add_u64 v[132:133], v[8:9], 3, s[0:1]
	v_add_u32_e32 v8, s11, v8
	v_ashrrev_i32_e32 v9, 31, v8
	v_lshl_add_u64 v[134:135], v[8:9], 3, s[0:1]
	;; [unrolled: 3-line block ×37, first 2 shown]
	v_add_u32_e32 v8, s11, v8
	v_lshlrev_b32_e32 v2, 3, v0
	v_mov_b32_e32 v3, 0
	v_ashrrev_i32_e32 v9, 31, v8
	v_lshl_add_u64 v[124:125], s[0:1], 0, v[2:3]
	s_ashr_i32 s9, s11, 31
	s_mov_b32 s8, s11
	v_lshl_add_u64 v[206:207], v[8:9], 3, s[0:1]
	v_add_u32_e32 v8, s11, v8
	v_lshl_add_u64 v[126:127], s[8:9], 3, v[124:125]
	v_ashrrev_i32_e32 v7, 31, v6
	v_ashrrev_i32_e32 v9, 31, v8
	global_load_dwordx2 v[4:5], v2, s[0:1]
	v_lshl_add_u64 v[130:131], v[6:7], 3, s[0:1]
	global_load_dwordx2 v[6:7], v[126:127], off
	global_load_dwordx2 v[10:11], v[128:129], off
	;; [unrolled: 1-line block ×40, first 2 shown]
	v_lshl_add_u64 v[208:209], v[8:9], 3, s[0:1]
	global_load_dwordx2 v[88:89], v[206:207], off
	global_load_dwordx2 v[8:9], v[208:209], off
	s_bitcmp0_b32 s4, 0
	s_mov_b64 s[4:5], -1
	s_waitcnt vmcnt(41)
	scratch_store_dwordx4 off, v[4:7], off
	s_waitcnt vmcnt(40)
	scratch_store_dwordx4 off, v[10:13], off offset:16
	s_waitcnt vmcnt(39)
	scratch_store_dwordx4 off, v[14:17], off offset:32
	;; [unrolled: 2-line block ×20, first 2 shown]
	s_waitcnt vmcnt(21)
	scratch_store_dwordx2 off, v[8:9], off offset:336
	s_cbranch_scc1 .LBB42_184
; %bb.4:
	v_cmp_eq_u32_e64 s[0:1], 0, v0
	s_and_saveexec_b64 s[4:5], s[0:1]
; %bb.5:
	v_mov_b32_e32 v1, 0
	ds_write_b32 v1, v1 offset:344
; %bb.6:
	s_or_b64 exec, exec, s[4:5]
	s_waitcnt lgkmcnt(0)
	; wave barrier
	scratch_load_dwordx2 v[4:5], v2, off
	s_waitcnt vmcnt(0)
	v_cmp_eq_f32_e32 vcc, 0, v4
	v_cmp_eq_f32_e64 s[4:5], 0, v5
	s_and_b64 s[4:5], vcc, s[4:5]
	s_and_saveexec_b64 s[8:9], s[4:5]
	s_cbranch_execz .LBB42_10
; %bb.7:
	v_mov_b32_e32 v1, 0
	ds_read_b32 v4, v1 offset:344
	v_add_u32_e32 v3, 1, v0
	s_waitcnt lgkmcnt(0)
	v_readfirstlane_b32 s4, v4
	s_cmp_eq_u32 s4, 0
	s_cselect_b64 s[10:11], -1, 0
	v_cmp_gt_i32_e32 vcc, s4, v3
	s_or_b64 s[10:11], s[10:11], vcc
	s_and_b64 exec, exec, s[10:11]
	s_cbranch_execz .LBB42_10
; %bb.8:
	s_mov_b64 s[10:11], 0
	v_mov_b32_e32 v4, s4
.LBB42_9:                               ; =>This Inner Loop Header: Depth=1
	ds_cmpst_rtn_b32 v4, v1, v4, v3 offset:344
	s_waitcnt lgkmcnt(0)
	v_cmp_ne_u32_e32 vcc, 0, v4
	v_cmp_le_i32_e64 s[4:5], v4, v3
	s_and_b64 s[4:5], vcc, s[4:5]
	s_and_b64 s[4:5], exec, s[4:5]
	s_or_b64 s[10:11], s[4:5], s[10:11]
	s_andn2_b64 exec, exec, s[10:11]
	s_cbranch_execnz .LBB42_9
.LBB42_10:
	s_or_b64 exec, exec, s[8:9]
	v_mov_b32_e32 v3, 0
	; wave barrier
	ds_read_b32 v1, v3 offset:344
	s_and_saveexec_b64 s[4:5], s[0:1]
	s_cbranch_execz .LBB42_12
; %bb.11:
	s_lshl_b64 s[8:9], s[2:3], 2
	s_add_u32 s8, s6, s8
	s_addc_u32 s9, s7, s9
	s_waitcnt lgkmcnt(0)
	global_store_dword v3, v1, s[8:9]
.LBB42_12:
	s_or_b64 exec, exec, s[4:5]
	s_waitcnt lgkmcnt(0)
	v_cmp_ne_u32_e32 vcc, 0, v1
	s_mov_b64 s[4:5], 0
	s_cbranch_vccnz .LBB42_184
; %bb.13:
	v_mov_b32_e32 v3, v2
	scratch_load_dwordx2 v[4:5], v3, off
                                        ; implicit-def: $vgpr7
                                        ; implicit-def: $vgpr8
	s_waitcnt vmcnt(0)
	v_cmp_ngt_f32_e64 s[4:5], |v4|, |v5|
	s_and_saveexec_b64 s[8:9], s[4:5]
	s_xor_b64 s[4:5], exec, s[8:9]
	s_cbranch_execz .LBB42_15
; %bb.14:
	v_div_scale_f32 v1, s[8:9], v5, v5, v4
	v_rcp_f32_e32 v6, v1
	v_div_scale_f32 v7, vcc, v4, v5, v4
	v_fma_f32 v8, -v1, v6, 1.0
	v_fmac_f32_e32 v6, v8, v6
	v_mul_f32_e32 v8, v7, v6
	v_fma_f32 v9, -v1, v8, v7
	v_fmac_f32_e32 v8, v9, v6
	v_fma_f32 v1, -v1, v8, v7
	v_div_fmas_f32 v1, v1, v6, v8
	v_div_fixup_f32 v1, v1, v5, v4
	v_fmac_f32_e32 v5, v4, v1
	v_div_scale_f32 v4, s[8:9], v5, v5, -1.0
	v_rcp_f32_e32 v6, v4
	s_nop 0
	v_fma_f32 v7, -v4, v6, 1.0
	v_fmac_f32_e32 v6, v7, v6
	v_div_scale_f32 v7, vcc, -1.0, v5, -1.0
	v_mul_f32_e32 v8, v7, v6
	v_fma_f32 v9, -v4, v8, v7
	v_fmac_f32_e32 v8, v9, v6
	v_fma_f32 v4, -v4, v8, v7
	v_div_fmas_f32 v4, v4, v6, v8
	v_div_fixup_f32 v7, v4, v5, -1.0
	v_mul_f32_e32 v8, v1, v7
	v_xor_b32_e32 v6, 0x80000000, v8
                                        ; implicit-def: $vgpr4_vgpr5
.LBB42_15:
	s_andn2_saveexec_b64 s[4:5], s[4:5]
	s_cbranch_execz .LBB42_17
; %bb.16:
	v_div_scale_f32 v1, s[8:9], v4, v4, v5
	v_rcp_f32_e32 v6, v1
	v_div_scale_f32 v7, vcc, v5, v4, v5
	v_fma_f32 v8, -v1, v6, 1.0
	v_fmac_f32_e32 v6, v8, v6
	v_mul_f32_e32 v8, v7, v6
	v_fma_f32 v9, -v1, v8, v7
	v_fmac_f32_e32 v8, v9, v6
	v_fma_f32 v1, -v1, v8, v7
	v_div_fmas_f32 v1, v1, v6, v8
	v_div_fixup_f32 v1, v1, v4, v5
	v_fmac_f32_e32 v4, v5, v1
	v_div_scale_f32 v5, s[8:9], v4, v4, 1.0
	v_rcp_f32_e32 v6, v5
	s_nop 0
	v_fma_f32 v7, -v5, v6, 1.0
	v_fmac_f32_e32 v6, v7, v6
	v_div_scale_f32 v7, vcc, 1.0, v4, 1.0
	v_mul_f32_e32 v8, v7, v6
	v_fma_f32 v9, -v5, v8, v7
	v_fmac_f32_e32 v8, v9, v6
	v_fma_f32 v5, -v5, v8, v7
	v_div_fmas_f32 v5, v5, v6, v8
	v_div_fixup_f32 v6, v5, v4, 1.0
	v_xor_b32_e32 v8, 0x80000000, v6
	v_mul_f32_e64 v7, v1, -v6
.LBB42_17:
	s_or_b64 exec, exec, s[4:5]
	scratch_store_dwordx2 v3, v[6:7], off
	scratch_load_dwordx2 v[4:5], off, off offset:8
	v_xor_b32_e32 v9, 0x80000000, v7
	v_add_u32_e32 v1, 0x160, v2
	s_waitcnt vmcnt(0)
	ds_write2_b64 v2, v[8:9], v[4:5] offset1:44
	s_waitcnt lgkmcnt(0)
	; wave barrier
	s_and_saveexec_b64 s[4:5], s[0:1]
	s_cbranch_execz .LBB42_19
; %bb.18:
	scratch_load_dwordx2 v[4:5], v3, off
	ds_read_b64 v[6:7], v1
	v_mov_b32_e32 v8, 0
	ds_read_b64 v[8:9], v8 offset:8
	s_waitcnt vmcnt(0) lgkmcnt(1)
	v_pk_mul_f32 v[10:11], v[6:7], v[4:5] op_sel:[1,1] op_sel_hi:[0,1]
	v_pk_fma_f32 v[12:13], v[6:7], v[4:5], v[10:11] neg_lo:[0,0,1] neg_hi:[0,0,1]
	v_pk_fma_f32 v[4:5], v[6:7], v[4:5], v[10:11] op_sel_hi:[1,0,1]
	s_nop 0
	v_mov_b32_e32 v13, v5
	v_pk_add_f32 v[4:5], v[12:13], 0 op_sel_hi:[1,0]
	s_waitcnt lgkmcnt(0)
	v_pk_mul_f32 v[6:7], v[4:5], v[8:9] op_sel:[1,1] op_sel_hi:[0,1]
	v_pk_fma_f32 v[10:11], v[4:5], v[8:9], v[6:7] neg_lo:[0,0,1] neg_hi:[0,0,1]
	v_pk_fma_f32 v[4:5], v[4:5], v[8:9], v[6:7] op_sel_hi:[1,0,1]
	s_nop 0
	v_mov_b32_e32 v11, v5
	scratch_store_dwordx2 off, v[10:11], off offset:8
.LBB42_19:
	s_or_b64 exec, exec, s[4:5]
	; wave barrier
	scratch_load_dwordx2 v[4:5], off, off offset:16
	v_cmp_gt_u32_e32 vcc, 2, v0
	s_waitcnt vmcnt(0)
	ds_write_b64 v1, v[4:5]
	s_waitcnt lgkmcnt(0)
	; wave barrier
	s_and_saveexec_b64 s[4:5], vcc
	s_cbranch_execz .LBB42_23
; %bb.20:
	scratch_load_dwordx2 v[4:5], v3, off
	ds_read_b64 v[6:7], v1
	s_waitcnt vmcnt(0) lgkmcnt(0)
	v_pk_mul_f32 v[8:9], v[6:7], v[4:5] op_sel:[1,1] op_sel_hi:[0,1]
	v_pk_fma_f32 v[10:11], v[6:7], v[4:5], v[8:9] neg_lo:[0,0,1] neg_hi:[0,0,1]
	v_pk_fma_f32 v[4:5], v[6:7], v[4:5], v[8:9] op_sel_hi:[1,0,1]
	s_nop 0
	v_mov_b32_e32 v11, v5
	v_pk_add_f32 v[4:5], v[10:11], 0 op_sel_hi:[1,0]
	s_and_saveexec_b64 s[8:9], s[0:1]
	s_cbranch_execz .LBB42_22
; %bb.21:
	scratch_load_dwordx2 v[6:7], off, off offset:8
	v_mov_b32_e32 v3, 0
	ds_read_b64 v[8:9], v3 offset:360
	s_waitcnt vmcnt(0) lgkmcnt(0)
	v_pk_mul_f32 v[10:11], v[8:9], v[6:7] op_sel:[1,1] op_sel_hi:[0,1]
	v_pk_fma_f32 v[12:13], v[8:9], v[6:7], v[10:11] neg_lo:[0,0,1] neg_hi:[0,0,1]
	v_pk_fma_f32 v[6:7], v[8:9], v[6:7], v[10:11] op_sel_hi:[1,0,1]
	s_nop 0
	v_mov_b32_e32 v13, v7
	v_pk_add_f32 v[4:5], v[4:5], v[12:13]
.LBB42_22:
	s_or_b64 exec, exec, s[8:9]
	v_mov_b32_e32 v3, 0
	ds_read_b64 v[6:7], v3 offset:16
	s_waitcnt lgkmcnt(0)
	v_pk_mul_f32 v[8:9], v[4:5], v[6:7] op_sel:[1,1] op_sel_hi:[0,1]
	v_pk_fma_f32 v[10:11], v[4:5], v[6:7], v[8:9] neg_lo:[0,0,1] neg_hi:[0,0,1]
	v_pk_fma_f32 v[4:5], v[4:5], v[6:7], v[8:9] op_sel_hi:[1,0,1]
	s_nop 0
	v_mov_b32_e32 v11, v5
	scratch_store_dwordx2 off, v[10:11], off offset:16
.LBB42_23:
	s_or_b64 exec, exec, s[4:5]
	; wave barrier
	scratch_load_dwordx2 v[4:5], off, off offset:24
	v_cmp_gt_u32_e32 vcc, 3, v0
	v_add_u32_e32 v6, -1, v0
	s_waitcnt vmcnt(0)
	ds_write_b64 v1, v[4:5]
	s_waitcnt lgkmcnt(0)
	; wave barrier
	s_and_saveexec_b64 s[0:1], vcc
	s_cbranch_execz .LBB42_27
; %bb.24:
	v_mov_b32_e32 v4, 0
	v_add_u32_e32 v3, -1, v0
	v_add_u32_e32 v7, 0x160, v2
	v_mov_b32_e32 v8, v2
	s_mov_b64 s[4:5], 0
	v_mov_b32_e32 v5, v4
.LBB42_25:                              ; =>This Inner Loop Header: Depth=1
	scratch_load_dwordx2 v[10:11], v8, off
	ds_read_b64 v[12:13], v7
	v_add_u32_e32 v3, 1, v3
	v_cmp_lt_u32_e32 vcc, 1, v3
	v_add_u32_e32 v7, 8, v7
	v_add_u32_e32 v8, 8, v8
	s_or_b64 s[4:5], vcc, s[4:5]
	s_waitcnt vmcnt(0) lgkmcnt(0)
	v_pk_mul_f32 v[14:15], v[12:13], v[10:11] op_sel:[1,1] op_sel_hi:[0,1]
	v_pk_fma_f32 v[16:17], v[12:13], v[10:11], v[14:15] neg_lo:[0,0,1] neg_hi:[0,0,1]
	v_pk_fma_f32 v[10:11], v[12:13], v[10:11], v[14:15] op_sel_hi:[1,0,1]
	s_nop 0
	v_mov_b32_e32 v17, v11
	v_pk_add_f32 v[4:5], v[4:5], v[16:17]
	s_andn2_b64 exec, exec, s[4:5]
	s_cbranch_execnz .LBB42_25
; %bb.26:
	s_or_b64 exec, exec, s[4:5]
	v_mov_b32_e32 v3, 0
	ds_read_b64 v[8:9], v3 offset:24
	s_waitcnt lgkmcnt(0)
	v_pk_mul_f32 v[10:11], v[4:5], v[8:9] op_sel:[1,1] op_sel_hi:[0,1]
	v_pk_fma_f32 v[12:13], v[4:5], v[8:9], v[10:11] neg_lo:[0,0,1] neg_hi:[0,0,1]
	v_pk_fma_f32 v[4:5], v[4:5], v[8:9], v[10:11] op_sel_hi:[1,0,1]
	s_nop 0
	v_mov_b32_e32 v13, v5
	scratch_store_dwordx2 off, v[12:13], off offset:24
.LBB42_27:
	s_or_b64 exec, exec, s[0:1]
	; wave barrier
	scratch_load_dwordx2 v[4:5], off, off offset:32
	v_cmp_gt_u32_e32 vcc, 4, v0
	s_waitcnt vmcnt(0)
	ds_write_b64 v1, v[4:5]
	s_waitcnt lgkmcnt(0)
	; wave barrier
	s_and_saveexec_b64 s[0:1], vcc
	s_cbranch_execz .LBB42_31
; %bb.28:
	v_mov_b32_e32 v4, 0
	v_add_u32_e32 v3, -1, v0
	v_add_u32_e32 v7, 0x160, v2
	v_mov_b32_e32 v8, v2
	s_mov_b64 s[4:5], 0
	v_mov_b32_e32 v5, v4
.LBB42_29:                              ; =>This Inner Loop Header: Depth=1
	scratch_load_dwordx2 v[10:11], v8, off
	ds_read_b64 v[12:13], v7
	v_add_u32_e32 v3, 1, v3
	v_cmp_lt_u32_e32 vcc, 2, v3
	v_add_u32_e32 v7, 8, v7
	v_add_u32_e32 v8, 8, v8
	s_or_b64 s[4:5], vcc, s[4:5]
	s_waitcnt vmcnt(0) lgkmcnt(0)
	v_pk_mul_f32 v[14:15], v[12:13], v[10:11] op_sel:[1,1] op_sel_hi:[0,1]
	v_pk_fma_f32 v[16:17], v[12:13], v[10:11], v[14:15] neg_lo:[0,0,1] neg_hi:[0,0,1]
	v_pk_fma_f32 v[10:11], v[12:13], v[10:11], v[14:15] op_sel_hi:[1,0,1]
	s_nop 0
	v_mov_b32_e32 v17, v11
	v_pk_add_f32 v[4:5], v[4:5], v[16:17]
	s_andn2_b64 exec, exec, s[4:5]
	s_cbranch_execnz .LBB42_29
; %bb.30:
	s_or_b64 exec, exec, s[4:5]
	v_mov_b32_e32 v3, 0
	ds_read_b64 v[8:9], v3 offset:32
	s_waitcnt lgkmcnt(0)
	v_pk_mul_f32 v[10:11], v[4:5], v[8:9] op_sel:[1,1] op_sel_hi:[0,1]
	v_pk_fma_f32 v[12:13], v[4:5], v[8:9], v[10:11] neg_lo:[0,0,1] neg_hi:[0,0,1]
	v_pk_fma_f32 v[4:5], v[4:5], v[8:9], v[10:11] op_sel_hi:[1,0,1]
	s_nop 0
	v_mov_b32_e32 v13, v5
	scratch_store_dwordx2 off, v[12:13], off offset:32
.LBB42_31:
	s_or_b64 exec, exec, s[0:1]
	; wave barrier
	scratch_load_dwordx2 v[4:5], off, off offset:40
	v_cmp_gt_u32_e32 vcc, 5, v0
	;; [unrolled: 46-line block ×19, first 2 shown]
	s_waitcnt vmcnt(0)
	ds_write_b64 v1, v[4:5]
	s_waitcnt lgkmcnt(0)
	; wave barrier
	s_and_saveexec_b64 s[0:1], vcc
	s_cbranch_execz .LBB42_103
; %bb.100:
	v_mov_b32_e32 v4, 0
	v_add_u32_e32 v3, -1, v0
	v_add_u32_e32 v7, 0x160, v2
	v_mov_b32_e32 v8, v2
	s_mov_b64 s[4:5], 0
	v_mov_b32_e32 v5, v4
.LBB42_101:                             ; =>This Inner Loop Header: Depth=1
	scratch_load_dwordx2 v[10:11], v8, off
	ds_read_b64 v[12:13], v7
	v_add_u32_e32 v3, 1, v3
	v_cmp_lt_u32_e32 vcc, 20, v3
	v_add_u32_e32 v7, 8, v7
	v_add_u32_e32 v8, 8, v8
	s_or_b64 s[4:5], vcc, s[4:5]
	s_waitcnt vmcnt(0) lgkmcnt(0)
	v_pk_mul_f32 v[14:15], v[12:13], v[10:11] op_sel:[1,1] op_sel_hi:[0,1]
	v_pk_fma_f32 v[16:17], v[12:13], v[10:11], v[14:15] neg_lo:[0,0,1] neg_hi:[0,0,1]
	v_pk_fma_f32 v[10:11], v[12:13], v[10:11], v[14:15] op_sel_hi:[1,0,1]
	s_nop 0
	v_mov_b32_e32 v17, v11
	v_pk_add_f32 v[4:5], v[4:5], v[16:17]
	s_andn2_b64 exec, exec, s[4:5]
	s_cbranch_execnz .LBB42_101
; %bb.102:
	s_or_b64 exec, exec, s[4:5]
	v_mov_b32_e32 v3, 0
	ds_read_b64 v[8:9], v3 offset:176
	s_waitcnt lgkmcnt(0)
	v_pk_mul_f32 v[10:11], v[4:5], v[8:9] op_sel:[1,1] op_sel_hi:[0,1]
	v_pk_fma_f32 v[12:13], v[4:5], v[8:9], v[10:11] neg_lo:[0,0,1] neg_hi:[0,0,1]
	v_pk_fma_f32 v[4:5], v[4:5], v[8:9], v[10:11] op_sel_hi:[1,0,1]
	s_nop 0
	v_mov_b32_e32 v13, v5
	scratch_store_dwordx2 off, v[12:13], off offset:176
.LBB42_103:
	s_or_b64 exec, exec, s[0:1]
	; wave barrier
	scratch_load_dwordx2 v[4:5], off, off offset:184
	v_cmp_gt_u32_e32 vcc, 23, v0
	s_waitcnt vmcnt(0)
	ds_write_b64 v1, v[4:5]
	s_waitcnt lgkmcnt(0)
	; wave barrier
	s_and_saveexec_b64 s[0:1], vcc
	s_cbranch_execz .LBB42_107
; %bb.104:
	v_mov_b32_e32 v4, 0
	v_add_u32_e32 v3, -1, v0
	v_add_u32_e32 v7, 0x160, v2
	v_mov_b32_e32 v8, v2
	s_mov_b64 s[4:5], 0
	v_mov_b32_e32 v5, v4
.LBB42_105:                             ; =>This Inner Loop Header: Depth=1
	scratch_load_dwordx2 v[10:11], v8, off
	ds_read_b64 v[12:13], v7
	v_add_u32_e32 v3, 1, v3
	v_cmp_lt_u32_e32 vcc, 21, v3
	v_add_u32_e32 v7, 8, v7
	v_add_u32_e32 v8, 8, v8
	s_or_b64 s[4:5], vcc, s[4:5]
	s_waitcnt vmcnt(0) lgkmcnt(0)
	v_pk_mul_f32 v[14:15], v[12:13], v[10:11] op_sel:[1,1] op_sel_hi:[0,1]
	v_pk_fma_f32 v[16:17], v[12:13], v[10:11], v[14:15] neg_lo:[0,0,1] neg_hi:[0,0,1]
	v_pk_fma_f32 v[10:11], v[12:13], v[10:11], v[14:15] op_sel_hi:[1,0,1]
	s_nop 0
	v_mov_b32_e32 v17, v11
	v_pk_add_f32 v[4:5], v[4:5], v[16:17]
	s_andn2_b64 exec, exec, s[4:5]
	s_cbranch_execnz .LBB42_105
; %bb.106:
	s_or_b64 exec, exec, s[4:5]
	v_mov_b32_e32 v3, 0
	ds_read_b64 v[8:9], v3 offset:184
	s_waitcnt lgkmcnt(0)
	v_pk_mul_f32 v[10:11], v[4:5], v[8:9] op_sel:[1,1] op_sel_hi:[0,1]
	v_pk_fma_f32 v[12:13], v[4:5], v[8:9], v[10:11] neg_lo:[0,0,1] neg_hi:[0,0,1]
	v_pk_fma_f32 v[4:5], v[4:5], v[8:9], v[10:11] op_sel_hi:[1,0,1]
	s_nop 0
	v_mov_b32_e32 v13, v5
	scratch_store_dwordx2 off, v[12:13], off offset:184
.LBB42_107:
	s_or_b64 exec, exec, s[0:1]
	; wave barrier
	scratch_load_dwordx2 v[4:5], off, off offset:192
	v_cmp_gt_u32_e32 vcc, 24, v0
	;; [unrolled: 46-line block ×19, first 2 shown]
	s_waitcnt vmcnt(0)
	ds_write_b64 v1, v[4:5]
	s_waitcnt lgkmcnt(0)
	; wave barrier
	s_and_saveexec_b64 s[0:1], vcc
	s_cbranch_execz .LBB42_179
; %bb.176:
	v_mov_b32_e32 v4, 0
	v_add_u32_e32 v3, -1, v0
	v_add_u32_e32 v7, 0x160, v2
	v_mov_b32_e32 v8, v2
	s_mov_b64 s[4:5], 0
	v_mov_b32_e32 v5, v4
.LBB42_177:                             ; =>This Inner Loop Header: Depth=1
	scratch_load_dwordx2 v[10:11], v8, off
	ds_read_b64 v[12:13], v7
	v_add_u32_e32 v3, 1, v3
	v_cmp_lt_u32_e32 vcc, 39, v3
	v_add_u32_e32 v7, 8, v7
	v_add_u32_e32 v8, 8, v8
	s_or_b64 s[4:5], vcc, s[4:5]
	s_waitcnt vmcnt(0) lgkmcnt(0)
	v_pk_mul_f32 v[14:15], v[12:13], v[10:11] op_sel:[1,1] op_sel_hi:[0,1]
	v_pk_fma_f32 v[16:17], v[12:13], v[10:11], v[14:15] neg_lo:[0,0,1] neg_hi:[0,0,1]
	v_pk_fma_f32 v[10:11], v[12:13], v[10:11], v[14:15] op_sel_hi:[1,0,1]
	s_nop 0
	v_mov_b32_e32 v17, v11
	v_pk_add_f32 v[4:5], v[4:5], v[16:17]
	s_andn2_b64 exec, exec, s[4:5]
	s_cbranch_execnz .LBB42_177
; %bb.178:
	s_or_b64 exec, exec, s[4:5]
	v_mov_b32_e32 v3, 0
	ds_read_b64 v[8:9], v3 offset:328
	s_waitcnt lgkmcnt(0)
	v_pk_mul_f32 v[10:11], v[4:5], v[8:9] op_sel:[1,1] op_sel_hi:[0,1]
	v_pk_fma_f32 v[12:13], v[4:5], v[8:9], v[10:11] neg_lo:[0,0,1] neg_hi:[0,0,1]
	v_pk_fma_f32 v[4:5], v[4:5], v[8:9], v[10:11] op_sel_hi:[1,0,1]
	s_nop 0
	v_mov_b32_e32 v13, v5
	scratch_store_dwordx2 off, v[12:13], off offset:328
.LBB42_179:
	s_or_b64 exec, exec, s[0:1]
	; wave barrier
	scratch_load_dwordx2 v[4:5], off, off offset:336
	v_cmp_ne_u32_e32 vcc, 42, v0
	s_waitcnt vmcnt(0)
	ds_write_b64 v1, v[4:5]
	s_waitcnt lgkmcnt(0)
	; wave barrier
	s_and_saveexec_b64 s[0:1], vcc
	s_cbranch_execz .LBB42_183
; %bb.180:
	v_add_u32_e32 v1, 0x160, v2
	v_mov_b32_e32 v4, v2
	v_mov_b32_e32 v2, 0
	s_mov_b64 s[4:5], 0
	v_mov_b32_e32 v3, v2
.LBB42_181:                             ; =>This Inner Loop Header: Depth=1
	scratch_load_dwordx2 v[8:9], v4, off
	ds_read_b64 v[10:11], v1
	v_add_u32_e32 v6, 1, v6
	v_cmp_lt_u32_e32 vcc, 40, v6
	v_add_u32_e32 v1, 8, v1
	v_add_u32_e32 v4, 8, v4
	s_or_b64 s[4:5], vcc, s[4:5]
	s_waitcnt vmcnt(0) lgkmcnt(0)
	v_pk_mul_f32 v[12:13], v[10:11], v[8:9] op_sel:[1,1] op_sel_hi:[0,1]
	v_pk_fma_f32 v[14:15], v[10:11], v[8:9], v[12:13] neg_lo:[0,0,1] neg_hi:[0,0,1]
	v_pk_fma_f32 v[8:9], v[10:11], v[8:9], v[12:13] op_sel_hi:[1,0,1]
	s_nop 0
	v_mov_b32_e32 v15, v9
	v_pk_add_f32 v[2:3], v[2:3], v[14:15]
	s_andn2_b64 exec, exec, s[4:5]
	s_cbranch_execnz .LBB42_181
; %bb.182:
	s_or_b64 exec, exec, s[4:5]
	v_mov_b32_e32 v1, 0
	ds_read_b64 v[4:5], v1 offset:336
	s_waitcnt lgkmcnt(0)
	v_pk_mul_f32 v[6:7], v[2:3], v[4:5] op_sel:[1,1] op_sel_hi:[0,1]
	v_pk_fma_f32 v[8:9], v[2:3], v[4:5], v[6:7] neg_lo:[0,0,1] neg_hi:[0,0,1]
	v_pk_fma_f32 v[2:3], v[2:3], v[4:5], v[6:7] op_sel_hi:[1,0,1]
	s_nop 0
	v_mov_b32_e32 v9, v3
	scratch_store_dwordx2 off, v[8:9], off offset:336
.LBB42_183:
	s_or_b64 exec, exec, s[0:1]
	s_mov_b64 s[4:5], -1
	; wave barrier
.LBB42_184:
	s_and_b64 vcc, exec, s[4:5]
	s_cbranch_vccz .LBB42_186
; %bb.185:
	s_lshl_b64 s[0:1], s[2:3], 2
	s_add_u32 s0, s6, s0
	s_addc_u32 s1, s7, s1
	v_mov_b32_e32 v1, 0
	global_load_dword v1, v1, s[0:1]
	s_waitcnt vmcnt(0)
	v_cmp_ne_u32_e32 vcc, 0, v1
	s_cbranch_vccz .LBB42_187
.LBB42_186:
	s_endpgm
.LBB42_187:
	v_mov_b32_e32 v1, 0x160
	v_lshl_add_u32 v1, v0, 3, v1
	v_cmp_eq_u32_e32 vcc, 42, v0
	s_and_saveexec_b64 s[0:1], vcc
	s_cbranch_execz .LBB42_189
; %bb.188:
	scratch_load_dwordx2 v[2:3], off, off offset:328
	v_mov_b32_e32 v4, 0
	v_mov_b32_e32 v5, v4
	scratch_store_dwordx2 off, v[4:5], off offset:328
	s_waitcnt vmcnt(1)
	ds_write_b64 v1, v[2:3]
.LBB42_189:
	s_or_b64 exec, exec, s[0:1]
	s_waitcnt lgkmcnt(0)
	; wave barrier
	scratch_load_dwordx2 v[4:5], off, off offset:336
	scratch_load_dwordx2 v[6:7], off, off offset:328
	v_mov_b32_e32 v2, 0
	ds_read_b64 v[8:9], v2 offset:688
	v_cmp_lt_u32_e32 vcc, 40, v0
	s_waitcnt vmcnt(1) lgkmcnt(0)
	v_pk_mul_f32 v[10:11], v[8:9], v[4:5] op_sel:[1,1] op_sel_hi:[0,1]
	v_pk_fma_f32 v[12:13], v[8:9], v[4:5], v[10:11] neg_lo:[0,0,1] neg_hi:[0,0,1]
	v_pk_fma_f32 v[4:5], v[8:9], v[4:5], v[10:11] op_sel_hi:[1,0,1]
	s_nop 0
	v_mov_b32_e32 v13, v5
	v_pk_add_f32 v[4:5], v[12:13], 0 op_sel_hi:[1,0]
	s_waitcnt vmcnt(0)
	v_pk_add_f32 v[4:5], v[6:7], v[4:5] neg_lo:[0,1] neg_hi:[0,1]
	scratch_store_dwordx2 off, v[4:5], off offset:328
	s_and_saveexec_b64 s[0:1], vcc
	s_cbranch_execz .LBB42_191
; %bb.190:
	scratch_load_dwordx2 v[4:5], off, off offset:320
	v_mov_b32_e32 v3, v2
	scratch_store_dwordx2 off, v[2:3], off offset:320
	s_waitcnt vmcnt(1)
	ds_write_b64 v1, v[4:5]
.LBB42_191:
	s_or_b64 exec, exec, s[0:1]
	s_waitcnt lgkmcnt(0)
	; wave barrier
	scratch_load_dwordx4 v[4:7], off, off offset:328
	scratch_load_dwordx2 v[12:13], off, off offset:320
	ds_read2_b64 v[8:11], v2 offset0:85 offset1:86
	v_cmp_lt_u32_e32 vcc, 39, v0
	s_waitcnt vmcnt(1) lgkmcnt(0)
	v_pk_mul_f32 v[2:3], v[8:9], v[4:5] op_sel:[1,1] op_sel_hi:[0,1]
	v_mov_b32_e32 v14, v7
	v_pk_fma_f32 v[16:17], v[8:9], v[4:5], v[2:3] neg_lo:[0,0,1] neg_hi:[0,0,1]
	v_pk_fma_f32 v[2:3], v[8:9], v[4:5], v[2:3] op_sel_hi:[1,0,1]
	v_pk_mul_f32 v[4:5], v[10:11], v[14:15] op_sel:[1,0] op_sel_hi:[0,0]
	v_mov_b32_e32 v17, v3
	v_pk_fma_f32 v[2:3], v[10:11], v[6:7], v[4:5] neg_lo:[0,0,1] neg_hi:[0,0,1]
	v_pk_fma_f32 v[4:5], v[10:11], v[6:7], v[4:5] op_sel_hi:[1,0,1]
	v_pk_add_f32 v[6:7], v[16:17], 0 op_sel_hi:[1,0]
	v_mov_b32_e32 v3, v5
	v_pk_add_f32 v[2:3], v[6:7], v[2:3]
	s_waitcnt vmcnt(0)
	v_pk_add_f32 v[2:3], v[12:13], v[2:3] neg_lo:[0,1] neg_hi:[0,1]
	scratch_store_dwordx2 off, v[2:3], off offset:320
	s_and_saveexec_b64 s[0:1], vcc
	s_cbranch_execz .LBB42_193
; %bb.192:
	scratch_load_dwordx2 v[2:3], off, off offset:312
	v_mov_b32_e32 v4, 0
	v_mov_b32_e32 v5, v4
	scratch_store_dwordx2 off, v[4:5], off offset:312
	s_waitcnt vmcnt(1)
	ds_write_b64 v1, v[2:3]
.LBB42_193:
	s_or_b64 exec, exec, s[0:1]
	s_waitcnt lgkmcnt(0)
	; wave barrier
	scratch_load_dwordx4 v[4:7], off, off offset:320
	scratch_load_dwordx2 v[12:13], off, off offset:336
	scratch_load_dwordx2 v[14:15], off, off offset:312
	v_mov_b32_e32 v2, 0
	ds_read_b128 v[8:11], v2 offset:672
	ds_read_b64 v[16:17], v2 offset:688
	v_cmp_lt_u32_e32 vcc, 38, v0
	s_waitcnt vmcnt(2) lgkmcnt(1)
	v_pk_mul_f32 v[18:19], v[8:9], v[4:5] op_sel:[1,1] op_sel_hi:[0,1]
	v_mov_b32_e32 v20, v7
	v_pk_fma_f32 v[24:25], v[8:9], v[4:5], v[18:19] neg_lo:[0,0,1] neg_hi:[0,0,1]
	v_pk_fma_f32 v[4:5], v[8:9], v[4:5], v[18:19] op_sel_hi:[1,0,1]
	v_pk_mul_f32 v[8:9], v[10:11], v[20:21] op_sel:[1,0] op_sel_hi:[0,0]
	s_waitcnt vmcnt(1) lgkmcnt(0)
	v_pk_mul_f32 v[22:23], v[16:17], v[12:13] op_sel:[1,1] op_sel_hi:[0,1]
	v_mov_b32_e32 v25, v5
	v_pk_fma_f32 v[4:5], v[10:11], v[6:7], v[8:9] neg_lo:[0,0,1] neg_hi:[0,0,1]
	v_pk_fma_f32 v[6:7], v[10:11], v[6:7], v[8:9] op_sel_hi:[1,0,1]
	v_pk_fma_f32 v[18:19], v[16:17], v[12:13], v[22:23] neg_lo:[0,0,1] neg_hi:[0,0,1]
	v_pk_fma_f32 v[12:13], v[16:17], v[12:13], v[22:23] op_sel_hi:[1,0,1]
	v_pk_add_f32 v[8:9], v[24:25], 0 op_sel_hi:[1,0]
	v_mov_b32_e32 v5, v7
	v_mov_b32_e32 v19, v13
	v_pk_add_f32 v[4:5], v[8:9], v[4:5]
	s_nop 0
	v_pk_add_f32 v[4:5], v[4:5], v[18:19]
	s_waitcnt vmcnt(0)
	v_pk_add_f32 v[4:5], v[14:15], v[4:5] neg_lo:[0,1] neg_hi:[0,1]
	scratch_store_dwordx2 off, v[4:5], off offset:312
	s_and_saveexec_b64 s[0:1], vcc
	s_cbranch_execz .LBB42_195
; %bb.194:
	scratch_load_dwordx2 v[4:5], off, off offset:304
	v_mov_b32_e32 v3, v2
	scratch_store_dwordx2 off, v[2:3], off offset:304
	s_waitcnt vmcnt(1)
	ds_write_b64 v1, v[4:5]
.LBB42_195:
	s_or_b64 exec, exec, s[0:1]
	s_waitcnt lgkmcnt(0)
	; wave barrier
	scratch_load_dwordx4 v[4:7], off, off offset:312
	scratch_load_dwordx4 v[8:11], off, off offset:328
	scratch_load_dwordx2 v[20:21], off, off offset:304
	ds_read2_b64 v[12:15], v2 offset0:83 offset1:84
	ds_read2_b64 v[16:19], v2 offset0:85 offset1:86
	v_cmp_lt_u32_e32 vcc, 37, v0
	s_waitcnt vmcnt(2) lgkmcnt(1)
	v_pk_mul_f32 v[2:3], v[12:13], v[4:5] op_sel:[1,1] op_sel_hi:[0,1]
	v_mov_b32_e32 v22, v7
	s_waitcnt vmcnt(1) lgkmcnt(0)
	v_pk_mul_f32 v[24:25], v[16:17], v[8:9] op_sel:[1,1] op_sel_hi:[0,1]
	v_mov_b32_e32 v26, v11
	v_pk_fma_f32 v[28:29], v[12:13], v[4:5], v[2:3] neg_lo:[0,0,1] neg_hi:[0,0,1]
	v_pk_fma_f32 v[2:3], v[12:13], v[4:5], v[2:3] op_sel_hi:[1,0,1]
	v_pk_mul_f32 v[4:5], v[14:15], v[22:23] op_sel:[1,0] op_sel_hi:[0,0]
	v_pk_fma_f32 v[12:13], v[16:17], v[8:9], v[24:25] neg_lo:[0,0,1] neg_hi:[0,0,1]
	v_pk_fma_f32 v[8:9], v[16:17], v[8:9], v[24:25] op_sel_hi:[1,0,1]
	v_pk_mul_f32 v[16:17], v[18:19], v[26:27] op_sel:[1,0] op_sel_hi:[0,0]
	v_mov_b32_e32 v29, v3
	v_pk_fma_f32 v[2:3], v[14:15], v[6:7], v[4:5] neg_lo:[0,0,1] neg_hi:[0,0,1]
	v_pk_fma_f32 v[4:5], v[14:15], v[6:7], v[4:5] op_sel_hi:[1,0,1]
	v_mov_b32_e32 v13, v9
	v_pk_fma_f32 v[6:7], v[18:19], v[10:11], v[16:17] neg_lo:[0,0,1] neg_hi:[0,0,1]
	v_pk_fma_f32 v[8:9], v[18:19], v[10:11], v[16:17] op_sel_hi:[1,0,1]
	v_pk_add_f32 v[10:11], v[28:29], 0 op_sel_hi:[1,0]
	v_mov_b32_e32 v3, v5
	v_pk_add_f32 v[2:3], v[10:11], v[2:3]
	v_mov_b32_e32 v7, v9
	v_pk_add_f32 v[2:3], v[2:3], v[12:13]
	s_nop 0
	v_pk_add_f32 v[2:3], v[2:3], v[6:7]
	s_waitcnt vmcnt(0)
	v_pk_add_f32 v[2:3], v[20:21], v[2:3] neg_lo:[0,1] neg_hi:[0,1]
	scratch_store_dwordx2 off, v[2:3], off offset:304
	s_and_saveexec_b64 s[0:1], vcc
	s_cbranch_execz .LBB42_197
; %bb.196:
	scratch_load_dwordx2 v[2:3], off, off offset:296
	v_mov_b32_e32 v4, 0
	v_mov_b32_e32 v5, v4
	scratch_store_dwordx2 off, v[4:5], off offset:296
	s_waitcnt vmcnt(1)
	ds_write_b64 v1, v[2:3]
.LBB42_197:
	s_or_b64 exec, exec, s[0:1]
	s_waitcnt lgkmcnt(0)
	; wave barrier
	scratch_load_dwordx4 v[4:7], off, off offset:304
	scratch_load_dwordx4 v[8:11], off, off offset:320
	scratch_load_dwordx2 v[20:21], off, off offset:336
	scratch_load_dwordx2 v[22:23], off, off offset:296
	v_mov_b32_e32 v2, 0
	ds_read_b128 v[12:15], v2 offset:656
	ds_read_b128 v[16:19], v2 offset:672
	ds_read_b64 v[24:25], v2 offset:688
	v_cmp_lt_u32_e32 vcc, 36, v0
	s_waitcnt vmcnt(3) lgkmcnt(2)
	v_pk_mul_f32 v[26:27], v[12:13], v[4:5] op_sel:[1,1] op_sel_hi:[0,1]
	v_mov_b32_e32 v28, v7
	v_pk_fma_f32 v[36:37], v[12:13], v[4:5], v[26:27] neg_lo:[0,0,1] neg_hi:[0,0,1]
	v_pk_fma_f32 v[4:5], v[12:13], v[4:5], v[26:27] op_sel_hi:[1,0,1]
	v_pk_mul_f32 v[12:13], v[14:15], v[28:29] op_sel:[1,0] op_sel_hi:[0,0]
	s_waitcnt vmcnt(2) lgkmcnt(1)
	v_pk_mul_f32 v[30:31], v[16:17], v[8:9] op_sel:[1,1] op_sel_hi:[0,1]
	v_mov_b32_e32 v32, v11
	v_mov_b32_e32 v37, v5
	v_pk_fma_f32 v[4:5], v[14:15], v[6:7], v[12:13] neg_lo:[0,0,1] neg_hi:[0,0,1]
	v_pk_fma_f32 v[6:7], v[14:15], v[6:7], v[12:13] op_sel_hi:[1,0,1]
	v_pk_fma_f32 v[26:27], v[16:17], v[8:9], v[30:31] neg_lo:[0,0,1] neg_hi:[0,0,1]
	v_pk_fma_f32 v[8:9], v[16:17], v[8:9], v[30:31] op_sel_hi:[1,0,1]
	v_pk_mul_f32 v[16:17], v[18:19], v[32:33] op_sel:[1,0] op_sel_hi:[0,0]
	v_pk_add_f32 v[12:13], v[36:37], 0 op_sel_hi:[1,0]
	v_mov_b32_e32 v5, v7
	s_waitcnt vmcnt(1) lgkmcnt(0)
	v_pk_mul_f32 v[34:35], v[24:25], v[20:21] op_sel:[1,1] op_sel_hi:[0,1]
	v_mov_b32_e32 v27, v9
	v_pk_fma_f32 v[8:9], v[18:19], v[10:11], v[16:17] neg_lo:[0,0,1] neg_hi:[0,0,1]
	v_pk_fma_f32 v[10:11], v[18:19], v[10:11], v[16:17] op_sel_hi:[1,0,1]
	v_pk_add_f32 v[4:5], v[12:13], v[4:5]
	v_pk_fma_f32 v[28:29], v[24:25], v[20:21], v[34:35] neg_lo:[0,0,1] neg_hi:[0,0,1]
	v_pk_fma_f32 v[20:21], v[24:25], v[20:21], v[34:35] op_sel_hi:[1,0,1]
	v_mov_b32_e32 v9, v11
	v_pk_add_f32 v[4:5], v[4:5], v[26:27]
	v_mov_b32_e32 v29, v21
	v_pk_add_f32 v[4:5], v[4:5], v[8:9]
	s_nop 0
	v_pk_add_f32 v[4:5], v[4:5], v[28:29]
	s_waitcnt vmcnt(0)
	v_pk_add_f32 v[4:5], v[22:23], v[4:5] neg_lo:[0,1] neg_hi:[0,1]
	scratch_store_dwordx2 off, v[4:5], off offset:296
	s_and_saveexec_b64 s[0:1], vcc
	s_cbranch_execz .LBB42_199
; %bb.198:
	scratch_load_dwordx2 v[4:5], off, off offset:288
	v_mov_b32_e32 v3, v2
	scratch_store_dwordx2 off, v[2:3], off offset:288
	s_waitcnt vmcnt(1)
	ds_write_b64 v1, v[4:5]
.LBB42_199:
	s_or_b64 exec, exec, s[0:1]
	s_waitcnt lgkmcnt(0)
	; wave barrier
	scratch_load_dwordx4 v[4:7], off, off offset:296
	scratch_load_dwordx4 v[8:11], off, off offset:312
	;; [unrolled: 1-line block ×3, first 2 shown]
	scratch_load_dwordx2 v[28:29], off, off offset:288
	ds_read2_b64 v[16:19], v2 offset0:81 offset1:82
	ds_read2_b64 v[20:23], v2 offset0:83 offset1:84
	;; [unrolled: 1-line block ×3, first 2 shown]
	v_cmp_lt_u32_e32 vcc, 35, v0
	s_waitcnt vmcnt(3) lgkmcnt(2)
	v_pk_mul_f32 v[2:3], v[16:17], v[4:5] op_sel:[1,1] op_sel_hi:[0,1]
	v_mov_b32_e32 v30, v7
	s_waitcnt vmcnt(2) lgkmcnt(1)
	v_pk_mul_f32 v[32:33], v[20:21], v[8:9] op_sel:[1,1] op_sel_hi:[0,1]
	v_mov_b32_e32 v34, v11
	;; [unrolled: 3-line block ×3, first 2 shown]
	v_pk_fma_f32 v[40:41], v[16:17], v[4:5], v[2:3] neg_lo:[0,0,1] neg_hi:[0,0,1]
	v_pk_fma_f32 v[2:3], v[16:17], v[4:5], v[2:3] op_sel_hi:[1,0,1]
	v_pk_mul_f32 v[4:5], v[18:19], v[30:31] op_sel:[1,0] op_sel_hi:[0,0]
	v_pk_fma_f32 v[16:17], v[20:21], v[8:9], v[32:33] neg_lo:[0,0,1] neg_hi:[0,0,1]
	v_pk_fma_f32 v[8:9], v[20:21], v[8:9], v[32:33] op_sel_hi:[1,0,1]
	v_pk_mul_f32 v[20:21], v[22:23], v[34:35] op_sel:[1,0] op_sel_hi:[0,0]
	;; [unrolled: 3-line block ×3, first 2 shown]
	v_mov_b32_e32 v41, v3
	v_pk_fma_f32 v[2:3], v[18:19], v[6:7], v[4:5] neg_lo:[0,0,1] neg_hi:[0,0,1]
	v_pk_fma_f32 v[4:5], v[18:19], v[6:7], v[4:5] op_sel_hi:[1,0,1]
	v_mov_b32_e32 v17, v9
	v_pk_fma_f32 v[6:7], v[22:23], v[10:11], v[20:21] neg_lo:[0,0,1] neg_hi:[0,0,1]
	v_pk_fma_f32 v[8:9], v[22:23], v[10:11], v[20:21] op_sel_hi:[1,0,1]
	;; [unrolled: 3-line block ×3, first 2 shown]
	v_pk_add_f32 v[14:15], v[40:41], 0 op_sel_hi:[1,0]
	v_mov_b32_e32 v3, v5
	v_pk_add_f32 v[2:3], v[14:15], v[2:3]
	v_mov_b32_e32 v7, v9
	v_pk_add_f32 v[2:3], v[2:3], v[16:17]
	;; [unrolled: 2-line block ×3, first 2 shown]
	s_nop 0
	v_pk_add_f32 v[2:3], v[2:3], v[30:31]
	s_nop 0
	v_pk_add_f32 v[2:3], v[2:3], v[10:11]
	s_waitcnt vmcnt(0)
	v_pk_add_f32 v[2:3], v[28:29], v[2:3] neg_lo:[0,1] neg_hi:[0,1]
	scratch_store_dwordx2 off, v[2:3], off offset:288
	s_and_saveexec_b64 s[0:1], vcc
	s_cbranch_execz .LBB42_201
; %bb.200:
	scratch_load_dwordx2 v[2:3], off, off offset:280
	v_mov_b32_e32 v4, 0
	v_mov_b32_e32 v5, v4
	scratch_store_dwordx2 off, v[4:5], off offset:280
	s_waitcnt vmcnt(1)
	ds_write_b64 v1, v[2:3]
.LBB42_201:
	s_or_b64 exec, exec, s[0:1]
	s_waitcnt lgkmcnt(0)
	; wave barrier
	scratch_load_dwordx4 v[4:7], off, off offset:288
	scratch_load_dwordx4 v[8:11], off, off offset:304
	;; [unrolled: 1-line block ×3, first 2 shown]
	scratch_load_dwordx2 v[28:29], off, off offset:336
	v_mov_b32_e32 v2, 0
	ds_read_b128 v[16:19], v2 offset:640
	ds_read_b128 v[20:23], v2 offset:656
	;; [unrolled: 1-line block ×3, first 2 shown]
	ds_read_b64 v[30:31], v2 offset:688
	v_cmp_lt_u32_e32 vcc, 34, v0
	s_waitcnt vmcnt(3) lgkmcnt(3)
	v_pk_mul_f32 v[32:33], v[16:17], v[4:5] op_sel:[1,1] op_sel_hi:[0,1]
	v_pk_fma_f32 v[34:35], v[16:17], v[4:5], v[32:33] neg_lo:[0,0,1] neg_hi:[0,0,1]
	v_pk_fma_f32 v[4:5], v[16:17], v[4:5], v[32:33] op_sel_hi:[1,0,1]
	v_mov_b32_e32 v16, v7
	v_pk_mul_f32 v[16:17], v[18:19], v[16:17] op_sel:[1,0] op_sel_hi:[0,0]
	v_pk_fma_f32 v[32:33], v[18:19], v[6:7], v[16:17] neg_lo:[0,0,1] neg_hi:[0,0,1]
	v_pk_fma_f32 v[6:7], v[18:19], v[6:7], v[16:17] op_sel_hi:[1,0,1]
	v_mov_b32_e32 v35, v5
	v_mov_b32_e32 v33, v7
	s_waitcnt vmcnt(2) lgkmcnt(2)
	v_pk_mul_f32 v[6:7], v[20:21], v[8:9] op_sel:[1,1] op_sel_hi:[0,1]
	v_pk_fma_f32 v[16:17], v[20:21], v[8:9], v[6:7] neg_lo:[0,0,1] neg_hi:[0,0,1]
	v_pk_fma_f32 v[6:7], v[20:21], v[8:9], v[6:7] op_sel_hi:[1,0,1]
	v_pk_add_f32 v[4:5], v[34:35], 0 op_sel_hi:[1,0]
	v_mov_b32_e32 v6, v11
	v_mov_b32_e32 v17, v7
	v_pk_mul_f32 v[6:7], v[22:23], v[6:7] op_sel:[1,0] op_sel_hi:[0,0]
	v_pk_add_f32 v[4:5], v[4:5], v[32:33]
	v_pk_fma_f32 v[8:9], v[22:23], v[10:11], v[6:7] neg_lo:[0,0,1] neg_hi:[0,0,1]
	v_pk_fma_f32 v[6:7], v[22:23], v[10:11], v[6:7] op_sel_hi:[1,0,1]
	v_pk_add_f32 v[4:5], v[4:5], v[16:17]
	v_mov_b32_e32 v9, v7
	s_waitcnt vmcnt(1) lgkmcnt(1)
	v_pk_mul_f32 v[6:7], v[24:25], v[12:13] op_sel:[1,1] op_sel_hi:[0,1]
	v_pk_add_f32 v[4:5], v[4:5], v[8:9]
	v_pk_fma_f32 v[8:9], v[24:25], v[12:13], v[6:7] neg_lo:[0,0,1] neg_hi:[0,0,1]
	v_pk_fma_f32 v[6:7], v[24:25], v[12:13], v[6:7] op_sel_hi:[1,0,1]
	s_nop 0
	v_mov_b32_e32 v6, v15
	v_mov_b32_e32 v9, v7
	v_pk_mul_f32 v[6:7], v[26:27], v[6:7] op_sel:[1,0] op_sel_hi:[0,0]
	v_pk_add_f32 v[4:5], v[4:5], v[8:9]
	v_pk_fma_f32 v[8:9], v[26:27], v[14:15], v[6:7] neg_lo:[0,0,1] neg_hi:[0,0,1]
	v_pk_fma_f32 v[6:7], v[26:27], v[14:15], v[6:7] op_sel_hi:[1,0,1]
	s_nop 0
	v_mov_b32_e32 v9, v7
	s_waitcnt vmcnt(0) lgkmcnt(0)
	v_pk_mul_f32 v[6:7], v[30:31], v[28:29] op_sel:[1,1] op_sel_hi:[0,1]
	v_pk_add_f32 v[4:5], v[4:5], v[8:9]
	v_pk_fma_f32 v[8:9], v[30:31], v[28:29], v[6:7] neg_lo:[0,0,1] neg_hi:[0,0,1]
	v_pk_fma_f32 v[6:7], v[30:31], v[28:29], v[6:7] op_sel_hi:[1,0,1]
	s_nop 0
	v_mov_b32_e32 v9, v7
	scratch_load_dwordx2 v[6:7], off, off offset:280
	v_pk_add_f32 v[4:5], v[4:5], v[8:9]
	s_waitcnt vmcnt(0)
	v_pk_add_f32 v[4:5], v[6:7], v[4:5] neg_lo:[0,1] neg_hi:[0,1]
	scratch_store_dwordx2 off, v[4:5], off offset:280
	s_and_saveexec_b64 s[0:1], vcc
	s_cbranch_execz .LBB42_203
; %bb.202:
	scratch_load_dwordx2 v[4:5], off, off offset:272
	v_mov_b32_e32 v3, v2
	scratch_store_dwordx2 off, v[2:3], off offset:272
	s_waitcnt vmcnt(1)
	ds_write_b64 v1, v[4:5]
.LBB42_203:
	s_or_b64 exec, exec, s[0:1]
	s_waitcnt lgkmcnt(0)
	; wave barrier
	scratch_load_dwordx4 v[4:7], off, off offset:280
	scratch_load_dwordx4 v[8:11], off, off offset:296
	;; [unrolled: 1-line block ×4, first 2 shown]
	ds_read2_b64 v[20:23], v2 offset0:79 offset1:80
	ds_read2_b64 v[24:27], v2 offset0:81 offset1:82
	;; [unrolled: 1-line block ×4, first 2 shown]
	v_cmp_lt_u32_e32 vcc, 33, v0
	s_waitcnt vmcnt(3) lgkmcnt(3)
	v_pk_mul_f32 v[2:3], v[20:21], v[4:5] op_sel:[1,1] op_sel_hi:[0,1]
	v_pk_fma_f32 v[36:37], v[20:21], v[4:5], v[2:3] neg_lo:[0,0,1] neg_hi:[0,0,1]
	v_pk_fma_f32 v[2:3], v[20:21], v[4:5], v[2:3] op_sel_hi:[1,0,1]
	v_mov_b32_e32 v4, v7
	v_pk_mul_f32 v[4:5], v[22:23], v[4:5] op_sel:[1,0] op_sel_hi:[0,0]
	v_pk_fma_f32 v[20:21], v[22:23], v[6:7], v[4:5] neg_lo:[0,0,1] neg_hi:[0,0,1]
	v_pk_fma_f32 v[4:5], v[22:23], v[6:7], v[4:5] op_sel_hi:[1,0,1]
	v_mov_b32_e32 v37, v3
	v_mov_b32_e32 v21, v5
	s_waitcnt vmcnt(2) lgkmcnt(2)
	v_pk_mul_f32 v[4:5], v[24:25], v[8:9] op_sel:[1,1] op_sel_hi:[0,1]
	v_pk_fma_f32 v[6:7], v[24:25], v[8:9], v[4:5] neg_lo:[0,0,1] neg_hi:[0,0,1]
	v_pk_fma_f32 v[4:5], v[24:25], v[8:9], v[4:5] op_sel_hi:[1,0,1]
	v_pk_add_f32 v[2:3], v[36:37], 0 op_sel_hi:[1,0]
	v_mov_b32_e32 v4, v11
	v_pk_add_f32 v[2:3], v[2:3], v[20:21]
	v_mov_b32_e32 v7, v5
	v_pk_mul_f32 v[4:5], v[26:27], v[4:5] op_sel:[1,0] op_sel_hi:[0,0]
	v_pk_add_f32 v[2:3], v[2:3], v[6:7]
	v_pk_fma_f32 v[6:7], v[26:27], v[10:11], v[4:5] neg_lo:[0,0,1] neg_hi:[0,0,1]
	v_pk_fma_f32 v[4:5], v[26:27], v[10:11], v[4:5] op_sel_hi:[1,0,1]
	s_nop 0
	v_mov_b32_e32 v7, v5
	s_waitcnt vmcnt(1) lgkmcnt(1)
	v_pk_mul_f32 v[4:5], v[28:29], v[12:13] op_sel:[1,1] op_sel_hi:[0,1]
	v_pk_add_f32 v[2:3], v[2:3], v[6:7]
	v_pk_fma_f32 v[6:7], v[28:29], v[12:13], v[4:5] neg_lo:[0,0,1] neg_hi:[0,0,1]
	v_pk_fma_f32 v[4:5], v[28:29], v[12:13], v[4:5] op_sel_hi:[1,0,1]
	s_nop 0
	v_mov_b32_e32 v4, v15
	v_mov_b32_e32 v7, v5
	v_pk_mul_f32 v[4:5], v[30:31], v[4:5] op_sel:[1,0] op_sel_hi:[0,0]
	v_pk_add_f32 v[2:3], v[2:3], v[6:7]
	v_pk_fma_f32 v[6:7], v[30:31], v[14:15], v[4:5] neg_lo:[0,0,1] neg_hi:[0,0,1]
	v_pk_fma_f32 v[4:5], v[30:31], v[14:15], v[4:5] op_sel_hi:[1,0,1]
	s_nop 0
	v_mov_b32_e32 v7, v5
	s_waitcnt vmcnt(0) lgkmcnt(0)
	v_pk_mul_f32 v[4:5], v[32:33], v[16:17] op_sel:[1,1] op_sel_hi:[0,1]
	v_pk_add_f32 v[2:3], v[2:3], v[6:7]
	v_pk_fma_f32 v[6:7], v[32:33], v[16:17], v[4:5] neg_lo:[0,0,1] neg_hi:[0,0,1]
	v_pk_fma_f32 v[4:5], v[32:33], v[16:17], v[4:5] op_sel_hi:[1,0,1]
	s_nop 0
	v_mov_b32_e32 v4, v19
	v_mov_b32_e32 v7, v5
	v_pk_mul_f32 v[4:5], v[34:35], v[4:5] op_sel:[1,0] op_sel_hi:[0,0]
	v_pk_add_f32 v[2:3], v[2:3], v[6:7]
	v_pk_fma_f32 v[6:7], v[34:35], v[18:19], v[4:5] neg_lo:[0,0,1] neg_hi:[0,0,1]
	v_pk_fma_f32 v[4:5], v[34:35], v[18:19], v[4:5] op_sel_hi:[1,0,1]
	s_nop 0
	v_mov_b32_e32 v7, v5
	scratch_load_dwordx2 v[4:5], off, off offset:272
	v_pk_add_f32 v[2:3], v[2:3], v[6:7]
	s_waitcnt vmcnt(0)
	v_pk_add_f32 v[2:3], v[4:5], v[2:3] neg_lo:[0,1] neg_hi:[0,1]
	scratch_store_dwordx2 off, v[2:3], off offset:272
	s_and_saveexec_b64 s[0:1], vcc
	s_cbranch_execz .LBB42_205
; %bb.204:
	scratch_load_dwordx2 v[2:3], off, off offset:264
	v_mov_b32_e32 v4, 0
	v_mov_b32_e32 v5, v4
	scratch_store_dwordx2 off, v[4:5], off offset:264
	s_waitcnt vmcnt(1)
	ds_write_b64 v1, v[2:3]
.LBB42_205:
	s_or_b64 exec, exec, s[0:1]
	v_mov_b32_e32 v2, 0
	s_waitcnt lgkmcnt(0)
	; wave barrier
	ds_read_b128 v[4:7], v2 offset:624
	ds_read_b128 v[8:11], v2 offset:640
	;; [unrolled: 1-line block ×4, first 2 shown]
	scratch_load_dwordx4 v[20:23], off, off offset:272
	scratch_load_dwordx4 v[24:27], off, off offset:288
	;; [unrolled: 1-line block ×4, first 2 shown]
	scratch_load_dwordx2 v[38:39], off, off offset:336
	v_cmp_lt_u32_e32 vcc, 32, v0
	s_waitcnt vmcnt(4) lgkmcnt(3)
	v_mul_f32_e32 v37, v4, v21
	v_mul_f32_e32 v3, v5, v21
	v_fmac_f32_e32 v37, v5, v20
	v_fma_f32 v36, v4, v20, -v3
	v_pk_add_f32 v[20:21], v[36:37], 0 op_sel_hi:[1,0]
	v_mov_b32_e32 v36, v23
	v_pk_mul_f32 v[36:37], v[6:7], v[36:37] op_sel:[1,0] op_sel_hi:[0,0]
	v_pk_fma_f32 v[40:41], v[6:7], v[22:23], v[36:37] neg_lo:[0,0,1] neg_hi:[0,0,1]
	v_pk_fma_f32 v[6:7], v[6:7], v[22:23], v[36:37] op_sel_hi:[1,0,1]
	ds_read_b64 v[4:5], v2 offset:688
	v_mov_b32_e32 v41, v7
	v_pk_add_f32 v[6:7], v[20:21], v[40:41]
	s_waitcnt vmcnt(3) lgkmcnt(3)
	v_pk_mul_f32 v[20:21], v[8:9], v[24:25] op_sel:[1,1] op_sel_hi:[0,1]
	v_pk_fma_f32 v[22:23], v[8:9], v[24:25], v[20:21] neg_lo:[0,0,1] neg_hi:[0,0,1]
	v_pk_fma_f32 v[8:9], v[8:9], v[24:25], v[20:21] op_sel_hi:[1,0,1]
	s_nop 0
	v_mov_b32_e32 v8, v27
	v_mov_b32_e32 v23, v9
	v_pk_mul_f32 v[8:9], v[10:11], v[8:9] op_sel:[1,0] op_sel_hi:[0,0]
	v_pk_fma_f32 v[20:21], v[10:11], v[26:27], v[8:9] neg_lo:[0,0,1] neg_hi:[0,0,1]
	v_pk_fma_f32 v[8:9], v[10:11], v[26:27], v[8:9] op_sel_hi:[1,0,1]
	v_pk_add_f32 v[6:7], v[6:7], v[22:23]
	v_mov_b32_e32 v21, v9
	s_waitcnt vmcnt(2) lgkmcnt(2)
	v_pk_mul_f32 v[8:9], v[12:13], v[28:29] op_sel:[1,1] op_sel_hi:[0,1]
	v_pk_fma_f32 v[10:11], v[12:13], v[28:29], v[8:9] neg_lo:[0,0,1] neg_hi:[0,0,1]
	v_pk_fma_f32 v[8:9], v[12:13], v[28:29], v[8:9] op_sel_hi:[1,0,1]
	v_pk_add_f32 v[6:7], v[6:7], v[20:21]
	v_mov_b32_e32 v8, v31
	v_mov_b32_e32 v11, v9
	v_pk_mul_f32 v[8:9], v[14:15], v[8:9] op_sel:[1,0] op_sel_hi:[0,0]
	v_pk_add_f32 v[6:7], v[6:7], v[10:11]
	v_pk_fma_f32 v[10:11], v[14:15], v[30:31], v[8:9] neg_lo:[0,0,1] neg_hi:[0,0,1]
	v_pk_fma_f32 v[8:9], v[14:15], v[30:31], v[8:9] op_sel_hi:[1,0,1]
	s_nop 0
	v_mov_b32_e32 v11, v9
	s_waitcnt vmcnt(1) lgkmcnt(1)
	v_pk_mul_f32 v[8:9], v[16:17], v[32:33] op_sel:[1,1] op_sel_hi:[0,1]
	v_pk_add_f32 v[6:7], v[6:7], v[10:11]
	v_pk_fma_f32 v[10:11], v[16:17], v[32:33], v[8:9] neg_lo:[0,0,1] neg_hi:[0,0,1]
	v_pk_fma_f32 v[8:9], v[16:17], v[32:33], v[8:9] op_sel_hi:[1,0,1]
	s_nop 0
	v_mov_b32_e32 v8, v35
	v_mov_b32_e32 v11, v9
	v_pk_mul_f32 v[8:9], v[18:19], v[8:9] op_sel:[1,0] op_sel_hi:[0,0]
	v_pk_add_f32 v[6:7], v[6:7], v[10:11]
	v_pk_fma_f32 v[10:11], v[18:19], v[34:35], v[8:9] neg_lo:[0,0,1] neg_hi:[0,0,1]
	v_pk_fma_f32 v[8:9], v[18:19], v[34:35], v[8:9] op_sel_hi:[1,0,1]
	s_nop 0
	v_mov_b32_e32 v11, v9
	s_waitcnt vmcnt(0) lgkmcnt(0)
	v_pk_mul_f32 v[8:9], v[4:5], v[38:39] op_sel:[1,1] op_sel_hi:[0,1]
	v_pk_add_f32 v[6:7], v[6:7], v[10:11]
	v_pk_fma_f32 v[10:11], v[4:5], v[38:39], v[8:9] neg_lo:[0,0,1] neg_hi:[0,0,1]
	v_pk_fma_f32 v[4:5], v[4:5], v[38:39], v[8:9] op_sel_hi:[1,0,1]
	s_nop 0
	v_mov_b32_e32 v11, v5
	v_pk_add_f32 v[4:5], v[6:7], v[10:11]
	scratch_load_dwordx2 v[6:7], off, off offset:264
	s_waitcnt vmcnt(0)
	v_pk_add_f32 v[4:5], v[6:7], v[4:5] neg_lo:[0,1] neg_hi:[0,1]
	scratch_store_dwordx2 off, v[4:5], off offset:264
	s_and_saveexec_b64 s[0:1], vcc
	s_cbranch_execz .LBB42_207
; %bb.206:
	scratch_load_dwordx2 v[4:5], off, off offset:256
	v_mov_b32_e32 v3, v2
	scratch_store_dwordx2 off, v[2:3], off offset:256
	s_waitcnt vmcnt(1)
	ds_write_b64 v1, v[4:5]
.LBB42_207:
	s_or_b64 exec, exec, s[0:1]
	s_waitcnt lgkmcnt(0)
	; wave barrier
	scratch_load_dwordx4 v[8:11], off, off offset:264
	ds_read2_b64 v[4:7], v2 offset0:77 offset1:78
	scratch_load_dwordx4 v[12:15], off, off offset:280
	scratch_load_dwordx4 v[16:19], off, off offset:296
	;; [unrolled: 1-line block ×4, first 2 shown]
	v_cmp_lt_u32_e32 vcc, 31, v0
	s_waitcnt vmcnt(4) lgkmcnt(0)
	v_mul_f32_e32 v3, v5, v9
	v_mul_f32_e32 v37, v4, v9
	v_mul_f32_e32 v39, v6, v11
	v_fma_f32 v36, v4, v8, -v3
	v_mul_f32_e32 v3, v7, v11
	v_fmac_f32_e32 v37, v5, v8
	v_fmac_f32_e32 v39, v7, v10
	v_fma_f32 v38, v6, v10, -v3
	ds_read2_b64 v[4:7], v2 offset0:79 offset1:80
	ds_read2_b64 v[8:11], v2 offset0:81 offset1:82
	ds_read2_b64 v[28:31], v2 offset0:83 offset1:84
	ds_read2_b64 v[32:35], v2 offset0:85 offset1:86
	v_pk_add_f32 v[2:3], v[36:37], 0 op_sel_hi:[1,0]
	s_waitcnt vmcnt(3) lgkmcnt(3)
	v_pk_mul_f32 v[36:37], v[4:5], v[12:13] op_sel:[1,1] op_sel_hi:[0,1]
	v_pk_add_f32 v[2:3], v[2:3], v[38:39]
	v_pk_fma_f32 v[38:39], v[4:5], v[12:13], v[36:37] neg_lo:[0,0,1] neg_hi:[0,0,1]
	v_pk_fma_f32 v[4:5], v[4:5], v[12:13], v[36:37] op_sel_hi:[1,0,1]
	s_nop 0
	v_mov_b32_e32 v4, v15
	v_mov_b32_e32 v39, v5
	v_pk_mul_f32 v[4:5], v[6:7], v[4:5] op_sel:[1,0] op_sel_hi:[0,0]
	v_pk_fma_f32 v[12:13], v[6:7], v[14:15], v[4:5] neg_lo:[0,0,1] neg_hi:[0,0,1]
	v_pk_fma_f32 v[4:5], v[6:7], v[14:15], v[4:5] op_sel_hi:[1,0,1]
	v_pk_add_f32 v[2:3], v[2:3], v[38:39]
	v_mov_b32_e32 v13, v5
	s_waitcnt vmcnt(2) lgkmcnt(2)
	v_pk_mul_f32 v[4:5], v[8:9], v[16:17] op_sel:[1,1] op_sel_hi:[0,1]
	v_pk_fma_f32 v[6:7], v[8:9], v[16:17], v[4:5] neg_lo:[0,0,1] neg_hi:[0,0,1]
	v_pk_fma_f32 v[4:5], v[8:9], v[16:17], v[4:5] op_sel_hi:[1,0,1]
	v_pk_add_f32 v[2:3], v[2:3], v[12:13]
	v_mov_b32_e32 v4, v19
	v_mov_b32_e32 v7, v5
	v_pk_mul_f32 v[4:5], v[10:11], v[4:5] op_sel:[1,0] op_sel_hi:[0,0]
	v_pk_add_f32 v[2:3], v[2:3], v[6:7]
	v_pk_fma_f32 v[6:7], v[10:11], v[18:19], v[4:5] neg_lo:[0,0,1] neg_hi:[0,0,1]
	v_pk_fma_f32 v[4:5], v[10:11], v[18:19], v[4:5] op_sel_hi:[1,0,1]
	s_nop 0
	v_mov_b32_e32 v7, v5
	s_waitcnt vmcnt(1) lgkmcnt(1)
	v_pk_mul_f32 v[4:5], v[28:29], v[20:21] op_sel:[1,1] op_sel_hi:[0,1]
	v_pk_add_f32 v[2:3], v[2:3], v[6:7]
	v_pk_fma_f32 v[6:7], v[28:29], v[20:21], v[4:5] neg_lo:[0,0,1] neg_hi:[0,0,1]
	v_pk_fma_f32 v[4:5], v[28:29], v[20:21], v[4:5] op_sel_hi:[1,0,1]
	s_nop 0
	v_mov_b32_e32 v4, v23
	v_mov_b32_e32 v7, v5
	v_pk_mul_f32 v[4:5], v[30:31], v[4:5] op_sel:[1,0] op_sel_hi:[0,0]
	v_pk_add_f32 v[2:3], v[2:3], v[6:7]
	v_pk_fma_f32 v[6:7], v[30:31], v[22:23], v[4:5] neg_lo:[0,0,1] neg_hi:[0,0,1]
	v_pk_fma_f32 v[4:5], v[30:31], v[22:23], v[4:5] op_sel_hi:[1,0,1]
	s_nop 0
	v_mov_b32_e32 v7, v5
	s_waitcnt vmcnt(0) lgkmcnt(0)
	v_pk_mul_f32 v[4:5], v[32:33], v[24:25] op_sel:[1,1] op_sel_hi:[0,1]
	v_pk_add_f32 v[2:3], v[2:3], v[6:7]
	v_pk_fma_f32 v[6:7], v[32:33], v[24:25], v[4:5] neg_lo:[0,0,1] neg_hi:[0,0,1]
	v_pk_fma_f32 v[4:5], v[32:33], v[24:25], v[4:5] op_sel_hi:[1,0,1]
	s_nop 0
	v_mov_b32_e32 v4, v27
	v_mov_b32_e32 v7, v5
	v_pk_mul_f32 v[4:5], v[34:35], v[4:5] op_sel:[1,0] op_sel_hi:[0,0]
	v_pk_add_f32 v[2:3], v[2:3], v[6:7]
	v_pk_fma_f32 v[6:7], v[34:35], v[26:27], v[4:5] neg_lo:[0,0,1] neg_hi:[0,0,1]
	v_pk_fma_f32 v[4:5], v[34:35], v[26:27], v[4:5] op_sel_hi:[1,0,1]
	s_nop 0
	v_mov_b32_e32 v7, v5
	scratch_load_dwordx2 v[4:5], off, off offset:256
	v_pk_add_f32 v[2:3], v[2:3], v[6:7]
	s_waitcnt vmcnt(0)
	v_pk_add_f32 v[2:3], v[4:5], v[2:3] neg_lo:[0,1] neg_hi:[0,1]
	scratch_store_dwordx2 off, v[2:3], off offset:256
	s_and_saveexec_b64 s[0:1], vcc
	s_cbranch_execz .LBB42_209
; %bb.208:
	scratch_load_dwordx2 v[2:3], off, off offset:248
	v_mov_b32_e32 v4, 0
	v_mov_b32_e32 v5, v4
	scratch_store_dwordx2 off, v[4:5], off offset:248
	s_waitcnt vmcnt(1)
	ds_write_b64 v1, v[2:3]
.LBB42_209:
	s_or_b64 exec, exec, s[0:1]
	s_waitcnt lgkmcnt(0)
	; wave barrier
	scratch_load_dwordx4 v[4:7], off, off offset:256
	scratch_load_dwordx4 v[8:11], off, off offset:272
	;; [unrolled: 1-line block ×5, first 2 shown]
	scratch_load_dwordx2 v[44:45], off, off offset:336
	scratch_load_dwordx2 v[46:47], off, off offset:248
	v_mov_b32_e32 v2, 0
	ds_read_b128 v[24:27], v2 offset:608
	ds_read_b128 v[28:31], v2 offset:624
	;; [unrolled: 1-line block ×5, first 2 shown]
	ds_read_b64 v[48:49], v2 offset:688
	v_cmp_lt_u32_e32 vcc, 30, v0
	s_waitcnt vmcnt(6) lgkmcnt(5)
	v_mul_f32_e32 v3, v24, v5
	v_mul_f32_e32 v5, v25, v5
	;; [unrolled: 1-line block ×3, first 2 shown]
	s_waitcnt vmcnt(5) lgkmcnt(4)
	v_mul_f32_e32 v53, v28, v9
	v_mul_f32_e32 v7, v27, v7
	;; [unrolled: 1-line block ×3, first 2 shown]
	v_mov_b32_e32 v54, v11
	s_waitcnt vmcnt(3) lgkmcnt(2)
	v_pk_mul_f32 v[60:61], v[36:37], v[16:17] op_sel:[1,1] op_sel_hi:[0,1]
	s_waitcnt vmcnt(2) lgkmcnt(1)
	v_pk_mul_f32 v[64:65], v[40:41], v[20:21] op_sel:[1,1] op_sel_hi:[0,1]
	;; [unrolled: 2-line block ×3, first 2 shown]
	v_fmac_f32_e32 v3, v25, v4
	v_fma_f32 v55, v24, v4, -v5
	v_fmac_f32_e32 v51, v27, v6
	v_fmac_f32_e32 v53, v29, v8
	v_fma_f32 v50, v26, v6, -v7
	v_fma_f32 v52, v28, v8, -v9
	v_pk_mul_f32 v[4:5], v[30:31], v[54:55] op_sel:[1,0] op_sel_hi:[0,0]
	v_pk_fma_f32 v[24:25], v[36:37], v[16:17], v[60:61] neg_lo:[0,0,1] neg_hi:[0,0,1]
	v_pk_fma_f32 v[16:17], v[36:37], v[16:17], v[60:61] op_sel_hi:[1,0,1]
	v_pk_fma_f32 v[28:29], v[40:41], v[20:21], v[64:65] neg_lo:[0,0,1] neg_hi:[0,0,1]
	v_pk_fma_f32 v[20:21], v[40:41], v[20:21], v[64:65] op_sel_hi:[1,0,1]
	;; [unrolled: 2-line block ×3, first 2 shown]
	v_add_f32_e32 v45, 0, v3
	v_add_f32_e32 v44, 0, v55
	v_pk_mul_f32 v[56:57], v[32:33], v[12:13] op_sel:[1,1] op_sel_hi:[0,1]
	v_mov_b32_e32 v58, v15
	v_pk_fma_f32 v[48:49], v[30:31], v[10:11], v[4:5] neg_lo:[0,0,1] neg_hi:[0,0,1]
	v_pk_fma_f32 v[4:5], v[30:31], v[10:11], v[4:5] op_sel_hi:[1,0,1]
	v_mov_b32_e32 v29, v21
	v_pk_add_f32 v[20:21], v[44:45], v[50:51]
	v_pk_fma_f32 v[6:7], v[32:33], v[12:13], v[56:57] neg_lo:[0,0,1] neg_hi:[0,0,1]
	v_pk_fma_f32 v[8:9], v[32:33], v[12:13], v[56:57] op_sel_hi:[1,0,1]
	v_pk_mul_f32 v[12:13], v[34:35], v[58:59] op_sel:[1,0] op_sel_hi:[0,0]
	v_mov_b32_e32 v49, v5
	v_pk_add_f32 v[4:5], v[20:21], v[52:53]
	v_mov_b32_e32 v62, v19
	v_mov_b32_e32 v7, v9
	v_pk_fma_f32 v[8:9], v[34:35], v[14:15], v[12:13] neg_lo:[0,0,1] neg_hi:[0,0,1]
	v_pk_fma_f32 v[10:11], v[34:35], v[14:15], v[12:13] op_sel_hi:[1,0,1]
	v_pk_add_f32 v[4:5], v[4:5], v[48:49]
	v_pk_mul_f32 v[26:27], v[38:39], v[62:63] op_sel:[1,0] op_sel_hi:[0,0]
	v_mov_b32_e32 v9, v11
	v_pk_add_f32 v[4:5], v[4:5], v[6:7]
	v_mov_b32_e32 v66, v23
	v_mov_b32_e32 v25, v17
	v_pk_fma_f32 v[12:13], v[38:39], v[18:19], v[26:27] neg_lo:[0,0,1] neg_hi:[0,0,1]
	v_pk_fma_f32 v[14:15], v[38:39], v[18:19], v[26:27] op_sel_hi:[1,0,1]
	v_pk_add_f32 v[4:5], v[4:5], v[8:9]
	v_pk_mul_f32 v[32:33], v[42:43], v[66:67] op_sel:[1,0] op_sel_hi:[0,0]
	v_mov_b32_e32 v13, v15
	v_pk_add_f32 v[4:5], v[4:5], v[24:25]
	v_pk_fma_f32 v[16:17], v[42:43], v[22:23], v[32:33] neg_lo:[0,0,1] neg_hi:[0,0,1]
	v_pk_fma_f32 v[18:19], v[42:43], v[22:23], v[32:33] op_sel_hi:[1,0,1]
	v_pk_add_f32 v[4:5], v[4:5], v[12:13]
	v_mov_b32_e32 v17, v19
	v_pk_add_f32 v[4:5], v[4:5], v[28:29]
	v_mov_b32_e32 v37, v41
	v_pk_add_f32 v[4:5], v[4:5], v[16:17]
	s_nop 0
	v_pk_add_f32 v[4:5], v[4:5], v[36:37]
	s_waitcnt vmcnt(0)
	v_pk_add_f32 v[4:5], v[46:47], v[4:5] neg_lo:[0,1] neg_hi:[0,1]
	scratch_store_dwordx2 off, v[4:5], off offset:248
	s_and_saveexec_b64 s[0:1], vcc
	s_cbranch_execz .LBB42_211
; %bb.210:
	scratch_load_dwordx2 v[4:5], off, off offset:240
	v_mov_b32_e32 v3, v2
	scratch_store_dwordx2 off, v[2:3], off offset:240
	s_waitcnt vmcnt(1)
	ds_write_b64 v1, v[4:5]
.LBB42_211:
	s_or_b64 exec, exec, s[0:1]
	s_waitcnt lgkmcnt(0)
	; wave barrier
	scratch_load_dwordx4 v[4:7], off, off offset:248
	scratch_load_dwordx4 v[8:11], off, off offset:264
	;; [unrolled: 1-line block ×6, first 2 shown]
	scratch_load_dwordx2 v[52:53], off, off offset:240
	ds_read2_b64 v[28:31], v2 offset0:75 offset1:76
	ds_read2_b64 v[32:35], v2 offset0:77 offset1:78
	;; [unrolled: 1-line block ×6, first 2 shown]
	v_cmp_lt_u32_e32 vcc, 29, v0
	s_waitcnt vmcnt(6) lgkmcnt(5)
	v_mul_f32_e32 v59, v28, v5
	v_mul_f32_e32 v63, v30, v7
	s_waitcnt vmcnt(5) lgkmcnt(4)
	v_mul_f32_e32 v3, v32, v9
	v_mul_f32_e32 v2, v29, v5
	;; [unrolled: 1-line block ×4, first 2 shown]
	s_waitcnt vmcnt(1) lgkmcnt(0)
	v_pk_mul_f32 v[68:69], v[48:49], v[24:25] op_sel:[1,1] op_sel_hi:[0,1]
	v_pk_mul_f32 v[56:57], v[36:37], v[12:13] op_sel:[1,1] op_sel_hi:[0,1]
	v_fmac_f32_e32 v59, v29, v4
	v_fmac_f32_e32 v3, v33, v8
	v_fma_f32 v67, v28, v4, -v2
	v_fma_f32 v2, v32, v8, -v7
	v_pk_fma_f32 v[32:33], v[48:49], v[24:25], v[68:69] neg_lo:[0,0,1] neg_hi:[0,0,1]
	v_pk_fma_f32 v[24:25], v[48:49], v[24:25], v[68:69] op_sel_hi:[1,0,1]
	v_fmac_f32_e32 v63, v31, v6
	v_fma_f32 v71, v30, v6, -v5
	v_pk_fma_f32 v[4:5], v[36:37], v[12:13], v[56:57] neg_lo:[0,0,1] neg_hi:[0,0,1]
	v_pk_fma_f32 v[6:7], v[36:37], v[12:13], v[56:57] op_sel_hi:[1,0,1]
	v_add_f32_e32 v24, 0, v59
	v_add_f32_e32 v36, 0, v67
	v_mul_f32_e32 v55, v34, v11
	v_mul_f32_e32 v9, v35, v11
	v_mov_b32_e32 v58, v15
	v_mov_b32_e32 v33, v25
	v_add_f32_e32 v25, v24, v63
	v_add_f32_e32 v24, v36, v71
	v_fmac_f32_e32 v55, v35, v10
	v_fma_f32 v54, v34, v10, -v9
	v_pk_mul_f32 v[8:9], v[38:39], v[58:59] op_sel:[1,0] op_sel_hi:[0,0]
	v_pk_add_f32 v[2:3], v[24:25], v[2:3]
	v_pk_mul_f32 v[60:61], v[40:41], v[16:17] op_sel:[1,1] op_sel_hi:[0,1]
	v_mov_b32_e32 v62, v19
	v_mov_b32_e32 v5, v7
	v_pk_fma_f32 v[6:7], v[38:39], v[14:15], v[8:9] neg_lo:[0,0,1] neg_hi:[0,0,1]
	v_pk_fma_f32 v[8:9], v[38:39], v[14:15], v[8:9] op_sel_hi:[1,0,1]
	v_pk_add_f32 v[2:3], v[2:3], v[54:55]
	v_pk_fma_f32 v[10:11], v[40:41], v[16:17], v[60:61] neg_lo:[0,0,1] neg_hi:[0,0,1]
	v_pk_fma_f32 v[12:13], v[40:41], v[16:17], v[60:61] op_sel_hi:[1,0,1]
	v_pk_mul_f32 v[16:17], v[42:43], v[62:63] op_sel:[1,0] op_sel_hi:[0,0]
	v_mov_b32_e32 v7, v9
	v_pk_add_f32 v[2:3], v[2:3], v[4:5]
	v_pk_mul_f32 v[64:65], v[44:45], v[20:21] op_sel:[1,1] op_sel_hi:[0,1]
	v_mov_b32_e32 v66, v23
	v_mov_b32_e32 v11, v13
	v_pk_fma_f32 v[12:13], v[42:43], v[18:19], v[16:17] neg_lo:[0,0,1] neg_hi:[0,0,1]
	v_pk_fma_f32 v[14:15], v[42:43], v[18:19], v[16:17] op_sel_hi:[1,0,1]
	v_pk_add_f32 v[2:3], v[2:3], v[6:7]
	v_pk_fma_f32 v[28:29], v[44:45], v[20:21], v[64:65] neg_lo:[0,0,1] neg_hi:[0,0,1]
	v_pk_fma_f32 v[20:21], v[44:45], v[20:21], v[64:65] op_sel_hi:[1,0,1]
	v_pk_mul_f32 v[30:31], v[46:47], v[66:67] op_sel:[1,0] op_sel_hi:[0,0]
	v_mov_b32_e32 v13, v15
	v_pk_add_f32 v[2:3], v[2:3], v[10:11]
	v_mov_b32_e32 v70, v27
	v_mov_b32_e32 v29, v21
	v_pk_fma_f32 v[16:17], v[46:47], v[22:23], v[30:31] neg_lo:[0,0,1] neg_hi:[0,0,1]
	v_pk_fma_f32 v[18:19], v[46:47], v[22:23], v[30:31] op_sel_hi:[1,0,1]
	v_pk_add_f32 v[2:3], v[2:3], v[12:13]
	v_pk_mul_f32 v[34:35], v[50:51], v[70:71] op_sel:[1,0] op_sel_hi:[0,0]
	v_mov_b32_e32 v17, v19
	v_pk_add_f32 v[2:3], v[2:3], v[28:29]
	v_pk_fma_f32 v[20:21], v[50:51], v[26:27], v[34:35] neg_lo:[0,0,1] neg_hi:[0,0,1]
	v_pk_fma_f32 v[22:23], v[50:51], v[26:27], v[34:35] op_sel_hi:[1,0,1]
	v_pk_add_f32 v[2:3], v[2:3], v[16:17]
	v_mov_b32_e32 v21, v23
	v_pk_add_f32 v[2:3], v[2:3], v[32:33]
	s_nop 0
	v_pk_add_f32 v[2:3], v[2:3], v[20:21]
	s_waitcnt vmcnt(0)
	v_pk_add_f32 v[2:3], v[52:53], v[2:3] neg_lo:[0,1] neg_hi:[0,1]
	scratch_store_dwordx2 off, v[2:3], off offset:240
	s_and_saveexec_b64 s[0:1], vcc
	s_cbranch_execz .LBB42_213
; %bb.212:
	scratch_load_dwordx2 v[2:3], off, off offset:232
	v_mov_b32_e32 v4, 0
	v_mov_b32_e32 v5, v4
	scratch_store_dwordx2 off, v[4:5], off offset:232
	s_waitcnt vmcnt(1)
	ds_write_b64 v1, v[2:3]
.LBB42_213:
	s_or_b64 exec, exec, s[0:1]
	s_waitcnt lgkmcnt(0)
	; wave barrier
	scratch_load_dwordx4 v[4:7], off, off offset:240
	scratch_load_dwordx4 v[8:11], off, off offset:256
	;; [unrolled: 1-line block ×6, first 2 shown]
	scratch_load_dwordx2 v[52:53], off, off offset:336
	scratch_load_dwordx2 v[54:55], off, off offset:232
	v_mov_b32_e32 v2, 0
	ds_read_b128 v[28:31], v2 offset:592
	ds_read_b128 v[32:35], v2 offset:608
	;; [unrolled: 1-line block ×6, first 2 shown]
	ds_read_b64 v[56:57], v2 offset:688
	v_cmp_lt_u32_e32 vcc, 28, v0
	s_waitcnt vmcnt(7) lgkmcnt(6)
	v_mul_f32_e32 v63, v30, v7
	v_mul_f32_e32 v3, v28, v5
	s_waitcnt vmcnt(5) lgkmcnt(4)
	v_mul_f32_e32 v61, v36, v13
	v_mul_f32_e32 v5, v29, v5
	v_mov_b32_e32 v62, v15
	s_waitcnt vmcnt(2) lgkmcnt(1)
	v_pk_mul_f32 v[72:73], v[48:49], v[24:25] op_sel:[1,1] op_sel_hi:[0,1]
	v_fmac_f32_e32 v63, v31, v6
	v_mul_f32_e32 v7, v31, v7
	v_mul_f32_e32 v13, v37, v13
	v_fmac_f32_e32 v3, v29, v4
	v_fmac_f32_e32 v61, v37, v12
	v_fma_f32 v37, v28, v4, -v5
	v_pk_mul_f32 v[4:5], v[38:39], v[62:63] op_sel:[1,0] op_sel_hi:[0,0]
	v_pk_fma_f32 v[28:29], v[48:49], v[24:25], v[72:73] neg_lo:[0,0,1] neg_hi:[0,0,1]
	v_pk_fma_f32 v[24:25], v[48:49], v[24:25], v[72:73] op_sel_hi:[1,0,1]
	v_mul_f32_e32 v67, v32, v9
	v_mul_f32_e32 v9, v33, v9
	v_fma_f32 v71, v30, v6, -v7
	v_fma_f32 v60, v36, v12, -v13
	v_add_f32_e32 v3, 0, v3
	v_add_f32_e32 v24, 0, v37
	v_pk_fma_f32 v[36:37], v[38:39], v[14:15], v[4:5] neg_lo:[0,0,1] neg_hi:[0,0,1]
	v_pk_fma_f32 v[4:5], v[38:39], v[14:15], v[4:5] op_sel_hi:[1,0,1]
	v_mul_f32_e32 v59, v34, v11
	v_mul_f32_e32 v11, v35, v11
	v_fmac_f32_e32 v67, v33, v8
	v_fma_f32 v75, v32, v8, -v9
	v_add_f32_e32 v3, v3, v63
	v_add_f32_e32 v4, v24, v71
	v_fmac_f32_e32 v59, v35, v10
	v_fma_f32 v58, v34, v10, -v11
	v_mov_b32_e32 v37, v5
	v_add_f32_e32 v5, v3, v67
	v_add_f32_e32 v4, v4, v75
	v_pk_mul_f32 v[64:65], v[40:41], v[16:17] op_sel:[1,1] op_sel_hi:[0,1]
	v_mov_b32_e32 v66, v19
	v_pk_add_f32 v[4:5], v[4:5], v[58:59]
	v_pk_fma_f32 v[6:7], v[40:41], v[16:17], v[64:65] neg_lo:[0,0,1] neg_hi:[0,0,1]
	v_pk_fma_f32 v[8:9], v[40:41], v[16:17], v[64:65] op_sel_hi:[1,0,1]
	v_pk_mul_f32 v[10:11], v[42:43], v[66:67] op_sel:[1,0] op_sel_hi:[0,0]
	v_pk_add_f32 v[4:5], v[4:5], v[60:61]
	v_pk_mul_f32 v[68:69], v[44:45], v[20:21] op_sel:[1,1] op_sel_hi:[0,1]
	v_mov_b32_e32 v70, v23
	v_mov_b32_e32 v7, v9
	v_pk_fma_f32 v[8:9], v[42:43], v[18:19], v[10:11] neg_lo:[0,0,1] neg_hi:[0,0,1]
	v_pk_fma_f32 v[10:11], v[42:43], v[18:19], v[10:11] op_sel_hi:[1,0,1]
	v_pk_add_f32 v[4:5], v[4:5], v[36:37]
	v_pk_fma_f32 v[12:13], v[44:45], v[20:21], v[68:69] neg_lo:[0,0,1] neg_hi:[0,0,1]
	v_pk_fma_f32 v[16:17], v[44:45], v[20:21], v[68:69] op_sel_hi:[1,0,1]
	v_pk_mul_f32 v[20:21], v[46:47], v[70:71] op_sel:[1,0] op_sel_hi:[0,0]
	v_mov_b32_e32 v9, v11
	v_pk_add_f32 v[4:5], v[4:5], v[6:7]
	v_mov_b32_e32 v74, v27
	v_mov_b32_e32 v13, v17
	v_pk_fma_f32 v[14:15], v[46:47], v[22:23], v[20:21] neg_lo:[0,0,1] neg_hi:[0,0,1]
	v_pk_fma_f32 v[16:17], v[46:47], v[22:23], v[20:21] op_sel_hi:[1,0,1]
	v_pk_add_f32 v[4:5], v[4:5], v[8:9]
	v_pk_mul_f32 v[30:31], v[50:51], v[74:75] op_sel:[1,0] op_sel_hi:[0,0]
	v_mov_b32_e32 v15, v17
	v_pk_add_f32 v[4:5], v[4:5], v[12:13]
	s_waitcnt vmcnt(1) lgkmcnt(0)
	v_pk_mul_f32 v[76:77], v[56:57], v[52:53] op_sel:[1,1] op_sel_hi:[0,1]
	v_mov_b32_e32 v29, v25
	v_pk_fma_f32 v[18:19], v[50:51], v[26:27], v[30:31] neg_lo:[0,0,1] neg_hi:[0,0,1]
	v_pk_fma_f32 v[20:21], v[50:51], v[26:27], v[30:31] op_sel_hi:[1,0,1]
	v_pk_add_f32 v[4:5], v[4:5], v[14:15]
	v_pk_fma_f32 v[32:33], v[56:57], v[52:53], v[76:77] neg_lo:[0,0,1] neg_hi:[0,0,1]
	v_pk_fma_f32 v[34:35], v[56:57], v[52:53], v[76:77] op_sel_hi:[1,0,1]
	v_mov_b32_e32 v19, v21
	v_pk_add_f32 v[4:5], v[4:5], v[28:29]
	v_mov_b32_e32 v33, v35
	v_pk_add_f32 v[4:5], v[4:5], v[18:19]
	s_nop 0
	v_pk_add_f32 v[4:5], v[4:5], v[32:33]
	s_waitcnt vmcnt(0)
	v_pk_add_f32 v[4:5], v[54:55], v[4:5] neg_lo:[0,1] neg_hi:[0,1]
	scratch_store_dwordx2 off, v[4:5], off offset:232
	s_and_saveexec_b64 s[0:1], vcc
	s_cbranch_execz .LBB42_215
; %bb.214:
	scratch_load_dwordx2 v[4:5], off, off offset:224
	v_mov_b32_e32 v3, v2
	scratch_store_dwordx2 off, v[2:3], off offset:224
	s_waitcnt vmcnt(1)
	ds_write_b64 v1, v[4:5]
.LBB42_215:
	s_or_b64 exec, exec, s[0:1]
	s_waitcnt lgkmcnt(0)
	; wave barrier
	scratch_load_dwordx4 v[4:7], off, off offset:232
	scratch_load_dwordx4 v[8:11], off, off offset:248
	scratch_load_dwordx4 v[12:15], off, off offset:264
	scratch_load_dwordx4 v[16:19], off, off offset:280
	scratch_load_dwordx4 v[20:23], off, off offset:296
	scratch_load_dwordx4 v[24:27], off, off offset:312
	scratch_load_dwordx4 v[28:31], off, off offset:328
	ds_read2_b64 v[32:35], v2 offset0:73 offset1:74
	ds_read2_b64 v[36:39], v2 offset0:75 offset1:76
	;; [unrolled: 1-line block ×6, first 2 shown]
	scratch_load_dwordx2 v[60:61], off, off offset:224
	ds_read2_b64 v[56:59], v2 offset0:85 offset1:86
	v_cmp_lt_u32_e32 vcc, 27, v0
	s_waitcnt vmcnt(7) lgkmcnt(6)
	v_mul_f32_e32 v67, v32, v5
	v_mul_f32_e32 v71, v34, v7
	s_waitcnt vmcnt(6) lgkmcnt(5)
	v_mul_f32_e32 v75, v36, v9
	v_mul_f32_e32 v79, v38, v11
	;; [unrolled: 3-line block ×3, first 2 shown]
	v_mul_f32_e32 v2, v33, v5
	v_mul_f32_e32 v5, v35, v7
	;; [unrolled: 1-line block ×6, first 2 shown]
	s_waitcnt vmcnt(4) lgkmcnt(3)
	v_pk_mul_f32 v[64:65], v[44:45], v[16:17] op_sel:[1,1] op_sel_hi:[0,1]
	v_mov_b32_e32 v66, v19
	s_waitcnt vmcnt(3) lgkmcnt(2)
	v_pk_mul_f32 v[68:69], v[48:49], v[20:21] op_sel:[1,1] op_sel_hi:[0,1]
	v_mov_b32_e32 v70, v23
	s_waitcnt vmcnt(1) lgkmcnt(0)
	v_pk_mul_f32 v[76:77], v[56:57], v[28:29] op_sel:[1,1] op_sel_hi:[0,1]
	v_fmac_f32_e32 v67, v33, v4
	v_fmac_f32_e32 v71, v35, v6
	;; [unrolled: 1-line block ×6, first 2 shown]
	v_fma_f32 v37, v32, v4, -v2
	v_fma_f32 v39, v34, v6, -v5
	;; [unrolled: 1-line block ×6, first 2 shown]
	v_pk_fma_f32 v[4:5], v[44:45], v[16:17], v[64:65] neg_lo:[0,0,1] neg_hi:[0,0,1]
	v_pk_fma_f32 v[6:7], v[44:45], v[16:17], v[64:65] op_sel_hi:[1,0,1]
	v_pk_mul_f32 v[8:9], v[46:47], v[66:67] op_sel:[1,0] op_sel_hi:[0,0]
	v_pk_fma_f32 v[10:11], v[48:49], v[20:21], v[68:69] neg_lo:[0,0,1] neg_hi:[0,0,1]
	v_pk_fma_f32 v[12:13], v[48:49], v[20:21], v[68:69] op_sel_hi:[1,0,1]
	v_pk_mul_f32 v[14:15], v[50:51], v[70:71] op_sel:[1,0] op_sel_hi:[0,0]
	v_pk_fma_f32 v[32:33], v[56:57], v[28:29], v[76:77] neg_lo:[0,0,1] neg_hi:[0,0,1]
	v_pk_fma_f32 v[28:29], v[56:57], v[28:29], v[76:77] op_sel_hi:[1,0,1]
	v_add_f32_e32 v37, 0, v37
	v_add_f32_e32 v28, 0, v67
	v_mov_b32_e32 v5, v7
	v_pk_fma_f32 v[6:7], v[46:47], v[18:19], v[8:9] neg_lo:[0,0,1] neg_hi:[0,0,1]
	v_pk_fma_f32 v[8:9], v[46:47], v[18:19], v[8:9] op_sel_hi:[1,0,1]
	v_mov_b32_e32 v11, v13
	v_pk_fma_f32 v[12:13], v[50:51], v[22:23], v[14:15] neg_lo:[0,0,1] neg_hi:[0,0,1]
	v_pk_fma_f32 v[14:15], v[50:51], v[22:23], v[14:15] op_sel_hi:[1,0,1]
	v_add_f32_e32 v8, v28, v71
	v_add_f32_e32 v14, v37, v39
	;; [unrolled: 1-line block ×4, first 2 shown]
	v_mov_b32_e32 v7, v9
	v_add_f32_e32 v9, v8, v79
	v_add_f32_e32 v8, v14, v38
	v_pk_add_f32 v[2:3], v[8:9], v[2:3]
	v_pk_mul_f32 v[72:73], v[52:53], v[24:25] op_sel:[1,1] op_sel_hi:[0,1]
	v_pk_add_f32 v[2:3], v[2:3], v[62:63]
	v_mov_b32_e32 v74, v27
	v_pk_add_f32 v[2:3], v[2:3], v[4:5]
	v_pk_fma_f32 v[16:17], v[52:53], v[24:25], v[72:73] neg_lo:[0,0,1] neg_hi:[0,0,1]
	v_pk_add_f32 v[2:3], v[2:3], v[6:7]
	v_pk_fma_f32 v[20:21], v[52:53], v[24:25], v[72:73] op_sel_hi:[1,0,1]
	v_pk_mul_f32 v[24:25], v[54:55], v[74:75] op_sel:[1,0] op_sel_hi:[0,0]
	v_mov_b32_e32 v13, v15
	v_pk_add_f32 v[2:3], v[2:3], v[10:11]
	v_mov_b32_e32 v78, v31
	v_mov_b32_e32 v17, v21
	v_pk_fma_f32 v[18:19], v[54:55], v[26:27], v[24:25] neg_lo:[0,0,1] neg_hi:[0,0,1]
	v_pk_fma_f32 v[20:21], v[54:55], v[26:27], v[24:25] op_sel_hi:[1,0,1]
	v_pk_add_f32 v[2:3], v[2:3], v[12:13]
	v_pk_mul_f32 v[34:35], v[58:59], v[78:79] op_sel:[1,0] op_sel_hi:[0,0]
	v_mov_b32_e32 v19, v21
	v_pk_add_f32 v[2:3], v[2:3], v[16:17]
	v_mov_b32_e32 v33, v29
	v_pk_fma_f32 v[22:23], v[58:59], v[30:31], v[34:35] neg_lo:[0,0,1] neg_hi:[0,0,1]
	v_pk_fma_f32 v[24:25], v[58:59], v[30:31], v[34:35] op_sel_hi:[1,0,1]
	v_pk_add_f32 v[2:3], v[2:3], v[18:19]
	v_mov_b32_e32 v23, v25
	v_pk_add_f32 v[2:3], v[2:3], v[32:33]
	s_nop 0
	v_pk_add_f32 v[2:3], v[2:3], v[22:23]
	s_waitcnt vmcnt(0)
	v_pk_add_f32 v[2:3], v[60:61], v[2:3] neg_lo:[0,1] neg_hi:[0,1]
	scratch_store_dwordx2 off, v[2:3], off offset:224
	s_and_saveexec_b64 s[0:1], vcc
	s_cbranch_execz .LBB42_217
; %bb.216:
	scratch_load_dwordx2 v[2:3], off, off offset:216
	v_mov_b32_e32 v4, 0
	v_mov_b32_e32 v5, v4
	scratch_store_dwordx2 off, v[4:5], off offset:216
	s_waitcnt vmcnt(1)
	ds_write_b64 v1, v[2:3]
.LBB42_217:
	s_or_b64 exec, exec, s[0:1]
	s_waitcnt lgkmcnt(0)
	; wave barrier
	scratch_load_dwordx4 v[4:7], off, off offset:224
	scratch_load_dwordx4 v[8:11], off, off offset:240
	;; [unrolled: 1-line block ×7, first 2 shown]
	scratch_load_dwordx2 v[60:61], off, off offset:336
	scratch_load_dwordx2 v[62:63], off, off offset:216
	v_mov_b32_e32 v2, 0
	ds_read_b128 v[32:35], v2 offset:576
	ds_read_b128 v[36:39], v2 offset:592
	;; [unrolled: 1-line block ×7, first 2 shown]
	ds_read_b64 v[64:65], v2 offset:688
	v_cmp_lt_u32_e32 vcc, 26, v0
	s_waitcnt vmcnt(8) lgkmcnt(7)
	v_mul_f32_e32 v71, v34, v7
	v_mul_f32_e32 v3, v32, v5
	s_waitcnt vmcnt(7) lgkmcnt(6)
	v_mul_f32_e32 v75, v36, v9
	s_waitcnt vmcnt(6) lgkmcnt(5)
	v_mul_f32_e32 v83, v40, v13
	v_mul_f32_e32 v67, v42, v15
	v_mul_f32_e32 v5, v33, v5
	v_mul_f32_e32 v13, v41, v13
	v_mul_f32_e32 v15, v43, v15
	s_waitcnt vmcnt(5)
	v_mov_b32_e32 v70, v19
	s_waitcnt vmcnt(3) lgkmcnt(2)
	v_pk_mul_f32 v[76:77], v[52:53], v[24:25] op_sel:[1,1] op_sel_hi:[0,1]
	s_waitcnt vmcnt(2) lgkmcnt(1)
	v_pk_mul_f32 v[80:81], v[56:57], v[28:29] op_sel:[1,1] op_sel_hi:[0,1]
	v_fmac_f32_e32 v71, v35, v6
	v_mul_f32_e32 v7, v35, v7
	v_mul_f32_e32 v9, v37, v9
	v_fmac_f32_e32 v3, v33, v4
	v_fmac_f32_e32 v75, v37, v8
	;; [unrolled: 1-line block ×4, first 2 shown]
	v_fma_f32 v32, v32, v4, -v5
	v_fma_f32 v37, v40, v12, -v13
	;; [unrolled: 1-line block ×3, first 2 shown]
	v_pk_mul_f32 v[4:5], v[46:47], v[70:71] op_sel:[1,0] op_sel_hi:[0,0]
	v_pk_fma_f32 v[12:13], v[52:53], v[24:25], v[76:77] neg_lo:[0,0,1] neg_hi:[0,0,1]
	v_pk_fma_f32 v[14:15], v[52:53], v[24:25], v[76:77] op_sel_hi:[1,0,1]
	v_pk_fma_f32 v[24:25], v[56:57], v[28:29], v[80:81] op_sel_hi:[1,0,1]
	v_fma_f32 v34, v34, v6, -v7
	v_add_f32_e32 v3, 0, v3
	v_add_f32_e32 v24, 0, v32
	v_pk_fma_f32 v[32:33], v[46:47], v[18:19], v[4:5] neg_lo:[0,0,1] neg_hi:[0,0,1]
	v_pk_fma_f32 v[4:5], v[46:47], v[18:19], v[4:5] op_sel_hi:[1,0,1]
	v_mul_f32_e32 v79, v38, v11
	v_mul_f32_e32 v11, v39, v11
	v_fma_f32 v35, v36, v8, -v9
	v_add_f32_e32 v3, v3, v71
	v_add_f32_e32 v4, v24, v34
	v_fmac_f32_e32 v79, v39, v10
	v_fma_f32 v36, v38, v10, -v11
	v_add_f32_e32 v3, v3, v75
	v_add_f32_e32 v4, v4, v35
	;; [unrolled: 1-line block ×4, first 2 shown]
	v_mul_f32_e32 v69, v44, v17
	v_mul_f32_e32 v17, v45, v17
	v_mov_b32_e32 v33, v5
	v_add_f32_e32 v5, v3, v83
	v_add_f32_e32 v4, v4, v37
	v_pk_mul_f32 v[72:73], v[48:49], v[20:21] op_sel:[1,1] op_sel_hi:[0,1]
	v_mov_b32_e32 v74, v23
	v_fmac_f32_e32 v69, v45, v16
	v_fma_f32 v68, v44, v16, -v17
	v_pk_add_f32 v[4:5], v[4:5], v[66:67]
	v_pk_fma_f32 v[6:7], v[48:49], v[20:21], v[72:73] neg_lo:[0,0,1] neg_hi:[0,0,1]
	v_pk_fma_f32 v[8:9], v[48:49], v[20:21], v[72:73] op_sel_hi:[1,0,1]
	v_pk_mul_f32 v[10:11], v[50:51], v[74:75] op_sel:[1,0] op_sel_hi:[0,0]
	v_pk_add_f32 v[4:5], v[4:5], v[68:69]
	v_mov_b32_e32 v78, v27
	v_mov_b32_e32 v7, v9
	v_pk_fma_f32 v[8:9], v[50:51], v[22:23], v[10:11] neg_lo:[0,0,1] neg_hi:[0,0,1]
	v_pk_fma_f32 v[10:11], v[50:51], v[22:23], v[10:11] op_sel_hi:[1,0,1]
	v_pk_add_f32 v[4:5], v[4:5], v[32:33]
	v_pk_mul_f32 v[16:17], v[54:55], v[78:79] op_sel:[1,0] op_sel_hi:[0,0]
	v_mov_b32_e32 v9, v11
	v_pk_add_f32 v[4:5], v[4:5], v[6:7]
	v_mov_b32_e32 v82, v31
	v_mov_b32_e32 v13, v15
	v_pk_fma_f32 v[14:15], v[54:55], v[26:27], v[16:17] neg_lo:[0,0,1] neg_hi:[0,0,1]
	v_pk_fma_f32 v[16:17], v[54:55], v[26:27], v[16:17] op_sel_hi:[1,0,1]
	v_pk_add_f32 v[4:5], v[4:5], v[8:9]
	v_pk_fma_f32 v[20:21], v[56:57], v[28:29], v[80:81] neg_lo:[0,0,1] neg_hi:[0,0,1]
	v_pk_mul_f32 v[28:29], v[58:59], v[82:83] op_sel:[1,0] op_sel_hi:[0,0]
	v_mov_b32_e32 v15, v17
	v_pk_add_f32 v[4:5], v[4:5], v[12:13]
	v_mov_b32_e32 v21, v25
	v_pk_add_f32 v[4:5], v[4:5], v[14:15]
	v_pk_fma_f32 v[6:7], v[58:59], v[30:31], v[28:29] neg_lo:[0,0,1] neg_hi:[0,0,1]
	v_pk_fma_f32 v[8:9], v[58:59], v[30:31], v[28:29] op_sel_hi:[1,0,1]
	v_pk_add_f32 v[4:5], v[4:5], v[20:21]
	v_mov_b32_e32 v7, v9
	v_pk_add_f32 v[4:5], v[4:5], v[6:7]
	s_waitcnt vmcnt(1) lgkmcnt(0)
	v_pk_mul_f32 v[6:7], v[64:65], v[60:61] op_sel:[1,1] op_sel_hi:[0,1]
	v_pk_fma_f32 v[8:9], v[64:65], v[60:61], v[6:7] neg_lo:[0,0,1] neg_hi:[0,0,1]
	v_pk_fma_f32 v[6:7], v[64:65], v[60:61], v[6:7] op_sel_hi:[1,0,1]
	s_nop 0
	v_mov_b32_e32 v9, v7
	v_pk_add_f32 v[4:5], v[4:5], v[8:9]
	s_waitcnt vmcnt(0)
	v_pk_add_f32 v[4:5], v[62:63], v[4:5] neg_lo:[0,1] neg_hi:[0,1]
	scratch_store_dwordx2 off, v[4:5], off offset:216
	s_and_saveexec_b64 s[0:1], vcc
	s_cbranch_execz .LBB42_219
; %bb.218:
	scratch_load_dwordx2 v[4:5], off, off offset:208
	v_mov_b32_e32 v3, v2
	scratch_store_dwordx2 off, v[2:3], off offset:208
	s_waitcnt vmcnt(1)
	ds_write_b64 v1, v[4:5]
.LBB42_219:
	s_or_b64 exec, exec, s[0:1]
	s_waitcnt lgkmcnt(0)
	; wave barrier
	scratch_load_dwordx4 v[8:11], off, off offset:216
	scratch_load_dwordx4 v[16:19], off, off offset:232
	;; [unrolled: 1-line block ×4, first 2 shown]
	ds_read2_b64 v[4:7], v2 offset0:71 offset1:72
	v_cmp_lt_u32_e32 vcc, 25, v0
	s_waitcnt vmcnt(3) lgkmcnt(0)
	v_mul_f32_e32 v3, v4, v9
	v_fmac_f32_e32 v3, v5, v8
	v_mul_f32_e32 v12, v6, v11
	v_add_f32_e32 v3, 0, v3
	v_fmac_f32_e32 v12, v7, v10
	v_add_f32_e32 v3, v3, v12
	ds_read2_b64 v[12:15], v2 offset0:73 offset1:74
	s_waitcnt vmcnt(2) lgkmcnt(0)
	v_mul_f32_e32 v20, v12, v17
	v_fmac_f32_e32 v20, v13, v16
	v_add_f32_e32 v3, v3, v20
	v_mul_f32_e32 v20, v14, v19
	v_fmac_f32_e32 v20, v15, v18
	v_add_f32_e32 v3, v3, v20
	ds_read2_b64 v[20:23], v2 offset0:75 offset1:76
	s_waitcnt vmcnt(1) lgkmcnt(0)
	v_mul_f32_e32 v28, v20, v25
	v_fmac_f32_e32 v28, v21, v24
	v_add_f32_e32 v3, v3, v28
	v_mul_f32_e32 v28, v22, v27
	v_fmac_f32_e32 v28, v23, v26
	v_add_f32_e32 v53, v3, v28
	ds_read2_b64 v[28:31], v2 offset0:77 offset1:78
	scratch_load_dwordx4 v[36:39], off, off offset:280
	scratch_load_dwordx4 v[40:43], off, off offset:296
	;; [unrolled: 1-line block ×4, first 2 shown]
	v_mul_f32_e32 v3, v5, v9
	v_fma_f32 v3, v4, v8, -v3
	v_mul_f32_e32 v4, v7, v11
	v_add_f32_e32 v3, 0, v3
	v_fma_f32 v4, v6, v10, -v4
	v_add_f32_e32 v3, v3, v4
	v_mul_f32_e32 v4, v13, v17
	v_fma_f32 v4, v12, v16, -v4
	v_add_f32_e32 v3, v3, v4
	v_mul_f32_e32 v4, v15, v19
	;; [unrolled: 3-line block ×4, first 2 shown]
	v_fma_f32 v4, v22, v26, -v4
	v_add_f32_e32 v52, v3, v4
	ds_read2_b64 v[4:7], v2 offset0:79 offset1:80
	ds_read2_b64 v[8:11], v2 offset0:81 offset1:82
	;; [unrolled: 1-line block ×4, first 2 shown]
	s_waitcnt vmcnt(4) lgkmcnt(4)
	v_mul_f32_e32 v55, v28, v33
	v_mul_f32_e32 v3, v29, v33
	v_fmac_f32_e32 v55, v29, v32
	v_mul_f32_e32 v57, v30, v35
	v_fma_f32 v54, v28, v32, -v3
	v_mul_f32_e32 v3, v31, v35
	v_fmac_f32_e32 v57, v31, v34
	v_fma_f32 v56, v30, v34, -v3
	v_pk_add_f32 v[2:3], v[52:53], v[54:55]
	s_waitcnt vmcnt(3) lgkmcnt(3)
	v_pk_mul_f32 v[20:21], v[4:5], v[36:37] op_sel:[1,1] op_sel_hi:[0,1]
	v_pk_fma_f32 v[22:23], v[4:5], v[36:37], v[20:21] neg_lo:[0,0,1] neg_hi:[0,0,1]
	v_pk_fma_f32 v[4:5], v[4:5], v[36:37], v[20:21] op_sel_hi:[1,0,1]
	v_pk_add_f32 v[2:3], v[2:3], v[56:57]
	v_mov_b32_e32 v4, v39
	v_mov_b32_e32 v23, v5
	v_pk_mul_f32 v[4:5], v[6:7], v[4:5] op_sel:[1,0] op_sel_hi:[0,0]
	v_pk_fma_f32 v[20:21], v[6:7], v[38:39], v[4:5] neg_lo:[0,0,1] neg_hi:[0,0,1]
	v_pk_fma_f32 v[4:5], v[6:7], v[38:39], v[4:5] op_sel_hi:[1,0,1]
	v_pk_add_f32 v[2:3], v[2:3], v[22:23]
	v_mov_b32_e32 v21, v5
	s_waitcnt vmcnt(2) lgkmcnt(2)
	v_pk_mul_f32 v[4:5], v[8:9], v[40:41] op_sel:[1,1] op_sel_hi:[0,1]
	v_pk_fma_f32 v[6:7], v[8:9], v[40:41], v[4:5] neg_lo:[0,0,1] neg_hi:[0,0,1]
	v_pk_fma_f32 v[4:5], v[8:9], v[40:41], v[4:5] op_sel_hi:[1,0,1]
	v_pk_add_f32 v[2:3], v[2:3], v[20:21]
	v_mov_b32_e32 v4, v43
	v_mov_b32_e32 v7, v5
	v_pk_mul_f32 v[4:5], v[10:11], v[4:5] op_sel:[1,0] op_sel_hi:[0,0]
	v_pk_add_f32 v[2:3], v[2:3], v[6:7]
	v_pk_fma_f32 v[6:7], v[10:11], v[42:43], v[4:5] neg_lo:[0,0,1] neg_hi:[0,0,1]
	v_pk_fma_f32 v[4:5], v[10:11], v[42:43], v[4:5] op_sel_hi:[1,0,1]
	s_nop 0
	v_mov_b32_e32 v7, v5
	s_waitcnt vmcnt(1) lgkmcnt(1)
	v_pk_mul_f32 v[4:5], v[12:13], v[44:45] op_sel:[1,1] op_sel_hi:[0,1]
	v_pk_add_f32 v[2:3], v[2:3], v[6:7]
	v_pk_fma_f32 v[6:7], v[12:13], v[44:45], v[4:5] neg_lo:[0,0,1] neg_hi:[0,0,1]
	v_pk_fma_f32 v[4:5], v[12:13], v[44:45], v[4:5] op_sel_hi:[1,0,1]
	s_nop 0
	v_mov_b32_e32 v4, v47
	v_mov_b32_e32 v7, v5
	v_pk_mul_f32 v[4:5], v[14:15], v[4:5] op_sel:[1,0] op_sel_hi:[0,0]
	v_pk_add_f32 v[2:3], v[2:3], v[6:7]
	v_pk_fma_f32 v[6:7], v[14:15], v[46:47], v[4:5] neg_lo:[0,0,1] neg_hi:[0,0,1]
	v_pk_fma_f32 v[4:5], v[14:15], v[46:47], v[4:5] op_sel_hi:[1,0,1]
	s_nop 0
	v_mov_b32_e32 v7, v5
	s_waitcnt vmcnt(0) lgkmcnt(0)
	v_pk_mul_f32 v[4:5], v[16:17], v[48:49] op_sel:[1,1] op_sel_hi:[0,1]
	v_pk_add_f32 v[2:3], v[2:3], v[6:7]
	v_pk_fma_f32 v[6:7], v[16:17], v[48:49], v[4:5] neg_lo:[0,0,1] neg_hi:[0,0,1]
	v_pk_fma_f32 v[4:5], v[16:17], v[48:49], v[4:5] op_sel_hi:[1,0,1]
	s_nop 0
	v_mov_b32_e32 v4, v51
	v_mov_b32_e32 v7, v5
	v_pk_mul_f32 v[4:5], v[18:19], v[4:5] op_sel:[1,0] op_sel_hi:[0,0]
	v_pk_add_f32 v[2:3], v[2:3], v[6:7]
	v_pk_fma_f32 v[6:7], v[18:19], v[50:51], v[4:5] neg_lo:[0,0,1] neg_hi:[0,0,1]
	v_pk_fma_f32 v[4:5], v[18:19], v[50:51], v[4:5] op_sel_hi:[1,0,1]
	s_nop 0
	v_mov_b32_e32 v7, v5
	scratch_load_dwordx2 v[4:5], off, off offset:208
	v_pk_add_f32 v[2:3], v[2:3], v[6:7]
	s_waitcnt vmcnt(0)
	v_pk_add_f32 v[2:3], v[4:5], v[2:3] neg_lo:[0,1] neg_hi:[0,1]
	scratch_store_dwordx2 off, v[2:3], off offset:208
	s_and_saveexec_b64 s[0:1], vcc
	s_cbranch_execz .LBB42_221
; %bb.220:
	scratch_load_dwordx2 v[2:3], off, off offset:200
	v_mov_b32_e32 v4, 0
	v_mov_b32_e32 v5, v4
	scratch_store_dwordx2 off, v[4:5], off offset:200
	s_waitcnt vmcnt(1)
	ds_write_b64 v1, v[2:3]
.LBB42_221:
	s_or_b64 exec, exec, s[0:1]
	v_mov_b32_e32 v2, 0
	s_waitcnt lgkmcnt(0)
	; wave barrier
	ds_read_b128 v[4:7], v2 offset:560
	ds_read_b128 v[8:11], v2 offset:576
	;; [unrolled: 1-line block ×4, first 2 shown]
	scratch_load_dwordx4 v[20:23], off, off offset:208
	scratch_load_dwordx4 v[40:43], off, off offset:272
	v_cmp_lt_u32_e32 vcc, 24, v0
	s_waitcnt vmcnt(1) lgkmcnt(3)
	v_mul_f32_e32 v3, v4, v21
	v_fmac_f32_e32 v3, v5, v20
	v_mul_f32_e32 v24, v6, v23
	v_add_f32_e32 v3, 0, v3
	v_fmac_f32_e32 v24, v7, v22
	v_add_f32_e32 v3, v3, v24
	scratch_load_dwordx4 v[24:27], off, off offset:224
	s_waitcnt vmcnt(0) lgkmcnt(2)
	v_mul_f32_e32 v28, v8, v25
	v_fmac_f32_e32 v28, v9, v24
	v_add_f32_e32 v3, v3, v28
	v_mul_f32_e32 v28, v10, v27
	v_fmac_f32_e32 v28, v11, v26
	v_add_f32_e32 v3, v3, v28
	scratch_load_dwordx4 v[28:31], off, off offset:240
	s_waitcnt vmcnt(0) lgkmcnt(1)
	v_mul_f32_e32 v32, v12, v29
	v_fmac_f32_e32 v32, v13, v28
	v_add_f32_e32 v3, v3, v32
	v_mul_f32_e32 v32, v14, v31
	v_fmac_f32_e32 v32, v15, v30
	v_add_f32_e32 v3, v3, v32
	scratch_load_dwordx4 v[32:35], off, off offset:256
	s_waitcnt vmcnt(0) lgkmcnt(0)
	v_mul_f32_e32 v36, v16, v33
	v_fmac_f32_e32 v36, v17, v32
	v_add_f32_e32 v57, v3, v36
	ds_read_b128 v[36:39], v2 offset:624
	scratch_load_dwordx4 v[44:47], off, off offset:288
	scratch_load_dwordx4 v[48:51], off, off offset:304
	;; [unrolled: 1-line block ×3, first 2 shown]
	scratch_load_dwordx2 v[62:63], off, off offset:336
	v_mul_f32_e32 v3, v5, v21
	v_fma_f32 v3, v4, v20, -v3
	v_mul_f32_e32 v4, v7, v23
	v_add_f32_e32 v3, 0, v3
	v_fma_f32 v4, v6, v22, -v4
	v_add_f32_e32 v3, v3, v4
	v_mul_f32_e32 v4, v9, v25
	v_fma_f32 v4, v8, v24, -v4
	v_add_f32_e32 v3, v3, v4
	v_mul_f32_e32 v4, v11, v27
	;; [unrolled: 3-line block ×5, first 2 shown]
	v_fma_f32 v4, v16, v32, -v4
	v_mul_f32_e32 v59, v18, v35
	v_add_f32_e32 v56, v3, v4
	v_mul_f32_e32 v3, v19, v35
	v_mov_b32_e32 v20, v43
	v_fmac_f32_e32 v59, v19, v34
	s_waitcnt lgkmcnt(0)
	v_mul_f32_e32 v61, v36, v41
	v_fma_f32 v58, v18, v34, -v3
	v_mul_f32_e32 v3, v37, v41
	ds_read_b128 v[4:7], v2 offset:640
	ds_read_b128 v[8:11], v2 offset:656
	;; [unrolled: 1-line block ×3, first 2 shown]
	ds_read_b64 v[16:17], v2 offset:688
	v_pk_mul_f32 v[20:21], v[38:39], v[20:21] op_sel:[1,0] op_sel_hi:[0,0]
	v_fmac_f32_e32 v61, v37, v40
	v_fma_f32 v60, v36, v40, -v3
	v_pk_add_f32 v[18:19], v[56:57], v[58:59]
	v_pk_fma_f32 v[22:23], v[38:39], v[42:43], v[20:21] neg_lo:[0,0,1] neg_hi:[0,0,1]
	v_pk_fma_f32 v[20:21], v[38:39], v[42:43], v[20:21] op_sel_hi:[1,0,1]
	v_pk_add_f32 v[18:19], v[18:19], v[60:61]
	v_mov_b32_e32 v23, v21
	v_pk_add_f32 v[18:19], v[18:19], v[22:23]
	s_waitcnt vmcnt(3) lgkmcnt(3)
	v_pk_mul_f32 v[20:21], v[4:5], v[44:45] op_sel:[1,1] op_sel_hi:[0,1]
	v_pk_fma_f32 v[22:23], v[4:5], v[44:45], v[20:21] neg_lo:[0,0,1] neg_hi:[0,0,1]
	v_pk_fma_f32 v[4:5], v[4:5], v[44:45], v[20:21] op_sel_hi:[1,0,1]
	s_nop 0
	v_mov_b32_e32 v23, v5
	v_pk_add_f32 v[4:5], v[18:19], v[22:23]
	v_mov_b32_e32 v18, v47
	v_pk_mul_f32 v[18:19], v[6:7], v[18:19] op_sel:[1,0] op_sel_hi:[0,0]
	v_pk_fma_f32 v[20:21], v[6:7], v[46:47], v[18:19] neg_lo:[0,0,1] neg_hi:[0,0,1]
	v_pk_fma_f32 v[6:7], v[6:7], v[46:47], v[18:19] op_sel_hi:[1,0,1]
	s_nop 0
	v_mov_b32_e32 v21, v7
	s_waitcnt vmcnt(2) lgkmcnt(2)
	v_pk_mul_f32 v[6:7], v[8:9], v[48:49] op_sel:[1,1] op_sel_hi:[0,1]
	v_pk_fma_f32 v[18:19], v[8:9], v[48:49], v[6:7] neg_lo:[0,0,1] neg_hi:[0,0,1]
	v_pk_fma_f32 v[6:7], v[8:9], v[48:49], v[6:7] op_sel_hi:[1,0,1]
	v_pk_add_f32 v[4:5], v[4:5], v[20:21]
	v_mov_b32_e32 v6, v51
	v_mov_b32_e32 v19, v7
	v_pk_mul_f32 v[6:7], v[10:11], v[6:7] op_sel:[1,0] op_sel_hi:[0,0]
	v_pk_fma_f32 v[8:9], v[10:11], v[50:51], v[6:7] neg_lo:[0,0,1] neg_hi:[0,0,1]
	v_pk_fma_f32 v[6:7], v[10:11], v[50:51], v[6:7] op_sel_hi:[1,0,1]
	v_pk_add_f32 v[4:5], v[4:5], v[18:19]
	v_mov_b32_e32 v9, v7
	s_waitcnt vmcnt(1) lgkmcnt(1)
	v_pk_mul_f32 v[6:7], v[12:13], v[52:53] op_sel:[1,1] op_sel_hi:[0,1]
	v_pk_add_f32 v[4:5], v[4:5], v[8:9]
	v_pk_fma_f32 v[8:9], v[12:13], v[52:53], v[6:7] neg_lo:[0,0,1] neg_hi:[0,0,1]
	v_pk_fma_f32 v[6:7], v[12:13], v[52:53], v[6:7] op_sel_hi:[1,0,1]
	s_nop 0
	v_mov_b32_e32 v6, v55
	v_mov_b32_e32 v9, v7
	v_pk_mul_f32 v[6:7], v[14:15], v[6:7] op_sel:[1,0] op_sel_hi:[0,0]
	v_pk_add_f32 v[4:5], v[4:5], v[8:9]
	v_pk_fma_f32 v[8:9], v[14:15], v[54:55], v[6:7] neg_lo:[0,0,1] neg_hi:[0,0,1]
	v_pk_fma_f32 v[6:7], v[14:15], v[54:55], v[6:7] op_sel_hi:[1,0,1]
	s_nop 0
	v_mov_b32_e32 v9, v7
	s_waitcnt vmcnt(0) lgkmcnt(0)
	v_pk_mul_f32 v[6:7], v[16:17], v[62:63] op_sel:[1,1] op_sel_hi:[0,1]
	v_pk_add_f32 v[4:5], v[4:5], v[8:9]
	v_pk_fma_f32 v[8:9], v[16:17], v[62:63], v[6:7] neg_lo:[0,0,1] neg_hi:[0,0,1]
	v_pk_fma_f32 v[6:7], v[16:17], v[62:63], v[6:7] op_sel_hi:[1,0,1]
	s_nop 0
	v_mov_b32_e32 v9, v7
	scratch_load_dwordx2 v[6:7], off, off offset:200
	v_pk_add_f32 v[4:5], v[4:5], v[8:9]
	s_waitcnt vmcnt(0)
	v_pk_add_f32 v[4:5], v[6:7], v[4:5] neg_lo:[0,1] neg_hi:[0,1]
	scratch_store_dwordx2 off, v[4:5], off offset:200
	s_and_saveexec_b64 s[0:1], vcc
	s_cbranch_execz .LBB42_223
; %bb.222:
	scratch_load_dwordx2 v[4:5], off, off offset:192
	v_mov_b32_e32 v3, v2
	scratch_store_dwordx2 off, v[2:3], off offset:192
	s_waitcnt vmcnt(1)
	ds_write_b64 v1, v[4:5]
.LBB42_223:
	s_or_b64 exec, exec, s[0:1]
	s_waitcnt lgkmcnt(0)
	; wave barrier
	scratch_load_dwordx4 v[8:11], off, off offset:200
	scratch_load_dwordx4 v[16:19], off, off offset:216
	;; [unrolled: 1-line block ×4, first 2 shown]
	ds_read2_b64 v[4:7], v2 offset0:69 offset1:70
	scratch_load_dwordx4 v[40:43], off, off offset:264
	v_cmp_lt_u32_e32 vcc, 23, v0
	s_waitcnt vmcnt(4) lgkmcnt(0)
	v_mul_f32_e32 v3, v4, v9
	v_fmac_f32_e32 v3, v5, v8
	v_mul_f32_e32 v12, v6, v11
	v_add_f32_e32 v3, 0, v3
	v_fmac_f32_e32 v12, v7, v10
	v_add_f32_e32 v3, v3, v12
	ds_read2_b64 v[12:15], v2 offset0:71 offset1:72
	s_waitcnt vmcnt(3) lgkmcnt(0)
	v_mul_f32_e32 v20, v12, v17
	v_fmac_f32_e32 v20, v13, v16
	v_add_f32_e32 v3, v3, v20
	v_mul_f32_e32 v20, v14, v19
	v_fmac_f32_e32 v20, v15, v18
	v_add_f32_e32 v3, v3, v20
	ds_read2_b64 v[20:23], v2 offset0:73 offset1:74
	s_waitcnt vmcnt(2) lgkmcnt(0)
	v_mul_f32_e32 v28, v20, v25
	v_fmac_f32_e32 v28, v21, v24
	v_add_f32_e32 v3, v3, v28
	v_mul_f32_e32 v28, v22, v27
	;; [unrolled: 8-line block ×3, first 2 shown]
	v_fmac_f32_e32 v36, v31, v34
	v_add_f32_e32 v61, v3, v36
	ds_read2_b64 v[36:39], v2 offset0:77 offset1:78
	scratch_load_dwordx4 v[44:47], off, off offset:280
	scratch_load_dwordx4 v[48:51], off, off offset:296
	;; [unrolled: 1-line block ×4, first 2 shown]
	v_mul_f32_e32 v3, v5, v9
	v_fma_f32 v3, v4, v8, -v3
	v_mul_f32_e32 v4, v7, v11
	v_add_f32_e32 v3, 0, v3
	v_fma_f32 v4, v6, v10, -v4
	v_add_f32_e32 v3, v3, v4
	v_mul_f32_e32 v4, v13, v17
	v_fma_f32 v4, v12, v16, -v4
	v_add_f32_e32 v3, v3, v4
	v_mul_f32_e32 v4, v15, v19
	;; [unrolled: 3-line block ×6, first 2 shown]
	v_fma_f32 v4, v30, v34, -v4
	v_add_f32_e32 v60, v3, v4
	ds_read2_b64 v[4:7], v2 offset0:79 offset1:80
	ds_read2_b64 v[8:11], v2 offset0:81 offset1:82
	;; [unrolled: 1-line block ×4, first 2 shown]
	s_waitcnt vmcnt(4) lgkmcnt(4)
	v_mul_f32_e32 v63, v36, v41
	v_mul_f32_e32 v3, v37, v41
	v_fmac_f32_e32 v63, v37, v40
	v_mul_f32_e32 v65, v38, v43
	v_fma_f32 v62, v36, v40, -v3
	v_mul_f32_e32 v3, v39, v43
	v_fmac_f32_e32 v65, v39, v42
	v_fma_f32 v64, v38, v42, -v3
	v_pk_add_f32 v[2:3], v[60:61], v[62:63]
	s_waitcnt vmcnt(3) lgkmcnt(3)
	v_pk_mul_f32 v[20:21], v[4:5], v[44:45] op_sel:[1,1] op_sel_hi:[0,1]
	v_pk_fma_f32 v[22:23], v[4:5], v[44:45], v[20:21] neg_lo:[0,0,1] neg_hi:[0,0,1]
	v_pk_fma_f32 v[4:5], v[4:5], v[44:45], v[20:21] op_sel_hi:[1,0,1]
	v_pk_add_f32 v[2:3], v[2:3], v[64:65]
	v_mov_b32_e32 v4, v47
	v_mov_b32_e32 v23, v5
	v_pk_mul_f32 v[4:5], v[6:7], v[4:5] op_sel:[1,0] op_sel_hi:[0,0]
	v_pk_fma_f32 v[20:21], v[6:7], v[46:47], v[4:5] neg_lo:[0,0,1] neg_hi:[0,0,1]
	v_pk_fma_f32 v[4:5], v[6:7], v[46:47], v[4:5] op_sel_hi:[1,0,1]
	v_pk_add_f32 v[2:3], v[2:3], v[22:23]
	v_mov_b32_e32 v21, v5
	s_waitcnt vmcnt(2) lgkmcnt(2)
	v_pk_mul_f32 v[4:5], v[8:9], v[48:49] op_sel:[1,1] op_sel_hi:[0,1]
	v_pk_fma_f32 v[6:7], v[8:9], v[48:49], v[4:5] neg_lo:[0,0,1] neg_hi:[0,0,1]
	v_pk_fma_f32 v[4:5], v[8:9], v[48:49], v[4:5] op_sel_hi:[1,0,1]
	v_pk_add_f32 v[2:3], v[2:3], v[20:21]
	v_mov_b32_e32 v4, v51
	v_mov_b32_e32 v7, v5
	v_pk_mul_f32 v[4:5], v[10:11], v[4:5] op_sel:[1,0] op_sel_hi:[0,0]
	v_pk_add_f32 v[2:3], v[2:3], v[6:7]
	v_pk_fma_f32 v[6:7], v[10:11], v[50:51], v[4:5] neg_lo:[0,0,1] neg_hi:[0,0,1]
	v_pk_fma_f32 v[4:5], v[10:11], v[50:51], v[4:5] op_sel_hi:[1,0,1]
	s_nop 0
	v_mov_b32_e32 v7, v5
	s_waitcnt vmcnt(1) lgkmcnt(1)
	v_pk_mul_f32 v[4:5], v[12:13], v[52:53] op_sel:[1,1] op_sel_hi:[0,1]
	v_pk_add_f32 v[2:3], v[2:3], v[6:7]
	v_pk_fma_f32 v[6:7], v[12:13], v[52:53], v[4:5] neg_lo:[0,0,1] neg_hi:[0,0,1]
	v_pk_fma_f32 v[4:5], v[12:13], v[52:53], v[4:5] op_sel_hi:[1,0,1]
	s_nop 0
	v_mov_b32_e32 v4, v55
	v_mov_b32_e32 v7, v5
	v_pk_mul_f32 v[4:5], v[14:15], v[4:5] op_sel:[1,0] op_sel_hi:[0,0]
	v_pk_add_f32 v[2:3], v[2:3], v[6:7]
	v_pk_fma_f32 v[6:7], v[14:15], v[54:55], v[4:5] neg_lo:[0,0,1] neg_hi:[0,0,1]
	v_pk_fma_f32 v[4:5], v[14:15], v[54:55], v[4:5] op_sel_hi:[1,0,1]
	s_nop 0
	v_mov_b32_e32 v7, v5
	s_waitcnt vmcnt(0) lgkmcnt(0)
	v_pk_mul_f32 v[4:5], v[16:17], v[56:57] op_sel:[1,1] op_sel_hi:[0,1]
	v_pk_add_f32 v[2:3], v[2:3], v[6:7]
	v_pk_fma_f32 v[6:7], v[16:17], v[56:57], v[4:5] neg_lo:[0,0,1] neg_hi:[0,0,1]
	v_pk_fma_f32 v[4:5], v[16:17], v[56:57], v[4:5] op_sel_hi:[1,0,1]
	s_nop 0
	v_mov_b32_e32 v4, v59
	v_mov_b32_e32 v7, v5
	v_pk_mul_f32 v[4:5], v[18:19], v[4:5] op_sel:[1,0] op_sel_hi:[0,0]
	v_pk_add_f32 v[2:3], v[2:3], v[6:7]
	v_pk_fma_f32 v[6:7], v[18:19], v[58:59], v[4:5] neg_lo:[0,0,1] neg_hi:[0,0,1]
	v_pk_fma_f32 v[4:5], v[18:19], v[58:59], v[4:5] op_sel_hi:[1,0,1]
	s_nop 0
	v_mov_b32_e32 v7, v5
	scratch_load_dwordx2 v[4:5], off, off offset:192
	v_pk_add_f32 v[2:3], v[2:3], v[6:7]
	s_waitcnt vmcnt(0)
	v_pk_add_f32 v[2:3], v[4:5], v[2:3] neg_lo:[0,1] neg_hi:[0,1]
	scratch_store_dwordx2 off, v[2:3], off offset:192
	s_and_saveexec_b64 s[0:1], vcc
	s_cbranch_execz .LBB42_225
; %bb.224:
	scratch_load_dwordx2 v[2:3], off, off offset:184
	v_mov_b32_e32 v4, 0
	v_mov_b32_e32 v5, v4
	scratch_store_dwordx2 off, v[4:5], off offset:184
	s_waitcnt vmcnt(1)
	ds_write_b64 v1, v[2:3]
.LBB42_225:
	s_or_b64 exec, exec, s[0:1]
	v_mov_b32_e32 v2, 0
	s_waitcnt lgkmcnt(0)
	; wave barrier
	ds_read_b128 v[4:7], v2 offset:544
	ds_read_b128 v[8:11], v2 offset:560
	;; [unrolled: 1-line block ×4, first 2 shown]
	scratch_load_dwordx4 v[20:23], off, off offset:192
	scratch_load_dwordx4 v[40:43], off, off offset:256
	v_cmp_lt_u32_e32 vcc, 22, v0
	scratch_load_dwordx4 v[48:51], off, off offset:272
	s_waitcnt vmcnt(2) lgkmcnt(3)
	v_mul_f32_e32 v3, v4, v21
	v_fmac_f32_e32 v3, v5, v20
	v_mul_f32_e32 v24, v6, v23
	v_add_f32_e32 v3, 0, v3
	v_fmac_f32_e32 v24, v7, v22
	v_add_f32_e32 v3, v3, v24
	scratch_load_dwordx4 v[24:27], off, off offset:208
	s_waitcnt vmcnt(0) lgkmcnt(2)
	v_mul_f32_e32 v28, v8, v25
	v_fmac_f32_e32 v28, v9, v24
	v_add_f32_e32 v3, v3, v28
	v_mul_f32_e32 v28, v10, v27
	v_fmac_f32_e32 v28, v11, v26
	v_add_f32_e32 v3, v3, v28
	scratch_load_dwordx4 v[28:31], off, off offset:224
	s_waitcnt vmcnt(0) lgkmcnt(1)
	v_mul_f32_e32 v32, v12, v29
	v_fmac_f32_e32 v32, v13, v28
	v_add_f32_e32 v3, v3, v32
	v_mul_f32_e32 v32, v14, v31
	v_fmac_f32_e32 v32, v15, v30
	v_add_f32_e32 v3, v3, v32
	scratch_load_dwordx4 v[32:35], off, off offset:240
	s_waitcnt vmcnt(0) lgkmcnt(0)
	v_mul_f32_e32 v36, v16, v33
	v_fmac_f32_e32 v36, v17, v32
	v_add_f32_e32 v3, v3, v36
	v_mul_f32_e32 v36, v18, v35
	v_fmac_f32_e32 v36, v19, v34
	v_add_f32_e32 v3, v3, v36
	ds_read_b128 v[36:39], v2 offset:608
	s_waitcnt lgkmcnt(0)
	v_mul_f32_e32 v44, v36, v41
	v_fmac_f32_e32 v44, v37, v40
	v_add_f32_e32 v65, v3, v44
	ds_read_b128 v[44:47], v2 offset:624
	scratch_load_dwordx4 v[52:55], off, off offset:288
	scratch_load_dwordx4 v[56:59], off, off offset:304
	;; [unrolled: 1-line block ×3, first 2 shown]
	scratch_load_dwordx2 v[70:71], off, off offset:336
	v_mul_f32_e32 v3, v5, v21
	v_fma_f32 v3, v4, v20, -v3
	v_mul_f32_e32 v4, v7, v23
	v_add_f32_e32 v3, 0, v3
	v_fma_f32 v4, v6, v22, -v4
	v_add_f32_e32 v3, v3, v4
	v_mul_f32_e32 v4, v9, v25
	v_fma_f32 v4, v8, v24, -v4
	v_add_f32_e32 v3, v3, v4
	v_mul_f32_e32 v4, v11, v27
	;; [unrolled: 3-line block ×7, first 2 shown]
	v_fma_f32 v4, v36, v40, -v4
	v_mul_f32_e32 v67, v38, v43
	v_add_f32_e32 v64, v3, v4
	v_mul_f32_e32 v3, v39, v43
	v_mov_b32_e32 v20, v51
	v_fmac_f32_e32 v67, v39, v42
	s_waitcnt lgkmcnt(0)
	v_mul_f32_e32 v69, v44, v49
	v_fma_f32 v66, v38, v42, -v3
	v_mul_f32_e32 v3, v45, v49
	ds_read_b128 v[4:7], v2 offset:640
	ds_read_b128 v[8:11], v2 offset:656
	;; [unrolled: 1-line block ×3, first 2 shown]
	ds_read_b64 v[16:17], v2 offset:688
	v_pk_mul_f32 v[20:21], v[46:47], v[20:21] op_sel:[1,0] op_sel_hi:[0,0]
	v_fmac_f32_e32 v69, v45, v48
	v_fma_f32 v68, v44, v48, -v3
	v_pk_add_f32 v[18:19], v[64:65], v[66:67]
	v_pk_fma_f32 v[22:23], v[46:47], v[50:51], v[20:21] neg_lo:[0,0,1] neg_hi:[0,0,1]
	v_pk_fma_f32 v[20:21], v[46:47], v[50:51], v[20:21] op_sel_hi:[1,0,1]
	v_pk_add_f32 v[18:19], v[18:19], v[68:69]
	v_mov_b32_e32 v23, v21
	v_pk_add_f32 v[18:19], v[18:19], v[22:23]
	s_waitcnt vmcnt(3) lgkmcnt(3)
	v_pk_mul_f32 v[20:21], v[4:5], v[52:53] op_sel:[1,1] op_sel_hi:[0,1]
	v_pk_fma_f32 v[22:23], v[4:5], v[52:53], v[20:21] neg_lo:[0,0,1] neg_hi:[0,0,1]
	v_pk_fma_f32 v[4:5], v[4:5], v[52:53], v[20:21] op_sel_hi:[1,0,1]
	s_nop 0
	v_mov_b32_e32 v23, v5
	v_pk_add_f32 v[4:5], v[18:19], v[22:23]
	v_mov_b32_e32 v18, v55
	v_pk_mul_f32 v[18:19], v[6:7], v[18:19] op_sel:[1,0] op_sel_hi:[0,0]
	v_pk_fma_f32 v[20:21], v[6:7], v[54:55], v[18:19] neg_lo:[0,0,1] neg_hi:[0,0,1]
	v_pk_fma_f32 v[6:7], v[6:7], v[54:55], v[18:19] op_sel_hi:[1,0,1]
	s_nop 0
	v_mov_b32_e32 v21, v7
	s_waitcnt vmcnt(2) lgkmcnt(2)
	v_pk_mul_f32 v[6:7], v[8:9], v[56:57] op_sel:[1,1] op_sel_hi:[0,1]
	v_pk_fma_f32 v[18:19], v[8:9], v[56:57], v[6:7] neg_lo:[0,0,1] neg_hi:[0,0,1]
	v_pk_fma_f32 v[6:7], v[8:9], v[56:57], v[6:7] op_sel_hi:[1,0,1]
	v_pk_add_f32 v[4:5], v[4:5], v[20:21]
	v_mov_b32_e32 v6, v59
	v_mov_b32_e32 v19, v7
	v_pk_mul_f32 v[6:7], v[10:11], v[6:7] op_sel:[1,0] op_sel_hi:[0,0]
	v_pk_fma_f32 v[8:9], v[10:11], v[58:59], v[6:7] neg_lo:[0,0,1] neg_hi:[0,0,1]
	v_pk_fma_f32 v[6:7], v[10:11], v[58:59], v[6:7] op_sel_hi:[1,0,1]
	v_pk_add_f32 v[4:5], v[4:5], v[18:19]
	v_mov_b32_e32 v9, v7
	s_waitcnt vmcnt(1) lgkmcnt(1)
	v_pk_mul_f32 v[6:7], v[12:13], v[60:61] op_sel:[1,1] op_sel_hi:[0,1]
	v_pk_add_f32 v[4:5], v[4:5], v[8:9]
	v_pk_fma_f32 v[8:9], v[12:13], v[60:61], v[6:7] neg_lo:[0,0,1] neg_hi:[0,0,1]
	v_pk_fma_f32 v[6:7], v[12:13], v[60:61], v[6:7] op_sel_hi:[1,0,1]
	s_nop 0
	v_mov_b32_e32 v6, v63
	v_mov_b32_e32 v9, v7
	v_pk_mul_f32 v[6:7], v[14:15], v[6:7] op_sel:[1,0] op_sel_hi:[0,0]
	v_pk_add_f32 v[4:5], v[4:5], v[8:9]
	v_pk_fma_f32 v[8:9], v[14:15], v[62:63], v[6:7] neg_lo:[0,0,1] neg_hi:[0,0,1]
	v_pk_fma_f32 v[6:7], v[14:15], v[62:63], v[6:7] op_sel_hi:[1,0,1]
	s_nop 0
	v_mov_b32_e32 v9, v7
	s_waitcnt vmcnt(0) lgkmcnt(0)
	v_pk_mul_f32 v[6:7], v[16:17], v[70:71] op_sel:[1,1] op_sel_hi:[0,1]
	v_pk_add_f32 v[4:5], v[4:5], v[8:9]
	v_pk_fma_f32 v[8:9], v[16:17], v[70:71], v[6:7] neg_lo:[0,0,1] neg_hi:[0,0,1]
	v_pk_fma_f32 v[6:7], v[16:17], v[70:71], v[6:7] op_sel_hi:[1,0,1]
	s_nop 0
	v_mov_b32_e32 v9, v7
	scratch_load_dwordx2 v[6:7], off, off offset:184
	v_pk_add_f32 v[4:5], v[4:5], v[8:9]
	s_waitcnt vmcnt(0)
	v_pk_add_f32 v[4:5], v[6:7], v[4:5] neg_lo:[0,1] neg_hi:[0,1]
	scratch_store_dwordx2 off, v[4:5], off offset:184
	s_and_saveexec_b64 s[0:1], vcc
	s_cbranch_execz .LBB42_227
; %bb.226:
	scratch_load_dwordx2 v[4:5], off, off offset:176
	v_mov_b32_e32 v3, v2
	scratch_store_dwordx2 off, v[2:3], off offset:176
	s_waitcnt vmcnt(1)
	ds_write_b64 v1, v[4:5]
.LBB42_227:
	s_or_b64 exec, exec, s[0:1]
	s_waitcnt lgkmcnt(0)
	; wave barrier
	scratch_load_dwordx4 v[8:11], off, off offset:184
	scratch_load_dwordx4 v[16:19], off, off offset:200
	;; [unrolled: 1-line block ×6, first 2 shown]
	ds_read2_b64 v[4:7], v2 offset0:67 offset1:68
	v_cmp_lt_u32_e32 vcc, 21, v0
	s_waitcnt vmcnt(5) lgkmcnt(0)
	v_mul_f32_e32 v3, v4, v9
	v_fmac_f32_e32 v3, v5, v8
	v_mul_f32_e32 v12, v6, v11
	v_add_f32_e32 v3, 0, v3
	v_fmac_f32_e32 v12, v7, v10
	v_add_f32_e32 v3, v3, v12
	ds_read2_b64 v[12:15], v2 offset0:69 offset1:70
	s_waitcnt vmcnt(4) lgkmcnt(0)
	v_mul_f32_e32 v20, v12, v17
	v_fmac_f32_e32 v20, v13, v16
	v_add_f32_e32 v3, v3, v20
	v_mul_f32_e32 v20, v14, v19
	v_fmac_f32_e32 v20, v15, v18
	v_add_f32_e32 v3, v3, v20
	ds_read2_b64 v[20:23], v2 offset0:71 offset1:72
	s_waitcnt vmcnt(3) lgkmcnt(0)
	v_mul_f32_e32 v28, v20, v25
	v_fmac_f32_e32 v28, v21, v24
	v_add_f32_e32 v3, v3, v28
	v_mul_f32_e32 v28, v22, v27
	;; [unrolled: 8-line block ×4, first 2 shown]
	v_fmac_f32_e32 v44, v39, v42
	v_add_f32_e32 v69, v3, v44
	ds_read2_b64 v[44:47], v2 offset0:77 offset1:78
	scratch_load_dwordx4 v[52:55], off, off offset:280
	scratch_load_dwordx4 v[56:59], off, off offset:296
	;; [unrolled: 1-line block ×4, first 2 shown]
	v_mul_f32_e32 v3, v5, v9
	v_fma_f32 v3, v4, v8, -v3
	v_mul_f32_e32 v4, v7, v11
	v_add_f32_e32 v3, 0, v3
	v_fma_f32 v4, v6, v10, -v4
	v_add_f32_e32 v3, v3, v4
	v_mul_f32_e32 v4, v13, v17
	v_fma_f32 v4, v12, v16, -v4
	v_add_f32_e32 v3, v3, v4
	v_mul_f32_e32 v4, v15, v19
	;; [unrolled: 3-line block ×8, first 2 shown]
	v_fma_f32 v4, v38, v42, -v4
	v_add_f32_e32 v68, v3, v4
	ds_read2_b64 v[4:7], v2 offset0:79 offset1:80
	ds_read2_b64 v[8:11], v2 offset0:81 offset1:82
	;; [unrolled: 1-line block ×4, first 2 shown]
	s_waitcnt vmcnt(4) lgkmcnt(4)
	v_mul_f32_e32 v71, v44, v49
	v_mul_f32_e32 v3, v45, v49
	v_fmac_f32_e32 v71, v45, v48
	v_mul_f32_e32 v73, v46, v51
	v_fma_f32 v70, v44, v48, -v3
	v_mul_f32_e32 v3, v47, v51
	v_fmac_f32_e32 v73, v47, v50
	v_fma_f32 v72, v46, v50, -v3
	v_pk_add_f32 v[2:3], v[68:69], v[70:71]
	s_waitcnt vmcnt(3) lgkmcnt(3)
	v_pk_mul_f32 v[20:21], v[4:5], v[52:53] op_sel:[1,1] op_sel_hi:[0,1]
	v_pk_fma_f32 v[22:23], v[4:5], v[52:53], v[20:21] neg_lo:[0,0,1] neg_hi:[0,0,1]
	v_pk_fma_f32 v[4:5], v[4:5], v[52:53], v[20:21] op_sel_hi:[1,0,1]
	v_pk_add_f32 v[2:3], v[2:3], v[72:73]
	v_mov_b32_e32 v4, v55
	v_mov_b32_e32 v23, v5
	v_pk_mul_f32 v[4:5], v[6:7], v[4:5] op_sel:[1,0] op_sel_hi:[0,0]
	v_pk_fma_f32 v[20:21], v[6:7], v[54:55], v[4:5] neg_lo:[0,0,1] neg_hi:[0,0,1]
	v_pk_fma_f32 v[4:5], v[6:7], v[54:55], v[4:5] op_sel_hi:[1,0,1]
	v_pk_add_f32 v[2:3], v[2:3], v[22:23]
	v_mov_b32_e32 v21, v5
	s_waitcnt vmcnt(2) lgkmcnt(2)
	v_pk_mul_f32 v[4:5], v[8:9], v[56:57] op_sel:[1,1] op_sel_hi:[0,1]
	v_pk_fma_f32 v[6:7], v[8:9], v[56:57], v[4:5] neg_lo:[0,0,1] neg_hi:[0,0,1]
	v_pk_fma_f32 v[4:5], v[8:9], v[56:57], v[4:5] op_sel_hi:[1,0,1]
	v_pk_add_f32 v[2:3], v[2:3], v[20:21]
	v_mov_b32_e32 v4, v59
	v_mov_b32_e32 v7, v5
	v_pk_mul_f32 v[4:5], v[10:11], v[4:5] op_sel:[1,0] op_sel_hi:[0,0]
	v_pk_add_f32 v[2:3], v[2:3], v[6:7]
	v_pk_fma_f32 v[6:7], v[10:11], v[58:59], v[4:5] neg_lo:[0,0,1] neg_hi:[0,0,1]
	v_pk_fma_f32 v[4:5], v[10:11], v[58:59], v[4:5] op_sel_hi:[1,0,1]
	s_nop 0
	v_mov_b32_e32 v7, v5
	s_waitcnt vmcnt(1) lgkmcnt(1)
	v_pk_mul_f32 v[4:5], v[12:13], v[60:61] op_sel:[1,1] op_sel_hi:[0,1]
	v_pk_add_f32 v[2:3], v[2:3], v[6:7]
	v_pk_fma_f32 v[6:7], v[12:13], v[60:61], v[4:5] neg_lo:[0,0,1] neg_hi:[0,0,1]
	v_pk_fma_f32 v[4:5], v[12:13], v[60:61], v[4:5] op_sel_hi:[1,0,1]
	s_nop 0
	v_mov_b32_e32 v4, v63
	v_mov_b32_e32 v7, v5
	v_pk_mul_f32 v[4:5], v[14:15], v[4:5] op_sel:[1,0] op_sel_hi:[0,0]
	v_pk_add_f32 v[2:3], v[2:3], v[6:7]
	v_pk_fma_f32 v[6:7], v[14:15], v[62:63], v[4:5] neg_lo:[0,0,1] neg_hi:[0,0,1]
	v_pk_fma_f32 v[4:5], v[14:15], v[62:63], v[4:5] op_sel_hi:[1,0,1]
	s_nop 0
	v_mov_b32_e32 v7, v5
	s_waitcnt vmcnt(0) lgkmcnt(0)
	v_pk_mul_f32 v[4:5], v[16:17], v[64:65] op_sel:[1,1] op_sel_hi:[0,1]
	v_pk_add_f32 v[2:3], v[2:3], v[6:7]
	v_pk_fma_f32 v[6:7], v[16:17], v[64:65], v[4:5] neg_lo:[0,0,1] neg_hi:[0,0,1]
	v_pk_fma_f32 v[4:5], v[16:17], v[64:65], v[4:5] op_sel_hi:[1,0,1]
	s_nop 0
	v_mov_b32_e32 v4, v67
	v_mov_b32_e32 v7, v5
	v_pk_mul_f32 v[4:5], v[18:19], v[4:5] op_sel:[1,0] op_sel_hi:[0,0]
	v_pk_add_f32 v[2:3], v[2:3], v[6:7]
	v_pk_fma_f32 v[6:7], v[18:19], v[66:67], v[4:5] neg_lo:[0,0,1] neg_hi:[0,0,1]
	v_pk_fma_f32 v[4:5], v[18:19], v[66:67], v[4:5] op_sel_hi:[1,0,1]
	s_nop 0
	v_mov_b32_e32 v7, v5
	scratch_load_dwordx2 v[4:5], off, off offset:176
	v_pk_add_f32 v[2:3], v[2:3], v[6:7]
	s_waitcnt vmcnt(0)
	v_pk_add_f32 v[2:3], v[4:5], v[2:3] neg_lo:[0,1] neg_hi:[0,1]
	scratch_store_dwordx2 off, v[2:3], off offset:176
	s_and_saveexec_b64 s[0:1], vcc
	s_cbranch_execz .LBB42_229
; %bb.228:
	scratch_load_dwordx2 v[2:3], off, off offset:168
	v_mov_b32_e32 v4, 0
	v_mov_b32_e32 v5, v4
	scratch_store_dwordx2 off, v[4:5], off offset:168
	s_waitcnt vmcnt(1)
	ds_write_b64 v1, v[2:3]
.LBB42_229:
	s_or_b64 exec, exec, s[0:1]
	v_mov_b32_e32 v2, 0
	s_waitcnt lgkmcnt(0)
	; wave barrier
	ds_read_b128 v[4:7], v2 offset:528
	ds_read_b128 v[8:11], v2 offset:544
	;; [unrolled: 1-line block ×4, first 2 shown]
	scratch_load_dwordx4 v[20:23], off, off offset:176
	scratch_load_dwordx4 v[40:43], off, off offset:240
	v_cmp_lt_u32_e32 vcc, 20, v0
	scratch_load_dwordx4 v[48:51], off, off offset:256
	scratch_load_dwordx4 v[56:59], off, off offset:272
	s_waitcnt vmcnt(3) lgkmcnt(3)
	v_mul_f32_e32 v3, v4, v21
	v_fmac_f32_e32 v3, v5, v20
	v_mul_f32_e32 v24, v6, v23
	v_add_f32_e32 v3, 0, v3
	v_fmac_f32_e32 v24, v7, v22
	v_add_f32_e32 v3, v3, v24
	scratch_load_dwordx4 v[24:27], off, off offset:192
	s_waitcnt vmcnt(0) lgkmcnt(2)
	v_mul_f32_e32 v28, v8, v25
	v_fmac_f32_e32 v28, v9, v24
	v_add_f32_e32 v3, v3, v28
	v_mul_f32_e32 v28, v10, v27
	v_fmac_f32_e32 v28, v11, v26
	v_add_f32_e32 v3, v3, v28
	scratch_load_dwordx4 v[28:31], off, off offset:208
	s_waitcnt vmcnt(0) lgkmcnt(1)
	v_mul_f32_e32 v32, v12, v29
	v_fmac_f32_e32 v32, v13, v28
	v_add_f32_e32 v3, v3, v32
	v_mul_f32_e32 v32, v14, v31
	;; [unrolled: 8-line block ×3, first 2 shown]
	v_fmac_f32_e32 v36, v19, v34
	v_add_f32_e32 v3, v3, v36
	ds_read_b128 v[36:39], v2 offset:592
	s_waitcnt lgkmcnt(0)
	v_mul_f32_e32 v44, v36, v41
	v_fmac_f32_e32 v44, v37, v40
	v_add_f32_e32 v3, v3, v44
	v_mul_f32_e32 v44, v38, v43
	v_fmac_f32_e32 v44, v39, v42
	v_add_f32_e32 v3, v3, v44
	ds_read_b128 v[44:47], v2 offset:608
	s_waitcnt lgkmcnt(0)
	v_mul_f32_e32 v52, v44, v49
	v_fmac_f32_e32 v52, v45, v48
	v_add_f32_e32 v73, v3, v52
	ds_read_b128 v[52:55], v2 offset:624
	scratch_load_dwordx4 v[60:63], off, off offset:288
	scratch_load_dwordx4 v[64:67], off, off offset:304
	scratch_load_dwordx4 v[68:71], off, off offset:320
	scratch_load_dwordx2 v[78:79], off, off offset:336
	v_mul_f32_e32 v3, v5, v21
	v_fma_f32 v3, v4, v20, -v3
	v_mul_f32_e32 v4, v7, v23
	v_add_f32_e32 v3, 0, v3
	v_fma_f32 v4, v6, v22, -v4
	v_add_f32_e32 v3, v3, v4
	v_mul_f32_e32 v4, v9, v25
	v_fma_f32 v4, v8, v24, -v4
	v_add_f32_e32 v3, v3, v4
	v_mul_f32_e32 v4, v11, v27
	;; [unrolled: 3-line block ×9, first 2 shown]
	v_fma_f32 v4, v44, v48, -v4
	v_mul_f32_e32 v75, v46, v51
	v_add_f32_e32 v72, v3, v4
	v_mul_f32_e32 v3, v47, v51
	v_mov_b32_e32 v20, v59
	v_fmac_f32_e32 v75, v47, v50
	s_waitcnt lgkmcnt(0)
	v_mul_f32_e32 v77, v52, v57
	v_fma_f32 v74, v46, v50, -v3
	v_mul_f32_e32 v3, v53, v57
	ds_read_b128 v[4:7], v2 offset:640
	ds_read_b128 v[8:11], v2 offset:656
	ds_read_b128 v[12:15], v2 offset:672
	ds_read_b64 v[16:17], v2 offset:688
	v_pk_mul_f32 v[20:21], v[54:55], v[20:21] op_sel:[1,0] op_sel_hi:[0,0]
	v_fmac_f32_e32 v77, v53, v56
	v_fma_f32 v76, v52, v56, -v3
	v_pk_add_f32 v[18:19], v[72:73], v[74:75]
	v_pk_fma_f32 v[22:23], v[54:55], v[58:59], v[20:21] neg_lo:[0,0,1] neg_hi:[0,0,1]
	v_pk_fma_f32 v[20:21], v[54:55], v[58:59], v[20:21] op_sel_hi:[1,0,1]
	v_pk_add_f32 v[18:19], v[18:19], v[76:77]
	v_mov_b32_e32 v23, v21
	v_pk_add_f32 v[18:19], v[18:19], v[22:23]
	s_waitcnt vmcnt(3) lgkmcnt(3)
	v_pk_mul_f32 v[20:21], v[4:5], v[60:61] op_sel:[1,1] op_sel_hi:[0,1]
	v_pk_fma_f32 v[22:23], v[4:5], v[60:61], v[20:21] neg_lo:[0,0,1] neg_hi:[0,0,1]
	v_pk_fma_f32 v[4:5], v[4:5], v[60:61], v[20:21] op_sel_hi:[1,0,1]
	s_nop 0
	v_mov_b32_e32 v23, v5
	v_pk_add_f32 v[4:5], v[18:19], v[22:23]
	v_mov_b32_e32 v18, v63
	v_pk_mul_f32 v[18:19], v[6:7], v[18:19] op_sel:[1,0] op_sel_hi:[0,0]
	v_pk_fma_f32 v[20:21], v[6:7], v[62:63], v[18:19] neg_lo:[0,0,1] neg_hi:[0,0,1]
	v_pk_fma_f32 v[6:7], v[6:7], v[62:63], v[18:19] op_sel_hi:[1,0,1]
	s_nop 0
	v_mov_b32_e32 v21, v7
	s_waitcnt vmcnt(2) lgkmcnt(2)
	v_pk_mul_f32 v[6:7], v[8:9], v[64:65] op_sel:[1,1] op_sel_hi:[0,1]
	v_pk_fma_f32 v[18:19], v[8:9], v[64:65], v[6:7] neg_lo:[0,0,1] neg_hi:[0,0,1]
	v_pk_fma_f32 v[6:7], v[8:9], v[64:65], v[6:7] op_sel_hi:[1,0,1]
	v_pk_add_f32 v[4:5], v[4:5], v[20:21]
	v_mov_b32_e32 v6, v67
	v_mov_b32_e32 v19, v7
	v_pk_mul_f32 v[6:7], v[10:11], v[6:7] op_sel:[1,0] op_sel_hi:[0,0]
	v_pk_fma_f32 v[8:9], v[10:11], v[66:67], v[6:7] neg_lo:[0,0,1] neg_hi:[0,0,1]
	v_pk_fma_f32 v[6:7], v[10:11], v[66:67], v[6:7] op_sel_hi:[1,0,1]
	v_pk_add_f32 v[4:5], v[4:5], v[18:19]
	v_mov_b32_e32 v9, v7
	s_waitcnt vmcnt(1) lgkmcnt(1)
	v_pk_mul_f32 v[6:7], v[12:13], v[68:69] op_sel:[1,1] op_sel_hi:[0,1]
	v_pk_add_f32 v[4:5], v[4:5], v[8:9]
	v_pk_fma_f32 v[8:9], v[12:13], v[68:69], v[6:7] neg_lo:[0,0,1] neg_hi:[0,0,1]
	v_pk_fma_f32 v[6:7], v[12:13], v[68:69], v[6:7] op_sel_hi:[1,0,1]
	s_nop 0
	v_mov_b32_e32 v6, v71
	v_mov_b32_e32 v9, v7
	v_pk_mul_f32 v[6:7], v[14:15], v[6:7] op_sel:[1,0] op_sel_hi:[0,0]
	v_pk_add_f32 v[4:5], v[4:5], v[8:9]
	v_pk_fma_f32 v[8:9], v[14:15], v[70:71], v[6:7] neg_lo:[0,0,1] neg_hi:[0,0,1]
	v_pk_fma_f32 v[6:7], v[14:15], v[70:71], v[6:7] op_sel_hi:[1,0,1]
	s_nop 0
	v_mov_b32_e32 v9, v7
	s_waitcnt vmcnt(0) lgkmcnt(0)
	v_pk_mul_f32 v[6:7], v[16:17], v[78:79] op_sel:[1,1] op_sel_hi:[0,1]
	v_pk_add_f32 v[4:5], v[4:5], v[8:9]
	v_pk_fma_f32 v[8:9], v[16:17], v[78:79], v[6:7] neg_lo:[0,0,1] neg_hi:[0,0,1]
	v_pk_fma_f32 v[6:7], v[16:17], v[78:79], v[6:7] op_sel_hi:[1,0,1]
	s_nop 0
	v_mov_b32_e32 v9, v7
	scratch_load_dwordx2 v[6:7], off, off offset:168
	v_pk_add_f32 v[4:5], v[4:5], v[8:9]
	s_waitcnt vmcnt(0)
	v_pk_add_f32 v[4:5], v[6:7], v[4:5] neg_lo:[0,1] neg_hi:[0,1]
	scratch_store_dwordx2 off, v[4:5], off offset:168
	s_and_saveexec_b64 s[0:1], vcc
	s_cbranch_execz .LBB42_231
; %bb.230:
	scratch_load_dwordx2 v[4:5], off, off offset:160
	v_mov_b32_e32 v3, v2
	scratch_store_dwordx2 off, v[2:3], off offset:160
	s_waitcnt vmcnt(1)
	ds_write_b64 v1, v[4:5]
.LBB42_231:
	s_or_b64 exec, exec, s[0:1]
	s_waitcnt lgkmcnt(0)
	; wave barrier
	scratch_load_dwordx4 v[8:11], off, off offset:168
	scratch_load_dwordx4 v[16:19], off, off offset:184
	;; [unrolled: 1-line block ×6, first 2 shown]
	ds_read2_b64 v[4:7], v2 offset0:65 offset1:66
	scratch_load_dwordx4 v[56:59], off, off offset:264
	v_cmp_lt_u32_e32 vcc, 19, v0
	s_waitcnt vmcnt(6) lgkmcnt(0)
	v_mul_f32_e32 v3, v4, v9
	v_fmac_f32_e32 v3, v5, v8
	v_mul_f32_e32 v12, v6, v11
	v_add_f32_e32 v3, 0, v3
	v_fmac_f32_e32 v12, v7, v10
	v_add_f32_e32 v3, v3, v12
	ds_read2_b64 v[12:15], v2 offset0:67 offset1:68
	s_waitcnt vmcnt(5) lgkmcnt(0)
	v_mul_f32_e32 v20, v12, v17
	v_fmac_f32_e32 v20, v13, v16
	v_add_f32_e32 v3, v3, v20
	v_mul_f32_e32 v20, v14, v19
	v_fmac_f32_e32 v20, v15, v18
	v_add_f32_e32 v3, v3, v20
	ds_read2_b64 v[20:23], v2 offset0:69 offset1:70
	s_waitcnt vmcnt(4) lgkmcnt(0)
	v_mul_f32_e32 v28, v20, v25
	v_fmac_f32_e32 v28, v21, v24
	v_add_f32_e32 v3, v3, v28
	v_mul_f32_e32 v28, v22, v27
	;; [unrolled: 8-line block ×5, first 2 shown]
	v_fmac_f32_e32 v52, v47, v50
	v_add_f32_e32 v77, v3, v52
	ds_read2_b64 v[52:55], v2 offset0:77 offset1:78
	scratch_load_dwordx4 v[60:63], off, off offset:280
	scratch_load_dwordx4 v[64:67], off, off offset:296
	;; [unrolled: 1-line block ×4, first 2 shown]
	v_mul_f32_e32 v3, v5, v9
	v_fma_f32 v3, v4, v8, -v3
	v_mul_f32_e32 v4, v7, v11
	v_add_f32_e32 v3, 0, v3
	v_fma_f32 v4, v6, v10, -v4
	v_add_f32_e32 v3, v3, v4
	v_mul_f32_e32 v4, v13, v17
	v_fma_f32 v4, v12, v16, -v4
	v_add_f32_e32 v3, v3, v4
	v_mul_f32_e32 v4, v15, v19
	v_fma_f32 v4, v14, v18, -v4
	v_add_f32_e32 v3, v3, v4
	v_mul_f32_e32 v4, v21, v25
	v_fma_f32 v4, v20, v24, -v4
	v_add_f32_e32 v3, v3, v4
	v_mul_f32_e32 v4, v23, v27
	v_fma_f32 v4, v22, v26, -v4
	v_add_f32_e32 v3, v3, v4
	v_mul_f32_e32 v4, v29, v33
	v_fma_f32 v4, v28, v32, -v4
	v_add_f32_e32 v3, v3, v4
	v_mul_f32_e32 v4, v31, v35
	v_fma_f32 v4, v30, v34, -v4
	v_add_f32_e32 v3, v3, v4
	v_mul_f32_e32 v4, v37, v41
	v_fma_f32 v4, v36, v40, -v4
	v_add_f32_e32 v3, v3, v4
	v_mul_f32_e32 v4, v39, v43
	v_fma_f32 v4, v38, v42, -v4
	v_add_f32_e32 v3, v3, v4
	v_mul_f32_e32 v4, v45, v49
	v_fma_f32 v4, v44, v48, -v4
	v_add_f32_e32 v3, v3, v4
	v_mul_f32_e32 v4, v47, v51
	v_fma_f32 v4, v46, v50, -v4
	v_add_f32_e32 v76, v3, v4
	ds_read2_b64 v[4:7], v2 offset0:79 offset1:80
	ds_read2_b64 v[8:11], v2 offset0:81 offset1:82
	;; [unrolled: 1-line block ×4, first 2 shown]
	s_waitcnt vmcnt(4) lgkmcnt(4)
	v_mul_f32_e32 v79, v52, v57
	v_mul_f32_e32 v3, v53, v57
	v_fmac_f32_e32 v79, v53, v56
	v_mul_f32_e32 v81, v54, v59
	v_fma_f32 v78, v52, v56, -v3
	v_mul_f32_e32 v3, v55, v59
	v_fmac_f32_e32 v81, v55, v58
	v_fma_f32 v80, v54, v58, -v3
	v_pk_add_f32 v[2:3], v[76:77], v[78:79]
	s_waitcnt vmcnt(3) lgkmcnt(3)
	v_pk_mul_f32 v[20:21], v[4:5], v[60:61] op_sel:[1,1] op_sel_hi:[0,1]
	v_pk_fma_f32 v[22:23], v[4:5], v[60:61], v[20:21] neg_lo:[0,0,1] neg_hi:[0,0,1]
	v_pk_fma_f32 v[4:5], v[4:5], v[60:61], v[20:21] op_sel_hi:[1,0,1]
	v_pk_add_f32 v[2:3], v[2:3], v[80:81]
	v_mov_b32_e32 v4, v63
	v_mov_b32_e32 v23, v5
	v_pk_mul_f32 v[4:5], v[6:7], v[4:5] op_sel:[1,0] op_sel_hi:[0,0]
	v_pk_fma_f32 v[20:21], v[6:7], v[62:63], v[4:5] neg_lo:[0,0,1] neg_hi:[0,0,1]
	v_pk_fma_f32 v[4:5], v[6:7], v[62:63], v[4:5] op_sel_hi:[1,0,1]
	v_pk_add_f32 v[2:3], v[2:3], v[22:23]
	v_mov_b32_e32 v21, v5
	s_waitcnt vmcnt(2) lgkmcnt(2)
	v_pk_mul_f32 v[4:5], v[8:9], v[64:65] op_sel:[1,1] op_sel_hi:[0,1]
	v_pk_fma_f32 v[6:7], v[8:9], v[64:65], v[4:5] neg_lo:[0,0,1] neg_hi:[0,0,1]
	v_pk_fma_f32 v[4:5], v[8:9], v[64:65], v[4:5] op_sel_hi:[1,0,1]
	v_pk_add_f32 v[2:3], v[2:3], v[20:21]
	v_mov_b32_e32 v4, v67
	v_mov_b32_e32 v7, v5
	v_pk_mul_f32 v[4:5], v[10:11], v[4:5] op_sel:[1,0] op_sel_hi:[0,0]
	v_pk_add_f32 v[2:3], v[2:3], v[6:7]
	v_pk_fma_f32 v[6:7], v[10:11], v[66:67], v[4:5] neg_lo:[0,0,1] neg_hi:[0,0,1]
	v_pk_fma_f32 v[4:5], v[10:11], v[66:67], v[4:5] op_sel_hi:[1,0,1]
	s_nop 0
	v_mov_b32_e32 v7, v5
	s_waitcnt vmcnt(1) lgkmcnt(1)
	v_pk_mul_f32 v[4:5], v[12:13], v[68:69] op_sel:[1,1] op_sel_hi:[0,1]
	v_pk_add_f32 v[2:3], v[2:3], v[6:7]
	v_pk_fma_f32 v[6:7], v[12:13], v[68:69], v[4:5] neg_lo:[0,0,1] neg_hi:[0,0,1]
	v_pk_fma_f32 v[4:5], v[12:13], v[68:69], v[4:5] op_sel_hi:[1,0,1]
	s_nop 0
	v_mov_b32_e32 v4, v71
	v_mov_b32_e32 v7, v5
	v_pk_mul_f32 v[4:5], v[14:15], v[4:5] op_sel:[1,0] op_sel_hi:[0,0]
	v_pk_add_f32 v[2:3], v[2:3], v[6:7]
	v_pk_fma_f32 v[6:7], v[14:15], v[70:71], v[4:5] neg_lo:[0,0,1] neg_hi:[0,0,1]
	v_pk_fma_f32 v[4:5], v[14:15], v[70:71], v[4:5] op_sel_hi:[1,0,1]
	s_nop 0
	v_mov_b32_e32 v7, v5
	s_waitcnt vmcnt(0) lgkmcnt(0)
	v_pk_mul_f32 v[4:5], v[16:17], v[72:73] op_sel:[1,1] op_sel_hi:[0,1]
	v_pk_add_f32 v[2:3], v[2:3], v[6:7]
	v_pk_fma_f32 v[6:7], v[16:17], v[72:73], v[4:5] neg_lo:[0,0,1] neg_hi:[0,0,1]
	v_pk_fma_f32 v[4:5], v[16:17], v[72:73], v[4:5] op_sel_hi:[1,0,1]
	s_nop 0
	v_mov_b32_e32 v4, v75
	v_mov_b32_e32 v7, v5
	v_pk_mul_f32 v[4:5], v[18:19], v[4:5] op_sel:[1,0] op_sel_hi:[0,0]
	v_pk_add_f32 v[2:3], v[2:3], v[6:7]
	v_pk_fma_f32 v[6:7], v[18:19], v[74:75], v[4:5] neg_lo:[0,0,1] neg_hi:[0,0,1]
	v_pk_fma_f32 v[4:5], v[18:19], v[74:75], v[4:5] op_sel_hi:[1,0,1]
	s_nop 0
	v_mov_b32_e32 v7, v5
	scratch_load_dwordx2 v[4:5], off, off offset:160
	v_pk_add_f32 v[2:3], v[2:3], v[6:7]
	s_waitcnt vmcnt(0)
	v_pk_add_f32 v[2:3], v[4:5], v[2:3] neg_lo:[0,1] neg_hi:[0,1]
	scratch_store_dwordx2 off, v[2:3], off offset:160
	s_and_saveexec_b64 s[0:1], vcc
	s_cbranch_execz .LBB42_233
; %bb.232:
	scratch_load_dwordx2 v[2:3], off, off offset:152
	v_mov_b32_e32 v4, 0
	v_mov_b32_e32 v5, v4
	scratch_store_dwordx2 off, v[4:5], off offset:152
	s_waitcnt vmcnt(1)
	ds_write_b64 v1, v[2:3]
.LBB42_233:
	s_or_b64 exec, exec, s[0:1]
	s_waitcnt lgkmcnt(0)
	; wave barrier
	scratch_load_dwordx4 v[6:9], off, off offset:160
	scratch_load_dwordx4 v[14:17], off, off offset:176
	;; [unrolled: 1-line block ×11, first 2 shown]
	scratch_load_dwordx2 v[22:23], off, off offset:336
	scratch_load_dwordx2 v[36:37], off, off offset:152
	v_mov_b32_e32 v38, 0
	ds_read_b128 v[52:55], v38 offset:512
	ds_read_b128 v[56:59], v38 offset:528
	;; [unrolled: 1-line block ×8, first 2 shown]
	v_cmp_lt_u32_e32 vcc, 18, v0
	s_waitcnt vmcnt(12) lgkmcnt(7)
	v_mul_f32_e32 v39, v52, v7
	v_mul_f32_e32 v84, v54, v9
	;; [unrolled: 1-line block ×3, first 2 shown]
	v_fmac_f32_e32 v39, v53, v6
	s_waitcnt vmcnt(8) lgkmcnt(3)
	v_mul_f32_e32 v93, v68, v19
	v_mul_f32_e32 v19, v69, v19
	;; [unrolled: 1-line block ×4, first 2 shown]
	v_fmac_f32_e32 v84, v55, v8
	v_fmac_f32_e32 v93, v69, v18
	v_fma_f32 v6, v52, v6, -v7
	v_fma_f32 v18, v68, v18, -v19
	v_add_f32_e32 v19, 0, v39
	v_mul_f32_e32 v88, v58, v17
	v_fmac_f32_e32 v86, v57, v14
	v_fma_f32 v7, v54, v8, -v9
	v_add_f32_e32 v6, 0, v6
	v_add_f32_e32 v19, v19, v84
	v_mul_f32_e32 v89, v60, v25
	v_fmac_f32_e32 v88, v59, v16
	v_add_f32_e32 v6, v6, v7
	v_add_f32_e32 v7, v19, v86
	v_mul_f32_e32 v90, v62, v27
	v_fmac_f32_e32 v89, v61, v24
	v_add_f32_e32 v7, v7, v88
	v_mul_f32_e32 v91, v64, v29
	v_mul_f32_e32 v15, v57, v15
	v_fmac_f32_e32 v90, v63, v26
	v_add_f32_e32 v7, v7, v89
	v_mul_f32_e32 v92, v66, v31
	v_mul_f32_e32 v17, v59, v17
	v_fmac_f32_e32 v91, v65, v28
	v_fma_f32 v8, v56, v14, -v15
	v_add_f32_e32 v7, v7, v90
	v_mul_f32_e32 v25, v61, v25
	v_fmac_f32_e32 v92, v67, v30
	v_fma_f32 v9, v58, v16, -v17
	v_add_f32_e32 v6, v6, v8
	v_add_f32_e32 v7, v7, v91
	v_mul_f32_e32 v94, v70, v21
	v_mul_f32_e32 v27, v63, v27
	v_fma_f32 v14, v60, v24, -v25
	v_add_f32_e32 v6, v6, v9
	v_add_f32_e32 v7, v7, v92
	s_waitcnt vmcnt(7) lgkmcnt(2)
	v_mul_f32_e32 v95, v72, v33
	v_mul_f32_e32 v29, v65, v29
	v_fmac_f32_e32 v94, v71, v20
	v_fma_f32 v15, v62, v26, -v27
	v_add_f32_e32 v6, v6, v14
	v_add_f32_e32 v7, v7, v93
	v_mul_f32_e32 v96, v74, v35
	v_mul_f32_e32 v31, v67, v31
	v_fmac_f32_e32 v95, v73, v32
	v_fma_f32 v16, v64, v28, -v29
	v_add_f32_e32 v6, v6, v15
	v_add_f32_e32 v7, v7, v94
	s_waitcnt vmcnt(6) lgkmcnt(1)
	v_mul_f32_e32 v97, v76, v41
	v_fmac_f32_e32 v96, v75, v34
	v_fma_f32 v17, v66, v30, -v31
	v_add_f32_e32 v6, v6, v16
	v_add_f32_e32 v7, v7, v95
	v_mul_f32_e32 v21, v71, v21
	v_fmac_f32_e32 v97, v77, v40
	v_add_f32_e32 v6, v6, v17
	v_add_f32_e32 v7, v7, v96
	;; [unrolled: 1-line block ×4, first 2 shown]
	v_fma_f32 v7, v70, v20, -v21
	v_add_f32_e32 v6, v6, v7
	v_mul_f32_e32 v7, v73, v33
	v_fma_f32 v7, v72, v32, -v7
	v_add_f32_e32 v6, v6, v7
	v_mul_f32_e32 v7, v75, v35
	;; [unrolled: 3-line block ×4, first 2 shown]
	v_mul_f32_e32 v85, v78, v43
	v_fma_f32 v84, v78, v42, -v6
	s_waitcnt vmcnt(5) lgkmcnt(0)
	v_mul_f32_e32 v6, v81, v45
	v_mov_b32_e32 v28, v47
	v_mul_f32_e32 v87, v80, v45
	v_fmac_f32_e32 v85, v79, v42
	v_fma_f32 v86, v80, v44, -v6
	ds_read_b128 v[6:9], v38 offset:640
	ds_read_b128 v[14:17], v38 offset:656
	;; [unrolled: 1-line block ×3, first 2 shown]
	ds_read_b64 v[26:27], v38 offset:688
	v_pk_mul_f32 v[28:29], v[82:83], v[28:29] op_sel:[1,0] op_sel_hi:[0,0]
	v_fmac_f32_e32 v87, v81, v44
	v_pk_add_f32 v[24:25], v[24:25], v[84:85]
	v_pk_fma_f32 v[30:31], v[82:83], v[46:47], v[28:29] neg_lo:[0,0,1] neg_hi:[0,0,1]
	v_pk_fma_f32 v[28:29], v[82:83], v[46:47], v[28:29] op_sel_hi:[1,0,1]
	v_pk_add_f32 v[24:25], v[24:25], v[86:87]
	v_mov_b32_e32 v31, v29
	s_waitcnt vmcnt(4) lgkmcnt(3)
	v_pk_mul_f32 v[28:29], v[6:7], v[48:49] op_sel:[1,1] op_sel_hi:[0,1]
	v_pk_add_f32 v[24:25], v[24:25], v[30:31]
	v_pk_fma_f32 v[30:31], v[6:7], v[48:49], v[28:29] neg_lo:[0,0,1] neg_hi:[0,0,1]
	v_pk_fma_f32 v[6:7], v[6:7], v[48:49], v[28:29] op_sel_hi:[1,0,1]
	s_nop 0
	v_mov_b32_e32 v31, v7
	v_pk_add_f32 v[6:7], v[24:25], v[30:31]
	v_mov_b32_e32 v24, v51
	v_pk_mul_f32 v[24:25], v[8:9], v[24:25] op_sel:[1,0] op_sel_hi:[0,0]
	v_pk_fma_f32 v[28:29], v[8:9], v[50:51], v[24:25] neg_lo:[0,0,1] neg_hi:[0,0,1]
	v_pk_fma_f32 v[8:9], v[8:9], v[50:51], v[24:25] op_sel_hi:[1,0,1]
	s_nop 0
	v_mov_b32_e32 v29, v9
	s_waitcnt vmcnt(3) lgkmcnt(2)
	v_pk_mul_f32 v[8:9], v[14:15], v[10:11] op_sel:[1,1] op_sel_hi:[0,1]
	v_pk_fma_f32 v[24:25], v[14:15], v[10:11], v[8:9] neg_lo:[0,0,1] neg_hi:[0,0,1]
	v_pk_fma_f32 v[8:9], v[14:15], v[10:11], v[8:9] op_sel_hi:[1,0,1]
	v_pk_add_f32 v[6:7], v[6:7], v[28:29]
	v_mov_b32_e32 v8, v13
	v_mov_b32_e32 v25, v9
	v_pk_mul_f32 v[8:9], v[16:17], v[8:9] op_sel:[1,0] op_sel_hi:[0,0]
	v_pk_fma_f32 v[10:11], v[16:17], v[12:13], v[8:9] neg_lo:[0,0,1] neg_hi:[0,0,1]
	v_pk_fma_f32 v[8:9], v[16:17], v[12:13], v[8:9] op_sel_hi:[1,0,1]
	v_pk_add_f32 v[6:7], v[6:7], v[24:25]
	v_mov_b32_e32 v11, v9
	s_waitcnt vmcnt(2) lgkmcnt(1)
	v_pk_mul_f32 v[8:9], v[18:19], v[2:3] op_sel:[1,1] op_sel_hi:[0,1]
	v_pk_add_f32 v[6:7], v[6:7], v[10:11]
	v_pk_fma_f32 v[10:11], v[18:19], v[2:3], v[8:9] neg_lo:[0,0,1] neg_hi:[0,0,1]
	v_pk_fma_f32 v[2:3], v[18:19], v[2:3], v[8:9] op_sel_hi:[1,0,1]
	s_nop 0
	v_mov_b32_e32 v11, v3
	v_pk_add_f32 v[2:3], v[6:7], v[10:11]
	v_mov_b32_e32 v6, v5
	v_pk_mul_f32 v[6:7], v[20:21], v[6:7] op_sel:[1,0] op_sel_hi:[0,0]
	v_pk_fma_f32 v[8:9], v[20:21], v[4:5], v[6:7] neg_lo:[0,0,1] neg_hi:[0,0,1]
	v_pk_fma_f32 v[4:5], v[20:21], v[4:5], v[6:7] op_sel_hi:[1,0,1]
	s_nop 0
	v_mov_b32_e32 v9, v5
	s_waitcnt vmcnt(1) lgkmcnt(0)
	v_pk_mul_f32 v[4:5], v[26:27], v[22:23] op_sel:[1,1] op_sel_hi:[0,1]
	v_pk_fma_f32 v[6:7], v[26:27], v[22:23], v[4:5] neg_lo:[0,0,1] neg_hi:[0,0,1]
	v_pk_fma_f32 v[4:5], v[26:27], v[22:23], v[4:5] op_sel_hi:[1,0,1]
	v_pk_add_f32 v[2:3], v[2:3], v[8:9]
	v_mov_b32_e32 v7, v5
	v_pk_add_f32 v[2:3], v[2:3], v[6:7]
	s_waitcnt vmcnt(0)
	v_pk_add_f32 v[2:3], v[36:37], v[2:3] neg_lo:[0,1] neg_hi:[0,1]
	scratch_store_dwordx2 off, v[2:3], off offset:152
	s_and_saveexec_b64 s[0:1], vcc
	s_cbranch_execz .LBB42_235
; %bb.234:
	scratch_load_dwordx2 v[2:3], off, off offset:144
	v_mov_b32_e32 v39, v38
	scratch_store_dwordx2 off, v[38:39], off offset:144
	s_waitcnt vmcnt(1)
	ds_write_b64 v1, v[2:3]
.LBB42_235:
	s_or_b64 exec, exec, s[0:1]
	s_waitcnt lgkmcnt(0)
	; wave barrier
	scratch_load_dwordx4 v[2:5], off, off offset:152
	scratch_load_dwordx4 v[14:17], off, off offset:168
	;; [unrolled: 1-line block ×8, first 2 shown]
	ds_read2_b64 v[48:51], v38 offset0:63 offset1:64
	ds_read2_b64 v[52:55], v38 offset0:65 offset1:66
	;; [unrolled: 1-line block ×8, first 2 shown]
	scratch_load_dwordx4 v[80:83], off, off offset:280
	scratch_load_dwordx4 v[26:29], off, off offset:296
	;; [unrolled: 1-line block ×4, first 2 shown]
	scratch_load_dwordx2 v[84:85], off, off offset:144
	v_cmp_lt_u32_e32 vcc, 17, v0
	s_waitcnt vmcnt(12) lgkmcnt(7)
	v_mul_f32_e32 v39, v48, v3
	v_mul_f32_e32 v86, v50, v5
	;; [unrolled: 1-line block ×3, first 2 shown]
	v_fmac_f32_e32 v39, v49, v2
	s_waitcnt vmcnt(8) lgkmcnt(3)
	v_mul_f32_e32 v95, v64, v19
	v_mul_f32_e32 v19, v65, v19
	;; [unrolled: 1-line block ×4, first 2 shown]
	v_fmac_f32_e32 v86, v51, v4
	v_fmac_f32_e32 v95, v65, v18
	v_fma_f32 v2, v48, v2, -v3
	v_fma_f32 v18, v64, v18, -v19
	v_add_f32_e32 v19, 0, v39
	v_mul_f32_e32 v90, v54, v17
	v_fmac_f32_e32 v88, v53, v14
	v_fma_f32 v3, v50, v4, -v5
	v_add_f32_e32 v2, 0, v2
	v_add_f32_e32 v19, v19, v86
	v_mul_f32_e32 v91, v56, v31
	v_fmac_f32_e32 v90, v55, v16
	v_add_f32_e32 v2, v2, v3
	v_add_f32_e32 v3, v19, v88
	v_mul_f32_e32 v92, v58, v33
	v_fmac_f32_e32 v91, v57, v30
	v_add_f32_e32 v3, v3, v90
	v_mul_f32_e32 v93, v60, v41
	v_fmac_f32_e32 v92, v59, v32
	;; [unrolled: 3-line block ×4, first 2 shown]
	v_add_f32_e32 v3, v3, v93
	v_mul_f32_e32 v96, v66, v21
	v_mul_f32_e32 v17, v55, v17
	v_fma_f32 v4, v52, v14, -v15
	v_add_f32_e32 v3, v3, v94
	s_waitcnt vmcnt(7) lgkmcnt(2)
	v_mul_f32_e32 v97, v68, v23
	v_mul_f32_e32 v31, v57, v31
	v_fmac_f32_e32 v96, v67, v20
	v_fma_f32 v5, v54, v16, -v17
	v_add_f32_e32 v2, v2, v4
	v_add_f32_e32 v3, v3, v95
	v_mul_f32_e32 v98, v70, v25
	v_mul_f32_e32 v33, v59, v33
	v_fmac_f32_e32 v97, v69, v22
	v_fma_f32 v14, v56, v30, -v31
	v_add_f32_e32 v2, v2, v5
	v_add_f32_e32 v3, v3, v96
	s_waitcnt vmcnt(6) lgkmcnt(1)
	v_mul_f32_e32 v99, v72, v35
	v_mul_f32_e32 v41, v61, v41
	v_fmac_f32_e32 v98, v71, v24
	v_fma_f32 v15, v58, v32, -v33
	v_add_f32_e32 v2, v2, v14
	v_add_f32_e32 v3, v3, v97
	v_mul_f32_e32 v100, v74, v37
	v_mul_f32_e32 v43, v63, v43
	v_fmac_f32_e32 v99, v73, v34
	v_fma_f32 v16, v60, v40, -v41
	v_add_f32_e32 v2, v2, v15
	v_add_f32_e32 v3, v3, v98
	v_fmac_f32_e32 v100, v75, v36
	v_fma_f32 v17, v62, v42, -v43
	v_add_f32_e32 v2, v2, v16
	v_add_f32_e32 v3, v3, v99
	v_add_f32_e32 v2, v2, v17
	v_add_f32_e32 v31, v3, v100
	v_mul_f32_e32 v3, v67, v21
	v_add_f32_e32 v2, v2, v18
	v_fma_f32 v3, v66, v20, -v3
	v_add_f32_e32 v2, v2, v3
	v_mul_f32_e32 v3, v69, v23
	v_fma_f32 v3, v68, v22, -v3
	v_add_f32_e32 v2, v2, v3
	v_mul_f32_e32 v3, v71, v25
	;; [unrolled: 3-line block ×4, first 2 shown]
	v_fma_f32 v3, v74, v36, -v3
	v_add_f32_e32 v30, v2, v3
	s_waitcnt vmcnt(5) lgkmcnt(0)
	v_mul_f32_e32 v2, v77, v45
	v_fma_f32 v86, v76, v44, -v2
	v_mul_f32_e32 v2, v79, v47
	v_fma_f32 v88, v78, v46, -v2
	ds_read2_b64 v[2:5], v38 offset0:79 offset1:80
	ds_read2_b64 v[14:17], v38 offset0:81 offset1:82
	;; [unrolled: 1-line block ×4, first 2 shown]
	v_mul_f32_e32 v87, v76, v45
	v_mul_f32_e32 v89, v78, v47
	v_fmac_f32_e32 v87, v77, v44
	s_waitcnt vmcnt(4) lgkmcnt(3)
	v_pk_mul_f32 v[32:33], v[2:3], v[80:81] op_sel:[1,1] op_sel_hi:[0,1]
	v_fmac_f32_e32 v89, v79, v46
	v_pk_add_f32 v[30:31], v[30:31], v[86:87]
	v_pk_fma_f32 v[34:35], v[2:3], v[80:81], v[32:33] neg_lo:[0,0,1] neg_hi:[0,0,1]
	v_pk_fma_f32 v[2:3], v[2:3], v[80:81], v[32:33] op_sel_hi:[1,0,1]
	v_pk_add_f32 v[30:31], v[30:31], v[88:89]
	v_mov_b32_e32 v35, v3
	v_pk_add_f32 v[2:3], v[30:31], v[34:35]
	v_mov_b32_e32 v30, v83
	v_pk_mul_f32 v[30:31], v[4:5], v[30:31] op_sel:[1,0] op_sel_hi:[0,0]
	v_pk_fma_f32 v[32:33], v[4:5], v[82:83], v[30:31] neg_lo:[0,0,1] neg_hi:[0,0,1]
	v_pk_fma_f32 v[4:5], v[4:5], v[82:83], v[30:31] op_sel_hi:[1,0,1]
	s_nop 0
	v_mov_b32_e32 v33, v5
	s_waitcnt vmcnt(3) lgkmcnt(2)
	v_pk_mul_f32 v[4:5], v[14:15], v[26:27] op_sel:[1,1] op_sel_hi:[0,1]
	v_pk_fma_f32 v[30:31], v[14:15], v[26:27], v[4:5] neg_lo:[0,0,1] neg_hi:[0,0,1]
	v_pk_fma_f32 v[4:5], v[14:15], v[26:27], v[4:5] op_sel_hi:[1,0,1]
	v_pk_add_f32 v[2:3], v[2:3], v[32:33]
	v_mov_b32_e32 v4, v29
	v_mov_b32_e32 v31, v5
	v_pk_mul_f32 v[4:5], v[16:17], v[4:5] op_sel:[1,0] op_sel_hi:[0,0]
	v_pk_fma_f32 v[14:15], v[16:17], v[28:29], v[4:5] neg_lo:[0,0,1] neg_hi:[0,0,1]
	v_pk_fma_f32 v[4:5], v[16:17], v[28:29], v[4:5] op_sel_hi:[1,0,1]
	v_pk_add_f32 v[2:3], v[2:3], v[30:31]
	v_mov_b32_e32 v15, v5
	s_waitcnt vmcnt(2) lgkmcnt(1)
	v_pk_mul_f32 v[4:5], v[18:19], v[10:11] op_sel:[1,1] op_sel_hi:[0,1]
	v_pk_add_f32 v[2:3], v[2:3], v[14:15]
	v_pk_fma_f32 v[14:15], v[18:19], v[10:11], v[4:5] neg_lo:[0,0,1] neg_hi:[0,0,1]
	v_pk_fma_f32 v[4:5], v[18:19], v[10:11], v[4:5] op_sel_hi:[1,0,1]
	s_nop 0
	v_mov_b32_e32 v4, v13
	v_mov_b32_e32 v15, v5
	v_pk_mul_f32 v[4:5], v[20:21], v[4:5] op_sel:[1,0] op_sel_hi:[0,0]
	v_pk_fma_f32 v[10:11], v[20:21], v[12:13], v[4:5] neg_lo:[0,0,1] neg_hi:[0,0,1]
	v_pk_fma_f32 v[4:5], v[20:21], v[12:13], v[4:5] op_sel_hi:[1,0,1]
	v_pk_add_f32 v[2:3], v[2:3], v[14:15]
	v_mov_b32_e32 v11, v5
	s_waitcnt vmcnt(1) lgkmcnt(0)
	v_pk_mul_f32 v[4:5], v[22:23], v[6:7] op_sel:[1,1] op_sel_hi:[0,1]
	v_pk_add_f32 v[2:3], v[2:3], v[10:11]
	v_pk_fma_f32 v[10:11], v[22:23], v[6:7], v[4:5] neg_lo:[0,0,1] neg_hi:[0,0,1]
	v_pk_fma_f32 v[4:5], v[22:23], v[6:7], v[4:5] op_sel_hi:[1,0,1]
	s_nop 0
	v_mov_b32_e32 v4, v9
	v_mov_b32_e32 v11, v5
	v_pk_mul_f32 v[4:5], v[24:25], v[4:5] op_sel:[1,0] op_sel_hi:[0,0]
	v_pk_fma_f32 v[6:7], v[24:25], v[8:9], v[4:5] neg_lo:[0,0,1] neg_hi:[0,0,1]
	v_pk_fma_f32 v[4:5], v[24:25], v[8:9], v[4:5] op_sel_hi:[1,0,1]
	v_pk_add_f32 v[2:3], v[2:3], v[10:11]
	v_mov_b32_e32 v7, v5
	v_pk_add_f32 v[2:3], v[2:3], v[6:7]
	s_waitcnt vmcnt(0)
	v_pk_add_f32 v[2:3], v[84:85], v[2:3] neg_lo:[0,1] neg_hi:[0,1]
	scratch_store_dwordx2 off, v[2:3], off offset:144
	s_and_saveexec_b64 s[0:1], vcc
	s_cbranch_execz .LBB42_237
; %bb.236:
	scratch_load_dwordx2 v[2:3], off, off offset:136
	v_mov_b32_e32 v4, 0
	v_mov_b32_e32 v5, v4
	scratch_store_dwordx2 off, v[4:5], off offset:136
	s_waitcnt vmcnt(1)
	ds_write_b64 v1, v[2:3]
.LBB42_237:
	s_or_b64 exec, exec, s[0:1]
	s_waitcnt lgkmcnt(0)
	; wave barrier
	scratch_load_dwordx4 v[10:13], off, off offset:144
	scratch_load_dwordx4 v[26:29], off, off offset:160
	;; [unrolled: 1-line block ×12, first 2 shown]
	scratch_load_dwordx2 v[50:51], off, off offset:336
	scratch_load_dwordx2 v[56:57], off, off offset:136
	v_mov_b32_e32 v58, 0
	ds_read_b128 v[52:55], v58 offset:496
	ds_read_b128 v[60:63], v58 offset:512
	;; [unrolled: 1-line block ×10, first 2 shown]
	v_cmp_lt_u32_e32 vcc, 16, v0
	s_waitcnt vmcnt(13) lgkmcnt(9)
	v_mul_f32_e32 v59, v52, v11
	v_mul_f32_e32 v96, v54, v13
	v_fmac_f32_e32 v59, v53, v10
	s_waitcnt vmcnt(10) lgkmcnt(6)
	v_mul_f32_e32 v103, v68, v7
	v_mul_f32_e32 v7, v69, v7
	;; [unrolled: 1-line block ×3, first 2 shown]
	v_fmac_f32_e32 v96, v55, v12
	v_fmac_f32_e32 v103, v69, v6
	v_fma_f32 v6, v68, v6, -v7
	v_add_f32_e32 v7, 0, v59
	v_mul_f32_e32 v100, v62, v29
	v_fmac_f32_e32 v98, v61, v26
	v_add_f32_e32 v7, v7, v96
	v_mul_f32_e32 v101, v64, v39
	v_fmac_f32_e32 v100, v63, v28
	;; [unrolled: 3-line block ×3, first 2 shown]
	v_add_f32_e32 v7, v7, v100
	v_fmac_f32_e32 v102, v67, v40
	v_add_f32_e32 v7, v7, v101
	v_mul_f32_e32 v104, v70, v9
	v_add_f32_e32 v7, v7, v102
	s_waitcnt vmcnt(9) lgkmcnt(5)
	v_mul_f32_e32 v105, v72, v15
	v_fmac_f32_e32 v104, v71, v8
	v_add_f32_e32 v7, v7, v103
	v_mul_f32_e32 v106, v74, v17
	v_mul_f32_e32 v11, v53, v11
	v_fmac_f32_e32 v105, v73, v14
	v_add_f32_e32 v7, v7, v104
	s_waitcnt vmcnt(8) lgkmcnt(4)
	v_mul_f32_e32 v107, v76, v23
	v_mul_f32_e32 v13, v55, v13
	v_fmac_f32_e32 v106, v75, v16
	v_fma_f32 v10, v52, v10, -v11
	v_add_f32_e32 v7, v7, v105
	v_mul_f32_e32 v108, v78, v25
	v_mul_f32_e32 v27, v61, v27
	v_fmac_f32_e32 v107, v77, v22
	v_fma_f32 v11, v54, v12, -v13
	v_add_f32_e32 v10, 0, v10
	v_add_f32_e32 v7, v7, v106
	s_waitcnt vmcnt(7) lgkmcnt(3)
	v_mul_f32_e32 v109, v80, v31
	v_mul_f32_e32 v29, v63, v29
	v_fmac_f32_e32 v108, v79, v24
	v_fma_f32 v12, v60, v26, -v27
	v_add_f32_e32 v10, v10, v11
	v_add_f32_e32 v7, v7, v107
	v_mul_f32_e32 v110, v82, v33
	v_mul_f32_e32 v39, v65, v39
	v_fmac_f32_e32 v109, v81, v30
	v_fma_f32 v13, v62, v28, -v29
	v_add_f32_e32 v10, v10, v12
	v_add_f32_e32 v7, v7, v108
	s_waitcnt vmcnt(6) lgkmcnt(2)
	v_mul_f32_e32 v111, v84, v43
	v_mul_f32_e32 v41, v67, v41
	v_fmac_f32_e32 v110, v83, v32
	v_fma_f32 v26, v64, v38, -v39
	v_add_f32_e32 v10, v10, v13
	v_add_f32_e32 v7, v7, v109
	v_fmac_f32_e32 v111, v85, v42
	v_fma_f32 v27, v66, v40, -v41
	v_add_f32_e32 v10, v10, v26
	v_add_f32_e32 v7, v7, v110
	;; [unrolled: 1-line block ×4, first 2 shown]
	v_mul_f32_e32 v7, v71, v9
	v_add_f32_e32 v6, v10, v6
	v_fma_f32 v7, v70, v8, -v7
	v_add_f32_e32 v6, v6, v7
	v_mul_f32_e32 v7, v73, v15
	v_fma_f32 v7, v72, v14, -v7
	v_add_f32_e32 v6, v6, v7
	v_mul_f32_e32 v7, v75, v17
	;; [unrolled: 3-line block ×7, first 2 shown]
	v_fma_f32 v7, v84, v42, -v7
	v_mul_f32_e32 v97, v86, v45
	v_add_f32_e32 v26, v6, v7
	v_mul_f32_e32 v6, v87, v45
	s_waitcnt vmcnt(5)
	v_mov_b32_e32 v22, v49
	s_waitcnt lgkmcnt(1)
	v_mul_f32_e32 v99, v88, v47
	v_fmac_f32_e32 v97, v87, v44
	v_fma_f32 v96, v86, v44, -v6
	v_mul_f32_e32 v6, v89, v47
	v_pk_mul_f32 v[22:23], v[90:91], v[22:23] op_sel:[1,0] op_sel_hi:[0,0]
	v_fmac_f32_e32 v99, v89, v46
	v_fma_f32 v98, v88, v46, -v6
	v_pk_add_f32 v[16:17], v[26:27], v[96:97]
	v_pk_fma_f32 v[24:25], v[90:91], v[48:49], v[22:23] neg_lo:[0,0,1] neg_hi:[0,0,1]
	v_pk_fma_f32 v[22:23], v[90:91], v[48:49], v[22:23] op_sel_hi:[1,0,1]
	v_pk_add_f32 v[16:17], v[16:17], v[98:99]
	v_mov_b32_e32 v25, v23
	s_waitcnt vmcnt(4) lgkmcnt(0)
	v_pk_mul_f32 v[22:23], v[92:93], v[34:35] op_sel:[1,1] op_sel_hi:[0,1]
	v_pk_add_f32 v[16:17], v[16:17], v[24:25]
	v_pk_fma_f32 v[24:25], v[92:93], v[34:35], v[22:23] neg_lo:[0,0,1] neg_hi:[0,0,1]
	v_pk_fma_f32 v[22:23], v[92:93], v[34:35], v[22:23] op_sel_hi:[1,0,1]
	ds_read_b128 v[6:9], v58 offset:656
	ds_read_b128 v[10:13], v58 offset:672
	ds_read_b64 v[14:15], v58 offset:688
	v_mov_b32_e32 v22, v37
	v_mov_b32_e32 v25, v23
	v_pk_mul_f32 v[22:23], v[94:95], v[22:23] op_sel:[1,0] op_sel_hi:[0,0]
	v_pk_add_f32 v[16:17], v[16:17], v[24:25]
	v_pk_fma_f32 v[24:25], v[94:95], v[36:37], v[22:23] neg_lo:[0,0,1] neg_hi:[0,0,1]
	v_pk_fma_f32 v[22:23], v[94:95], v[36:37], v[22:23] op_sel_hi:[1,0,1]
	s_nop 0
	v_mov_b32_e32 v25, v23
	s_waitcnt vmcnt(3) lgkmcnt(2)
	v_pk_mul_f32 v[22:23], v[6:7], v[18:19] op_sel:[1,1] op_sel_hi:[0,1]
	v_pk_add_f32 v[16:17], v[16:17], v[24:25]
	v_pk_fma_f32 v[24:25], v[6:7], v[18:19], v[22:23] neg_lo:[0,0,1] neg_hi:[0,0,1]
	v_pk_fma_f32 v[6:7], v[6:7], v[18:19], v[22:23] op_sel_hi:[1,0,1]
	s_nop 0
	v_mov_b32_e32 v25, v7
	v_pk_add_f32 v[6:7], v[16:17], v[24:25]
	v_mov_b32_e32 v16, v21
	v_pk_mul_f32 v[16:17], v[8:9], v[16:17] op_sel:[1,0] op_sel_hi:[0,0]
	v_pk_fma_f32 v[18:19], v[8:9], v[20:21], v[16:17] neg_lo:[0,0,1] neg_hi:[0,0,1]
	v_pk_fma_f32 v[8:9], v[8:9], v[20:21], v[16:17] op_sel_hi:[1,0,1]
	s_nop 0
	v_mov_b32_e32 v19, v9
	s_waitcnt vmcnt(2) lgkmcnt(1)
	v_pk_mul_f32 v[8:9], v[10:11], v[2:3] op_sel:[1,1] op_sel_hi:[0,1]
	v_pk_fma_f32 v[16:17], v[10:11], v[2:3], v[8:9] neg_lo:[0,0,1] neg_hi:[0,0,1]
	v_pk_fma_f32 v[2:3], v[10:11], v[2:3], v[8:9] op_sel_hi:[1,0,1]
	v_pk_add_f32 v[6:7], v[6:7], v[18:19]
	v_mov_b32_e32 v17, v3
	v_pk_add_f32 v[2:3], v[6:7], v[16:17]
	v_mov_b32_e32 v6, v5
	v_pk_mul_f32 v[6:7], v[12:13], v[6:7] op_sel:[1,0] op_sel_hi:[0,0]
	v_pk_fma_f32 v[8:9], v[12:13], v[4:5], v[6:7] neg_lo:[0,0,1] neg_hi:[0,0,1]
	v_pk_fma_f32 v[4:5], v[12:13], v[4:5], v[6:7] op_sel_hi:[1,0,1]
	s_nop 0
	v_mov_b32_e32 v9, v5
	s_waitcnt vmcnt(1) lgkmcnt(0)
	v_pk_mul_f32 v[4:5], v[14:15], v[50:51] op_sel:[1,1] op_sel_hi:[0,1]
	v_pk_fma_f32 v[6:7], v[14:15], v[50:51], v[4:5] neg_lo:[0,0,1] neg_hi:[0,0,1]
	v_pk_fma_f32 v[4:5], v[14:15], v[50:51], v[4:5] op_sel_hi:[1,0,1]
	v_pk_add_f32 v[2:3], v[2:3], v[8:9]
	v_mov_b32_e32 v7, v5
	v_pk_add_f32 v[2:3], v[2:3], v[6:7]
	s_waitcnt vmcnt(0)
	v_pk_add_f32 v[2:3], v[56:57], v[2:3] neg_lo:[0,1] neg_hi:[0,1]
	scratch_store_dwordx2 off, v[2:3], off offset:136
	s_and_saveexec_b64 s[0:1], vcc
	s_cbranch_execz .LBB42_239
; %bb.238:
	scratch_load_dwordx2 v[2:3], off, off offset:128
	v_mov_b32_e32 v59, v58
	scratch_store_dwordx2 off, v[58:59], off offset:128
	s_waitcnt vmcnt(1)
	ds_write_b64 v1, v[2:3]
.LBB42_239:
	s_or_b64 exec, exec, s[0:1]
	s_waitcnt lgkmcnt(0)
	; wave barrier
	scratch_load_dwordx4 v[2:5], off, off offset:136
	scratch_load_dwordx4 v[18:21], off, off offset:152
	;; [unrolled: 1-line block ×9, first 2 shown]
	ds_read2_b64 v[60:63], v58 offset0:61 offset1:62
	ds_read2_b64 v[64:67], v58 offset0:63 offset1:64
	;; [unrolled: 1-line block ×8, first 2 shown]
	scratch_load_dwordx4 v[50:53], off, off offset:280
	scratch_load_dwordx4 v[34:37], off, off offset:296
	;; [unrolled: 1-line block ×4, first 2 shown]
	ds_read2_b64 v[88:91], v58 offset0:77 offset1:78
	ds_read2_b64 v[92:95], v58 offset0:79 offset1:80
	scratch_load_dwordx2 v[96:97], off, off offset:128
	v_cmp_lt_u32_e32 vcc, 15, v0
	s_waitcnt vmcnt(13) lgkmcnt(9)
	v_mul_f32_e32 v59, v60, v3
	v_mul_f32_e32 v98, v62, v5
	;; [unrolled: 1-line block ×3, first 2 shown]
	s_waitcnt vmcnt(10) lgkmcnt(6)
	v_mul_f32_e32 v105, v72, v7
	v_mul_f32_e32 v7, v73, v7
	v_fmac_f32_e32 v59, v61, v2
	v_mul_f32_e32 v100, v64, v19
	v_mul_f32_e32 v5, v63, v5
	v_fmac_f32_e32 v98, v63, v4
	v_fmac_f32_e32 v105, v73, v6
	v_fma_f32 v2, v60, v2, -v3
	v_fma_f32 v6, v72, v6, -v7
	v_add_f32_e32 v7, 0, v59
	v_mul_f32_e32 v102, v66, v21
	v_fmac_f32_e32 v100, v65, v18
	v_fma_f32 v3, v62, v4, -v5
	v_add_f32_e32 v2, 0, v2
	v_add_f32_e32 v7, v7, v98
	v_mul_f32_e32 v103, v68, v39
	v_fmac_f32_e32 v102, v67, v20
	v_add_f32_e32 v2, v2, v3
	v_add_f32_e32 v3, v7, v100
	v_mul_f32_e32 v104, v70, v41
	v_fmac_f32_e32 v103, v69, v38
	v_add_f32_e32 v3, v3, v102
	v_fmac_f32_e32 v104, v71, v40
	v_add_f32_e32 v3, v3, v103
	v_mul_f32_e32 v106, v74, v9
	v_add_f32_e32 v3, v3, v104
	s_waitcnt vmcnt(9) lgkmcnt(5)
	v_mul_f32_e32 v107, v76, v15
	v_fmac_f32_e32 v106, v75, v8
	v_add_f32_e32 v3, v3, v105
	v_mul_f32_e32 v108, v78, v17
	v_fmac_f32_e32 v107, v77, v14
	v_add_f32_e32 v3, v3, v106
	s_waitcnt vmcnt(8) lgkmcnt(4)
	v_mul_f32_e32 v109, v80, v23
	v_fmac_f32_e32 v108, v79, v16
	v_add_f32_e32 v3, v3, v107
	v_mul_f32_e32 v110, v82, v25
	v_fmac_f32_e32 v109, v81, v22
	v_add_f32_e32 v3, v3, v108
	s_waitcnt vmcnt(7) lgkmcnt(3)
	v_mul_f32_e32 v111, v84, v31
	v_mul_f32_e32 v19, v65, v19
	v_fmac_f32_e32 v110, v83, v24
	v_add_f32_e32 v3, v3, v109
	v_mul_f32_e32 v112, v86, v33
	v_mul_f32_e32 v21, v67, v21
	v_fmac_f32_e32 v111, v85, v30
	v_fma_f32 v4, v64, v18, -v19
	v_add_f32_e32 v3, v3, v110
	s_waitcnt vmcnt(6) lgkmcnt(2)
	v_mul_f32_e32 v113, v54, v43
	v_mul_f32_e32 v39, v69, v39
	v_fmac_f32_e32 v112, v87, v32
	v_fma_f32 v5, v66, v20, -v21
	v_add_f32_e32 v2, v2, v4
	v_add_f32_e32 v3, v3, v111
	v_mul_f32_e32 v114, v56, v45
	v_mul_f32_e32 v41, v71, v41
	v_fmac_f32_e32 v113, v55, v42
	v_fma_f32 v18, v68, v38, -v39
	v_add_f32_e32 v2, v2, v5
	v_add_f32_e32 v3, v3, v112
	v_fmac_f32_e32 v114, v57, v44
	v_fma_f32 v19, v70, v40, -v41
	v_add_f32_e32 v2, v2, v18
	v_add_f32_e32 v3, v3, v113
	;; [unrolled: 1-line block ×4, first 2 shown]
	v_mul_f32_e32 v3, v75, v9
	v_add_f32_e32 v2, v2, v6
	v_fma_f32 v3, v74, v8, -v3
	v_add_f32_e32 v2, v2, v3
	v_mul_f32_e32 v3, v77, v15
	v_fma_f32 v3, v76, v14, -v3
	v_add_f32_e32 v2, v2, v3
	v_mul_f32_e32 v3, v79, v17
	;; [unrolled: 3-line block ×8, first 2 shown]
	v_fma_f32 v3, v56, v44, -v3
	s_waitcnt vmcnt(5) lgkmcnt(1)
	v_mul_f32_e32 v99, v88, v47
	v_add_f32_e32 v18, v2, v3
	v_mul_f32_e32 v2, v89, v47
	s_waitcnt vmcnt(4) lgkmcnt(0)
	v_pk_mul_f32 v[20:21], v[92:93], v[50:51] op_sel:[1,1] op_sel_hi:[0,1]
	v_mul_f32_e32 v101, v90, v49
	v_fmac_f32_e32 v99, v89, v46
	v_fma_f32 v98, v88, v46, -v2
	v_mul_f32_e32 v2, v91, v49
	v_pk_fma_f32 v[22:23], v[92:93], v[50:51], v[20:21] neg_lo:[0,0,1] neg_hi:[0,0,1]
	v_pk_fma_f32 v[20:21], v[92:93], v[50:51], v[20:21] op_sel_hi:[1,0,1]
	v_fmac_f32_e32 v101, v91, v48
	v_fma_f32 v100, v90, v48, -v2
	ds_read2_b64 v[2:5], v58 offset0:81 offset1:82
	ds_read2_b64 v[6:9], v58 offset0:83 offset1:84
	ds_read2_b64 v[14:17], v58 offset0:85 offset1:86
	v_pk_add_f32 v[18:19], v[18:19], v[98:99]
	v_mov_b32_e32 v20, v53
	v_pk_add_f32 v[18:19], v[18:19], v[100:101]
	v_mov_b32_e32 v23, v21
	v_pk_mul_f32 v[20:21], v[94:95], v[20:21] op_sel:[1,0] op_sel_hi:[0,0]
	v_pk_add_f32 v[18:19], v[18:19], v[22:23]
	v_pk_fma_f32 v[22:23], v[94:95], v[52:53], v[20:21] neg_lo:[0,0,1] neg_hi:[0,0,1]
	v_pk_fma_f32 v[20:21], v[94:95], v[52:53], v[20:21] op_sel_hi:[1,0,1]
	s_nop 0
	v_mov_b32_e32 v23, v21
	s_waitcnt vmcnt(3) lgkmcnt(2)
	v_pk_mul_f32 v[20:21], v[2:3], v[34:35] op_sel:[1,1] op_sel_hi:[0,1]
	v_pk_add_f32 v[18:19], v[18:19], v[22:23]
	v_pk_fma_f32 v[22:23], v[2:3], v[34:35], v[20:21] neg_lo:[0,0,1] neg_hi:[0,0,1]
	v_pk_fma_f32 v[2:3], v[2:3], v[34:35], v[20:21] op_sel_hi:[1,0,1]
	s_nop 0
	v_mov_b32_e32 v23, v3
	v_pk_add_f32 v[2:3], v[18:19], v[22:23]
	v_mov_b32_e32 v18, v37
	v_pk_mul_f32 v[18:19], v[4:5], v[18:19] op_sel:[1,0] op_sel_hi:[0,0]
	v_pk_fma_f32 v[20:21], v[4:5], v[36:37], v[18:19] neg_lo:[0,0,1] neg_hi:[0,0,1]
	v_pk_fma_f32 v[4:5], v[4:5], v[36:37], v[18:19] op_sel_hi:[1,0,1]
	s_nop 0
	v_mov_b32_e32 v21, v5
	s_waitcnt vmcnt(2) lgkmcnt(1)
	v_pk_mul_f32 v[4:5], v[6:7], v[26:27] op_sel:[1,1] op_sel_hi:[0,1]
	v_pk_fma_f32 v[18:19], v[6:7], v[26:27], v[4:5] neg_lo:[0,0,1] neg_hi:[0,0,1]
	v_pk_fma_f32 v[4:5], v[6:7], v[26:27], v[4:5] op_sel_hi:[1,0,1]
	v_pk_add_f32 v[2:3], v[2:3], v[20:21]
	v_mov_b32_e32 v4, v29
	v_mov_b32_e32 v19, v5
	v_pk_mul_f32 v[4:5], v[8:9], v[4:5] op_sel:[1,0] op_sel_hi:[0,0]
	v_pk_fma_f32 v[6:7], v[8:9], v[28:29], v[4:5] neg_lo:[0,0,1] neg_hi:[0,0,1]
	v_pk_fma_f32 v[4:5], v[8:9], v[28:29], v[4:5] op_sel_hi:[1,0,1]
	v_pk_add_f32 v[2:3], v[2:3], v[18:19]
	v_mov_b32_e32 v7, v5
	s_waitcnt vmcnt(1) lgkmcnt(0)
	v_pk_mul_f32 v[4:5], v[14:15], v[10:11] op_sel:[1,1] op_sel_hi:[0,1]
	v_pk_add_f32 v[2:3], v[2:3], v[6:7]
	v_pk_fma_f32 v[6:7], v[14:15], v[10:11], v[4:5] neg_lo:[0,0,1] neg_hi:[0,0,1]
	v_pk_fma_f32 v[4:5], v[14:15], v[10:11], v[4:5] op_sel_hi:[1,0,1]
	s_nop 0
	v_mov_b32_e32 v4, v13
	v_mov_b32_e32 v7, v5
	v_pk_mul_f32 v[4:5], v[16:17], v[4:5] op_sel:[1,0] op_sel_hi:[0,0]
	v_pk_add_f32 v[2:3], v[2:3], v[6:7]
	v_pk_fma_f32 v[6:7], v[16:17], v[12:13], v[4:5] neg_lo:[0,0,1] neg_hi:[0,0,1]
	v_pk_fma_f32 v[4:5], v[16:17], v[12:13], v[4:5] op_sel_hi:[1,0,1]
	s_nop 0
	v_mov_b32_e32 v7, v5
	v_pk_add_f32 v[2:3], v[2:3], v[6:7]
	s_waitcnt vmcnt(0)
	v_pk_add_f32 v[2:3], v[96:97], v[2:3] neg_lo:[0,1] neg_hi:[0,1]
	scratch_store_dwordx2 off, v[2:3], off offset:128
	s_and_saveexec_b64 s[0:1], vcc
	s_cbranch_execz .LBB42_241
; %bb.240:
	scratch_load_dwordx2 v[2:3], off, off offset:120
	v_mov_b32_e32 v4, 0
	v_mov_b32_e32 v5, v4
	scratch_store_dwordx2 off, v[4:5], off offset:120
	s_waitcnt vmcnt(1)
	ds_write_b64 v1, v[2:3]
.LBB42_241:
	s_or_b64 exec, exec, s[0:1]
	s_waitcnt lgkmcnt(0)
	; wave barrier
	scratch_load_dwordx4 v[18:21], off, off offset:128
	scratch_load_dwordx4 v[30:33], off, off offset:144
	;; [unrolled: 1-line block ×13, first 2 shown]
	scratch_load_dwordx2 v[54:55], off, off offset:336
	scratch_load_dwordx2 v[80:81], off, off offset:120
	v_mov_b32_e32 v82, 0
	ds_read_b128 v[56:59], v82 offset:480
	ds_read_b128 v[60:63], v82 offset:496
	;; [unrolled: 1-line block ×10, first 2 shown]
	v_cmp_lt_u32_e32 vcc, 14, v0
	s_waitcnt vmcnt(14) lgkmcnt(9)
	v_mul_f32_e32 v83, v56, v19
	v_mul_f32_e32 v100, v58, v21
	s_waitcnt vmcnt(12) lgkmcnt(7)
	v_mul_f32_e32 v105, v64, v3
	v_mul_f32_e32 v3, v65, v3
	v_fmac_f32_e32 v83, v57, v18
	v_mul_f32_e32 v102, v60, v31
	v_fmac_f32_e32 v100, v59, v20
	v_fmac_f32_e32 v105, v65, v2
	v_fma_f32 v2, v64, v2, -v3
	v_add_f32_e32 v3, 0, v83
	v_mul_f32_e32 v104, v62, v33
	v_fmac_f32_e32 v102, v61, v30
	v_add_f32_e32 v3, v3, v100
	v_fmac_f32_e32 v104, v63, v32
	v_add_f32_e32 v3, v3, v102
	v_mul_f32_e32 v106, v66, v5
	v_add_f32_e32 v3, v3, v104
	s_waitcnt vmcnt(11) lgkmcnt(6)
	v_mul_f32_e32 v107, v68, v7
	v_fmac_f32_e32 v106, v67, v4
	v_add_f32_e32 v3, v3, v105
	v_mul_f32_e32 v108, v70, v9
	v_fmac_f32_e32 v107, v69, v6
	v_add_f32_e32 v3, v3, v106
	s_waitcnt vmcnt(10) lgkmcnt(5)
	v_mul_f32_e32 v109, v72, v15
	v_fmac_f32_e32 v108, v71, v8
	v_add_f32_e32 v3, v3, v107
	v_mul_f32_e32 v110, v74, v17
	v_fmac_f32_e32 v109, v73, v14
	;; [unrolled: 7-line block ×3, first 2 shown]
	v_add_f32_e32 v3, v3, v110
	s_waitcnt vmcnt(8) lgkmcnt(3)
	v_mul_f32_e32 v113, v84, v35
	v_mul_f32_e32 v19, v57, v19
	v_fmac_f32_e32 v112, v79, v24
	v_add_f32_e32 v3, v3, v111
	v_mul_f32_e32 v114, v86, v37
	v_mul_f32_e32 v21, v59, v21
	v_fmac_f32_e32 v113, v85, v34
	v_fma_f32 v18, v56, v18, -v19
	v_add_f32_e32 v3, v3, v112
	s_waitcnt vmcnt(7) lgkmcnt(2)
	v_mul_f32_e32 v115, v88, v39
	v_mul_f32_e32 v31, v61, v31
	v_fmac_f32_e32 v114, v87, v36
	v_fma_f32 v19, v58, v20, -v21
	v_add_f32_e32 v18, 0, v18
	v_add_f32_e32 v3, v3, v113
	v_mul_f32_e32 v116, v90, v41
	v_mul_f32_e32 v33, v63, v33
	v_fmac_f32_e32 v115, v89, v38
	v_fma_f32 v20, v60, v30, -v31
	v_add_f32_e32 v18, v18, v19
	v_add_f32_e32 v3, v3, v114
	s_waitcnt vmcnt(6) lgkmcnt(1)
	v_mul_f32_e32 v117, v92, v51
	v_fmac_f32_e32 v116, v91, v40
	v_fma_f32 v21, v62, v32, -v33
	v_add_f32_e32 v18, v18, v20
	v_add_f32_e32 v3, v3, v115
	v_mul_f32_e32 v5, v67, v5
	v_fmac_f32_e32 v117, v93, v50
	v_add_f32_e32 v18, v18, v21
	v_add_f32_e32 v3, v3, v116
	;; [unrolled: 1-line block ×4, first 2 shown]
	v_fma_f32 v3, v66, v4, -v5
	v_add_f32_e32 v2, v2, v3
	v_mul_f32_e32 v3, v69, v7
	v_fma_f32 v3, v68, v6, -v3
	v_add_f32_e32 v2, v2, v3
	v_mul_f32_e32 v3, v71, v9
	;; [unrolled: 3-line block ×12, first 2 shown]
	v_mul_f32_e32 v101, v94, v53
	v_fma_f32 v100, v94, v52, -v2
	s_waitcnt vmcnt(5) lgkmcnt(0)
	v_mul_f32_e32 v2, v97, v47
	v_mov_b32_e32 v22, v49
	v_mul_f32_e32 v103, v96, v47
	v_fmac_f32_e32 v101, v95, v52
	v_fma_f32 v102, v96, v46, -v2
	ds_read_b128 v[2:5], v82 offset:640
	ds_read_b128 v[6:9], v82 offset:656
	;; [unrolled: 1-line block ×3, first 2 shown]
	ds_read_b64 v[20:21], v82 offset:688
	v_pk_mul_f32 v[22:23], v[98:99], v[22:23] op_sel:[1,0] op_sel_hi:[0,0]
	v_fmac_f32_e32 v103, v97, v46
	v_pk_add_f32 v[18:19], v[18:19], v[100:101]
	v_pk_fma_f32 v[24:25], v[98:99], v[48:49], v[22:23] neg_lo:[0,0,1] neg_hi:[0,0,1]
	v_pk_fma_f32 v[22:23], v[98:99], v[48:49], v[22:23] op_sel_hi:[1,0,1]
	v_pk_add_f32 v[18:19], v[18:19], v[102:103]
	v_mov_b32_e32 v25, v23
	s_waitcnt vmcnt(4) lgkmcnt(3)
	v_pk_mul_f32 v[22:23], v[2:3], v[42:43] op_sel:[1,1] op_sel_hi:[0,1]
	v_pk_add_f32 v[18:19], v[18:19], v[24:25]
	v_pk_fma_f32 v[24:25], v[2:3], v[42:43], v[22:23] neg_lo:[0,0,1] neg_hi:[0,0,1]
	v_pk_fma_f32 v[2:3], v[2:3], v[42:43], v[22:23] op_sel_hi:[1,0,1]
	s_nop 0
	v_mov_b32_e32 v25, v3
	v_pk_add_f32 v[2:3], v[18:19], v[24:25]
	v_mov_b32_e32 v18, v45
	v_pk_mul_f32 v[18:19], v[4:5], v[18:19] op_sel:[1,0] op_sel_hi:[0,0]
	v_pk_fma_f32 v[22:23], v[4:5], v[44:45], v[18:19] neg_lo:[0,0,1] neg_hi:[0,0,1]
	v_pk_fma_f32 v[4:5], v[4:5], v[44:45], v[18:19] op_sel_hi:[1,0,1]
	s_nop 0
	v_mov_b32_e32 v23, v5
	s_waitcnt vmcnt(3) lgkmcnt(2)
	v_pk_mul_f32 v[4:5], v[6:7], v[26:27] op_sel:[1,1] op_sel_hi:[0,1]
	v_pk_fma_f32 v[18:19], v[6:7], v[26:27], v[4:5] neg_lo:[0,0,1] neg_hi:[0,0,1]
	v_pk_fma_f32 v[4:5], v[6:7], v[26:27], v[4:5] op_sel_hi:[1,0,1]
	v_pk_add_f32 v[2:3], v[2:3], v[22:23]
	v_mov_b32_e32 v4, v29
	v_mov_b32_e32 v19, v5
	v_pk_mul_f32 v[4:5], v[8:9], v[4:5] op_sel:[1,0] op_sel_hi:[0,0]
	v_pk_fma_f32 v[6:7], v[8:9], v[28:29], v[4:5] neg_lo:[0,0,1] neg_hi:[0,0,1]
	v_pk_fma_f32 v[4:5], v[8:9], v[28:29], v[4:5] op_sel_hi:[1,0,1]
	v_pk_add_f32 v[2:3], v[2:3], v[18:19]
	v_mov_b32_e32 v7, v5
	s_waitcnt vmcnt(2) lgkmcnt(1)
	v_pk_mul_f32 v[4:5], v[14:15], v[10:11] op_sel:[1,1] op_sel_hi:[0,1]
	v_pk_add_f32 v[2:3], v[2:3], v[6:7]
	v_pk_fma_f32 v[6:7], v[14:15], v[10:11], v[4:5] neg_lo:[0,0,1] neg_hi:[0,0,1]
	v_pk_fma_f32 v[4:5], v[14:15], v[10:11], v[4:5] op_sel_hi:[1,0,1]
	s_nop 0
	v_mov_b32_e32 v4, v13
	v_mov_b32_e32 v7, v5
	v_pk_mul_f32 v[4:5], v[16:17], v[4:5] op_sel:[1,0] op_sel_hi:[0,0]
	v_pk_add_f32 v[2:3], v[2:3], v[6:7]
	v_pk_fma_f32 v[6:7], v[16:17], v[12:13], v[4:5] neg_lo:[0,0,1] neg_hi:[0,0,1]
	v_pk_fma_f32 v[4:5], v[16:17], v[12:13], v[4:5] op_sel_hi:[1,0,1]
	s_nop 0
	v_mov_b32_e32 v7, v5
	s_waitcnt vmcnt(1) lgkmcnt(0)
	v_pk_mul_f32 v[4:5], v[20:21], v[54:55] op_sel:[1,1] op_sel_hi:[0,1]
	v_pk_add_f32 v[2:3], v[2:3], v[6:7]
	v_pk_fma_f32 v[6:7], v[20:21], v[54:55], v[4:5] neg_lo:[0,0,1] neg_hi:[0,0,1]
	v_pk_fma_f32 v[4:5], v[20:21], v[54:55], v[4:5] op_sel_hi:[1,0,1]
	s_nop 0
	v_mov_b32_e32 v7, v5
	v_pk_add_f32 v[2:3], v[2:3], v[6:7]
	s_waitcnt vmcnt(0)
	v_pk_add_f32 v[2:3], v[80:81], v[2:3] neg_lo:[0,1] neg_hi:[0,1]
	scratch_store_dwordx2 off, v[2:3], off offset:120
	s_and_saveexec_b64 s[0:1], vcc
	s_cbranch_execz .LBB42_243
; %bb.242:
	scratch_load_dwordx2 v[2:3], off, off offset:112
	v_mov_b32_e32 v83, v82
	scratch_store_dwordx2 off, v[82:83], off offset:112
	s_waitcnt vmcnt(1)
	ds_write_b64 v1, v[2:3]
.LBB42_243:
	s_or_b64 exec, exec, s[0:1]
	s_waitcnt lgkmcnt(0)
	; wave barrier
	scratch_load_dwordx4 v[10:13], off, off offset:120
	scratch_load_dwordx4 v[26:29], off, off offset:136
	;; [unrolled: 1-line block ×10, first 2 shown]
	ds_read2_b64 v[84:87], v82 offset0:59 offset1:60
	ds_read2_b64 v[88:91], v82 offset0:61 offset1:62
	;; [unrolled: 1-line block ×10, first 2 shown]
	scratch_load_dwordx4 v[54:57], off, off offset:280
	scratch_load_dwordx4 v[46:49], off, off offset:296
	;; [unrolled: 1-line block ×4, first 2 shown]
	scratch_load_dwordx2 v[100:101], off, off offset:112
	v_cmp_lt_u32_e32 vcc, 13, v0
	s_waitcnt vmcnt(14) lgkmcnt(9)
	v_mul_f32_e32 v83, v84, v11
	v_mul_f32_e32 v102, v86, v13
	s_waitcnt vmcnt(12) lgkmcnt(7)
	v_mul_f32_e32 v107, v92, v3
	v_mul_f32_e32 v3, v93, v3
	v_fmac_f32_e32 v83, v85, v10
	v_mul_f32_e32 v104, v88, v27
	v_fmac_f32_e32 v102, v87, v12
	v_fmac_f32_e32 v107, v93, v2
	v_fma_f32 v2, v92, v2, -v3
	v_add_f32_e32 v3, 0, v83
	v_mul_f32_e32 v106, v90, v29
	v_fmac_f32_e32 v104, v89, v26
	v_add_f32_e32 v3, v3, v102
	v_fmac_f32_e32 v106, v91, v28
	v_add_f32_e32 v3, v3, v104
	v_mul_f32_e32 v108, v94, v5
	v_add_f32_e32 v3, v3, v106
	s_waitcnt vmcnt(11) lgkmcnt(6)
	v_mul_f32_e32 v109, v96, v7
	v_fmac_f32_e32 v108, v95, v4
	v_add_f32_e32 v3, v3, v107
	v_mul_f32_e32 v110, v98, v9
	v_fmac_f32_e32 v109, v97, v6
	v_add_f32_e32 v3, v3, v108
	s_waitcnt vmcnt(10) lgkmcnt(5)
	v_mul_f32_e32 v111, v78, v15
	v_fmac_f32_e32 v110, v99, v8
	v_add_f32_e32 v3, v3, v109
	v_mul_f32_e32 v112, v80, v17
	v_fmac_f32_e32 v111, v79, v14
	;; [unrolled: 7-line block ×4, first 2 shown]
	v_add_f32_e32 v3, v3, v114
	s_waitcnt vmcnt(7) lgkmcnt(2)
	v_mul_f32_e32 v117, v66, v39
	v_mul_f32_e32 v11, v85, v11
	v_fmac_f32_e32 v116, v73, v32
	v_add_f32_e32 v3, v3, v115
	v_mul_f32_e32 v118, v68, v41
	v_mul_f32_e32 v13, v87, v13
	v_fmac_f32_e32 v117, v67, v38
	v_fma_f32 v10, v84, v10, -v11
	v_add_f32_e32 v3, v3, v116
	s_waitcnt vmcnt(6) lgkmcnt(1)
	v_mul_f32_e32 v119, v62, v43
	v_mul_f32_e32 v27, v89, v27
	v_fmac_f32_e32 v118, v69, v40
	v_fma_f32 v11, v86, v12, -v13
	v_add_f32_e32 v10, 0, v10
	v_add_f32_e32 v3, v3, v117
	v_mul_f32_e32 v120, v64, v45
	v_mul_f32_e32 v29, v91, v29
	v_fmac_f32_e32 v119, v63, v42
	v_fma_f32 v12, v88, v26, -v27
	v_add_f32_e32 v10, v10, v11
	v_add_f32_e32 v3, v3, v118
	v_fmac_f32_e32 v120, v65, v44
	v_fma_f32 v13, v90, v28, -v29
	v_add_f32_e32 v10, v10, v12
	v_add_f32_e32 v3, v3, v119
	;; [unrolled: 1-line block ×4, first 2 shown]
	v_mul_f32_e32 v3, v95, v5
	v_add_f32_e32 v2, v10, v2
	v_fma_f32 v3, v94, v4, -v3
	v_add_f32_e32 v2, v2, v3
	v_mul_f32_e32 v3, v97, v7
	v_fma_f32 v3, v96, v6, -v3
	v_add_f32_e32 v2, v2, v3
	v_mul_f32_e32 v3, v99, v9
	;; [unrolled: 3-line block ×12, first 2 shown]
	v_fma_f32 v3, v64, v44, -v3
	v_add_f32_e32 v26, v2, v3
	s_waitcnt vmcnt(5) lgkmcnt(0)
	v_mul_f32_e32 v2, v59, v51
	v_fma_f32 v102, v58, v50, -v2
	v_mul_f32_e32 v2, v61, v53
	v_fma_f32 v104, v60, v52, -v2
	ds_read2_b64 v[2:5], v82 offset0:79 offset1:80
	ds_read2_b64 v[6:9], v82 offset0:81 offset1:82
	;; [unrolled: 1-line block ×4, first 2 shown]
	v_mul_f32_e32 v103, v58, v51
	v_mul_f32_e32 v105, v60, v53
	v_fmac_f32_e32 v103, v59, v50
	s_waitcnt vmcnt(4) lgkmcnt(3)
	v_pk_mul_f32 v[24:25], v[2:3], v[54:55] op_sel:[1,1] op_sel_hi:[0,1]
	v_fmac_f32_e32 v105, v61, v52
	v_pk_add_f32 v[22:23], v[26:27], v[102:103]
	v_pk_fma_f32 v[26:27], v[2:3], v[54:55], v[24:25] neg_lo:[0,0,1] neg_hi:[0,0,1]
	v_pk_fma_f32 v[2:3], v[2:3], v[54:55], v[24:25] op_sel_hi:[1,0,1]
	v_pk_add_f32 v[22:23], v[22:23], v[104:105]
	v_mov_b32_e32 v27, v3
	v_pk_add_f32 v[2:3], v[22:23], v[26:27]
	v_mov_b32_e32 v22, v57
	v_pk_mul_f32 v[22:23], v[4:5], v[22:23] op_sel:[1,0] op_sel_hi:[0,0]
	v_pk_fma_f32 v[24:25], v[4:5], v[56:57], v[22:23] neg_lo:[0,0,1] neg_hi:[0,0,1]
	v_pk_fma_f32 v[4:5], v[4:5], v[56:57], v[22:23] op_sel_hi:[1,0,1]
	s_nop 0
	v_mov_b32_e32 v25, v5
	s_waitcnt vmcnt(3) lgkmcnt(2)
	v_pk_mul_f32 v[4:5], v[6:7], v[46:47] op_sel:[1,1] op_sel_hi:[0,1]
	v_pk_fma_f32 v[22:23], v[6:7], v[46:47], v[4:5] neg_lo:[0,0,1] neg_hi:[0,0,1]
	v_pk_fma_f32 v[4:5], v[6:7], v[46:47], v[4:5] op_sel_hi:[1,0,1]
	v_pk_add_f32 v[2:3], v[2:3], v[24:25]
	v_mov_b32_e32 v4, v49
	v_mov_b32_e32 v23, v5
	v_pk_mul_f32 v[4:5], v[8:9], v[4:5] op_sel:[1,0] op_sel_hi:[0,0]
	v_pk_fma_f32 v[6:7], v[8:9], v[48:49], v[4:5] neg_lo:[0,0,1] neg_hi:[0,0,1]
	v_pk_fma_f32 v[4:5], v[8:9], v[48:49], v[4:5] op_sel_hi:[1,0,1]
	v_pk_add_f32 v[2:3], v[2:3], v[22:23]
	v_mov_b32_e32 v7, v5
	s_waitcnt vmcnt(2) lgkmcnt(1)
	v_pk_mul_f32 v[4:5], v[10:11], v[34:35] op_sel:[1,1] op_sel_hi:[0,1]
	v_pk_add_f32 v[2:3], v[2:3], v[6:7]
	v_pk_fma_f32 v[6:7], v[10:11], v[34:35], v[4:5] neg_lo:[0,0,1] neg_hi:[0,0,1]
	v_pk_fma_f32 v[4:5], v[10:11], v[34:35], v[4:5] op_sel_hi:[1,0,1]
	s_nop 0
	v_mov_b32_e32 v4, v37
	v_mov_b32_e32 v7, v5
	v_pk_mul_f32 v[4:5], v[12:13], v[4:5] op_sel:[1,0] op_sel_hi:[0,0]
	v_pk_add_f32 v[2:3], v[2:3], v[6:7]
	v_pk_fma_f32 v[6:7], v[12:13], v[36:37], v[4:5] neg_lo:[0,0,1] neg_hi:[0,0,1]
	v_pk_fma_f32 v[4:5], v[12:13], v[36:37], v[4:5] op_sel_hi:[1,0,1]
	s_nop 0
	v_mov_b32_e32 v7, v5
	s_waitcnt vmcnt(1) lgkmcnt(0)
	v_pk_mul_f32 v[4:5], v[14:15], v[18:19] op_sel:[1,1] op_sel_hi:[0,1]
	v_pk_add_f32 v[2:3], v[2:3], v[6:7]
	v_pk_fma_f32 v[6:7], v[14:15], v[18:19], v[4:5] neg_lo:[0,0,1] neg_hi:[0,0,1]
	v_pk_fma_f32 v[4:5], v[14:15], v[18:19], v[4:5] op_sel_hi:[1,0,1]
	s_nop 0
	v_mov_b32_e32 v4, v21
	v_mov_b32_e32 v7, v5
	v_pk_mul_f32 v[4:5], v[16:17], v[4:5] op_sel:[1,0] op_sel_hi:[0,0]
	v_pk_add_f32 v[2:3], v[2:3], v[6:7]
	v_pk_fma_f32 v[6:7], v[16:17], v[20:21], v[4:5] neg_lo:[0,0,1] neg_hi:[0,0,1]
	v_pk_fma_f32 v[4:5], v[16:17], v[20:21], v[4:5] op_sel_hi:[1,0,1]
	s_nop 0
	v_mov_b32_e32 v7, v5
	v_pk_add_f32 v[2:3], v[2:3], v[6:7]
	s_waitcnt vmcnt(0)
	v_pk_add_f32 v[2:3], v[100:101], v[2:3] neg_lo:[0,1] neg_hi:[0,1]
	scratch_store_dwordx2 off, v[2:3], off offset:112
	s_and_saveexec_b64 s[0:1], vcc
	s_cbranch_execz .LBB42_245
; %bb.244:
	scratch_load_dwordx2 v[2:3], off, off offset:104
	v_mov_b32_e32 v4, 0
	v_mov_b32_e32 v5, v4
	scratch_store_dwordx2 off, v[4:5], off offset:104
	s_waitcnt vmcnt(1)
	ds_write_b64 v1, v[2:3]
.LBB42_245:
	s_or_b64 exec, exec, s[0:1]
	s_waitcnt lgkmcnt(0)
	; wave barrier
	scratch_load_dwordx4 v[26:29], off, off offset:112
	scratch_load_dwordx4 v[2:5], off, off offset:128
	;; [unrolled: 1-line block ×14, first 2 shown]
	scratch_load_dwordx2 v[58:59], off, off offset:336
	scratch_load_dwordx2 v[100:101], off, off offset:104
	v_mov_b32_e32 v102, 0
	ds_read_b128 v[60:63], v102 offset:464
	ds_read_b128 v[64:67], v102 offset:480
	;; [unrolled: 1-line block ×12, first 2 shown]
	v_cmp_lt_u32_e32 vcc, 12, v0
	s_waitcnt vmcnt(15) lgkmcnt(11)
	v_mul_f32_e32 v103, v60, v27
	v_mul_f32_e32 v112, v62, v29
	s_waitcnt vmcnt(14) lgkmcnt(10)
	v_mul_f32_e32 v114, v64, v3
	v_mul_f32_e32 v3, v65, v3
	v_fmac_f32_e32 v103, v61, v26
	v_fmac_f32_e32 v112, v63, v28
	;; [unrolled: 1-line block ×3, first 2 shown]
	v_fma_f32 v2, v64, v2, -v3
	v_add_f32_e32 v3, 0, v103
	v_mul_f32_e32 v116, v66, v5
	v_add_f32_e32 v3, v3, v112
	s_waitcnt vmcnt(13) lgkmcnt(9)
	v_mul_f32_e32 v117, v68, v7
	v_fmac_f32_e32 v116, v67, v4
	v_add_f32_e32 v3, v3, v114
	v_mul_f32_e32 v118, v70, v9
	v_fmac_f32_e32 v117, v69, v6
	v_add_f32_e32 v3, v3, v116
	s_waitcnt vmcnt(12) lgkmcnt(8)
	v_mul_f32_e32 v119, v72, v11
	v_fmac_f32_e32 v118, v71, v8
	v_add_f32_e32 v3, v3, v117
	v_mul_f32_e32 v120, v74, v13
	v_fmac_f32_e32 v119, v73, v10
	;; [unrolled: 7-line block ×6, first 2 shown]
	v_add_f32_e32 v3, v3, v212
	s_waitcnt vmcnt(7) lgkmcnt(3)
	v_mul_f32_e32 v215, v92, v43
	v_fmac_f32_e32 v214, v91, v40
	v_add_f32_e32 v3, v3, v213
	v_mul_f32_e32 v216, v94, v45
	v_mul_f32_e32 v27, v61, v27
	v_fmac_f32_e32 v215, v93, v42
	v_add_f32_e32 v3, v3, v214
	s_waitcnt vmcnt(6) lgkmcnt(2)
	v_mul_f32_e32 v217, v96, v51
	v_mul_f32_e32 v29, v63, v29
	v_fmac_f32_e32 v216, v95, v44
	v_fma_f32 v26, v60, v26, -v27
	v_add_f32_e32 v3, v3, v215
	v_fmac_f32_e32 v217, v97, v50
	v_fma_f32 v27, v62, v28, -v29
	v_add_f32_e32 v26, 0, v26
	v_add_f32_e32 v3, v3, v216
	;; [unrolled: 1-line block ×4, first 2 shown]
	v_mul_f32_e32 v3, v67, v5
	v_add_f32_e32 v2, v26, v2
	v_fma_f32 v3, v66, v4, -v3
	v_add_f32_e32 v2, v2, v3
	v_mul_f32_e32 v3, v69, v7
	v_fma_f32 v3, v68, v6, -v3
	v_add_f32_e32 v2, v2, v3
	v_mul_f32_e32 v3, v71, v9
	;; [unrolled: 3-line block ×15, first 2 shown]
	v_fma_f32 v3, v96, v50, -v3
	v_mul_f32_e32 v113, v98, v53
	v_add_f32_e32 v26, v2, v3
	v_mul_f32_e32 v2, v99, v53
	s_waitcnt vmcnt(5)
	v_mov_b32_e32 v14, v57
	s_waitcnt lgkmcnt(1)
	v_mul_f32_e32 v115, v104, v55
	v_fmac_f32_e32 v113, v99, v52
	v_fma_f32 v112, v98, v52, -v2
	v_mul_f32_e32 v2, v105, v55
	v_pk_mul_f32 v[14:15], v[106:107], v[14:15] op_sel:[1,0] op_sel_hi:[0,0]
	v_fmac_f32_e32 v115, v105, v54
	v_fma_f32 v114, v104, v54, -v2
	v_pk_add_f32 v[12:13], v[26:27], v[112:113]
	v_pk_fma_f32 v[16:17], v[106:107], v[56:57], v[14:15] neg_lo:[0,0,1] neg_hi:[0,0,1]
	v_pk_fma_f32 v[14:15], v[106:107], v[56:57], v[14:15] op_sel_hi:[1,0,1]
	v_pk_add_f32 v[12:13], v[12:13], v[114:115]
	v_mov_b32_e32 v17, v15
	s_waitcnt vmcnt(4) lgkmcnt(0)
	v_pk_mul_f32 v[14:15], v[108:109], v[46:47] op_sel:[1,1] op_sel_hi:[0,1]
	v_pk_add_f32 v[12:13], v[12:13], v[16:17]
	v_pk_fma_f32 v[16:17], v[108:109], v[46:47], v[14:15] neg_lo:[0,0,1] neg_hi:[0,0,1]
	v_pk_fma_f32 v[14:15], v[108:109], v[46:47], v[14:15] op_sel_hi:[1,0,1]
	ds_read_b128 v[2:5], v102 offset:656
	ds_read_b128 v[6:9], v102 offset:672
	ds_read_b64 v[10:11], v102 offset:688
	v_mov_b32_e32 v14, v49
	v_mov_b32_e32 v17, v15
	v_pk_mul_f32 v[14:15], v[110:111], v[14:15] op_sel:[1,0] op_sel_hi:[0,0]
	v_pk_add_f32 v[12:13], v[12:13], v[16:17]
	v_pk_fma_f32 v[16:17], v[110:111], v[48:49], v[14:15] neg_lo:[0,0,1] neg_hi:[0,0,1]
	v_pk_fma_f32 v[14:15], v[110:111], v[48:49], v[14:15] op_sel_hi:[1,0,1]
	s_nop 0
	v_mov_b32_e32 v17, v15
	s_waitcnt vmcnt(3) lgkmcnt(2)
	v_pk_mul_f32 v[14:15], v[2:3], v[34:35] op_sel:[1,1] op_sel_hi:[0,1]
	v_pk_add_f32 v[12:13], v[12:13], v[16:17]
	v_pk_fma_f32 v[16:17], v[2:3], v[34:35], v[14:15] neg_lo:[0,0,1] neg_hi:[0,0,1]
	v_pk_fma_f32 v[2:3], v[2:3], v[34:35], v[14:15] op_sel_hi:[1,0,1]
	s_nop 0
	v_mov_b32_e32 v17, v3
	v_pk_add_f32 v[2:3], v[12:13], v[16:17]
	v_mov_b32_e32 v12, v37
	v_pk_mul_f32 v[12:13], v[4:5], v[12:13] op_sel:[1,0] op_sel_hi:[0,0]
	v_pk_fma_f32 v[14:15], v[4:5], v[36:37], v[12:13] neg_lo:[0,0,1] neg_hi:[0,0,1]
	v_pk_fma_f32 v[4:5], v[4:5], v[36:37], v[12:13] op_sel_hi:[1,0,1]
	s_nop 0
	v_mov_b32_e32 v15, v5
	s_waitcnt vmcnt(2) lgkmcnt(1)
	v_pk_mul_f32 v[4:5], v[6:7], v[18:19] op_sel:[1,1] op_sel_hi:[0,1]
	v_pk_fma_f32 v[12:13], v[6:7], v[18:19], v[4:5] neg_lo:[0,0,1] neg_hi:[0,0,1]
	v_pk_fma_f32 v[4:5], v[6:7], v[18:19], v[4:5] op_sel_hi:[1,0,1]
	v_pk_add_f32 v[2:3], v[2:3], v[14:15]
	v_mov_b32_e32 v4, v21
	v_mov_b32_e32 v13, v5
	v_pk_mul_f32 v[4:5], v[8:9], v[4:5] op_sel:[1,0] op_sel_hi:[0,0]
	v_pk_fma_f32 v[6:7], v[8:9], v[20:21], v[4:5] neg_lo:[0,0,1] neg_hi:[0,0,1]
	v_pk_fma_f32 v[4:5], v[8:9], v[20:21], v[4:5] op_sel_hi:[1,0,1]
	v_pk_add_f32 v[2:3], v[2:3], v[12:13]
	v_mov_b32_e32 v7, v5
	s_waitcnt vmcnt(1) lgkmcnt(0)
	v_pk_mul_f32 v[4:5], v[10:11], v[58:59] op_sel:[1,1] op_sel_hi:[0,1]
	v_pk_add_f32 v[2:3], v[2:3], v[6:7]
	v_pk_fma_f32 v[6:7], v[10:11], v[58:59], v[4:5] neg_lo:[0,0,1] neg_hi:[0,0,1]
	v_pk_fma_f32 v[4:5], v[10:11], v[58:59], v[4:5] op_sel_hi:[1,0,1]
	s_nop 0
	v_mov_b32_e32 v7, v5
	v_pk_add_f32 v[2:3], v[2:3], v[6:7]
	s_waitcnt vmcnt(0)
	v_pk_add_f32 v[2:3], v[100:101], v[2:3] neg_lo:[0,1] neg_hi:[0,1]
	scratch_store_dwordx2 off, v[2:3], off offset:104
	s_and_saveexec_b64 s[0:1], vcc
	s_cbranch_execz .LBB42_247
; %bb.246:
	scratch_load_dwordx2 v[2:3], off, off offset:96
	v_mov_b32_e32 v103, v102
	scratch_store_dwordx2 off, v[102:103], off offset:96
	s_waitcnt vmcnt(1)
	ds_write_b64 v1, v[2:3]
.LBB42_247:
	s_or_b64 exec, exec, s[0:1]
	s_waitcnt lgkmcnt(0)
	; wave barrier
	scratch_load_dwordx4 v[18:21], off, off offset:104
	scratch_load_dwordx4 v[2:5], off, off offset:120
	;; [unrolled: 1-line block ×11, first 2 shown]
	ds_read2_b64 v[104:107], v102 offset0:57 offset1:58
	ds_read2_b64 v[98:101], v102 offset0:59 offset1:60
	;; [unrolled: 1-line block ×10, first 2 shown]
	scratch_load_dwordx4 v[58:61], off, off offset:280
	scratch_load_dwordx4 v[50:53], off, off offset:296
	;; [unrolled: 1-line block ×4, first 2 shown]
	ds_read2_b64 v[78:81], v102 offset0:77 offset1:78
	ds_read2_b64 v[108:111], v102 offset0:79 offset1:80
	scratch_load_dwordx2 v[112:113], off, off offset:96
	v_cmp_lt_u32_e32 vcc, 11, v0
	s_waitcnt vmcnt(15) lgkmcnt(11)
	v_mul_f32_e32 v103, v104, v19
	v_mul_f32_e32 v114, v106, v21
	s_waitcnt vmcnt(14) lgkmcnt(10)
	v_mul_f32_e32 v116, v98, v3
	v_mul_f32_e32 v3, v99, v3
	v_fmac_f32_e32 v103, v105, v18
	v_fmac_f32_e32 v114, v107, v20
	;; [unrolled: 1-line block ×3, first 2 shown]
	v_fma_f32 v2, v98, v2, -v3
	v_add_f32_e32 v3, 0, v103
	v_mul_f32_e32 v118, v100, v5
	v_add_f32_e32 v3, v3, v114
	s_waitcnt vmcnt(13) lgkmcnt(9)
	v_mul_f32_e32 v119, v94, v7
	v_fmac_f32_e32 v118, v101, v4
	v_add_f32_e32 v3, v3, v116
	v_mul_f32_e32 v120, v96, v9
	v_fmac_f32_e32 v119, v95, v6
	v_add_f32_e32 v3, v3, v118
	s_waitcnt vmcnt(12) lgkmcnt(8)
	v_mul_f32_e32 v121, v90, v11
	v_fmac_f32_e32 v120, v97, v8
	v_add_f32_e32 v3, v3, v119
	v_mul_f32_e32 v122, v92, v13
	v_fmac_f32_e32 v121, v91, v10
	;; [unrolled: 7-line block ×7, first 2 shown]
	v_add_f32_e32 v3, v3, v216
	s_waitcnt vmcnt(6) lgkmcnt(2)
	v_mul_f32_e32 v219, v62, v47
	v_mul_f32_e32 v19, v105, v19
	v_fmac_f32_e32 v218, v69, v44
	v_add_f32_e32 v3, v3, v217
	v_mul_f32_e32 v220, v64, v49
	v_mul_f32_e32 v21, v107, v21
	v_fmac_f32_e32 v219, v63, v46
	v_fma_f32 v18, v104, v18, -v19
	v_add_f32_e32 v3, v3, v218
	v_fmac_f32_e32 v220, v65, v48
	v_fma_f32 v19, v106, v20, -v21
	v_add_f32_e32 v18, 0, v18
	v_add_f32_e32 v3, v3, v219
	v_add_f32_e32 v18, v18, v19
	v_add_f32_e32 v19, v3, v220
	v_mul_f32_e32 v3, v101, v5
	v_add_f32_e32 v2, v18, v2
	v_fma_f32 v3, v100, v4, -v3
	v_add_f32_e32 v2, v2, v3
	v_mul_f32_e32 v3, v95, v7
	v_fma_f32 v3, v94, v6, -v3
	v_add_f32_e32 v2, v2, v3
	v_mul_f32_e32 v3, v97, v9
	;; [unrolled: 3-line block ×16, first 2 shown]
	v_fma_f32 v3, v64, v48, -v3
	s_waitcnt vmcnt(5) lgkmcnt(1)
	v_mul_f32_e32 v115, v78, v55
	v_add_f32_e32 v18, v2, v3
	v_mul_f32_e32 v2, v79, v55
	v_fmac_f32_e32 v115, v79, v54
	v_fma_f32 v114, v78, v54, -v2
	s_waitcnt vmcnt(4) lgkmcnt(0)
	v_pk_mul_f32 v[16:17], v[108:109], v[58:59] op_sel:[1,1] op_sel_hi:[0,1]
	v_mul_f32_e32 v117, v80, v57
	v_mul_f32_e32 v2, v81, v57
	v_pk_add_f32 v[14:15], v[18:19], v[114:115]
	v_pk_fma_f32 v[18:19], v[108:109], v[58:59], v[16:17] neg_lo:[0,0,1] neg_hi:[0,0,1]
	v_pk_fma_f32 v[16:17], v[108:109], v[58:59], v[16:17] op_sel_hi:[1,0,1]
	v_fmac_f32_e32 v117, v81, v56
	v_fma_f32 v116, v80, v56, -v2
	ds_read2_b64 v[2:5], v102 offset0:81 offset1:82
	ds_read2_b64 v[6:9], v102 offset0:83 offset1:84
	;; [unrolled: 1-line block ×3, first 2 shown]
	v_mov_b32_e32 v16, v61
	v_pk_add_f32 v[14:15], v[14:15], v[116:117]
	v_mov_b32_e32 v19, v17
	v_pk_mul_f32 v[16:17], v[110:111], v[16:17] op_sel:[1,0] op_sel_hi:[0,0]
	v_pk_add_f32 v[14:15], v[14:15], v[18:19]
	v_pk_fma_f32 v[18:19], v[110:111], v[60:61], v[16:17] neg_lo:[0,0,1] neg_hi:[0,0,1]
	v_pk_fma_f32 v[16:17], v[110:111], v[60:61], v[16:17] op_sel_hi:[1,0,1]
	s_nop 0
	v_mov_b32_e32 v19, v17
	s_waitcnt vmcnt(3) lgkmcnt(2)
	v_pk_mul_f32 v[16:17], v[2:3], v[50:51] op_sel:[1,1] op_sel_hi:[0,1]
	v_pk_add_f32 v[14:15], v[14:15], v[18:19]
	v_pk_fma_f32 v[18:19], v[2:3], v[50:51], v[16:17] neg_lo:[0,0,1] neg_hi:[0,0,1]
	v_pk_fma_f32 v[2:3], v[2:3], v[50:51], v[16:17] op_sel_hi:[1,0,1]
	s_nop 0
	v_mov_b32_e32 v19, v3
	v_pk_add_f32 v[2:3], v[14:15], v[18:19]
	v_mov_b32_e32 v14, v53
	v_pk_mul_f32 v[14:15], v[4:5], v[14:15] op_sel:[1,0] op_sel_hi:[0,0]
	v_pk_fma_f32 v[16:17], v[4:5], v[52:53], v[14:15] neg_lo:[0,0,1] neg_hi:[0,0,1]
	v_pk_fma_f32 v[4:5], v[4:5], v[52:53], v[14:15] op_sel_hi:[1,0,1]
	s_nop 0
	v_mov_b32_e32 v17, v5
	s_waitcnt vmcnt(2) lgkmcnt(1)
	v_pk_mul_f32 v[4:5], v[6:7], v[38:39] op_sel:[1,1] op_sel_hi:[0,1]
	v_pk_fma_f32 v[14:15], v[6:7], v[38:39], v[4:5] neg_lo:[0,0,1] neg_hi:[0,0,1]
	v_pk_fma_f32 v[4:5], v[6:7], v[38:39], v[4:5] op_sel_hi:[1,0,1]
	v_pk_add_f32 v[2:3], v[2:3], v[16:17]
	v_mov_b32_e32 v4, v41
	v_mov_b32_e32 v15, v5
	v_pk_mul_f32 v[4:5], v[8:9], v[4:5] op_sel:[1,0] op_sel_hi:[0,0]
	v_pk_fma_f32 v[6:7], v[8:9], v[40:41], v[4:5] neg_lo:[0,0,1] neg_hi:[0,0,1]
	v_pk_fma_f32 v[4:5], v[8:9], v[40:41], v[4:5] op_sel_hi:[1,0,1]
	v_pk_add_f32 v[2:3], v[2:3], v[14:15]
	v_mov_b32_e32 v7, v5
	s_waitcnt vmcnt(1) lgkmcnt(0)
	v_pk_mul_f32 v[4:5], v[10:11], v[26:27] op_sel:[1,1] op_sel_hi:[0,1]
	v_pk_add_f32 v[2:3], v[2:3], v[6:7]
	v_pk_fma_f32 v[6:7], v[10:11], v[26:27], v[4:5] neg_lo:[0,0,1] neg_hi:[0,0,1]
	v_pk_fma_f32 v[4:5], v[10:11], v[26:27], v[4:5] op_sel_hi:[1,0,1]
	s_nop 0
	v_mov_b32_e32 v4, v29
	v_mov_b32_e32 v7, v5
	v_pk_mul_f32 v[4:5], v[12:13], v[4:5] op_sel:[1,0] op_sel_hi:[0,0]
	v_pk_add_f32 v[2:3], v[2:3], v[6:7]
	v_pk_fma_f32 v[6:7], v[12:13], v[28:29], v[4:5] neg_lo:[0,0,1] neg_hi:[0,0,1]
	v_pk_fma_f32 v[4:5], v[12:13], v[28:29], v[4:5] op_sel_hi:[1,0,1]
	s_nop 0
	v_mov_b32_e32 v7, v5
	v_pk_add_f32 v[2:3], v[2:3], v[6:7]
	s_waitcnt vmcnt(0)
	v_pk_add_f32 v[2:3], v[112:113], v[2:3] neg_lo:[0,1] neg_hi:[0,1]
	scratch_store_dwordx2 off, v[2:3], off offset:96
	s_and_saveexec_b64 s[0:1], vcc
	s_cbranch_execz .LBB42_249
; %bb.248:
	scratch_load_dwordx2 v[2:3], off, off offset:88
	v_mov_b32_e32 v4, 0
	v_mov_b32_e32 v5, v4
	scratch_store_dwordx2 off, v[4:5], off offset:88
	s_waitcnt vmcnt(1)
	ds_write_b64 v1, v[2:3]
.LBB42_249:
	s_or_b64 exec, exec, s[0:1]
	s_waitcnt lgkmcnt(0)
	; wave barrier
	scratch_load_dwordx4 v[2:5], off, off offset:96
	scratch_load_dwordx4 v[6:9], off, off offset:112
	scratch_load_dwordx4 v[10:13], off, off offset:128
	scratch_load_dwordx4 v[14:17], off, off offset:144
	scratch_load_dwordx4 v[18:21], off, off offset:160
	scratch_load_dwordx4 v[22:25], off, off offset:176
	scratch_load_dwordx4 v[30:33], off, off offset:192
	scratch_load_dwordx4 v[34:37], off, off offset:208
	scratch_load_dwordx4 v[42:45], off, off offset:224
	scratch_load_dwordx4 v[46:49], off, off offset:240
	scratch_load_dwordx4 v[58:61], off, off offset:256
	scratch_load_dwordx4 v[54:57], off, off offset:272
	scratch_load_dwordx4 v[50:53], off, off offset:288
	scratch_load_dwordx4 v[38:41], off, off offset:304
	scratch_load_dwordx4 v[26:29], off, off offset:320
	scratch_load_dwordx2 v[62:63], off, off offset:336
	scratch_load_dwordx2 v[112:113], off, off offset:88
	v_mov_b32_e32 v114, 0
	ds_read_b128 v[64:67], v114 offset:448
	ds_read_b128 v[68:71], v114 offset:464
	;; [unrolled: 1-line block ×12, first 2 shown]
	v_cmp_lt_u32_e32 vcc, 10, v0
	s_waitcnt vmcnt(16) lgkmcnt(11)
	v_mul_f32_e32 v115, v64, v3
	v_mul_f32_e32 v116, v66, v5
	;; [unrolled: 1-line block ×3, first 2 shown]
	v_fmac_f32_e32 v115, v65, v2
	s_waitcnt vmcnt(15) lgkmcnt(10)
	v_mul_f32_e32 v118, v68, v7
	v_fmac_f32_e32 v116, v67, v4
	v_fma_f32 v2, v64, v2, -v3
	v_add_f32_e32 v3, 0, v115
	v_mul_f32_e32 v120, v70, v9
	v_fmac_f32_e32 v118, v69, v6
	v_add_f32_e32 v3, v3, v116
	s_waitcnt vmcnt(14) lgkmcnt(9)
	v_mul_f32_e32 v121, v72, v11
	v_fmac_f32_e32 v120, v71, v8
	v_add_f32_e32 v3, v3, v118
	v_mul_f32_e32 v122, v74, v13
	v_fmac_f32_e32 v121, v73, v10
	v_add_f32_e32 v3, v3, v120
	s_waitcnt vmcnt(13) lgkmcnt(8)
	v_mul_f32_e32 v123, v76, v15
	v_fmac_f32_e32 v122, v75, v12
	v_add_f32_e32 v3, v3, v121
	v_mul_f32_e32 v210, v78, v17
	v_fmac_f32_e32 v123, v77, v14
	v_add_f32_e32 v3, v3, v122
	s_waitcnt vmcnt(12) lgkmcnt(7)
	v_mul_f32_e32 v211, v80, v19
	v_fmac_f32_e32 v210, v79, v16
	v_add_f32_e32 v3, v3, v123
	v_mul_f32_e32 v212, v82, v21
	v_fmac_f32_e32 v211, v81, v18
	v_add_f32_e32 v3, v3, v210
	s_waitcnt vmcnt(11) lgkmcnt(6)
	v_mul_f32_e32 v213, v84, v23
	v_fmac_f32_e32 v212, v83, v20
	v_add_f32_e32 v3, v3, v211
	v_mul_f32_e32 v214, v86, v25
	v_fmac_f32_e32 v213, v85, v22
	v_add_f32_e32 v3, v3, v212
	s_waitcnt vmcnt(10) lgkmcnt(5)
	v_mul_f32_e32 v215, v88, v31
	v_fmac_f32_e32 v214, v87, v24
	v_add_f32_e32 v3, v3, v213
	v_mul_f32_e32 v216, v90, v33
	v_fmac_f32_e32 v215, v89, v30
	v_add_f32_e32 v3, v3, v214
	s_waitcnt vmcnt(9) lgkmcnt(4)
	v_mul_f32_e32 v217, v92, v35
	v_fmac_f32_e32 v216, v91, v32
	v_add_f32_e32 v3, v3, v215
	v_mul_f32_e32 v218, v94, v37
	v_fmac_f32_e32 v217, v93, v34
	v_add_f32_e32 v3, v3, v216
	s_waitcnt vmcnt(8) lgkmcnt(3)
	v_mul_f32_e32 v219, v96, v43
	v_fmac_f32_e32 v218, v95, v36
	v_add_f32_e32 v3, v3, v217
	v_mul_f32_e32 v220, v98, v45
	v_fmac_f32_e32 v219, v97, v42
	v_add_f32_e32 v3, v3, v218
	s_waitcnt vmcnt(7) lgkmcnt(2)
	v_mul_f32_e32 v221, v100, v47
	v_fmac_f32_e32 v220, v99, v44
	v_add_f32_e32 v3, v3, v219
	v_mul_f32_e32 v222, v102, v49
	v_fmac_f32_e32 v221, v101, v46
	v_add_f32_e32 v3, v3, v220
	s_waitcnt vmcnt(6) lgkmcnt(1)
	v_mul_f32_e32 v223, v104, v59
	v_fmac_f32_e32 v222, v103, v48
	v_add_f32_e32 v3, v3, v221
	v_mul_f32_e32 v5, v67, v5
	v_fmac_f32_e32 v223, v105, v58
	v_add_f32_e32 v3, v3, v222
	v_add_f32_e32 v2, 0, v2
	;; [unrolled: 1-line block ×3, first 2 shown]
	v_fma_f32 v3, v66, v4, -v5
	v_add_f32_e32 v2, v2, v3
	v_mul_f32_e32 v3, v69, v7
	v_fma_f32 v3, v68, v6, -v3
	v_add_f32_e32 v2, v2, v3
	v_mul_f32_e32 v3, v71, v9
	;; [unrolled: 3-line block ×20, first 2 shown]
	v_mul_f32_e32 v117, v106, v61
	v_fma_f32 v116, v106, v60, -v2
	s_waitcnt vmcnt(5) lgkmcnt(0)
	v_mul_f32_e32 v2, v109, v55
	v_mov_b32_e32 v18, v57
	v_mul_f32_e32 v119, v108, v55
	v_fmac_f32_e32 v117, v107, v60
	v_fma_f32 v118, v108, v54, -v2
	ds_read_b128 v[2:5], v114 offset:640
	ds_read_b128 v[6:9], v114 offset:656
	;; [unrolled: 1-line block ×3, first 2 shown]
	ds_read_b64 v[14:15], v114 offset:688
	v_pk_mul_f32 v[18:19], v[110:111], v[18:19] op_sel:[1,0] op_sel_hi:[0,0]
	v_fmac_f32_e32 v119, v109, v54
	v_pk_add_f32 v[16:17], v[64:65], v[116:117]
	v_pk_fma_f32 v[20:21], v[110:111], v[56:57], v[18:19] neg_lo:[0,0,1] neg_hi:[0,0,1]
	v_pk_fma_f32 v[18:19], v[110:111], v[56:57], v[18:19] op_sel_hi:[1,0,1]
	v_pk_add_f32 v[16:17], v[16:17], v[118:119]
	v_mov_b32_e32 v21, v19
	s_waitcnt vmcnt(4) lgkmcnt(3)
	v_pk_mul_f32 v[18:19], v[2:3], v[50:51] op_sel:[1,1] op_sel_hi:[0,1]
	v_pk_add_f32 v[16:17], v[16:17], v[20:21]
	v_pk_fma_f32 v[20:21], v[2:3], v[50:51], v[18:19] neg_lo:[0,0,1] neg_hi:[0,0,1]
	v_pk_fma_f32 v[2:3], v[2:3], v[50:51], v[18:19] op_sel_hi:[1,0,1]
	s_nop 0
	v_mov_b32_e32 v21, v3
	v_pk_add_f32 v[2:3], v[16:17], v[20:21]
	v_mov_b32_e32 v16, v53
	v_pk_mul_f32 v[16:17], v[4:5], v[16:17] op_sel:[1,0] op_sel_hi:[0,0]
	v_pk_fma_f32 v[18:19], v[4:5], v[52:53], v[16:17] neg_lo:[0,0,1] neg_hi:[0,0,1]
	v_pk_fma_f32 v[4:5], v[4:5], v[52:53], v[16:17] op_sel_hi:[1,0,1]
	s_nop 0
	v_mov_b32_e32 v19, v5
	s_waitcnt vmcnt(3) lgkmcnt(2)
	v_pk_mul_f32 v[4:5], v[6:7], v[38:39] op_sel:[1,1] op_sel_hi:[0,1]
	v_pk_fma_f32 v[16:17], v[6:7], v[38:39], v[4:5] neg_lo:[0,0,1] neg_hi:[0,0,1]
	v_pk_fma_f32 v[4:5], v[6:7], v[38:39], v[4:5] op_sel_hi:[1,0,1]
	v_pk_add_f32 v[2:3], v[2:3], v[18:19]
	v_mov_b32_e32 v4, v41
	v_mov_b32_e32 v17, v5
	v_pk_mul_f32 v[4:5], v[8:9], v[4:5] op_sel:[1,0] op_sel_hi:[0,0]
	v_pk_fma_f32 v[6:7], v[8:9], v[40:41], v[4:5] neg_lo:[0,0,1] neg_hi:[0,0,1]
	v_pk_fma_f32 v[4:5], v[8:9], v[40:41], v[4:5] op_sel_hi:[1,0,1]
	v_pk_add_f32 v[2:3], v[2:3], v[16:17]
	v_mov_b32_e32 v7, v5
	s_waitcnt vmcnt(2) lgkmcnt(1)
	v_pk_mul_f32 v[4:5], v[10:11], v[26:27] op_sel:[1,1] op_sel_hi:[0,1]
	v_pk_add_f32 v[2:3], v[2:3], v[6:7]
	v_pk_fma_f32 v[6:7], v[10:11], v[26:27], v[4:5] neg_lo:[0,0,1] neg_hi:[0,0,1]
	v_pk_fma_f32 v[4:5], v[10:11], v[26:27], v[4:5] op_sel_hi:[1,0,1]
	s_nop 0
	v_mov_b32_e32 v4, v29
	v_mov_b32_e32 v7, v5
	v_pk_mul_f32 v[4:5], v[12:13], v[4:5] op_sel:[1,0] op_sel_hi:[0,0]
	v_pk_add_f32 v[2:3], v[2:3], v[6:7]
	v_pk_fma_f32 v[6:7], v[12:13], v[28:29], v[4:5] neg_lo:[0,0,1] neg_hi:[0,0,1]
	v_pk_fma_f32 v[4:5], v[12:13], v[28:29], v[4:5] op_sel_hi:[1,0,1]
	s_nop 0
	v_mov_b32_e32 v7, v5
	s_waitcnt vmcnt(1) lgkmcnt(0)
	v_pk_mul_f32 v[4:5], v[14:15], v[62:63] op_sel:[1,1] op_sel_hi:[0,1]
	v_pk_add_f32 v[2:3], v[2:3], v[6:7]
	v_pk_fma_f32 v[6:7], v[14:15], v[62:63], v[4:5] neg_lo:[0,0,1] neg_hi:[0,0,1]
	v_pk_fma_f32 v[4:5], v[14:15], v[62:63], v[4:5] op_sel_hi:[1,0,1]
	s_nop 0
	v_mov_b32_e32 v7, v5
	v_pk_add_f32 v[2:3], v[2:3], v[6:7]
	s_waitcnt vmcnt(0)
	v_pk_add_f32 v[2:3], v[112:113], v[2:3] neg_lo:[0,1] neg_hi:[0,1]
	scratch_store_dwordx2 off, v[2:3], off offset:88
	s_and_saveexec_b64 s[0:1], vcc
	s_cbranch_execz .LBB42_251
; %bb.250:
	scratch_load_dwordx2 v[2:3], off, off offset:80
	v_mov_b32_e32 v115, v114
	scratch_store_dwordx2 off, v[114:115], off offset:80
	s_waitcnt vmcnt(1)
	ds_write_b64 v1, v[2:3]
.LBB42_251:
	s_or_b64 exec, exec, s[0:1]
	s_waitcnt lgkmcnt(0)
	; wave barrier
	scratch_load_dwordx4 v[2:5], off, off offset:88
	scratch_load_dwordx4 v[6:9], off, off offset:104
	scratch_load_dwordx4 v[10:13], off, off offset:120
	scratch_load_dwordx4 v[14:17], off, off offset:136
	scratch_load_dwordx4 v[18:21], off, off offset:152
	scratch_load_dwordx4 v[22:25], off, off offset:168
	scratch_load_dwordx4 v[26:29], off, off offset:184
	scratch_load_dwordx4 v[30:33], off, off offset:200
	scratch_load_dwordx4 v[38:41], off, off offset:216
	scratch_load_dwordx4 v[46:49], off, off offset:232
	scratch_load_dwordx4 v[50:53], off, off offset:248
	scratch_load_dwordx4 v[58:61], off, off offset:264
	ds_read2_b64 v[110:113], v114 offset0:55 offset1:56
	ds_read2_b64 v[106:109], v114 offset0:57 offset1:58
	;; [unrolled: 1-line block ×12, first 2 shown]
	scratch_load_dwordx4 v[62:65], off, off offset:280
	scratch_load_dwordx4 v[54:57], off, off offset:296
	;; [unrolled: 1-line block ×4, first 2 shown]
	scratch_load_dwordx2 v[116:117], off, off offset:80
	v_cmp_lt_u32_e32 vcc, 9, v0
	s_waitcnt vmcnt(16) lgkmcnt(11)
	v_mul_f32_e32 v115, v110, v3
	v_mul_f32_e32 v118, v112, v5
	;; [unrolled: 1-line block ×3, first 2 shown]
	v_fmac_f32_e32 v115, v111, v2
	s_waitcnt vmcnt(15) lgkmcnt(10)
	v_mul_f32_e32 v120, v106, v7
	v_fmac_f32_e32 v118, v113, v4
	v_fma_f32 v2, v110, v2, -v3
	v_add_f32_e32 v3, 0, v115
	v_mul_f32_e32 v122, v108, v9
	v_fmac_f32_e32 v120, v107, v6
	v_add_f32_e32 v3, v3, v118
	s_waitcnt vmcnt(14) lgkmcnt(9)
	v_mul_f32_e32 v123, v102, v11
	v_fmac_f32_e32 v122, v109, v8
	v_add_f32_e32 v3, v3, v120
	v_mul_f32_e32 v210, v104, v13
	v_fmac_f32_e32 v123, v103, v10
	v_add_f32_e32 v3, v3, v122
	s_waitcnt vmcnt(13) lgkmcnt(8)
	v_mul_f32_e32 v211, v98, v15
	v_fmac_f32_e32 v210, v105, v12
	;; [unrolled: 7-line block ×9, first 2 shown]
	v_add_f32_e32 v3, v3, v223
	v_mul_f32_e32 v226, v72, v53
	v_fmac_f32_e32 v225, v71, v50
	v_add_f32_e32 v3, v3, v224
	v_fmac_f32_e32 v226, v73, v52
	v_add_f32_e32 v3, v3, v225
	v_add_f32_e32 v111, v3, v226
	v_mul_f32_e32 v3, v113, v5
	v_add_f32_e32 v2, 0, v2
	v_fma_f32 v3, v112, v4, -v3
	v_add_f32_e32 v2, v2, v3
	v_mul_f32_e32 v3, v107, v7
	v_fma_f32 v3, v106, v6, -v3
	v_add_f32_e32 v2, v2, v3
	v_mul_f32_e32 v3, v109, v9
	;; [unrolled: 3-line block ×20, first 2 shown]
	v_fma_f32 v3, v72, v52, -v3
	v_add_f32_e32 v110, v2, v3
	s_waitcnt vmcnt(5) lgkmcnt(0)
	v_mul_f32_e32 v2, v67, v59
	v_fma_f32 v118, v66, v58, -v2
	v_mul_f32_e32 v2, v69, v61
	v_fma_f32 v120, v68, v60, -v2
	ds_read2_b64 v[2:5], v114 offset0:79 offset1:80
	ds_read2_b64 v[6:9], v114 offset0:81 offset1:82
	;; [unrolled: 1-line block ×4, first 2 shown]
	v_mul_f32_e32 v119, v66, v59
	v_mul_f32_e32 v121, v68, v61
	v_fmac_f32_e32 v119, v67, v58
	s_waitcnt vmcnt(4) lgkmcnt(3)
	v_pk_mul_f32 v[20:21], v[2:3], v[62:63] op_sel:[1,1] op_sel_hi:[0,1]
	v_fmac_f32_e32 v121, v69, v60
	v_pk_add_f32 v[18:19], v[110:111], v[118:119]
	v_pk_fma_f32 v[22:23], v[2:3], v[62:63], v[20:21] neg_lo:[0,0,1] neg_hi:[0,0,1]
	v_pk_fma_f32 v[2:3], v[2:3], v[62:63], v[20:21] op_sel_hi:[1,0,1]
	v_pk_add_f32 v[18:19], v[18:19], v[120:121]
	v_mov_b32_e32 v23, v3
	v_pk_add_f32 v[2:3], v[18:19], v[22:23]
	v_mov_b32_e32 v18, v65
	v_pk_mul_f32 v[18:19], v[4:5], v[18:19] op_sel:[1,0] op_sel_hi:[0,0]
	v_pk_fma_f32 v[20:21], v[4:5], v[64:65], v[18:19] neg_lo:[0,0,1] neg_hi:[0,0,1]
	v_pk_fma_f32 v[4:5], v[4:5], v[64:65], v[18:19] op_sel_hi:[1,0,1]
	s_nop 0
	v_mov_b32_e32 v21, v5
	s_waitcnt vmcnt(3) lgkmcnt(2)
	v_pk_mul_f32 v[4:5], v[6:7], v[54:55] op_sel:[1,1] op_sel_hi:[0,1]
	v_pk_fma_f32 v[18:19], v[6:7], v[54:55], v[4:5] neg_lo:[0,0,1] neg_hi:[0,0,1]
	v_pk_fma_f32 v[4:5], v[6:7], v[54:55], v[4:5] op_sel_hi:[1,0,1]
	v_pk_add_f32 v[2:3], v[2:3], v[20:21]
	v_mov_b32_e32 v4, v57
	v_mov_b32_e32 v19, v5
	v_pk_mul_f32 v[4:5], v[8:9], v[4:5] op_sel:[1,0] op_sel_hi:[0,0]
	v_pk_fma_f32 v[6:7], v[8:9], v[56:57], v[4:5] neg_lo:[0,0,1] neg_hi:[0,0,1]
	v_pk_fma_f32 v[4:5], v[8:9], v[56:57], v[4:5] op_sel_hi:[1,0,1]
	v_pk_add_f32 v[2:3], v[2:3], v[18:19]
	v_mov_b32_e32 v7, v5
	s_waitcnt vmcnt(2) lgkmcnt(1)
	v_pk_mul_f32 v[4:5], v[10:11], v[42:43] op_sel:[1,1] op_sel_hi:[0,1]
	v_pk_add_f32 v[2:3], v[2:3], v[6:7]
	v_pk_fma_f32 v[6:7], v[10:11], v[42:43], v[4:5] neg_lo:[0,0,1] neg_hi:[0,0,1]
	v_pk_fma_f32 v[4:5], v[10:11], v[42:43], v[4:5] op_sel_hi:[1,0,1]
	s_nop 0
	v_mov_b32_e32 v4, v45
	v_mov_b32_e32 v7, v5
	v_pk_mul_f32 v[4:5], v[12:13], v[4:5] op_sel:[1,0] op_sel_hi:[0,0]
	v_pk_add_f32 v[2:3], v[2:3], v[6:7]
	v_pk_fma_f32 v[6:7], v[12:13], v[44:45], v[4:5] neg_lo:[0,0,1] neg_hi:[0,0,1]
	v_pk_fma_f32 v[4:5], v[12:13], v[44:45], v[4:5] op_sel_hi:[1,0,1]
	s_nop 0
	v_mov_b32_e32 v7, v5
	s_waitcnt vmcnt(1) lgkmcnt(0)
	v_pk_mul_f32 v[4:5], v[14:15], v[34:35] op_sel:[1,1] op_sel_hi:[0,1]
	v_pk_add_f32 v[2:3], v[2:3], v[6:7]
	v_pk_fma_f32 v[6:7], v[14:15], v[34:35], v[4:5] neg_lo:[0,0,1] neg_hi:[0,0,1]
	v_pk_fma_f32 v[4:5], v[14:15], v[34:35], v[4:5] op_sel_hi:[1,0,1]
	s_nop 0
	v_mov_b32_e32 v4, v37
	v_mov_b32_e32 v7, v5
	v_pk_mul_f32 v[4:5], v[16:17], v[4:5] op_sel:[1,0] op_sel_hi:[0,0]
	v_pk_add_f32 v[2:3], v[2:3], v[6:7]
	v_pk_fma_f32 v[6:7], v[16:17], v[36:37], v[4:5] neg_lo:[0,0,1] neg_hi:[0,0,1]
	v_pk_fma_f32 v[4:5], v[16:17], v[36:37], v[4:5] op_sel_hi:[1,0,1]
	s_nop 0
	v_mov_b32_e32 v7, v5
	v_pk_add_f32 v[2:3], v[2:3], v[6:7]
	s_waitcnt vmcnt(0)
	v_pk_add_f32 v[2:3], v[116:117], v[2:3] neg_lo:[0,1] neg_hi:[0,1]
	scratch_store_dwordx2 off, v[2:3], off offset:80
	s_and_saveexec_b64 s[0:1], vcc
	s_cbranch_execz .LBB42_253
; %bb.252:
	scratch_load_dwordx2 v[2:3], off, off offset:72
	v_mov_b32_e32 v4, 0
	v_mov_b32_e32 v5, v4
	scratch_store_dwordx2 off, v[4:5], off offset:72
	s_waitcnt vmcnt(1)
	ds_write_b64 v1, v[2:3]
.LBB42_253:
	s_or_b64 exec, exec, s[0:1]
	s_waitcnt lgkmcnt(0)
	; wave barrier
	scratch_load_dwordx4 v[2:5], off, off offset:80
	scratch_load_dwordx4 v[6:9], off, off offset:96
	;; [unrolled: 1-line block ×13, first 2 shown]
	v_mov_b32_e32 v106, 0
	scratch_load_dwordx2 v[210:211], off, off offset:72
	ds_read_b128 v[54:57], v106 offset:432
	ds_read_b128 v[58:61], v106 offset:448
	;; [unrolled: 1-line block ×14, first 2 shown]
	v_cmp_lt_u32_e32 vcc, 8, v0
	s_waitcnt vmcnt(13) lgkmcnt(13)
	v_mul_f32_e32 v107, v54, v3
	v_mul_f32_e32 v112, v56, v5
	v_fmac_f32_e32 v107, v55, v2
	s_waitcnt vmcnt(12) lgkmcnt(12)
	v_mul_f32_e32 v113, v58, v7
	v_fmac_f32_e32 v112, v57, v4
	v_add_f32_e32 v107, 0, v107
	v_mul_f32_e32 v114, v60, v9
	v_fmac_f32_e32 v113, v59, v6
	v_add_f32_e32 v107, v107, v112
	s_waitcnt vmcnt(11) lgkmcnt(11)
	v_mul_f32_e32 v115, v62, v11
	v_fmac_f32_e32 v114, v61, v8
	v_add_f32_e32 v107, v107, v113
	v_mul_f32_e32 v116, v64, v13
	v_fmac_f32_e32 v115, v63, v10
	v_add_f32_e32 v107, v107, v114
	;; [unrolled: 7-line block ×8, first 2 shown]
	s_waitcnt vmcnt(4) lgkmcnt(4)
	v_mul_f32_e32 v219, v90, v39
	v_fmac_f32_e32 v218, v89, v36
	v_add_f32_e32 v107, v107, v217
	v_fmac_f32_e32 v219, v91, v38
	v_add_f32_e32 v107, v107, v218
	v_add_f32_e32 v107, v107, v219
	scratch_load_dwordx4 v[112:115], off, off offset:288
	scratch_load_dwordx4 v[116:119], off, off offset:304
	;; [unrolled: 1-line block ×3, first 2 shown]
	scratch_load_dwordx2 v[218:219], off, off offset:336
	v_mul_f32_e32 v3, v55, v3
	v_fma_f32 v2, v54, v2, -v3
	v_mul_f32_e32 v3, v57, v5
	v_add_f32_e32 v2, 0, v2
	v_fma_f32 v3, v56, v4, -v3
	v_add_f32_e32 v2, v2, v3
	v_mul_f32_e32 v3, v59, v7
	v_fma_f32 v3, v58, v6, -v3
	v_add_f32_e32 v2, v2, v3
	v_mul_f32_e32 v3, v61, v9
	;; [unrolled: 3-line block ×18, first 2 shown]
	v_fma_f32 v3, v92, v40, -v3
	v_add_f32_e32 v2, v2, v3
	s_waitcnt vmcnt(7) lgkmcnt(3)
	v_mul_f32_e32 v3, v95, v43
	v_fma_f32 v3, v94, v42, -v3
	v_mul_f32_e32 v220, v92, v41
	v_add_f32_e32 v2, v2, v3
	v_mul_f32_e32 v3, v97, v45
	v_mul_f32_e32 v221, v94, v43
	v_fmac_f32_e32 v220, v93, v40
	v_fma_f32 v3, v96, v44, -v3
	v_mul_f32_e32 v222, v96, v45
	v_fmac_f32_e32 v221, v95, v42
	v_add_f32_e32 v107, v107, v220
	v_add_f32_e32 v2, v2, v3
	s_waitcnt vmcnt(6) lgkmcnt(2)
	v_mul_f32_e32 v3, v99, v47
	v_mul_f32_e32 v223, v98, v47
	v_fmac_f32_e32 v222, v97, v44
	v_add_f32_e32 v107, v107, v221
	v_fma_f32 v3, v98, v46, -v3
	v_mul_f32_e32 v213, v100, v49
	v_fmac_f32_e32 v223, v99, v46
	v_add_f32_e32 v107, v107, v222
	v_add_f32_e32 v216, v2, v3
	v_mul_f32_e32 v2, v101, v49
	s_waitcnt vmcnt(5)
	v_mov_b32_e32 v14, v53
	s_waitcnt lgkmcnt(1)
	v_mul_f32_e32 v215, v102, v51
	v_fmac_f32_e32 v213, v101, v48
	v_add_f32_e32 v217, v107, v223
	v_fma_f32 v212, v100, v48, -v2
	v_mul_f32_e32 v2, v103, v51
	v_pk_mul_f32 v[14:15], v[104:105], v[14:15] op_sel:[1,0] op_sel_hi:[0,0]
	v_fmac_f32_e32 v215, v103, v50
	v_fma_f32 v214, v102, v50, -v2
	v_pk_add_f32 v[12:13], v[216:217], v[212:213]
	v_pk_fma_f32 v[16:17], v[104:105], v[52:53], v[14:15] neg_lo:[0,0,1] neg_hi:[0,0,1]
	v_pk_fma_f32 v[14:15], v[104:105], v[52:53], v[14:15] op_sel_hi:[1,0,1]
	v_pk_add_f32 v[12:13], v[12:13], v[214:215]
	v_mov_b32_e32 v17, v15
	s_waitcnt vmcnt(3) lgkmcnt(0)
	v_pk_mul_f32 v[14:15], v[108:109], v[112:113] op_sel:[1,1] op_sel_hi:[0,1]
	v_pk_add_f32 v[12:13], v[12:13], v[16:17]
	v_pk_fma_f32 v[16:17], v[108:109], v[112:113], v[14:15] neg_lo:[0,0,1] neg_hi:[0,0,1]
	v_pk_fma_f32 v[14:15], v[108:109], v[112:113], v[14:15] op_sel_hi:[1,0,1]
	ds_read_b128 v[2:5], v106 offset:656
	ds_read_b128 v[6:9], v106 offset:672
	ds_read_b64 v[10:11], v106 offset:688
	v_mov_b32_e32 v14, v115
	v_mov_b32_e32 v17, v15
	v_pk_mul_f32 v[14:15], v[110:111], v[14:15] op_sel:[1,0] op_sel_hi:[0,0]
	v_pk_add_f32 v[12:13], v[12:13], v[16:17]
	v_pk_fma_f32 v[16:17], v[110:111], v[114:115], v[14:15] neg_lo:[0,0,1] neg_hi:[0,0,1]
	v_pk_fma_f32 v[14:15], v[110:111], v[114:115], v[14:15] op_sel_hi:[1,0,1]
	s_nop 0
	v_mov_b32_e32 v17, v15
	s_waitcnt vmcnt(2) lgkmcnt(2)
	v_pk_mul_f32 v[14:15], v[2:3], v[116:117] op_sel:[1,1] op_sel_hi:[0,1]
	v_pk_add_f32 v[12:13], v[12:13], v[16:17]
	v_pk_fma_f32 v[16:17], v[2:3], v[116:117], v[14:15] neg_lo:[0,0,1] neg_hi:[0,0,1]
	v_pk_fma_f32 v[2:3], v[2:3], v[116:117], v[14:15] op_sel_hi:[1,0,1]
	s_nop 0
	v_mov_b32_e32 v17, v3
	v_pk_add_f32 v[2:3], v[12:13], v[16:17]
	v_mov_b32_e32 v12, v119
	v_pk_mul_f32 v[12:13], v[4:5], v[12:13] op_sel:[1,0] op_sel_hi:[0,0]
	v_pk_fma_f32 v[14:15], v[4:5], v[118:119], v[12:13] neg_lo:[0,0,1] neg_hi:[0,0,1]
	v_pk_fma_f32 v[4:5], v[4:5], v[118:119], v[12:13] op_sel_hi:[1,0,1]
	s_nop 0
	v_mov_b32_e32 v15, v5
	s_waitcnt vmcnt(1) lgkmcnt(1)
	v_pk_mul_f32 v[4:5], v[6:7], v[120:121] op_sel:[1,1] op_sel_hi:[0,1]
	v_pk_fma_f32 v[12:13], v[6:7], v[120:121], v[4:5] neg_lo:[0,0,1] neg_hi:[0,0,1]
	v_pk_fma_f32 v[4:5], v[6:7], v[120:121], v[4:5] op_sel_hi:[1,0,1]
	v_pk_add_f32 v[2:3], v[2:3], v[14:15]
	v_mov_b32_e32 v4, v123
	v_mov_b32_e32 v13, v5
	v_pk_mul_f32 v[4:5], v[8:9], v[4:5] op_sel:[1,0] op_sel_hi:[0,0]
	v_pk_fma_f32 v[6:7], v[8:9], v[122:123], v[4:5] neg_lo:[0,0,1] neg_hi:[0,0,1]
	v_pk_fma_f32 v[4:5], v[8:9], v[122:123], v[4:5] op_sel_hi:[1,0,1]
	v_pk_add_f32 v[2:3], v[2:3], v[12:13]
	v_mov_b32_e32 v7, v5
	s_waitcnt vmcnt(0) lgkmcnt(0)
	v_pk_mul_f32 v[4:5], v[10:11], v[218:219] op_sel:[1,1] op_sel_hi:[0,1]
	v_pk_add_f32 v[2:3], v[2:3], v[6:7]
	v_pk_fma_f32 v[6:7], v[10:11], v[218:219], v[4:5] neg_lo:[0,0,1] neg_hi:[0,0,1]
	v_pk_fma_f32 v[4:5], v[10:11], v[218:219], v[4:5] op_sel_hi:[1,0,1]
	s_nop 0
	v_mov_b32_e32 v7, v5
	v_pk_add_f32 v[2:3], v[2:3], v[6:7]
	s_nop 0
	v_pk_add_f32 v[2:3], v[210:211], v[2:3] neg_lo:[0,1] neg_hi:[0,1]
	scratch_store_dwordx2 off, v[2:3], off offset:72
	s_and_saveexec_b64 s[0:1], vcc
	s_cbranch_execz .LBB42_255
; %bb.254:
	scratch_load_dwordx2 v[2:3], off, off offset:64
	v_mov_b32_e32 v107, v106
	scratch_store_dwordx2 off, v[106:107], off offset:64
	s_waitcnt vmcnt(1)
	ds_write_b64 v1, v[2:3]
.LBB42_255:
	s_or_b64 exec, exec, s[0:1]
	s_waitcnt lgkmcnt(0)
	; wave barrier
	scratch_load_dwordx4 v[2:5], off, off offset:72
	scratch_load_dwordx4 v[6:9], off, off offset:88
	;; [unrolled: 1-line block ×13, first 2 shown]
	ds_read2_b64 v[102:105], v106 offset0:53 offset1:54
	ds_read2_b64 v[98:101], v106 offset0:55 offset1:56
	;; [unrolled: 1-line block ×14, first 2 shown]
	scratch_load_dwordx2 v[214:215], off, off offset:64
	v_cmp_lt_u32_e32 vcc, 7, v0
	s_waitcnt vmcnt(13) lgkmcnt(13)
	v_mul_f32_e32 v107, v102, v3
	v_mul_f32_e32 v112, v104, v5
	v_fmac_f32_e32 v107, v103, v2
	s_waitcnt vmcnt(12) lgkmcnt(12)
	v_mul_f32_e32 v113, v98, v7
	v_fmac_f32_e32 v112, v105, v4
	v_add_f32_e32 v107, 0, v107
	v_mul_f32_e32 v114, v100, v9
	v_fmac_f32_e32 v113, v99, v6
	v_add_f32_e32 v107, v107, v112
	s_waitcnt vmcnt(11) lgkmcnt(11)
	v_mul_f32_e32 v115, v94, v11
	v_fmac_f32_e32 v114, v101, v8
	v_add_f32_e32 v107, v107, v113
	v_mul_f32_e32 v116, v96, v13
	v_fmac_f32_e32 v115, v95, v10
	v_add_f32_e32 v107, v107, v114
	;; [unrolled: 7-line block ×7, first 2 shown]
	s_waitcnt vmcnt(5) lgkmcnt(5)
	v_mul_f32_e32 v213, v70, v35
	v_fmac_f32_e32 v212, v77, v32
	v_add_f32_e32 v107, v107, v211
	v_fmac_f32_e32 v213, v71, v34
	v_add_f32_e32 v107, v107, v212
	v_add_f32_e32 v107, v107, v213
	scratch_load_dwordx4 v[112:115], off, off offset:280
	scratch_load_dwordx4 v[116:119], off, off offset:296
	;; [unrolled: 1-line block ×4, first 2 shown]
	v_mul_f32_e32 v3, v103, v3
	v_fma_f32 v2, v102, v2, -v3
	v_mul_f32_e32 v3, v105, v5
	v_add_f32_e32 v2, 0, v2
	v_fma_f32 v3, v104, v4, -v3
	v_add_f32_e32 v2, v2, v3
	v_mul_f32_e32 v3, v99, v7
	v_fma_f32 v3, v98, v6, -v3
	v_add_f32_e32 v2, v2, v3
	v_mul_f32_e32 v3, v101, v9
	;; [unrolled: 3-line block ×16, first 2 shown]
	v_fma_f32 v3, v72, v36, -v3
	v_add_f32_e32 v2, v2, v3
	s_waitcnt vmcnt(8) lgkmcnt(4)
	v_mul_f32_e32 v3, v67, v39
	v_fma_f32 v3, v66, v38, -v3
	v_add_f32_e32 v2, v2, v3
	v_mul_f32_e32 v3, v69, v41
	v_fma_f32 v3, v68, v40, -v3
	v_add_f32_e32 v2, v2, v3
	s_waitcnt vmcnt(7) lgkmcnt(3)
	v_mul_f32_e32 v3, v63, v43
	v_mul_f32_e32 v216, v72, v37
	v_fma_f32 v3, v62, v42, -v3
	v_mul_f32_e32 v218, v66, v39
	v_fmac_f32_e32 v216, v73, v36
	v_add_f32_e32 v2, v2, v3
	v_mul_f32_e32 v3, v65, v45
	v_mul_f32_e32 v220, v68, v41
	v_fmac_f32_e32 v218, v67, v38
	v_add_f32_e32 v107, v107, v216
	v_fma_f32 v3, v64, v44, -v3
	v_mul_f32_e32 v221, v62, v43
	v_fmac_f32_e32 v220, v69, v40
	v_add_f32_e32 v107, v107, v218
	v_add_f32_e32 v2, v2, v3
	s_waitcnt vmcnt(6) lgkmcnt(2)
	v_mul_f32_e32 v3, v59, v47
	v_mul_f32_e32 v222, v64, v45
	v_fmac_f32_e32 v221, v63, v42
	v_add_f32_e32 v107, v107, v220
	v_fma_f32 v3, v58, v46, -v3
	v_mul_f32_e32 v223, v58, v47
	v_fmac_f32_e32 v222, v65, v44
	v_add_f32_e32 v107, v107, v221
	v_add_f32_e32 v2, v2, v3
	v_mul_f32_e32 v3, v61, v49
	v_mul_f32_e32 v224, v60, v49
	v_fmac_f32_e32 v223, v59, v46
	v_add_f32_e32 v107, v107, v222
	v_fma_f32 v3, v60, v48, -v3
	s_waitcnt vmcnt(5) lgkmcnt(1)
	v_mul_f32_e32 v217, v54, v51
	v_fmac_f32_e32 v224, v61, v48
	v_add_f32_e32 v107, v107, v223
	v_add_f32_e32 v220, v2, v3
	v_mul_f32_e32 v2, v55, v51
	s_waitcnt vmcnt(3) lgkmcnt(0)
	v_pk_mul_f32 v[16:17], v[108:109], v[112:113] op_sel:[1,1] op_sel_hi:[0,1]
	v_mul_f32_e32 v219, v56, v53
	v_fmac_f32_e32 v217, v55, v50
	v_add_f32_e32 v221, v107, v224
	v_fma_f32 v216, v54, v50, -v2
	v_mul_f32_e32 v2, v57, v53
	v_pk_fma_f32 v[18:19], v[108:109], v[112:113], v[16:17] neg_lo:[0,0,1] neg_hi:[0,0,1]
	v_pk_fma_f32 v[16:17], v[108:109], v[112:113], v[16:17] op_sel_hi:[1,0,1]
	v_fmac_f32_e32 v219, v57, v52
	v_fma_f32 v218, v56, v52, -v2
	ds_read2_b64 v[2:5], v106 offset0:81 offset1:82
	ds_read2_b64 v[6:9], v106 offset0:83 offset1:84
	ds_read2_b64 v[10:13], v106 offset0:85 offset1:86
	v_pk_add_f32 v[14:15], v[220:221], v[216:217]
	v_mov_b32_e32 v16, v115
	v_pk_add_f32 v[14:15], v[14:15], v[218:219]
	v_mov_b32_e32 v19, v17
	v_pk_mul_f32 v[16:17], v[110:111], v[16:17] op_sel:[1,0] op_sel_hi:[0,0]
	v_pk_add_f32 v[14:15], v[14:15], v[18:19]
	v_pk_fma_f32 v[18:19], v[110:111], v[114:115], v[16:17] neg_lo:[0,0,1] neg_hi:[0,0,1]
	v_pk_fma_f32 v[16:17], v[110:111], v[114:115], v[16:17] op_sel_hi:[1,0,1]
	s_nop 0
	v_mov_b32_e32 v19, v17
	s_waitcnt vmcnt(2) lgkmcnt(2)
	v_pk_mul_f32 v[16:17], v[2:3], v[116:117] op_sel:[1,1] op_sel_hi:[0,1]
	v_pk_add_f32 v[14:15], v[14:15], v[18:19]
	v_pk_fma_f32 v[18:19], v[2:3], v[116:117], v[16:17] neg_lo:[0,0,1] neg_hi:[0,0,1]
	v_pk_fma_f32 v[2:3], v[2:3], v[116:117], v[16:17] op_sel_hi:[1,0,1]
	s_nop 0
	v_mov_b32_e32 v19, v3
	v_pk_add_f32 v[2:3], v[14:15], v[18:19]
	v_mov_b32_e32 v14, v119
	v_pk_mul_f32 v[14:15], v[4:5], v[14:15] op_sel:[1,0] op_sel_hi:[0,0]
	v_pk_fma_f32 v[16:17], v[4:5], v[118:119], v[14:15] neg_lo:[0,0,1] neg_hi:[0,0,1]
	v_pk_fma_f32 v[4:5], v[4:5], v[118:119], v[14:15] op_sel_hi:[1,0,1]
	s_nop 0
	v_mov_b32_e32 v17, v5
	s_waitcnt vmcnt(1) lgkmcnt(1)
	v_pk_mul_f32 v[4:5], v[6:7], v[120:121] op_sel:[1,1] op_sel_hi:[0,1]
	v_pk_fma_f32 v[14:15], v[6:7], v[120:121], v[4:5] neg_lo:[0,0,1] neg_hi:[0,0,1]
	v_pk_fma_f32 v[4:5], v[6:7], v[120:121], v[4:5] op_sel_hi:[1,0,1]
	v_pk_add_f32 v[2:3], v[2:3], v[16:17]
	v_mov_b32_e32 v4, v123
	v_mov_b32_e32 v15, v5
	v_pk_mul_f32 v[4:5], v[8:9], v[4:5] op_sel:[1,0] op_sel_hi:[0,0]
	v_pk_fma_f32 v[6:7], v[8:9], v[122:123], v[4:5] neg_lo:[0,0,1] neg_hi:[0,0,1]
	v_pk_fma_f32 v[4:5], v[8:9], v[122:123], v[4:5] op_sel_hi:[1,0,1]
	v_pk_add_f32 v[2:3], v[2:3], v[14:15]
	v_mov_b32_e32 v7, v5
	s_waitcnt vmcnt(0) lgkmcnt(0)
	v_pk_mul_f32 v[4:5], v[10:11], v[210:211] op_sel:[1,1] op_sel_hi:[0,1]
	v_pk_add_f32 v[2:3], v[2:3], v[6:7]
	v_pk_fma_f32 v[6:7], v[10:11], v[210:211], v[4:5] neg_lo:[0,0,1] neg_hi:[0,0,1]
	v_pk_fma_f32 v[4:5], v[10:11], v[210:211], v[4:5] op_sel_hi:[1,0,1]
	s_nop 0
	v_mov_b32_e32 v4, v213
	v_mov_b32_e32 v7, v5
	v_pk_mul_f32 v[4:5], v[12:13], v[4:5] op_sel:[1,0] op_sel_hi:[0,0]
	v_pk_add_f32 v[2:3], v[2:3], v[6:7]
	v_pk_fma_f32 v[6:7], v[12:13], v[212:213], v[4:5] neg_lo:[0,0,1] neg_hi:[0,0,1]
	v_pk_fma_f32 v[4:5], v[12:13], v[212:213], v[4:5] op_sel_hi:[1,0,1]
	s_nop 0
	v_mov_b32_e32 v7, v5
	v_pk_add_f32 v[2:3], v[2:3], v[6:7]
	s_nop 0
	v_pk_add_f32 v[2:3], v[214:215], v[2:3] neg_lo:[0,1] neg_hi:[0,1]
	scratch_store_dwordx2 off, v[2:3], off offset:64
	s_and_saveexec_b64 s[0:1], vcc
	s_cbranch_execz .LBB42_257
; %bb.256:
	scratch_load_dwordx2 v[2:3], off, off offset:56
	v_mov_b32_e32 v4, 0
	v_mov_b32_e32 v5, v4
	scratch_store_dwordx2 off, v[4:5], off offset:56
	s_waitcnt vmcnt(1)
	ds_write_b64 v1, v[2:3]
.LBB42_257:
	s_or_b64 exec, exec, s[0:1]
	s_waitcnt lgkmcnt(0)
	; wave barrier
	scratch_load_dwordx4 v[2:5], off, off offset:64
	scratch_load_dwordx4 v[6:9], off, off offset:80
	;; [unrolled: 1-line block ×13, first 2 shown]
	v_mov_b32_e32 v114, 0
	scratch_load_dwordx4 v[54:57], off, off offset:272
	scratch_load_dwordx2 v[214:215], off, off offset:56
	ds_read_b128 v[58:61], v114 offset:416
	ds_read_b128 v[62:65], v114 offset:432
	;; [unrolled: 1-line block ×14, first 2 shown]
	v_cmp_lt_u32_e32 vcc, 6, v0
	s_waitcnt vmcnt(14) lgkmcnt(13)
	v_mul_f32_e32 v115, v58, v3
	v_mul_f32_e32 v116, v60, v5
	v_fmac_f32_e32 v115, v59, v2
	s_waitcnt vmcnt(13) lgkmcnt(12)
	v_mul_f32_e32 v117, v62, v7
	v_fmac_f32_e32 v116, v61, v4
	v_add_f32_e32 v115, 0, v115
	v_mul_f32_e32 v118, v64, v9
	v_fmac_f32_e32 v117, v63, v6
	v_add_f32_e32 v115, v115, v116
	s_waitcnt vmcnt(12) lgkmcnt(11)
	v_mul_f32_e32 v119, v66, v11
	v_fmac_f32_e32 v118, v65, v8
	v_add_f32_e32 v115, v115, v117
	v_mul_f32_e32 v120, v68, v13
	v_fmac_f32_e32 v119, v67, v10
	v_add_f32_e32 v115, v115, v118
	;; [unrolled: 7-line block ×6, first 2 shown]
	s_waitcnt vmcnt(7) lgkmcnt(6)
	v_mul_f32_e32 v217, v86, v31
	v_fmac_f32_e32 v216, v85, v28
	v_add_f32_e32 v115, v115, v213
	scratch_load_dwordx4 v[116:119], off, off offset:288
	v_mul_f32_e32 v218, v88, v33
	v_fmac_f32_e32 v217, v87, v30
	v_add_f32_e32 v115, v115, v216
	s_waitcnt vmcnt(7) lgkmcnt(5)
	v_mul_f32_e32 v219, v90, v35
	v_fmac_f32_e32 v218, v89, v32
	v_add_f32_e32 v115, v115, v217
	v_mul_f32_e32 v220, v92, v37
	v_fmac_f32_e32 v219, v91, v34
	v_add_f32_e32 v115, v115, v218
	s_waitcnt vmcnt(6) lgkmcnt(4)
	v_mul_f32_e32 v221, v94, v39
	v_fmac_f32_e32 v220, v93, v36
	v_add_f32_e32 v115, v115, v219
	;; [unrolled: 7-line block ×3, first 2 shown]
	v_fmac_f32_e32 v223, v99, v42
	v_add_f32_e32 v115, v115, v222
	v_add_f32_e32 v115, v115, v223
	scratch_load_dwordx4 v[120:123], off, off offset:304
	scratch_load_dwordx4 v[210:213], off, off offset:320
	scratch_load_dwordx2 v[222:223], off, off offset:336
	v_mul_f32_e32 v3, v59, v3
	v_fma_f32 v2, v58, v2, -v3
	v_mul_f32_e32 v3, v61, v5
	v_add_f32_e32 v2, 0, v2
	v_fma_f32 v3, v60, v4, -v3
	v_add_f32_e32 v2, v2, v3
	v_mul_f32_e32 v3, v63, v7
	v_fma_f32 v3, v62, v6, -v3
	v_add_f32_e32 v2, v2, v3
	v_mul_f32_e32 v3, v65, v9
	;; [unrolled: 3-line block ×20, first 2 shown]
	v_fma_f32 v3, v100, v44, -v3
	v_add_f32_e32 v2, v2, v3
	s_waitcnt vmcnt(7) lgkmcnt(2)
	v_mul_f32_e32 v3, v103, v47
	v_fma_f32 v3, v102, v46, -v3
	v_add_f32_e32 v2, v2, v3
	v_mul_f32_e32 v3, v105, v49
	v_mul_f32_e32 v224, v100, v45
	v_fma_f32 v3, v104, v48, -v3
	v_mul_f32_e32 v225, v102, v47
	v_fmac_f32_e32 v224, v101, v44
	v_add_f32_e32 v2, v2, v3
	s_waitcnt vmcnt(6) lgkmcnt(1)
	v_mul_f32_e32 v3, v107, v51
	v_mul_f32_e32 v226, v104, v49
	v_fmac_f32_e32 v225, v103, v46
	v_add_f32_e32 v115, v115, v224
	v_fma_f32 v3, v106, v50, -v3
	v_mul_f32_e32 v227, v106, v51
	v_fmac_f32_e32 v226, v105, v48
	v_add_f32_e32 v115, v115, v225
	v_add_f32_e32 v216, v2, v3
	v_mul_f32_e32 v2, v109, v53
	v_fmac_f32_e32 v227, v107, v50
	v_add_f32_e32 v115, v115, v226
	v_mul_f32_e32 v219, v108, v53
	v_fma_f32 v218, v108, v52, -v2
	s_waitcnt vmcnt(5) lgkmcnt(0)
	v_mul_f32_e32 v2, v111, v55
	v_mov_b32_e32 v18, v57
	v_add_f32_e32 v217, v115, v227
	v_fmac_f32_e32 v219, v109, v52
	v_mul_f32_e32 v221, v110, v55
	v_fma_f32 v220, v110, v54, -v2
	ds_read_b128 v[2:5], v114 offset:640
	ds_read_b128 v[6:9], v114 offset:656
	;; [unrolled: 1-line block ×3, first 2 shown]
	ds_read_b64 v[14:15], v114 offset:688
	v_pk_mul_f32 v[18:19], v[112:113], v[18:19] op_sel:[1,0] op_sel_hi:[0,0]
	v_fmac_f32_e32 v221, v111, v54
	v_pk_add_f32 v[16:17], v[216:217], v[218:219]
	v_pk_fma_f32 v[20:21], v[112:113], v[56:57], v[18:19] neg_lo:[0,0,1] neg_hi:[0,0,1]
	v_pk_fma_f32 v[18:19], v[112:113], v[56:57], v[18:19] op_sel_hi:[1,0,1]
	v_pk_add_f32 v[16:17], v[16:17], v[220:221]
	v_mov_b32_e32 v21, v19
	s_waitcnt vmcnt(3) lgkmcnt(3)
	v_pk_mul_f32 v[18:19], v[2:3], v[116:117] op_sel:[1,1] op_sel_hi:[0,1]
	v_pk_add_f32 v[16:17], v[16:17], v[20:21]
	v_pk_fma_f32 v[20:21], v[2:3], v[116:117], v[18:19] neg_lo:[0,0,1] neg_hi:[0,0,1]
	v_pk_fma_f32 v[2:3], v[2:3], v[116:117], v[18:19] op_sel_hi:[1,0,1]
	s_nop 0
	v_mov_b32_e32 v21, v3
	v_pk_add_f32 v[2:3], v[16:17], v[20:21]
	v_mov_b32_e32 v16, v119
	v_pk_mul_f32 v[16:17], v[4:5], v[16:17] op_sel:[1,0] op_sel_hi:[0,0]
	v_pk_fma_f32 v[18:19], v[4:5], v[118:119], v[16:17] neg_lo:[0,0,1] neg_hi:[0,0,1]
	v_pk_fma_f32 v[4:5], v[4:5], v[118:119], v[16:17] op_sel_hi:[1,0,1]
	s_nop 0
	v_mov_b32_e32 v19, v5
	s_waitcnt vmcnt(2) lgkmcnt(2)
	v_pk_mul_f32 v[4:5], v[6:7], v[120:121] op_sel:[1,1] op_sel_hi:[0,1]
	v_pk_fma_f32 v[16:17], v[6:7], v[120:121], v[4:5] neg_lo:[0,0,1] neg_hi:[0,0,1]
	v_pk_fma_f32 v[4:5], v[6:7], v[120:121], v[4:5] op_sel_hi:[1,0,1]
	v_pk_add_f32 v[2:3], v[2:3], v[18:19]
	v_mov_b32_e32 v4, v123
	v_mov_b32_e32 v17, v5
	v_pk_mul_f32 v[4:5], v[8:9], v[4:5] op_sel:[1,0] op_sel_hi:[0,0]
	v_pk_fma_f32 v[6:7], v[8:9], v[122:123], v[4:5] neg_lo:[0,0,1] neg_hi:[0,0,1]
	v_pk_fma_f32 v[4:5], v[8:9], v[122:123], v[4:5] op_sel_hi:[1,0,1]
	v_pk_add_f32 v[2:3], v[2:3], v[16:17]
	v_mov_b32_e32 v7, v5
	s_waitcnt vmcnt(1) lgkmcnt(1)
	v_pk_mul_f32 v[4:5], v[10:11], v[210:211] op_sel:[1,1] op_sel_hi:[0,1]
	v_pk_add_f32 v[2:3], v[2:3], v[6:7]
	v_pk_fma_f32 v[6:7], v[10:11], v[210:211], v[4:5] neg_lo:[0,0,1] neg_hi:[0,0,1]
	v_pk_fma_f32 v[4:5], v[10:11], v[210:211], v[4:5] op_sel_hi:[1,0,1]
	s_nop 0
	v_mov_b32_e32 v4, v213
	v_mov_b32_e32 v7, v5
	v_pk_mul_f32 v[4:5], v[12:13], v[4:5] op_sel:[1,0] op_sel_hi:[0,0]
	v_pk_add_f32 v[2:3], v[2:3], v[6:7]
	v_pk_fma_f32 v[6:7], v[12:13], v[212:213], v[4:5] neg_lo:[0,0,1] neg_hi:[0,0,1]
	v_pk_fma_f32 v[4:5], v[12:13], v[212:213], v[4:5] op_sel_hi:[1,0,1]
	s_nop 0
	v_mov_b32_e32 v7, v5
	s_waitcnt vmcnt(0) lgkmcnt(0)
	v_pk_mul_f32 v[4:5], v[14:15], v[222:223] op_sel:[1,1] op_sel_hi:[0,1]
	v_pk_add_f32 v[2:3], v[2:3], v[6:7]
	v_pk_fma_f32 v[6:7], v[14:15], v[222:223], v[4:5] neg_lo:[0,0,1] neg_hi:[0,0,1]
	v_pk_fma_f32 v[4:5], v[14:15], v[222:223], v[4:5] op_sel_hi:[1,0,1]
	s_nop 0
	v_mov_b32_e32 v7, v5
	v_pk_add_f32 v[2:3], v[2:3], v[6:7]
	s_nop 0
	v_pk_add_f32 v[2:3], v[214:215], v[2:3] neg_lo:[0,1] neg_hi:[0,1]
	scratch_store_dwordx2 off, v[2:3], off offset:56
	s_and_saveexec_b64 s[0:1], vcc
	s_cbranch_execz .LBB42_259
; %bb.258:
	scratch_load_dwordx2 v[2:3], off, off offset:48
	v_mov_b32_e32 v115, v114
	scratch_store_dwordx2 off, v[114:115], off offset:48
	s_waitcnt vmcnt(1)
	ds_write_b64 v1, v[2:3]
.LBB42_259:
	s_or_b64 exec, exec, s[0:1]
	s_waitcnt lgkmcnt(0)
	; wave barrier
	scratch_load_dwordx4 v[2:5], off, off offset:56
	scratch_load_dwordx4 v[6:9], off, off offset:72
	;; [unrolled: 1-line block ×13, first 2 shown]
	ds_read2_b64 v[110:113], v114 offset0:51 offset1:52
	ds_read2_b64 v[106:109], v114 offset0:53 offset1:54
	;; [unrolled: 1-line block ×14, first 2 shown]
	scratch_load_dwordx4 v[66:69], off, off offset:264
	scratch_load_dwordx2 v[218:219], off, off offset:48
	v_cmp_lt_u32_e32 vcc, 5, v0
	s_waitcnt vmcnt(14) lgkmcnt(13)
	v_mul_f32_e32 v115, v110, v3
	v_mul_f32_e32 v116, v112, v5
	v_fmac_f32_e32 v115, v111, v2
	s_waitcnt vmcnt(13) lgkmcnt(12)
	v_mul_f32_e32 v117, v106, v7
	v_fmac_f32_e32 v116, v113, v4
	v_add_f32_e32 v115, 0, v115
	v_mul_f32_e32 v118, v108, v9
	v_fmac_f32_e32 v117, v107, v6
	v_add_f32_e32 v115, v115, v116
	s_waitcnt vmcnt(12) lgkmcnt(11)
	v_mul_f32_e32 v119, v102, v11
	v_fmac_f32_e32 v118, v109, v8
	v_add_f32_e32 v115, v115, v117
	v_mul_f32_e32 v120, v104, v13
	v_fmac_f32_e32 v119, v103, v10
	v_add_f32_e32 v115, v115, v118
	;; [unrolled: 7-line block ×4, first 2 shown]
	s_waitcnt vmcnt(9) lgkmcnt(8)
	v_mul_f32_e32 v211, v90, v23
	v_fmac_f32_e32 v210, v97, v20
	v_add_f32_e32 v115, v115, v123
	scratch_load_dwordx4 v[116:119], off, off offset:280
	v_mul_f32_e32 v212, v92, v25
	v_fmac_f32_e32 v211, v91, v22
	v_add_f32_e32 v115, v115, v210
	s_waitcnt vmcnt(9) lgkmcnt(7)
	v_mul_f32_e32 v213, v86, v27
	v_fmac_f32_e32 v212, v93, v24
	v_add_f32_e32 v115, v115, v211
	v_mul_f32_e32 v214, v88, v29
	v_fmac_f32_e32 v213, v87, v26
	v_add_f32_e32 v115, v115, v212
	s_waitcnt vmcnt(8) lgkmcnt(6)
	v_mul_f32_e32 v215, v82, v31
	v_fmac_f32_e32 v214, v89, v28
	v_add_f32_e32 v115, v115, v213
	v_mul_f32_e32 v216, v84, v33
	v_fmac_f32_e32 v215, v83, v30
	v_add_f32_e32 v115, v115, v214
	s_waitcnt vmcnt(7) lgkmcnt(5)
	v_mul_f32_e32 v217, v78, v35
	v_fmac_f32_e32 v216, v85, v32
	v_add_f32_e32 v115, v115, v215
	v_fmac_f32_e32 v217, v79, v34
	v_add_f32_e32 v115, v115, v216
	v_add_f32_e32 v115, v115, v217
	scratch_load_dwordx4 v[120:123], off, off offset:296
	scratch_load_dwordx4 v[210:213], off, off offset:312
	scratch_load_dwordx4 v[214:217], off, off offset:328
	v_mul_f32_e32 v3, v111, v3
	v_fma_f32 v2, v110, v2, -v3
	v_mul_f32_e32 v3, v113, v5
	v_add_f32_e32 v2, 0, v2
	v_fma_f32 v3, v112, v4, -v3
	v_add_f32_e32 v2, v2, v3
	v_mul_f32_e32 v3, v107, v7
	v_fma_f32 v3, v106, v6, -v3
	v_add_f32_e32 v2, v2, v3
	v_mul_f32_e32 v3, v109, v9
	;; [unrolled: 3-line block ×16, first 2 shown]
	v_fma_f32 v3, v80, v36, -v3
	v_add_f32_e32 v2, v2, v3
	s_waitcnt vmcnt(9) lgkmcnt(4)
	v_mul_f32_e32 v3, v75, v39
	v_fma_f32 v3, v74, v38, -v3
	v_add_f32_e32 v2, v2, v3
	v_mul_f32_e32 v3, v77, v41
	v_fma_f32 v3, v76, v40, -v3
	v_add_f32_e32 v2, v2, v3
	s_waitcnt vmcnt(8) lgkmcnt(3)
	v_mul_f32_e32 v3, v71, v43
	v_fma_f32 v3, v70, v42, -v3
	v_add_f32_e32 v2, v2, v3
	v_mul_f32_e32 v3, v73, v45
	v_fma_f32 v3, v72, v44, -v3
	v_add_f32_e32 v2, v2, v3
	s_waitcnt vmcnt(7) lgkmcnt(2)
	v_mul_f32_e32 v3, v63, v47
	v_fma_f32 v3, v62, v46, -v3
	v_mul_f32_e32 v220, v80, v37
	v_add_f32_e32 v2, v2, v3
	v_mul_f32_e32 v3, v65, v49
	v_mul_f32_e32 v221, v74, v39
	v_fmac_f32_e32 v220, v81, v36
	v_fma_f32 v3, v64, v48, -v3
	v_mul_f32_e32 v222, v76, v41
	v_fmac_f32_e32 v221, v75, v38
	v_add_f32_e32 v115, v115, v220
	v_add_f32_e32 v2, v2, v3
	s_waitcnt vmcnt(6) lgkmcnt(1)
	v_mul_f32_e32 v3, v55, v51
	v_mul_f32_e32 v223, v70, v43
	v_fmac_f32_e32 v222, v77, v40
	v_add_f32_e32 v115, v115, v221
	v_fma_f32 v3, v54, v50, -v3
	v_mul_f32_e32 v224, v72, v45
	v_fmac_f32_e32 v223, v71, v42
	v_add_f32_e32 v115, v115, v222
	v_add_f32_e32 v2, v2, v3
	v_mul_f32_e32 v3, v57, v53
	v_mul_f32_e32 v225, v62, v47
	v_fmac_f32_e32 v224, v73, v44
	v_add_f32_e32 v115, v115, v223
	v_fma_f32 v3, v56, v52, -v3
	v_mul_f32_e32 v226, v64, v49
	v_fmac_f32_e32 v225, v63, v46
	v_add_f32_e32 v115, v115, v224
	v_add_f32_e32 v220, v2, v3
	s_waitcnt vmcnt(5) lgkmcnt(0)
	v_mul_f32_e32 v2, v59, v67
	v_mul_f32_e32 v227, v54, v51
	v_fmac_f32_e32 v226, v65, v48
	v_add_f32_e32 v115, v115, v225
	v_fma_f32 v222, v58, v66, -v2
	v_mul_f32_e32 v2, v61, v69
	v_mul_f32_e32 v228, v56, v53
	v_fmac_f32_e32 v227, v55, v50
	v_add_f32_e32 v115, v115, v226
	v_fma_f32 v224, v60, v68, -v2
	ds_read2_b64 v[2:5], v114 offset0:79 offset1:80
	ds_read2_b64 v[6:9], v114 offset0:81 offset1:82
	;; [unrolled: 1-line block ×4, first 2 shown]
	v_add_f32_e32 v115, v115, v227
	v_fmac_f32_e32 v228, v57, v52
	v_mul_f32_e32 v223, v58, v67
	v_add_f32_e32 v221, v115, v228
	v_fmac_f32_e32 v223, v59, v66
	v_mul_f32_e32 v225, v60, v69
	s_waitcnt vmcnt(3) lgkmcnt(3)
	v_pk_mul_f32 v[20:21], v[2:3], v[116:117] op_sel:[1,1] op_sel_hi:[0,1]
	v_fmac_f32_e32 v225, v61, v68
	v_pk_add_f32 v[18:19], v[220:221], v[222:223]
	v_pk_fma_f32 v[22:23], v[2:3], v[116:117], v[20:21] neg_lo:[0,0,1] neg_hi:[0,0,1]
	v_pk_fma_f32 v[2:3], v[2:3], v[116:117], v[20:21] op_sel_hi:[1,0,1]
	v_pk_add_f32 v[18:19], v[18:19], v[224:225]
	v_mov_b32_e32 v23, v3
	v_pk_add_f32 v[2:3], v[18:19], v[22:23]
	v_mov_b32_e32 v18, v119
	v_pk_mul_f32 v[18:19], v[4:5], v[18:19] op_sel:[1,0] op_sel_hi:[0,0]
	v_pk_fma_f32 v[20:21], v[4:5], v[118:119], v[18:19] neg_lo:[0,0,1] neg_hi:[0,0,1]
	v_pk_fma_f32 v[4:5], v[4:5], v[118:119], v[18:19] op_sel_hi:[1,0,1]
	s_nop 0
	v_mov_b32_e32 v21, v5
	s_waitcnt vmcnt(2) lgkmcnt(2)
	v_pk_mul_f32 v[4:5], v[6:7], v[120:121] op_sel:[1,1] op_sel_hi:[0,1]
	v_pk_fma_f32 v[18:19], v[6:7], v[120:121], v[4:5] neg_lo:[0,0,1] neg_hi:[0,0,1]
	v_pk_fma_f32 v[4:5], v[6:7], v[120:121], v[4:5] op_sel_hi:[1,0,1]
	v_pk_add_f32 v[2:3], v[2:3], v[20:21]
	v_mov_b32_e32 v4, v123
	v_mov_b32_e32 v19, v5
	v_pk_mul_f32 v[4:5], v[8:9], v[4:5] op_sel:[1,0] op_sel_hi:[0,0]
	v_pk_fma_f32 v[6:7], v[8:9], v[122:123], v[4:5] neg_lo:[0,0,1] neg_hi:[0,0,1]
	v_pk_fma_f32 v[4:5], v[8:9], v[122:123], v[4:5] op_sel_hi:[1,0,1]
	v_pk_add_f32 v[2:3], v[2:3], v[18:19]
	v_mov_b32_e32 v7, v5
	s_waitcnt vmcnt(1) lgkmcnt(1)
	v_pk_mul_f32 v[4:5], v[10:11], v[210:211] op_sel:[1,1] op_sel_hi:[0,1]
	v_pk_add_f32 v[2:3], v[2:3], v[6:7]
	v_pk_fma_f32 v[6:7], v[10:11], v[210:211], v[4:5] neg_lo:[0,0,1] neg_hi:[0,0,1]
	v_pk_fma_f32 v[4:5], v[10:11], v[210:211], v[4:5] op_sel_hi:[1,0,1]
	s_nop 0
	v_mov_b32_e32 v4, v213
	v_mov_b32_e32 v7, v5
	v_pk_mul_f32 v[4:5], v[12:13], v[4:5] op_sel:[1,0] op_sel_hi:[0,0]
	v_pk_add_f32 v[2:3], v[2:3], v[6:7]
	v_pk_fma_f32 v[6:7], v[12:13], v[212:213], v[4:5] neg_lo:[0,0,1] neg_hi:[0,0,1]
	v_pk_fma_f32 v[4:5], v[12:13], v[212:213], v[4:5] op_sel_hi:[1,0,1]
	s_nop 0
	v_mov_b32_e32 v7, v5
	s_waitcnt vmcnt(0) lgkmcnt(0)
	v_pk_mul_f32 v[4:5], v[14:15], v[214:215] op_sel:[1,1] op_sel_hi:[0,1]
	v_pk_add_f32 v[2:3], v[2:3], v[6:7]
	v_pk_fma_f32 v[6:7], v[14:15], v[214:215], v[4:5] neg_lo:[0,0,1] neg_hi:[0,0,1]
	v_pk_fma_f32 v[4:5], v[14:15], v[214:215], v[4:5] op_sel_hi:[1,0,1]
	s_nop 0
	v_mov_b32_e32 v4, v217
	v_mov_b32_e32 v7, v5
	v_pk_mul_f32 v[4:5], v[16:17], v[4:5] op_sel:[1,0] op_sel_hi:[0,0]
	v_pk_add_f32 v[2:3], v[2:3], v[6:7]
	v_pk_fma_f32 v[6:7], v[16:17], v[216:217], v[4:5] neg_lo:[0,0,1] neg_hi:[0,0,1]
	v_pk_fma_f32 v[4:5], v[16:17], v[216:217], v[4:5] op_sel_hi:[1,0,1]
	s_nop 0
	v_mov_b32_e32 v7, v5
	v_pk_add_f32 v[2:3], v[2:3], v[6:7]
	s_nop 0
	v_pk_add_f32 v[2:3], v[218:219], v[2:3] neg_lo:[0,1] neg_hi:[0,1]
	scratch_store_dwordx2 off, v[2:3], off offset:48
	s_and_saveexec_b64 s[0:1], vcc
	s_cbranch_execz .LBB42_261
; %bb.260:
	scratch_load_dwordx2 v[2:3], off, off offset:40
	v_mov_b32_e32 v4, 0
	v_mov_b32_e32 v5, v4
	scratch_store_dwordx2 off, v[4:5], off offset:40
	s_waitcnt vmcnt(1)
	ds_write_b64 v1, v[2:3]
.LBB42_261:
	s_or_b64 exec, exec, s[0:1]
	s_waitcnt lgkmcnt(0)
	; wave barrier
	scratch_load_dwordx4 v[2:5], off, off offset:48
	scratch_load_dwordx4 v[6:9], off, off offset:64
	;; [unrolled: 1-line block ×15, first 2 shown]
	scratch_load_dwordx2 v[226:227], off, off offset:40
	v_mov_b32_e32 v118, 0
	ds_read_b128 v[62:65], v118 offset:400
	ds_read_b128 v[66:69], v118 offset:416
	;; [unrolled: 1-line block ×14, first 2 shown]
	v_cmp_lt_u32_e32 vcc, 4, v0
	s_waitcnt vmcnt(15) lgkmcnt(13)
	v_mul_f32_e32 v119, v62, v3
	v_mul_f32_e32 v120, v64, v5
	v_fmac_f32_e32 v119, v63, v2
	s_waitcnt vmcnt(14) lgkmcnt(12)
	v_mul_f32_e32 v121, v66, v7
	v_fmac_f32_e32 v120, v65, v4
	v_add_f32_e32 v119, 0, v119
	v_mul_f32_e32 v122, v68, v9
	v_fmac_f32_e32 v121, v67, v6
	v_add_f32_e32 v119, v119, v120
	s_waitcnt vmcnt(13) lgkmcnt(11)
	v_mul_f32_e32 v123, v70, v11
	v_fmac_f32_e32 v122, v69, v8
	v_add_f32_e32 v119, v119, v121
	v_mul_f32_e32 v210, v72, v13
	v_fmac_f32_e32 v123, v71, v10
	v_add_f32_e32 v119, v119, v122
	s_waitcnt vmcnt(12) lgkmcnt(10)
	v_mul_f32_e32 v211, v74, v15
	v_fmac_f32_e32 v210, v73, v12
	v_add_f32_e32 v119, v119, v123
	v_mul_f32_e32 v212, v76, v17
	v_fmac_f32_e32 v211, v75, v14
	v_add_f32_e32 v119, v119, v210
	s_waitcnt vmcnt(11) lgkmcnt(9)
	v_mul_f32_e32 v213, v78, v19
	v_fmac_f32_e32 v212, v77, v16
	v_add_f32_e32 v119, v119, v211
	v_mul_f32_e32 v214, v80, v21
	v_fmac_f32_e32 v213, v79, v18
	v_add_f32_e32 v119, v119, v212
	s_waitcnt vmcnt(10) lgkmcnt(8)
	v_mul_f32_e32 v215, v82, v23
	v_fmac_f32_e32 v214, v81, v20
	v_add_f32_e32 v119, v119, v213
	v_mul_f32_e32 v216, v84, v25
	v_fmac_f32_e32 v215, v83, v22
	v_add_f32_e32 v119, v119, v214
	s_waitcnt vmcnt(9) lgkmcnt(7)
	v_mul_f32_e32 v217, v86, v27
	v_fmac_f32_e32 v216, v85, v24
	v_add_f32_e32 v119, v119, v215
	v_mul_f32_e32 v218, v88, v29
	v_fmac_f32_e32 v217, v87, v26
	v_add_f32_e32 v119, v119, v216
	s_waitcnt vmcnt(8) lgkmcnt(6)
	v_mul_f32_e32 v219, v90, v31
	v_fmac_f32_e32 v218, v89, v28
	v_add_f32_e32 v119, v119, v217
	v_mul_f32_e32 v220, v92, v33
	v_fmac_f32_e32 v219, v91, v30
	v_add_f32_e32 v119, v119, v218
	s_waitcnt vmcnt(7) lgkmcnt(5)
	v_mul_f32_e32 v221, v94, v35
	v_fmac_f32_e32 v220, v93, v32
	v_add_f32_e32 v119, v119, v219
	v_mul_f32_e32 v222, v96, v37
	v_fmac_f32_e32 v221, v95, v34
	v_add_f32_e32 v119, v119, v220
	s_waitcnt vmcnt(6) lgkmcnt(4)
	v_mul_f32_e32 v223, v98, v39
	v_fmac_f32_e32 v222, v97, v36
	v_add_f32_e32 v119, v119, v221
	v_mul_f32_e32 v224, v100, v41
	v_fmac_f32_e32 v223, v99, v38
	v_add_f32_e32 v119, v119, v222
	s_waitcnt vmcnt(5) lgkmcnt(3)
	v_mul_f32_e32 v225, v102, v43
	v_fmac_f32_e32 v224, v101, v40
	v_add_f32_e32 v119, v119, v223
	v_mul_f32_e32 v228, v104, v45
	v_fmac_f32_e32 v225, v103, v42
	v_add_f32_e32 v119, v119, v224
	s_waitcnt vmcnt(4) lgkmcnt(2)
	v_mul_f32_e32 v229, v106, v47
	v_fmac_f32_e32 v228, v105, v44
	v_add_f32_e32 v119, v119, v225
	v_mul_f32_e32 v230, v108, v49
	v_fmac_f32_e32 v229, v107, v46
	v_add_f32_e32 v119, v119, v228
	s_waitcnt vmcnt(3) lgkmcnt(1)
	v_mul_f32_e32 v231, v110, v51
	v_fmac_f32_e32 v230, v109, v48
	v_add_f32_e32 v119, v119, v229
	v_add_f32_e32 v119, v119, v230
	v_fmac_f32_e32 v231, v111, v50
	v_mul_f32_e32 v120, v112, v53
	v_add_f32_e32 v119, v119, v231
	v_fmac_f32_e32 v120, v113, v52
	s_waitcnt vmcnt(2) lgkmcnt(0)
	v_mul_f32_e32 v210, v114, v55
	v_add_f32_e32 v119, v119, v120
	v_fmac_f32_e32 v210, v115, v54
	ds_read_b128 v[120:123], v118 offset:624
	v_add_f32_e32 v229, v119, v210
	ds_read_b128 v[210:213], v118 offset:640
	scratch_load_dwordx4 v[214:217], off, off offset:288
	scratch_load_dwordx4 v[218:221], off, off offset:304
	;; [unrolled: 1-line block ×3, first 2 shown]
	scratch_load_dwordx2 v[234:235], off, off offset:336
	v_mul_f32_e32 v3, v63, v3
	v_fma_f32 v2, v62, v2, -v3
	v_mul_f32_e32 v3, v65, v5
	v_add_f32_e32 v2, 0, v2
	v_fma_f32 v3, v64, v4, -v3
	v_add_f32_e32 v2, v2, v3
	v_mul_f32_e32 v3, v67, v7
	v_fma_f32 v3, v66, v6, -v3
	v_add_f32_e32 v2, v2, v3
	v_mul_f32_e32 v3, v69, v9
	;; [unrolled: 3-line block ×25, first 2 shown]
	v_fma_f32 v3, v114, v54, -v3
	v_mul_f32_e32 v231, v116, v57
	v_add_f32_e32 v228, v2, v3
	v_mul_f32_e32 v2, v117, v57
	s_waitcnt vmcnt(5)
	v_mov_b32_e32 v14, v61
	v_fmac_f32_e32 v231, v117, v56
	s_waitcnt lgkmcnt(1)
	v_mul_f32_e32 v233, v120, v59
	v_fma_f32 v230, v116, v56, -v2
	v_mul_f32_e32 v2, v121, v59
	v_pk_mul_f32 v[14:15], v[122:123], v[14:15] op_sel:[1,0] op_sel_hi:[0,0]
	v_fmac_f32_e32 v233, v121, v58
	v_fma_f32 v232, v120, v58, -v2
	v_pk_add_f32 v[12:13], v[228:229], v[230:231]
	v_pk_fma_f32 v[16:17], v[122:123], v[60:61], v[14:15] neg_lo:[0,0,1] neg_hi:[0,0,1]
	v_pk_fma_f32 v[14:15], v[122:123], v[60:61], v[14:15] op_sel_hi:[1,0,1]
	v_pk_add_f32 v[12:13], v[12:13], v[232:233]
	v_mov_b32_e32 v17, v15
	s_waitcnt vmcnt(3) lgkmcnt(0)
	v_pk_mul_f32 v[14:15], v[210:211], v[214:215] op_sel:[1,1] op_sel_hi:[0,1]
	v_pk_add_f32 v[12:13], v[12:13], v[16:17]
	v_pk_fma_f32 v[16:17], v[210:211], v[214:215], v[14:15] neg_lo:[0,0,1] neg_hi:[0,0,1]
	v_pk_fma_f32 v[14:15], v[210:211], v[214:215], v[14:15] op_sel_hi:[1,0,1]
	ds_read_b128 v[2:5], v118 offset:656
	ds_read_b128 v[6:9], v118 offset:672
	ds_read_b64 v[10:11], v118 offset:688
	v_mov_b32_e32 v14, v217
	v_mov_b32_e32 v17, v15
	v_pk_mul_f32 v[14:15], v[212:213], v[14:15] op_sel:[1,0] op_sel_hi:[0,0]
	v_pk_add_f32 v[12:13], v[12:13], v[16:17]
	v_pk_fma_f32 v[16:17], v[212:213], v[216:217], v[14:15] neg_lo:[0,0,1] neg_hi:[0,0,1]
	v_pk_fma_f32 v[14:15], v[212:213], v[216:217], v[14:15] op_sel_hi:[1,0,1]
	s_nop 0
	v_mov_b32_e32 v17, v15
	s_waitcnt vmcnt(2) lgkmcnt(2)
	v_pk_mul_f32 v[14:15], v[2:3], v[218:219] op_sel:[1,1] op_sel_hi:[0,1]
	v_pk_add_f32 v[12:13], v[12:13], v[16:17]
	v_pk_fma_f32 v[16:17], v[2:3], v[218:219], v[14:15] neg_lo:[0,0,1] neg_hi:[0,0,1]
	v_pk_fma_f32 v[2:3], v[2:3], v[218:219], v[14:15] op_sel_hi:[1,0,1]
	s_nop 0
	v_mov_b32_e32 v17, v3
	v_pk_add_f32 v[2:3], v[12:13], v[16:17]
	v_mov_b32_e32 v12, v221
	v_pk_mul_f32 v[12:13], v[4:5], v[12:13] op_sel:[1,0] op_sel_hi:[0,0]
	v_pk_fma_f32 v[14:15], v[4:5], v[220:221], v[12:13] neg_lo:[0,0,1] neg_hi:[0,0,1]
	v_pk_fma_f32 v[4:5], v[4:5], v[220:221], v[12:13] op_sel_hi:[1,0,1]
	s_nop 0
	v_mov_b32_e32 v15, v5
	s_waitcnt vmcnt(1) lgkmcnt(1)
	v_pk_mul_f32 v[4:5], v[6:7], v[222:223] op_sel:[1,1] op_sel_hi:[0,1]
	v_pk_fma_f32 v[12:13], v[6:7], v[222:223], v[4:5] neg_lo:[0,0,1] neg_hi:[0,0,1]
	v_pk_fma_f32 v[4:5], v[6:7], v[222:223], v[4:5] op_sel_hi:[1,0,1]
	v_pk_add_f32 v[2:3], v[2:3], v[14:15]
	v_mov_b32_e32 v4, v225
	v_mov_b32_e32 v13, v5
	v_pk_mul_f32 v[4:5], v[8:9], v[4:5] op_sel:[1,0] op_sel_hi:[0,0]
	v_pk_fma_f32 v[6:7], v[8:9], v[224:225], v[4:5] neg_lo:[0,0,1] neg_hi:[0,0,1]
	v_pk_fma_f32 v[4:5], v[8:9], v[224:225], v[4:5] op_sel_hi:[1,0,1]
	v_pk_add_f32 v[2:3], v[2:3], v[12:13]
	v_mov_b32_e32 v7, v5
	s_waitcnt vmcnt(0) lgkmcnt(0)
	v_pk_mul_f32 v[4:5], v[10:11], v[234:235] op_sel:[1,1] op_sel_hi:[0,1]
	v_pk_add_f32 v[2:3], v[2:3], v[6:7]
	v_pk_fma_f32 v[6:7], v[10:11], v[234:235], v[4:5] neg_lo:[0,0,1] neg_hi:[0,0,1]
	v_pk_fma_f32 v[4:5], v[10:11], v[234:235], v[4:5] op_sel_hi:[1,0,1]
	s_nop 0
	v_mov_b32_e32 v7, v5
	v_pk_add_f32 v[2:3], v[2:3], v[6:7]
	s_nop 0
	v_pk_add_f32 v[2:3], v[226:227], v[2:3] neg_lo:[0,1] neg_hi:[0,1]
	scratch_store_dwordx2 off, v[2:3], off offset:40
	s_and_saveexec_b64 s[0:1], vcc
	s_cbranch_execz .LBB42_263
; %bb.262:
	scratch_load_dwordx2 v[2:3], off, off offset:32
	v_mov_b32_e32 v119, v118
	scratch_store_dwordx2 off, v[118:119], off offset:32
	s_waitcnt vmcnt(1)
	ds_write_b64 v1, v[2:3]
.LBB42_263:
	s_or_b64 exec, exec, s[0:1]
	s_waitcnt lgkmcnt(0)
	; wave barrier
	scratch_load_dwordx4 v[2:5], off, off offset:40
	scratch_load_dwordx4 v[6:9], off, off offset:56
	;; [unrolled: 1-line block ×13, first 2 shown]
	ds_read2_b64 v[114:117], v118 offset0:49 offset1:50
	ds_read2_b64 v[110:113], v118 offset0:51 offset1:52
	;; [unrolled: 1-line block ×14, first 2 shown]
	scratch_load_dwordx4 v[62:65], off, off offset:248
	scratch_load_dwordx4 v[70:73], off, off offset:264
	scratch_load_dwordx2 v[230:231], off, off offset:32
	v_cmp_lt_u32_e32 vcc, 3, v0
	s_waitcnt vmcnt(15) lgkmcnt(13)
	v_mul_f32_e32 v119, v114, v3
	v_mul_f32_e32 v120, v116, v5
	v_fmac_f32_e32 v119, v115, v2
	s_waitcnt vmcnt(14) lgkmcnt(12)
	v_mul_f32_e32 v121, v110, v7
	v_fmac_f32_e32 v120, v117, v4
	v_add_f32_e32 v119, 0, v119
	v_mul_f32_e32 v122, v112, v9
	v_fmac_f32_e32 v121, v111, v6
	v_add_f32_e32 v119, v119, v120
	s_waitcnt vmcnt(13) lgkmcnt(11)
	v_mul_f32_e32 v123, v106, v11
	v_fmac_f32_e32 v122, v113, v8
	v_add_f32_e32 v119, v119, v121
	v_mul_f32_e32 v210, v108, v13
	v_fmac_f32_e32 v123, v107, v10
	v_add_f32_e32 v119, v119, v122
	;; [unrolled: 7-line block ×11, first 2 shown]
	s_waitcnt vmcnt(3) lgkmcnt(1)
	v_mul_f32_e32 v229, v54, v51
	v_fmac_f32_e32 v228, v69, v48
	v_add_f32_e32 v119, v119, v227
	v_fmac_f32_e32 v229, v55, v50
	v_add_f32_e32 v119, v119, v228
	v_mul_f32_e32 v120, v56, v53
	v_add_f32_e32 v119, v119, v229
	v_fmac_f32_e32 v120, v57, v52
	v_add_f32_e32 v119, v119, v120
	s_waitcnt vmcnt(2) lgkmcnt(0)
	v_mul_f32_e32 v120, v58, v63
	v_fmac_f32_e32 v120, v59, v62
	v_mul_f32_e32 v210, v60, v65
	v_add_f32_e32 v119, v119, v120
	v_fmac_f32_e32 v210, v61, v64
	ds_read2_b64 v[120:123], v118 offset0:77 offset1:78
	v_add_f32_e32 v233, v119, v210
	ds_read2_b64 v[210:213], v118 offset0:79 offset1:80
	scratch_load_dwordx4 v[214:217], off, off offset:280
	scratch_load_dwordx4 v[218:221], off, off offset:296
	;; [unrolled: 1-line block ×4, first 2 shown]
	v_mul_f32_e32 v3, v115, v3
	v_fma_f32 v2, v114, v2, -v3
	v_mul_f32_e32 v3, v117, v5
	v_add_f32_e32 v2, 0, v2
	v_fma_f32 v3, v116, v4, -v3
	v_add_f32_e32 v2, v2, v3
	v_mul_f32_e32 v3, v111, v7
	v_fma_f32 v3, v110, v6, -v3
	v_add_f32_e32 v2, v2, v3
	v_mul_f32_e32 v3, v113, v9
	;; [unrolled: 3-line block ×26, first 2 shown]
	v_fma_f32 v3, v60, v64, -v3
	s_waitcnt vmcnt(5) lgkmcnt(1)
	v_mul_f32_e32 v235, v120, v71
	v_add_f32_e32 v232, v2, v3
	v_mul_f32_e32 v2, v121, v71
	s_waitcnt vmcnt(3) lgkmcnt(0)
	v_pk_mul_f32 v[16:17], v[210:211], v[214:215] op_sel:[1,1] op_sel_hi:[0,1]
	v_fmac_f32_e32 v235, v121, v70
	v_mul_f32_e32 v237, v122, v73
	v_fma_f32 v234, v120, v70, -v2
	v_mul_f32_e32 v2, v123, v73
	v_pk_fma_f32 v[18:19], v[210:211], v[214:215], v[16:17] neg_lo:[0,0,1] neg_hi:[0,0,1]
	v_pk_fma_f32 v[16:17], v[210:211], v[214:215], v[16:17] op_sel_hi:[1,0,1]
	v_fmac_f32_e32 v237, v123, v72
	v_fma_f32 v236, v122, v72, -v2
	ds_read2_b64 v[2:5], v118 offset0:81 offset1:82
	ds_read2_b64 v[6:9], v118 offset0:83 offset1:84
	;; [unrolled: 1-line block ×3, first 2 shown]
	v_pk_add_f32 v[14:15], v[232:233], v[234:235]
	v_mov_b32_e32 v16, v217
	v_pk_add_f32 v[14:15], v[14:15], v[236:237]
	v_mov_b32_e32 v19, v17
	v_pk_mul_f32 v[16:17], v[212:213], v[16:17] op_sel:[1,0] op_sel_hi:[0,0]
	v_pk_add_f32 v[14:15], v[14:15], v[18:19]
	v_pk_fma_f32 v[18:19], v[212:213], v[216:217], v[16:17] neg_lo:[0,0,1] neg_hi:[0,0,1]
	v_pk_fma_f32 v[16:17], v[212:213], v[216:217], v[16:17] op_sel_hi:[1,0,1]
	s_nop 0
	v_mov_b32_e32 v19, v17
	s_waitcnt vmcnt(2) lgkmcnt(2)
	v_pk_mul_f32 v[16:17], v[2:3], v[218:219] op_sel:[1,1] op_sel_hi:[0,1]
	v_pk_add_f32 v[14:15], v[14:15], v[18:19]
	v_pk_fma_f32 v[18:19], v[2:3], v[218:219], v[16:17] neg_lo:[0,0,1] neg_hi:[0,0,1]
	v_pk_fma_f32 v[2:3], v[2:3], v[218:219], v[16:17] op_sel_hi:[1,0,1]
	s_nop 0
	v_mov_b32_e32 v19, v3
	v_pk_add_f32 v[2:3], v[14:15], v[18:19]
	v_mov_b32_e32 v14, v221
	v_pk_mul_f32 v[14:15], v[4:5], v[14:15] op_sel:[1,0] op_sel_hi:[0,0]
	v_pk_fma_f32 v[16:17], v[4:5], v[220:221], v[14:15] neg_lo:[0,0,1] neg_hi:[0,0,1]
	v_pk_fma_f32 v[4:5], v[4:5], v[220:221], v[14:15] op_sel_hi:[1,0,1]
	s_nop 0
	v_mov_b32_e32 v17, v5
	s_waitcnt vmcnt(1) lgkmcnt(1)
	v_pk_mul_f32 v[4:5], v[6:7], v[222:223] op_sel:[1,1] op_sel_hi:[0,1]
	v_pk_fma_f32 v[14:15], v[6:7], v[222:223], v[4:5] neg_lo:[0,0,1] neg_hi:[0,0,1]
	v_pk_fma_f32 v[4:5], v[6:7], v[222:223], v[4:5] op_sel_hi:[1,0,1]
	v_pk_add_f32 v[2:3], v[2:3], v[16:17]
	v_mov_b32_e32 v4, v225
	v_mov_b32_e32 v15, v5
	v_pk_mul_f32 v[4:5], v[8:9], v[4:5] op_sel:[1,0] op_sel_hi:[0,0]
	v_pk_fma_f32 v[6:7], v[8:9], v[224:225], v[4:5] neg_lo:[0,0,1] neg_hi:[0,0,1]
	v_pk_fma_f32 v[4:5], v[8:9], v[224:225], v[4:5] op_sel_hi:[1,0,1]
	v_pk_add_f32 v[2:3], v[2:3], v[14:15]
	v_mov_b32_e32 v7, v5
	s_waitcnt vmcnt(0) lgkmcnt(0)
	v_pk_mul_f32 v[4:5], v[10:11], v[226:227] op_sel:[1,1] op_sel_hi:[0,1]
	v_pk_add_f32 v[2:3], v[2:3], v[6:7]
	v_pk_fma_f32 v[6:7], v[10:11], v[226:227], v[4:5] neg_lo:[0,0,1] neg_hi:[0,0,1]
	v_pk_fma_f32 v[4:5], v[10:11], v[226:227], v[4:5] op_sel_hi:[1,0,1]
	s_nop 0
	v_mov_b32_e32 v4, v229
	v_mov_b32_e32 v7, v5
	v_pk_mul_f32 v[4:5], v[12:13], v[4:5] op_sel:[1,0] op_sel_hi:[0,0]
	v_pk_add_f32 v[2:3], v[2:3], v[6:7]
	v_pk_fma_f32 v[6:7], v[12:13], v[228:229], v[4:5] neg_lo:[0,0,1] neg_hi:[0,0,1]
	v_pk_fma_f32 v[4:5], v[12:13], v[228:229], v[4:5] op_sel_hi:[1,0,1]
	s_nop 0
	v_mov_b32_e32 v7, v5
	v_pk_add_f32 v[2:3], v[2:3], v[6:7]
	s_nop 0
	v_pk_add_f32 v[2:3], v[230:231], v[2:3] neg_lo:[0,1] neg_hi:[0,1]
	scratch_store_dwordx2 off, v[2:3], off offset:32
	s_and_saveexec_b64 s[0:1], vcc
	s_cbranch_execz .LBB42_265
; %bb.264:
	scratch_load_dwordx2 v[2:3], off, off offset:24
	v_mov_b32_e32 v4, 0
	v_mov_b32_e32 v5, v4
	scratch_store_dwordx2 off, v[4:5], off offset:24
	s_waitcnt vmcnt(1)
	ds_write_b64 v1, v[2:3]
.LBB42_265:
	s_or_b64 exec, exec, s[0:1]
	s_waitcnt lgkmcnt(0)
	; wave barrier
	scratch_load_dwordx4 v[2:5], off, off offset:32
	scratch_load_dwordx4 v[6:9], off, off offset:48
	;; [unrolled: 1-line block ×16, first 2 shown]
	scratch_load_dwordx2 v[230:231], off, off offset:24
	v_mov_b32_e32 v122, 0
	ds_read_b128 v[66:69], v122 offset:384
	ds_read_b128 v[70:73], v122 offset:400
	;; [unrolled: 1-line block ×14, first 2 shown]
	v_cmp_lt_u32_e32 vcc, 2, v0
	s_waitcnt vmcnt(16) lgkmcnt(13)
	v_mul_f32_e32 v123, v66, v3
	v_mul_f32_e32 v210, v68, v5
	v_fmac_f32_e32 v123, v67, v2
	s_waitcnt vmcnt(15) lgkmcnt(12)
	v_mul_f32_e32 v211, v70, v7
	v_fmac_f32_e32 v210, v69, v4
	v_add_f32_e32 v123, 0, v123
	v_mul_f32_e32 v212, v72, v9
	v_fmac_f32_e32 v211, v71, v6
	v_add_f32_e32 v123, v123, v210
	s_waitcnt vmcnt(14) lgkmcnt(11)
	v_mul_f32_e32 v213, v74, v11
	v_fmac_f32_e32 v212, v73, v8
	v_add_f32_e32 v123, v123, v211
	v_mul_f32_e32 v214, v76, v13
	v_fmac_f32_e32 v213, v75, v10
	v_add_f32_e32 v123, v123, v212
	;; [unrolled: 7-line block ×11, first 2 shown]
	v_fmac_f32_e32 v234, v113, v48
	v_add_f32_e32 v123, v123, v233
	s_waitcnt vmcnt(4) lgkmcnt(1)
	v_mul_f32_e32 v210, v114, v51
	v_add_f32_e32 v123, v123, v234
	v_fmac_f32_e32 v210, v115, v50
	v_add_f32_e32 v123, v123, v210
	v_mul_f32_e32 v210, v116, v53
	v_fmac_f32_e32 v210, v117, v52
	v_add_f32_e32 v123, v123, v210
	s_waitcnt vmcnt(3) lgkmcnt(0)
	v_mul_f32_e32 v210, v118, v55
	v_fmac_f32_e32 v210, v119, v54
	v_add_f32_e32 v123, v123, v210
	ds_read_b128 v[210:213], v122 offset:608
	v_mul_f32_e32 v214, v120, v57
	v_fmac_f32_e32 v214, v121, v56
	v_add_f32_e32 v123, v123, v214
	ds_read_b128 v[214:217], v122 offset:624
	s_waitcnt vmcnt(2) lgkmcnt(1)
	v_mul_f32_e32 v218, v210, v63
	v_fmac_f32_e32 v218, v211, v62
	v_add_f32_e32 v233, v123, v218
	scratch_load_dwordx4 v[218:221], off, off offset:288
	scratch_load_dwordx4 v[222:225], off, off offset:304
	;; [unrolled: 1-line block ×3, first 2 shown]
	scratch_load_dwordx2 v[238:239], off, off offset:336
	v_mul_f32_e32 v3, v67, v3
	v_fma_f32 v2, v66, v2, -v3
	v_mul_f32_e32 v3, v69, v5
	v_add_f32_e32 v2, 0, v2
	v_fma_f32 v3, v68, v4, -v3
	v_add_f32_e32 v2, v2, v3
	v_mul_f32_e32 v3, v71, v7
	v_fma_f32 v3, v70, v6, -v3
	v_add_f32_e32 v2, v2, v3
	v_mul_f32_e32 v3, v73, v9
	;; [unrolled: 3-line block ×28, first 2 shown]
	v_mul_f32_e32 v235, v212, v65
	v_fma_f32 v234, v212, v64, -v2
	s_waitcnt vmcnt(5) lgkmcnt(0)
	v_mul_f32_e32 v2, v215, v59
	v_mov_b32_e32 v18, v61
	v_fmac_f32_e32 v235, v213, v64
	v_mul_f32_e32 v237, v214, v59
	v_fma_f32 v236, v214, v58, -v2
	ds_read_b128 v[2:5], v122 offset:640
	ds_read_b128 v[6:9], v122 offset:656
	;; [unrolled: 1-line block ×3, first 2 shown]
	ds_read_b64 v[14:15], v122 offset:688
	v_pk_mul_f32 v[18:19], v[216:217], v[18:19] op_sel:[1,0] op_sel_hi:[0,0]
	v_fmac_f32_e32 v237, v215, v58
	v_pk_add_f32 v[16:17], v[232:233], v[234:235]
	v_pk_fma_f32 v[20:21], v[216:217], v[60:61], v[18:19] neg_lo:[0,0,1] neg_hi:[0,0,1]
	v_pk_fma_f32 v[18:19], v[216:217], v[60:61], v[18:19] op_sel_hi:[1,0,1]
	v_pk_add_f32 v[16:17], v[16:17], v[236:237]
	v_mov_b32_e32 v21, v19
	s_waitcnt vmcnt(3) lgkmcnt(3)
	v_pk_mul_f32 v[18:19], v[2:3], v[218:219] op_sel:[1,1] op_sel_hi:[0,1]
	v_pk_add_f32 v[16:17], v[16:17], v[20:21]
	v_pk_fma_f32 v[20:21], v[2:3], v[218:219], v[18:19] neg_lo:[0,0,1] neg_hi:[0,0,1]
	v_pk_fma_f32 v[2:3], v[2:3], v[218:219], v[18:19] op_sel_hi:[1,0,1]
	s_nop 0
	v_mov_b32_e32 v21, v3
	v_pk_add_f32 v[2:3], v[16:17], v[20:21]
	v_mov_b32_e32 v16, v221
	v_pk_mul_f32 v[16:17], v[4:5], v[16:17] op_sel:[1,0] op_sel_hi:[0,0]
	v_pk_fma_f32 v[18:19], v[4:5], v[220:221], v[16:17] neg_lo:[0,0,1] neg_hi:[0,0,1]
	v_pk_fma_f32 v[4:5], v[4:5], v[220:221], v[16:17] op_sel_hi:[1,0,1]
	s_nop 0
	v_mov_b32_e32 v19, v5
	s_waitcnt vmcnt(2) lgkmcnt(2)
	v_pk_mul_f32 v[4:5], v[6:7], v[222:223] op_sel:[1,1] op_sel_hi:[0,1]
	v_pk_fma_f32 v[16:17], v[6:7], v[222:223], v[4:5] neg_lo:[0,0,1] neg_hi:[0,0,1]
	v_pk_fma_f32 v[4:5], v[6:7], v[222:223], v[4:5] op_sel_hi:[1,0,1]
	v_pk_add_f32 v[2:3], v[2:3], v[18:19]
	v_mov_b32_e32 v4, v225
	v_mov_b32_e32 v17, v5
	v_pk_mul_f32 v[4:5], v[8:9], v[4:5] op_sel:[1,0] op_sel_hi:[0,0]
	v_pk_fma_f32 v[6:7], v[8:9], v[224:225], v[4:5] neg_lo:[0,0,1] neg_hi:[0,0,1]
	v_pk_fma_f32 v[4:5], v[8:9], v[224:225], v[4:5] op_sel_hi:[1,0,1]
	v_pk_add_f32 v[2:3], v[2:3], v[16:17]
	v_mov_b32_e32 v7, v5
	s_waitcnt vmcnt(1) lgkmcnt(1)
	v_pk_mul_f32 v[4:5], v[10:11], v[226:227] op_sel:[1,1] op_sel_hi:[0,1]
	v_pk_add_f32 v[2:3], v[2:3], v[6:7]
	v_pk_fma_f32 v[6:7], v[10:11], v[226:227], v[4:5] neg_lo:[0,0,1] neg_hi:[0,0,1]
	v_pk_fma_f32 v[4:5], v[10:11], v[226:227], v[4:5] op_sel_hi:[1,0,1]
	s_nop 0
	v_mov_b32_e32 v4, v229
	v_mov_b32_e32 v7, v5
	v_pk_mul_f32 v[4:5], v[12:13], v[4:5] op_sel:[1,0] op_sel_hi:[0,0]
	v_pk_add_f32 v[2:3], v[2:3], v[6:7]
	v_pk_fma_f32 v[6:7], v[12:13], v[228:229], v[4:5] neg_lo:[0,0,1] neg_hi:[0,0,1]
	v_pk_fma_f32 v[4:5], v[12:13], v[228:229], v[4:5] op_sel_hi:[1,0,1]
	s_nop 0
	v_mov_b32_e32 v7, v5
	s_waitcnt vmcnt(0) lgkmcnt(0)
	v_pk_mul_f32 v[4:5], v[14:15], v[238:239] op_sel:[1,1] op_sel_hi:[0,1]
	v_pk_add_f32 v[2:3], v[2:3], v[6:7]
	v_pk_fma_f32 v[6:7], v[14:15], v[238:239], v[4:5] neg_lo:[0,0,1] neg_hi:[0,0,1]
	v_pk_fma_f32 v[4:5], v[14:15], v[238:239], v[4:5] op_sel_hi:[1,0,1]
	s_nop 0
	v_mov_b32_e32 v7, v5
	v_pk_add_f32 v[2:3], v[2:3], v[6:7]
	s_nop 0
	v_pk_add_f32 v[2:3], v[230:231], v[2:3] neg_lo:[0,1] neg_hi:[0,1]
	scratch_store_dwordx2 off, v[2:3], off offset:24
	s_and_saveexec_b64 s[0:1], vcc
	s_cbranch_execz .LBB42_267
; %bb.266:
	scratch_load_dwordx2 v[2:3], off, off offset:16
	v_mov_b32_e32 v123, v122
	scratch_store_dwordx2 off, v[122:123], off offset:16
	s_waitcnt vmcnt(1)
	ds_write_b64 v1, v[2:3]
.LBB42_267:
	s_or_b64 exec, exec, s[0:1]
	s_waitcnt lgkmcnt(0)
	; wave barrier
	scratch_load_dwordx4 v[2:5], off, off offset:24
	scratch_load_dwordx4 v[6:9], off, off offset:40
	;; [unrolled: 1-line block ×13, first 2 shown]
	ds_read2_b64 v[118:121], v122 offset0:47 offset1:48
	ds_read2_b64 v[114:117], v122 offset0:49 offset1:50
	;; [unrolled: 1-line block ×14, first 2 shown]
	scratch_load_dwordx4 v[62:65], off, off offset:232
	scratch_load_dwordx4 v[70:73], off, off offset:248
	;; [unrolled: 1-line block ×3, first 2 shown]
	scratch_load_dwordx2 v[234:235], off, off offset:16
	v_cmp_lt_u32_e32 vcc, 1, v0
	s_waitcnt vmcnt(16) lgkmcnt(13)
	v_mul_f32_e32 v123, v118, v3
	v_mul_f32_e32 v210, v120, v5
	v_fmac_f32_e32 v123, v119, v2
	s_waitcnt vmcnt(15) lgkmcnt(12)
	v_mul_f32_e32 v211, v114, v7
	v_fmac_f32_e32 v210, v121, v4
	v_add_f32_e32 v123, 0, v123
	v_mul_f32_e32 v212, v116, v9
	v_fmac_f32_e32 v211, v115, v6
	v_add_f32_e32 v123, v123, v210
	s_waitcnt vmcnt(14) lgkmcnt(11)
	v_mul_f32_e32 v213, v110, v11
	v_fmac_f32_e32 v212, v117, v8
	v_add_f32_e32 v123, v123, v211
	v_mul_f32_e32 v214, v112, v13
	v_fmac_f32_e32 v213, v111, v10
	v_add_f32_e32 v123, v123, v212
	;; [unrolled: 7-line block ×11, first 2 shown]
	s_waitcnt vmcnt(4) lgkmcnt(1)
	v_mul_f32_e32 v233, v54, v51
	v_fmac_f32_e32 v232, v69, v48
	v_add_f32_e32 v123, v123, v231
	v_add_f32_e32 v123, v123, v232
	v_fmac_f32_e32 v233, v55, v50
	v_mul_f32_e32 v210, v56, v53
	v_add_f32_e32 v123, v123, v233
	v_fmac_f32_e32 v210, v57, v52
	v_add_f32_e32 v123, v123, v210
	s_waitcnt vmcnt(3) lgkmcnt(0)
	v_mul_f32_e32 v210, v58, v63
	v_fmac_f32_e32 v210, v59, v62
	v_add_f32_e32 v123, v123, v210
	ds_read2_b64 v[210:213], v122 offset0:75 offset1:76
	v_mul_f32_e32 v214, v60, v65
	v_fmac_f32_e32 v214, v61, v64
	v_add_f32_e32 v123, v123, v214
	ds_read2_b64 v[214:217], v122 offset0:77 offset1:78
	s_waitcnt vmcnt(2) lgkmcnt(1)
	v_mul_f32_e32 v218, v210, v71
	v_fmac_f32_e32 v218, v211, v70
	v_add_f32_e32 v123, v123, v218
	v_mul_f32_e32 v218, v212, v73
	v_fmac_f32_e32 v218, v213, v72
	v_add_f32_e32 v237, v123, v218
	scratch_load_dwordx4 v[218:221], off, off offset:280
	scratch_load_dwordx4 v[222:225], off, off offset:296
	scratch_load_dwordx4 v[226:229], off, off offset:312
	scratch_load_dwordx4 v[230:233], off, off offset:328
	v_mul_f32_e32 v3, v119, v3
	v_fma_f32 v2, v118, v2, -v3
	v_mul_f32_e32 v3, v121, v5
	v_add_f32_e32 v2, 0, v2
	v_fma_f32 v3, v120, v4, -v3
	v_add_f32_e32 v2, v2, v3
	v_mul_f32_e32 v3, v115, v7
	v_fma_f32 v3, v114, v6, -v3
	v_add_f32_e32 v2, v2, v3
	v_mul_f32_e32 v3, v117, v9
	;; [unrolled: 3-line block ×28, first 2 shown]
	v_fma_f32 v3, v212, v72, -v3
	v_add_f32_e32 v236, v2, v3
	s_waitcnt vmcnt(5) lgkmcnt(0)
	v_mul_f32_e32 v2, v215, v79
	v_fma_f32 v238, v214, v78, -v2
	v_mul_f32_e32 v2, v217, v81
	v_fma_f32 v240, v216, v80, -v2
	ds_read2_b64 v[2:5], v122 offset0:79 offset1:80
	ds_read2_b64 v[6:9], v122 offset0:81 offset1:82
	;; [unrolled: 1-line block ×4, first 2 shown]
	v_mul_f32_e32 v239, v214, v79
	v_fmac_f32_e32 v239, v215, v78
	v_mul_f32_e32 v241, v216, v81
	s_waitcnt vmcnt(3) lgkmcnt(3)
	v_pk_mul_f32 v[20:21], v[2:3], v[218:219] op_sel:[1,1] op_sel_hi:[0,1]
	v_fmac_f32_e32 v241, v217, v80
	v_pk_add_f32 v[18:19], v[236:237], v[238:239]
	v_pk_fma_f32 v[22:23], v[2:3], v[218:219], v[20:21] neg_lo:[0,0,1] neg_hi:[0,0,1]
	v_pk_fma_f32 v[2:3], v[2:3], v[218:219], v[20:21] op_sel_hi:[1,0,1]
	v_pk_add_f32 v[18:19], v[18:19], v[240:241]
	v_mov_b32_e32 v23, v3
	v_pk_add_f32 v[2:3], v[18:19], v[22:23]
	v_mov_b32_e32 v18, v221
	v_pk_mul_f32 v[18:19], v[4:5], v[18:19] op_sel:[1,0] op_sel_hi:[0,0]
	v_pk_fma_f32 v[20:21], v[4:5], v[220:221], v[18:19] neg_lo:[0,0,1] neg_hi:[0,0,1]
	v_pk_fma_f32 v[4:5], v[4:5], v[220:221], v[18:19] op_sel_hi:[1,0,1]
	s_nop 0
	v_mov_b32_e32 v21, v5
	s_waitcnt vmcnt(2) lgkmcnt(2)
	v_pk_mul_f32 v[4:5], v[6:7], v[222:223] op_sel:[1,1] op_sel_hi:[0,1]
	v_pk_fma_f32 v[18:19], v[6:7], v[222:223], v[4:5] neg_lo:[0,0,1] neg_hi:[0,0,1]
	v_pk_fma_f32 v[4:5], v[6:7], v[222:223], v[4:5] op_sel_hi:[1,0,1]
	v_pk_add_f32 v[2:3], v[2:3], v[20:21]
	v_mov_b32_e32 v4, v225
	v_mov_b32_e32 v19, v5
	v_pk_mul_f32 v[4:5], v[8:9], v[4:5] op_sel:[1,0] op_sel_hi:[0,0]
	v_pk_fma_f32 v[6:7], v[8:9], v[224:225], v[4:5] neg_lo:[0,0,1] neg_hi:[0,0,1]
	v_pk_fma_f32 v[4:5], v[8:9], v[224:225], v[4:5] op_sel_hi:[1,0,1]
	v_pk_add_f32 v[2:3], v[2:3], v[18:19]
	v_mov_b32_e32 v7, v5
	s_waitcnt vmcnt(1) lgkmcnt(1)
	v_pk_mul_f32 v[4:5], v[10:11], v[226:227] op_sel:[1,1] op_sel_hi:[0,1]
	v_pk_add_f32 v[2:3], v[2:3], v[6:7]
	v_pk_fma_f32 v[6:7], v[10:11], v[226:227], v[4:5] neg_lo:[0,0,1] neg_hi:[0,0,1]
	v_pk_fma_f32 v[4:5], v[10:11], v[226:227], v[4:5] op_sel_hi:[1,0,1]
	s_nop 0
	v_mov_b32_e32 v4, v229
	v_mov_b32_e32 v7, v5
	v_pk_mul_f32 v[4:5], v[12:13], v[4:5] op_sel:[1,0] op_sel_hi:[0,0]
	v_pk_add_f32 v[2:3], v[2:3], v[6:7]
	v_pk_fma_f32 v[6:7], v[12:13], v[228:229], v[4:5] neg_lo:[0,0,1] neg_hi:[0,0,1]
	v_pk_fma_f32 v[4:5], v[12:13], v[228:229], v[4:5] op_sel_hi:[1,0,1]
	s_nop 0
	v_mov_b32_e32 v7, v5
	s_waitcnt vmcnt(0) lgkmcnt(0)
	v_pk_mul_f32 v[4:5], v[14:15], v[230:231] op_sel:[1,1] op_sel_hi:[0,1]
	v_pk_add_f32 v[2:3], v[2:3], v[6:7]
	v_pk_fma_f32 v[6:7], v[14:15], v[230:231], v[4:5] neg_lo:[0,0,1] neg_hi:[0,0,1]
	v_pk_fma_f32 v[4:5], v[14:15], v[230:231], v[4:5] op_sel_hi:[1,0,1]
	s_nop 0
	v_mov_b32_e32 v4, v233
	v_mov_b32_e32 v7, v5
	v_pk_mul_f32 v[4:5], v[16:17], v[4:5] op_sel:[1,0] op_sel_hi:[0,0]
	v_pk_add_f32 v[2:3], v[2:3], v[6:7]
	v_pk_fma_f32 v[6:7], v[16:17], v[232:233], v[4:5] neg_lo:[0,0,1] neg_hi:[0,0,1]
	v_pk_fma_f32 v[4:5], v[16:17], v[232:233], v[4:5] op_sel_hi:[1,0,1]
	s_nop 0
	v_mov_b32_e32 v7, v5
	v_pk_add_f32 v[2:3], v[2:3], v[6:7]
	s_nop 0
	v_pk_add_f32 v[2:3], v[234:235], v[2:3] neg_lo:[0,1] neg_hi:[0,1]
	scratch_store_dwordx2 off, v[2:3], off offset:16
	s_and_saveexec_b64 s[0:1], vcc
	s_cbranch_execz .LBB42_269
; %bb.268:
	scratch_load_dwordx2 v[2:3], off, off offset:8
	v_mov_b32_e32 v4, 0
	v_mov_b32_e32 v5, v4
	scratch_store_dwordx2 off, v[4:5], off offset:8
	s_waitcnt vmcnt(1)
	ds_write_b64 v1, v[2:3]
.LBB42_269:
	s_or_b64 exec, exec, s[0:1]
	s_waitcnt lgkmcnt(0)
	; wave barrier
	scratch_load_dwordx4 v[2:5], off, off offset:16
	scratch_load_dwordx4 v[6:9], off, off offset:32
	;; [unrolled: 1-line block ×17, first 2 shown]
	scratch_load_dwordx2 v[70:71], off, off offset:8
	v_mov_b32_e32 v210, 0
	ds_read_b128 v[72:75], v210 offset:368
	ds_read_b128 v[76:79], v210 offset:384
	;; [unrolled: 1-line block ×13, first 2 shown]
	v_cmp_ne_u32_e32 vcc, 0, v0
	s_waitcnt vmcnt(17) lgkmcnt(12)
	v_mul_f32_e32 v211, v72, v3
	v_mul_f32_e32 v212, v74, v5
	v_fmac_f32_e32 v211, v73, v2
	s_waitcnt vmcnt(16) lgkmcnt(11)
	v_mul_f32_e32 v213, v76, v7
	v_fmac_f32_e32 v212, v75, v4
	v_add_f32_e32 v211, 0, v211
	v_mul_f32_e32 v214, v78, v9
	v_fmac_f32_e32 v213, v77, v6
	v_add_f32_e32 v211, v211, v212
	s_waitcnt vmcnt(15) lgkmcnt(10)
	v_mul_f32_e32 v215, v80, v11
	v_fmac_f32_e32 v214, v79, v8
	v_add_f32_e32 v211, v211, v213
	v_mul_f32_e32 v216, v82, v13
	v_fmac_f32_e32 v215, v81, v10
	v_add_f32_e32 v211, v211, v214
	;; [unrolled: 7-line block ×11, first 2 shown]
	ds_read_b128 v[212:215], v210 offset:576
	v_fmac_f32_e32 v234, v119, v48
	v_add_f32_e32 v211, v211, v233
	s_waitcnt vmcnt(5) lgkmcnt(1)
	v_mul_f32_e32 v216, v120, v51
	v_add_f32_e32 v211, v211, v234
	v_fmac_f32_e32 v216, v121, v50
	v_add_f32_e32 v211, v211, v216
	v_mul_f32_e32 v216, v122, v53
	v_fmac_f32_e32 v216, v123, v52
	v_add_f32_e32 v211, v211, v216
	s_waitcnt vmcnt(4) lgkmcnt(0)
	v_mul_f32_e32 v216, v212, v55
	v_fmac_f32_e32 v216, v213, v54
	v_add_f32_e32 v211, v211, v216
	ds_read_b128 v[216:219], v210 offset:592
	v_mul_f32_e32 v220, v214, v57
	v_fmac_f32_e32 v220, v215, v56
	v_add_f32_e32 v211, v211, v220
	ds_read_b128 v[220:223], v210 offset:608
	s_waitcnt vmcnt(3) lgkmcnt(1)
	v_mul_f32_e32 v224, v216, v59
	v_fmac_f32_e32 v224, v217, v58
	v_add_f32_e32 v211, v211, v224
	v_mul_f32_e32 v224, v218, v61
	v_fmac_f32_e32 v224, v219, v60
	s_waitcnt vmcnt(2) lgkmcnt(0)
	v_mul_f32_e32 v228, v220, v63
	v_add_f32_e32 v211, v211, v224
	v_fmac_f32_e32 v228, v221, v62
	ds_read_b128 v[224:227], v210 offset:624
	v_add_f32_e32 v245, v211, v228
	ds_read_b128 v[228:231], v210 offset:640
	scratch_load_dwordx4 v[232:235], off, off offset:288
	scratch_load_dwordx4 v[236:239], off, off offset:304
	;; [unrolled: 1-line block ×3, first 2 shown]
	scratch_load_dwordx2 v[250:251], off, off offset:336
	v_mul_f32_e32 v3, v73, v3
	v_fma_f32 v2, v72, v2, -v3
	v_mul_f32_e32 v3, v75, v5
	v_add_f32_e32 v2, 0, v2
	v_fma_f32 v3, v74, v4, -v3
	v_add_f32_e32 v2, v2, v3
	v_mul_f32_e32 v3, v77, v7
	v_fma_f32 v3, v76, v6, -v3
	v_add_f32_e32 v2, v2, v3
	v_mul_f32_e32 v3, v79, v9
	;; [unrolled: 3-line block ×29, first 2 shown]
	v_fma_f32 v3, v220, v62, -v3
	v_mul_f32_e32 v247, v222, v65
	v_add_f32_e32 v244, v2, v3
	v_mul_f32_e32 v2, v223, v65
	s_waitcnt vmcnt(5)
	v_mov_b32_e32 v14, v69
	v_fmac_f32_e32 v247, v223, v64
	s_waitcnt lgkmcnt(1)
	v_mul_f32_e32 v249, v224, v67
	v_fma_f32 v246, v222, v64, -v2
	v_mul_f32_e32 v2, v225, v67
	v_pk_mul_f32 v[14:15], v[226:227], v[14:15] op_sel:[1,0] op_sel_hi:[0,0]
	v_fmac_f32_e32 v249, v225, v66
	v_fma_f32 v248, v224, v66, -v2
	v_pk_add_f32 v[12:13], v[244:245], v[246:247]
	v_pk_fma_f32 v[16:17], v[226:227], v[68:69], v[14:15] neg_lo:[0,0,1] neg_hi:[0,0,1]
	v_pk_fma_f32 v[14:15], v[226:227], v[68:69], v[14:15] op_sel_hi:[1,0,1]
	v_pk_add_f32 v[12:13], v[12:13], v[248:249]
	v_mov_b32_e32 v17, v15
	s_waitcnt vmcnt(3) lgkmcnt(0)
	v_pk_mul_f32 v[14:15], v[228:229], v[232:233] op_sel:[1,1] op_sel_hi:[0,1]
	v_pk_add_f32 v[12:13], v[12:13], v[16:17]
	v_pk_fma_f32 v[16:17], v[228:229], v[232:233], v[14:15] neg_lo:[0,0,1] neg_hi:[0,0,1]
	v_pk_fma_f32 v[14:15], v[228:229], v[232:233], v[14:15] op_sel_hi:[1,0,1]
	ds_read_b128 v[2:5], v210 offset:656
	ds_read_b128 v[6:9], v210 offset:672
	ds_read_b64 v[10:11], v210 offset:688
	v_mov_b32_e32 v14, v235
	v_mov_b32_e32 v17, v15
	v_pk_mul_f32 v[14:15], v[230:231], v[14:15] op_sel:[1,0] op_sel_hi:[0,0]
	v_pk_add_f32 v[12:13], v[12:13], v[16:17]
	v_pk_fma_f32 v[16:17], v[230:231], v[234:235], v[14:15] neg_lo:[0,0,1] neg_hi:[0,0,1]
	v_pk_fma_f32 v[14:15], v[230:231], v[234:235], v[14:15] op_sel_hi:[1,0,1]
	s_nop 0
	v_mov_b32_e32 v17, v15
	s_waitcnt vmcnt(2) lgkmcnt(2)
	v_pk_mul_f32 v[14:15], v[2:3], v[236:237] op_sel:[1,1] op_sel_hi:[0,1]
	v_pk_add_f32 v[12:13], v[12:13], v[16:17]
	v_pk_fma_f32 v[16:17], v[2:3], v[236:237], v[14:15] neg_lo:[0,0,1] neg_hi:[0,0,1]
	v_pk_fma_f32 v[2:3], v[2:3], v[236:237], v[14:15] op_sel_hi:[1,0,1]
	s_nop 0
	v_mov_b32_e32 v17, v3
	v_pk_add_f32 v[2:3], v[12:13], v[16:17]
	v_mov_b32_e32 v12, v239
	v_pk_mul_f32 v[12:13], v[4:5], v[12:13] op_sel:[1,0] op_sel_hi:[0,0]
	v_pk_fma_f32 v[14:15], v[4:5], v[238:239], v[12:13] neg_lo:[0,0,1] neg_hi:[0,0,1]
	v_pk_fma_f32 v[4:5], v[4:5], v[238:239], v[12:13] op_sel_hi:[1,0,1]
	s_nop 0
	v_mov_b32_e32 v15, v5
	s_waitcnt vmcnt(1) lgkmcnt(1)
	v_pk_mul_f32 v[4:5], v[6:7], v[240:241] op_sel:[1,1] op_sel_hi:[0,1]
	v_pk_fma_f32 v[12:13], v[6:7], v[240:241], v[4:5] neg_lo:[0,0,1] neg_hi:[0,0,1]
	v_pk_fma_f32 v[4:5], v[6:7], v[240:241], v[4:5] op_sel_hi:[1,0,1]
	v_pk_add_f32 v[2:3], v[2:3], v[14:15]
	v_mov_b32_e32 v4, v243
	v_mov_b32_e32 v13, v5
	v_pk_mul_f32 v[4:5], v[8:9], v[4:5] op_sel:[1,0] op_sel_hi:[0,0]
	v_pk_fma_f32 v[6:7], v[8:9], v[242:243], v[4:5] neg_lo:[0,0,1] neg_hi:[0,0,1]
	v_pk_fma_f32 v[4:5], v[8:9], v[242:243], v[4:5] op_sel_hi:[1,0,1]
	v_pk_add_f32 v[2:3], v[2:3], v[12:13]
	v_mov_b32_e32 v7, v5
	s_waitcnt vmcnt(0) lgkmcnt(0)
	v_pk_mul_f32 v[4:5], v[10:11], v[250:251] op_sel:[1,1] op_sel_hi:[0,1]
	v_pk_add_f32 v[2:3], v[2:3], v[6:7]
	v_pk_fma_f32 v[6:7], v[10:11], v[250:251], v[4:5] neg_lo:[0,0,1] neg_hi:[0,0,1]
	v_pk_fma_f32 v[4:5], v[10:11], v[250:251], v[4:5] op_sel_hi:[1,0,1]
	s_nop 0
	v_mov_b32_e32 v7, v5
	v_pk_add_f32 v[2:3], v[2:3], v[6:7]
	s_nop 0
	v_pk_add_f32 v[2:3], v[70:71], v[2:3] neg_lo:[0,1] neg_hi:[0,1]
	scratch_store_dwordx2 off, v[2:3], off offset:8
	s_and_saveexec_b64 s[0:1], vcc
	s_cbranch_execz .LBB42_271
; %bb.270:
	scratch_load_dwordx2 v[2:3], off, off
	v_mov_b32_e32 v211, v210
	scratch_store_dwordx2 off, v[210:211], off
	s_waitcnt vmcnt(1)
	ds_write_b64 v1, v[2:3]
.LBB42_271:
	s_or_b64 exec, exec, s[0:1]
	s_waitcnt lgkmcnt(0)
	; wave barrier
	scratch_load_dwordx4 v[0:3], off, off offset:8
	scratch_load_dwordx4 v[4:7], off, off offset:24
	;; [unrolled: 1-line block ×12, first 2 shown]
	ds_read2_b64 v[120:123], v210 offset0:45 offset1:46
	ds_read2_b64 v[116:119], v210 offset0:47 offset1:48
	ds_read2_b64 v[112:115], v210 offset0:49 offset1:50
	ds_read2_b64 v[108:111], v210 offset0:51 offset1:52
	ds_read2_b64 v[104:107], v210 offset0:53 offset1:54
	ds_read2_b64 v[100:103], v210 offset0:55 offset1:56
	ds_read2_b64 v[96:99], v210 offset0:57 offset1:58
	ds_read2_b64 v[88:91], v210 offset0:59 offset1:60
	ds_read2_b64 v[80:83], v210 offset0:61 offset1:62
	ds_read2_b64 v[72:75], v210 offset0:63 offset1:64
	ds_read2_b64 v[56:59], v210 offset0:65 offset1:66
	ds_read2_b64 v[48:51], v210 offset0:67 offset1:68
	scratch_load_dwordx4 v[52:55], off, off offset:200
	ds_read2_b64 v[60:63], v210 offset0:69 offset1:70
	ds_read2_b64 v[64:67], v210 offset0:71 offset1:72
	scratch_load_dwordx4 v[68:71], off, off offset:216
	scratch_load_dwordx4 v[76:79], off, off offset:232
	scratch_load_dwordx4 v[84:87], off, off offset:248
	scratch_load_dwordx4 v[92:95], off, off offset:264
	scratch_load_dwordx2 v[212:213], off, off
	s_and_b64 vcc, exec, s[18:19]
	s_waitcnt vmcnt(17) lgkmcnt(13)
	v_mul_f32_e32 v211, v120, v1
	v_mul_f32_e32 v214, v122, v3
	v_fmac_f32_e32 v211, v121, v0
	s_waitcnt vmcnt(16) lgkmcnt(12)
	v_mul_f32_e32 v215, v116, v5
	v_fmac_f32_e32 v214, v123, v2
	v_add_f32_e32 v211, 0, v211
	v_mul_f32_e32 v216, v118, v7
	v_fmac_f32_e32 v215, v117, v4
	v_add_f32_e32 v211, v211, v214
	s_waitcnt vmcnt(15) lgkmcnt(11)
	v_mul_f32_e32 v217, v112, v9
	v_fmac_f32_e32 v216, v119, v6
	v_add_f32_e32 v211, v211, v215
	v_mul_f32_e32 v218, v114, v11
	v_fmac_f32_e32 v217, v113, v8
	v_add_f32_e32 v211, v211, v216
	;; [unrolled: 7-line block ×11, first 2 shown]
	v_fmac_f32_e32 v236, v51, v46
	v_add_f32_e32 v211, v211, v235
	s_waitcnt vmcnt(5) lgkmcnt(1)
	v_mul_f32_e32 v214, v60, v53
	v_add_f32_e32 v211, v211, v236
	v_fmac_f32_e32 v214, v61, v52
	v_add_f32_e32 v211, v211, v214
	v_mul_f32_e32 v214, v62, v55
	v_fmac_f32_e32 v214, v63, v54
	v_add_f32_e32 v211, v211, v214
	s_waitcnt vmcnt(4) lgkmcnt(0)
	v_mul_f32_e32 v214, v64, v69
	v_fmac_f32_e32 v214, v65, v68
	v_add_f32_e32 v211, v211, v214
	ds_read2_b64 v[214:217], v210 offset0:73 offset1:74
	v_mul_f32_e32 v218, v66, v71
	v_fmac_f32_e32 v218, v67, v70
	v_add_f32_e32 v211, v211, v218
	ds_read2_b64 v[218:221], v210 offset0:75 offset1:76
	s_waitcnt vmcnt(3) lgkmcnt(1)
	v_mul_f32_e32 v222, v214, v77
	v_fmac_f32_e32 v222, v215, v76
	v_add_f32_e32 v211, v211, v222
	v_mul_f32_e32 v222, v216, v79
	v_fmac_f32_e32 v222, v217, v78
	v_add_f32_e32 v211, v211, v222
	s_waitcnt vmcnt(2) lgkmcnt(0)
	v_mul_f32_e32 v222, v218, v85
	v_fmac_f32_e32 v222, v219, v84
	v_mul_f32_e32 v226, v220, v87
	v_add_f32_e32 v211, v211, v222
	v_fmac_f32_e32 v226, v221, v86
	ds_read2_b64 v[222:225], v210 offset0:77 offset1:78
	v_add_f32_e32 v247, v211, v226
	ds_read2_b64 v[226:229], v210 offset0:79 offset1:80
	scratch_load_dwordx4 v[230:233], off, off offset:280
	scratch_load_dwordx4 v[234:237], off, off offset:296
	scratch_load_dwordx4 v[238:241], off, off offset:312
	scratch_load_dwordx4 v[242:245], off, off offset:328
	v_mul_f32_e32 v1, v121, v1
	v_fma_f32 v0, v120, v0, -v1
	v_mul_f32_e32 v1, v123, v3
	v_add_f32_e32 v0, 0, v0
	v_fma_f32 v1, v122, v2, -v1
	v_add_f32_e32 v0, v0, v1
	v_mul_f32_e32 v1, v117, v5
	v_fma_f32 v1, v116, v4, -v1
	v_add_f32_e32 v0, v0, v1
	v_mul_f32_e32 v1, v119, v7
	;; [unrolled: 3-line block ×30, first 2 shown]
	v_fma_f32 v1, v220, v86, -v1
	s_waitcnt vmcnt(5) lgkmcnt(1)
	v_mul_f32_e32 v249, v222, v93
	v_add_f32_e32 v246, v0, v1
	v_mul_f32_e32 v0, v223, v93
	s_waitcnt vmcnt(3) lgkmcnt(0)
	v_pk_mul_f32 v[14:15], v[226:227], v[230:231] op_sel:[1,1] op_sel_hi:[0,1]
	v_fmac_f32_e32 v249, v223, v92
	v_mul_f32_e32 v251, v224, v95
	v_fma_f32 v248, v222, v92, -v0
	v_mul_f32_e32 v0, v225, v95
	v_pk_fma_f32 v[16:17], v[226:227], v[230:231], v[14:15] neg_lo:[0,0,1] neg_hi:[0,0,1]
	v_pk_fma_f32 v[14:15], v[226:227], v[230:231], v[14:15] op_sel_hi:[1,0,1]
	v_fmac_f32_e32 v251, v225, v94
	v_fma_f32 v250, v224, v94, -v0
	ds_read2_b64 v[0:3], v210 offset0:81 offset1:82
	ds_read2_b64 v[4:7], v210 offset0:83 offset1:84
	;; [unrolled: 1-line block ×3, first 2 shown]
	v_pk_add_f32 v[12:13], v[246:247], v[248:249]
	v_mov_b32_e32 v14, v233
	v_pk_add_f32 v[12:13], v[12:13], v[250:251]
	v_mov_b32_e32 v17, v15
	v_pk_mul_f32 v[14:15], v[228:229], v[14:15] op_sel:[1,0] op_sel_hi:[0,0]
	v_pk_add_f32 v[12:13], v[12:13], v[16:17]
	v_pk_fma_f32 v[16:17], v[228:229], v[232:233], v[14:15] neg_lo:[0,0,1] neg_hi:[0,0,1]
	v_pk_fma_f32 v[14:15], v[228:229], v[232:233], v[14:15] op_sel_hi:[1,0,1]
	s_nop 0
	v_mov_b32_e32 v17, v15
	s_waitcnt vmcnt(2) lgkmcnt(2)
	v_pk_mul_f32 v[14:15], v[0:1], v[234:235] op_sel:[1,1] op_sel_hi:[0,1]
	v_pk_add_f32 v[12:13], v[12:13], v[16:17]
	v_pk_fma_f32 v[16:17], v[0:1], v[234:235], v[14:15] neg_lo:[0,0,1] neg_hi:[0,0,1]
	v_pk_fma_f32 v[0:1], v[0:1], v[234:235], v[14:15] op_sel_hi:[1,0,1]
	s_nop 0
	v_mov_b32_e32 v17, v1
	v_pk_add_f32 v[0:1], v[12:13], v[16:17]
	v_mov_b32_e32 v12, v237
	v_pk_mul_f32 v[12:13], v[2:3], v[12:13] op_sel:[1,0] op_sel_hi:[0,0]
	v_pk_fma_f32 v[14:15], v[2:3], v[236:237], v[12:13] neg_lo:[0,0,1] neg_hi:[0,0,1]
	v_pk_fma_f32 v[2:3], v[2:3], v[236:237], v[12:13] op_sel_hi:[1,0,1]
	s_nop 0
	v_mov_b32_e32 v15, v3
	s_waitcnt vmcnt(1) lgkmcnt(1)
	v_pk_mul_f32 v[2:3], v[4:5], v[238:239] op_sel:[1,1] op_sel_hi:[0,1]
	v_pk_fma_f32 v[12:13], v[4:5], v[238:239], v[2:3] neg_lo:[0,0,1] neg_hi:[0,0,1]
	v_pk_fma_f32 v[2:3], v[4:5], v[238:239], v[2:3] op_sel_hi:[1,0,1]
	v_pk_add_f32 v[0:1], v[0:1], v[14:15]
	v_mov_b32_e32 v2, v241
	v_mov_b32_e32 v13, v3
	v_pk_mul_f32 v[2:3], v[6:7], v[2:3] op_sel:[1,0] op_sel_hi:[0,0]
	v_pk_fma_f32 v[4:5], v[6:7], v[240:241], v[2:3] neg_lo:[0,0,1] neg_hi:[0,0,1]
	v_pk_fma_f32 v[2:3], v[6:7], v[240:241], v[2:3] op_sel_hi:[1,0,1]
	v_pk_add_f32 v[0:1], v[0:1], v[12:13]
	v_mov_b32_e32 v5, v3
	s_waitcnt vmcnt(0) lgkmcnt(0)
	v_pk_mul_f32 v[2:3], v[8:9], v[242:243] op_sel:[1,1] op_sel_hi:[0,1]
	v_pk_add_f32 v[0:1], v[0:1], v[4:5]
	v_pk_fma_f32 v[4:5], v[8:9], v[242:243], v[2:3] neg_lo:[0,0,1] neg_hi:[0,0,1]
	v_pk_fma_f32 v[2:3], v[8:9], v[242:243], v[2:3] op_sel_hi:[1,0,1]
	s_nop 0
	v_mov_b32_e32 v2, v245
	v_mov_b32_e32 v5, v3
	v_pk_mul_f32 v[2:3], v[10:11], v[2:3] op_sel:[1,0] op_sel_hi:[0,0]
	v_pk_add_f32 v[0:1], v[0:1], v[4:5]
	v_pk_fma_f32 v[4:5], v[10:11], v[244:245], v[2:3] neg_lo:[0,0,1] neg_hi:[0,0,1]
	v_pk_fma_f32 v[2:3], v[10:11], v[244:245], v[2:3] op_sel_hi:[1,0,1]
	s_nop 0
	v_mov_b32_e32 v5, v3
	v_pk_add_f32 v[0:1], v[0:1], v[4:5]
	s_nop 0
	v_pk_add_f32 v[0:1], v[212:213], v[0:1] neg_lo:[0,1] neg_hi:[0,1]
	scratch_store_dwordx2 off, v[0:1], off
	s_cbranch_vccz .LBB42_356
; %bb.272:
	v_mov_b32_e32 v0, 0
	global_load_dword v1, v0, s[16:17] offset:164
	s_waitcnt vmcnt(0)
	v_readfirstlane_b32 s0, v1
	s_add_i32 s0, s0, -1
	s_cmp_lg_u32 s0, 41
	s_cbranch_scc0 .LBB42_274
; %bb.273:
	s_lshl_b32 s0, s0, 3
	s_nop 0
	scratch_load_dwordx2 v[2:3], off, s0
	scratch_load_dwordx2 v[4:5], off, off offset:328
	s_waitcnt vmcnt(1)
	scratch_store_dwordx2 off, v[2:3], off offset:328
	s_waitcnt vmcnt(1)
	scratch_store_dwordx2 off, v[4:5], s0
.LBB42_274:
	global_load_dword v0, v0, s[16:17] offset:160
	s_waitcnt vmcnt(0)
	v_readfirstlane_b32 s0, v0
	s_add_i32 s0, s0, -1
	s_cmp_eq_u32 s0, 40
	s_cbranch_scc1 .LBB42_276
; %bb.275:
	s_lshl_b32 s0, s0, 3
	s_nop 0
	scratch_load_dwordx2 v[0:1], off, s0
	scratch_load_dwordx2 v[2:3], off, off offset:320
	s_waitcnt vmcnt(1)
	scratch_store_dwordx2 off, v[0:1], off offset:320
	s_waitcnt vmcnt(1)
	scratch_store_dwordx2 off, v[2:3], s0
.LBB42_276:
	v_mov_b32_e32 v0, 0
	global_load_dword v1, v0, s[16:17] offset:156
	s_waitcnt vmcnt(0)
	v_readfirstlane_b32 s0, v1
	s_add_i32 s0, s0, -1
	s_cmp_eq_u32 s0, 39
	s_cbranch_scc1 .LBB42_278
; %bb.277:
	s_lshl_b32 s0, s0, 3
	s_nop 0
	scratch_load_dwordx2 v[2:3], off, s0
	scratch_load_dwordx2 v[4:5], off, off offset:312
	s_waitcnt vmcnt(1)
	scratch_store_dwordx2 off, v[2:3], off offset:312
	s_waitcnt vmcnt(1)
	scratch_store_dwordx2 off, v[4:5], s0
.LBB42_278:
	global_load_dword v0, v0, s[16:17] offset:152
	s_waitcnt vmcnt(0)
	v_readfirstlane_b32 s0, v0
	s_add_i32 s0, s0, -1
	s_cmp_eq_u32 s0, 38
	s_cbranch_scc1 .LBB42_280
; %bb.279:
	s_lshl_b32 s0, s0, 3
	s_nop 0
	scratch_load_dwordx2 v[0:1], off, s0
	scratch_load_dwordx2 v[2:3], off, off offset:304
	s_waitcnt vmcnt(1)
	scratch_store_dwordx2 off, v[0:1], off offset:304
	s_waitcnt vmcnt(1)
	scratch_store_dwordx2 off, v[2:3], s0
.LBB42_280:
	v_mov_b32_e32 v0, 0
	global_load_dword v1, v0, s[16:17] offset:148
	s_waitcnt vmcnt(0)
	v_readfirstlane_b32 s0, v1
	s_add_i32 s0, s0, -1
	s_cmp_eq_u32 s0, 37
	s_cbranch_scc1 .LBB42_282
; %bb.281:
	s_lshl_b32 s0, s0, 3
	s_nop 0
	scratch_load_dwordx2 v[2:3], off, s0
	scratch_load_dwordx2 v[4:5], off, off offset:296
	s_waitcnt vmcnt(1)
	scratch_store_dwordx2 off, v[2:3], off offset:296
	s_waitcnt vmcnt(1)
	scratch_store_dwordx2 off, v[4:5], s0
.LBB42_282:
	;; [unrolled: 33-line block ×20, first 2 shown]
	global_load_dword v2, v0, s[16:17]
	s_nop 0
	scratch_load_dwordx2 v[0:1], off, off
	s_waitcnt vmcnt(1)
	v_readfirstlane_b32 s0, v2
	s_add_i32 s0, s0, -1
	s_cmp_eq_u32 s0, 0
	s_cbranch_scc1 .LBB42_356
; %bb.355:
	s_lshl_b32 s0, s0, 3
	s_nop 0
	scratch_load_dwordx2 v[2:3], off, s0
	s_waitcnt vmcnt(0)
	scratch_store_dwordx2 off, v[2:3], off
	scratch_store_dwordx2 off, v[0:1], s0
	scratch_load_dwordx2 v[0:1], off, off
.LBB42_356:
	s_nop 0
	scratch_load_dwordx4 v[2:5], off, off offset:8
	scratch_load_dwordx4 v[6:9], off, off offset:24
	;; [unrolled: 1-line block ×21, first 2 shown]
	s_waitcnt vmcnt(21)
	global_store_dwordx2 v[124:125], v[0:1], off
	s_waitcnt vmcnt(21)
	global_store_dwordx2 v[126:127], v[2:3], off
	global_store_dwordx2 v[128:129], v[4:5], off
	s_waitcnt vmcnt(22)
	global_store_dwordx2 v[130:131], v[6:7], off
	;; [unrolled: 3-line block ×21, first 2 shown]
	global_store_dwordx2 v[208:209], v[84:85], off
	s_endpgm
	.section	.rodata,"a",@progbits
	.p2align	6, 0x0
	.amdhsa_kernel _ZN9rocsolver6v33100L18getri_kernel_smallILi43E19rocblas_complex_numIfEPS3_EEvT1_iilPiilS6_bb
		.amdhsa_group_segment_fixed_size 696
		.amdhsa_private_segment_fixed_size 352
		.amdhsa_kernarg_size 60
		.amdhsa_user_sgpr_count 2
		.amdhsa_user_sgpr_dispatch_ptr 0
		.amdhsa_user_sgpr_queue_ptr 0
		.amdhsa_user_sgpr_kernarg_segment_ptr 1
		.amdhsa_user_sgpr_dispatch_id 0
		.amdhsa_user_sgpr_kernarg_preload_length 0
		.amdhsa_user_sgpr_kernarg_preload_offset 0
		.amdhsa_user_sgpr_private_segment_size 0
		.amdhsa_uses_dynamic_stack 0
		.amdhsa_enable_private_segment 1
		.amdhsa_system_sgpr_workgroup_id_x 1
		.amdhsa_system_sgpr_workgroup_id_y 0
		.amdhsa_system_sgpr_workgroup_id_z 0
		.amdhsa_system_sgpr_workgroup_info 0
		.amdhsa_system_vgpr_workitem_id 0
		.amdhsa_next_free_vgpr 252
		.amdhsa_next_free_sgpr 20
		.amdhsa_accum_offset 252
		.amdhsa_reserve_vcc 1
		.amdhsa_float_round_mode_32 0
		.amdhsa_float_round_mode_16_64 0
		.amdhsa_float_denorm_mode_32 3
		.amdhsa_float_denorm_mode_16_64 3
		.amdhsa_dx10_clamp 1
		.amdhsa_ieee_mode 1
		.amdhsa_fp16_overflow 0
		.amdhsa_tg_split 0
		.amdhsa_exception_fp_ieee_invalid_op 0
		.amdhsa_exception_fp_denorm_src 0
		.amdhsa_exception_fp_ieee_div_zero 0
		.amdhsa_exception_fp_ieee_overflow 0
		.amdhsa_exception_fp_ieee_underflow 0
		.amdhsa_exception_fp_ieee_inexact 0
		.amdhsa_exception_int_div_zero 0
	.end_amdhsa_kernel
	.section	.text._ZN9rocsolver6v33100L18getri_kernel_smallILi43E19rocblas_complex_numIfEPS3_EEvT1_iilPiilS6_bb,"axG",@progbits,_ZN9rocsolver6v33100L18getri_kernel_smallILi43E19rocblas_complex_numIfEPS3_EEvT1_iilPiilS6_bb,comdat
.Lfunc_end42:
	.size	_ZN9rocsolver6v33100L18getri_kernel_smallILi43E19rocblas_complex_numIfEPS3_EEvT1_iilPiilS6_bb, .Lfunc_end42-_ZN9rocsolver6v33100L18getri_kernel_smallILi43E19rocblas_complex_numIfEPS3_EEvT1_iilPiilS6_bb
                                        ; -- End function
	.set _ZN9rocsolver6v33100L18getri_kernel_smallILi43E19rocblas_complex_numIfEPS3_EEvT1_iilPiilS6_bb.num_vgpr, 252
	.set _ZN9rocsolver6v33100L18getri_kernel_smallILi43E19rocblas_complex_numIfEPS3_EEvT1_iilPiilS6_bb.num_agpr, 0
	.set _ZN9rocsolver6v33100L18getri_kernel_smallILi43E19rocblas_complex_numIfEPS3_EEvT1_iilPiilS6_bb.numbered_sgpr, 20
	.set _ZN9rocsolver6v33100L18getri_kernel_smallILi43E19rocblas_complex_numIfEPS3_EEvT1_iilPiilS6_bb.num_named_barrier, 0
	.set _ZN9rocsolver6v33100L18getri_kernel_smallILi43E19rocblas_complex_numIfEPS3_EEvT1_iilPiilS6_bb.private_seg_size, 352
	.set _ZN9rocsolver6v33100L18getri_kernel_smallILi43E19rocblas_complex_numIfEPS3_EEvT1_iilPiilS6_bb.uses_vcc, 1
	.set _ZN9rocsolver6v33100L18getri_kernel_smallILi43E19rocblas_complex_numIfEPS3_EEvT1_iilPiilS6_bb.uses_flat_scratch, 0
	.set _ZN9rocsolver6v33100L18getri_kernel_smallILi43E19rocblas_complex_numIfEPS3_EEvT1_iilPiilS6_bb.has_dyn_sized_stack, 0
	.set _ZN9rocsolver6v33100L18getri_kernel_smallILi43E19rocblas_complex_numIfEPS3_EEvT1_iilPiilS6_bb.has_recursion, 0
	.set _ZN9rocsolver6v33100L18getri_kernel_smallILi43E19rocblas_complex_numIfEPS3_EEvT1_iilPiilS6_bb.has_indirect_call, 0
	.section	.AMDGPU.csdata,"",@progbits
; Kernel info:
; codeLenInByte = 56840
; TotalNumSgprs: 26
; NumVgprs: 252
; NumAgprs: 0
; TotalNumVgprs: 252
; ScratchSize: 352
; MemoryBound: 0
; FloatMode: 240
; IeeeMode: 1
; LDSByteSize: 696 bytes/workgroup (compile time only)
; SGPRBlocks: 3
; VGPRBlocks: 31
; NumSGPRsForWavesPerEU: 26
; NumVGPRsForWavesPerEU: 252
; AccumOffset: 252
; Occupancy: 2
; WaveLimiterHint : 1
; COMPUTE_PGM_RSRC2:SCRATCH_EN: 1
; COMPUTE_PGM_RSRC2:USER_SGPR: 2
; COMPUTE_PGM_RSRC2:TRAP_HANDLER: 0
; COMPUTE_PGM_RSRC2:TGID_X_EN: 1
; COMPUTE_PGM_RSRC2:TGID_Y_EN: 0
; COMPUTE_PGM_RSRC2:TGID_Z_EN: 0
; COMPUTE_PGM_RSRC2:TIDIG_COMP_CNT: 0
; COMPUTE_PGM_RSRC3_GFX90A:ACCUM_OFFSET: 62
; COMPUTE_PGM_RSRC3_GFX90A:TG_SPLIT: 0
	.section	.text._ZN9rocsolver6v33100L18getri_kernel_smallILi44E19rocblas_complex_numIfEPS3_EEvT1_iilPiilS6_bb,"axG",@progbits,_ZN9rocsolver6v33100L18getri_kernel_smallILi44E19rocblas_complex_numIfEPS3_EEvT1_iilPiilS6_bb,comdat
	.globl	_ZN9rocsolver6v33100L18getri_kernel_smallILi44E19rocblas_complex_numIfEPS3_EEvT1_iilPiilS6_bb ; -- Begin function _ZN9rocsolver6v33100L18getri_kernel_smallILi44E19rocblas_complex_numIfEPS3_EEvT1_iilPiilS6_bb
	.p2align	8
	.type	_ZN9rocsolver6v33100L18getri_kernel_smallILi44E19rocblas_complex_numIfEPS3_EEvT1_iilPiilS6_bb,@function
_ZN9rocsolver6v33100L18getri_kernel_smallILi44E19rocblas_complex_numIfEPS3_EEvT1_iilPiilS6_bb: ; @_ZN9rocsolver6v33100L18getri_kernel_smallILi44E19rocblas_complex_numIfEPS3_EEvT1_iilPiilS6_bb
; %bb.0:
	v_cmp_gt_u32_e32 vcc, 44, v0
	s_and_saveexec_b64 s[4:5], vcc
	s_cbranch_execz .LBB43_190
; %bb.1:
	s_load_dword s8, s[0:1], 0x38
	s_load_dwordx4 s[12:15], s[0:1], 0x10
	s_load_dwordx4 s[4:7], s[0:1], 0x28
                                        ; implicit-def: $sgpr16_sgpr17
	s_waitcnt lgkmcnt(0)
	s_bitcmp1_b32 s8, 8
	s_cselect_b64 s[18:19], -1, 0
	s_ashr_i32 s3, s2, 31
	s_bfe_u32 s8, s8, 0x10008
	s_cmp_eq_u32 s8, 0
	s_cbranch_scc1 .LBB43_3
; %bb.2:
	s_load_dword s8, s[0:1], 0x20
	s_mul_i32 s9, s4, s3
	s_mul_hi_u32 s10, s4, s2
	s_mul_i32 s5, s5, s2
	s_add_i32 s10, s10, s9
	s_add_i32 s5, s10, s5
	s_mul_i32 s4, s4, s2
	s_waitcnt lgkmcnt(0)
	s_ashr_i32 s9, s8, 31
	s_lshl_b64 s[4:5], s[4:5], 2
	s_add_u32 s10, s14, s4
	s_addc_u32 s11, s15, s5
	s_lshl_b64 s[4:5], s[8:9], 2
	s_add_u32 s16, s10, s4
	s_addc_u32 s17, s11, s5
.LBB43_3:
	s_load_dwordx4 s[8:11], s[0:1], 0x0
	s_load_dword s4, s[0:1], 0x38
	s_mul_i32 s5, s12, s3
	s_mul_hi_u32 s14, s12, s2
	s_add_i32 s5, s14, s5
	s_waitcnt lgkmcnt(0)
	s_ashr_i32 s1, s10, 31
	s_mov_b32 s0, s10
	s_mul_i32 s10, s13, s2
	s_add_i32 s13, s5, s10
	s_mul_i32 s12, s12, s2
	s_lshl_b64 s[12:13], s[12:13], 3
	s_add_u32 s5, s8, s12
	s_addc_u32 s8, s9, s13
	s_lshl_b64 s[0:1], s[0:1], 3
	s_add_u32 s0, s5, s0
	s_addc_u32 s1, s8, s1
	s_add_i32 s5, s11, s11
	v_add_u32_e32 v4, s5, v0
	v_ashrrev_i32_e32 v5, 31, v4
	v_lshl_add_u64 v[130:131], v[4:5], 3, s[0:1]
	v_add_u32_e32 v4, s11, v4
	v_ashrrev_i32_e32 v5, 31, v4
	v_lshl_add_u64 v[132:133], v[4:5], 3, s[0:1]
	;; [unrolled: 3-line block ×40, first 2 shown]
	v_add_u32_e32 v4, s11, v4
	v_lshlrev_b32_e32 v2, 3, v0
	v_mov_b32_e32 v3, 0
	v_ashrrev_i32_e32 v5, 31, v4
	v_lshl_add_u64 v[126:127], s[0:1], 0, v[2:3]
	s_ashr_i32 s9, s11, 31
	s_mov_b32 s8, s11
	v_lshl_add_u64 v[210:211], v[4:5], 3, s[0:1]
	v_add_u32_e32 v4, s11, v4
	v_lshl_add_u64 v[128:129], s[8:9], 3, v[126:127]
	v_ashrrev_i32_e32 v5, 31, v4
	global_load_dwordx2 v[6:7], v2, s[0:1]
	global_load_dwordx2 v[8:9], v[128:129], off
	global_load_dwordx2 v[10:11], v[130:131], off
	;; [unrolled: 1-line block ×40, first 2 shown]
	v_lshl_add_u64 v[212:213], v[4:5], 3, s[0:1]
	global_load_dwordx2 v[88:89], v[208:209], off
	global_load_dwordx2 v[90:91], v[210:211], off
	;; [unrolled: 1-line block ×3, first 2 shown]
	s_bitcmp0_b32 s4, 0
	s_mov_b64 s[4:5], -1
	s_waitcnt vmcnt(42)
	scratch_store_dwordx4 off, v[6:9], off
	s_waitcnt vmcnt(41)
	scratch_store_dwordx4 off, v[10:13], off offset:16
	s_waitcnt vmcnt(40)
	scratch_store_dwordx4 off, v[14:17], off offset:32
	;; [unrolled: 2-line block ×21, first 2 shown]
	s_cbranch_scc1 .LBB43_188
; %bb.4:
	v_cmp_eq_u32_e64 s[0:1], 0, v0
	s_and_saveexec_b64 s[4:5], s[0:1]
; %bb.5:
	v_mov_b32_e32 v1, 0
	ds_write_b32 v1, v1 offset:704
; %bb.6:
	s_or_b64 exec, exec, s[4:5]
	s_waitcnt lgkmcnt(0)
	; wave barrier
	scratch_load_dwordx2 v[4:5], v2, off
	s_waitcnt vmcnt(0)
	v_cmp_eq_f32_e32 vcc, 0, v4
	v_cmp_eq_f32_e64 s[4:5], 0, v5
	s_and_b64 s[4:5], vcc, s[4:5]
	s_and_saveexec_b64 s[8:9], s[4:5]
	s_cbranch_execz .LBB43_10
; %bb.7:
	v_mov_b32_e32 v1, 0
	ds_read_b32 v4, v1 offset:704
	v_add_u32_e32 v3, 1, v0
	s_waitcnt lgkmcnt(0)
	v_readfirstlane_b32 s4, v4
	s_cmp_eq_u32 s4, 0
	s_cselect_b64 s[10:11], -1, 0
	v_cmp_gt_i32_e32 vcc, s4, v3
	s_or_b64 s[10:11], s[10:11], vcc
	s_and_b64 exec, exec, s[10:11]
	s_cbranch_execz .LBB43_10
; %bb.8:
	s_mov_b64 s[10:11], 0
	v_mov_b32_e32 v4, s4
.LBB43_9:                               ; =>This Inner Loop Header: Depth=1
	ds_cmpst_rtn_b32 v4, v1, v4, v3 offset:704
	s_waitcnt lgkmcnt(0)
	v_cmp_ne_u32_e32 vcc, 0, v4
	v_cmp_le_i32_e64 s[4:5], v4, v3
	s_and_b64 s[4:5], vcc, s[4:5]
	s_and_b64 s[4:5], exec, s[4:5]
	s_or_b64 s[10:11], s[4:5], s[10:11]
	s_andn2_b64 exec, exec, s[10:11]
	s_cbranch_execnz .LBB43_9
.LBB43_10:
	s_or_b64 exec, exec, s[8:9]
	v_mov_b32_e32 v3, 0
	; wave barrier
	ds_read_b32 v1, v3 offset:704
	s_and_saveexec_b64 s[4:5], s[0:1]
	s_cbranch_execz .LBB43_12
; %bb.11:
	s_lshl_b64 s[8:9], s[2:3], 2
	s_add_u32 s8, s6, s8
	s_addc_u32 s9, s7, s9
	s_waitcnt lgkmcnt(0)
	global_store_dword v3, v1, s[8:9]
.LBB43_12:
	s_or_b64 exec, exec, s[4:5]
	s_waitcnt lgkmcnt(0)
	v_cmp_ne_u32_e32 vcc, 0, v1
	s_mov_b64 s[4:5], 0
	s_cbranch_vccnz .LBB43_188
; %bb.13:
	v_mov_b32_e32 v3, v2
	scratch_load_dwordx2 v[4:5], v3, off
                                        ; implicit-def: $vgpr7
                                        ; implicit-def: $vgpr8
	s_waitcnt vmcnt(0)
	v_cmp_ngt_f32_e64 s[4:5], |v4|, |v5|
	s_and_saveexec_b64 s[8:9], s[4:5]
	s_xor_b64 s[4:5], exec, s[8:9]
	s_cbranch_execz .LBB43_15
; %bb.14:
	v_div_scale_f32 v1, s[8:9], v5, v5, v4
	v_rcp_f32_e32 v6, v1
	v_div_scale_f32 v7, vcc, v4, v5, v4
	v_fma_f32 v8, -v1, v6, 1.0
	v_fmac_f32_e32 v6, v8, v6
	v_mul_f32_e32 v8, v7, v6
	v_fma_f32 v9, -v1, v8, v7
	v_fmac_f32_e32 v8, v9, v6
	v_fma_f32 v1, -v1, v8, v7
	v_div_fmas_f32 v1, v1, v6, v8
	v_div_fixup_f32 v1, v1, v5, v4
	v_fmac_f32_e32 v5, v4, v1
	v_div_scale_f32 v4, s[8:9], v5, v5, -1.0
	v_rcp_f32_e32 v6, v4
	s_nop 0
	v_fma_f32 v7, -v4, v6, 1.0
	v_fmac_f32_e32 v6, v7, v6
	v_div_scale_f32 v7, vcc, -1.0, v5, -1.0
	v_mul_f32_e32 v8, v7, v6
	v_fma_f32 v9, -v4, v8, v7
	v_fmac_f32_e32 v8, v9, v6
	v_fma_f32 v4, -v4, v8, v7
	v_div_fmas_f32 v4, v4, v6, v8
	v_div_fixup_f32 v7, v4, v5, -1.0
	v_mul_f32_e32 v8, v1, v7
	v_xor_b32_e32 v6, 0x80000000, v8
                                        ; implicit-def: $vgpr4_vgpr5
.LBB43_15:
	s_andn2_saveexec_b64 s[4:5], s[4:5]
	s_cbranch_execz .LBB43_17
; %bb.16:
	v_div_scale_f32 v1, s[8:9], v4, v4, v5
	v_rcp_f32_e32 v6, v1
	v_div_scale_f32 v7, vcc, v5, v4, v5
	v_fma_f32 v8, -v1, v6, 1.0
	v_fmac_f32_e32 v6, v8, v6
	v_mul_f32_e32 v8, v7, v6
	v_fma_f32 v9, -v1, v8, v7
	v_fmac_f32_e32 v8, v9, v6
	v_fma_f32 v1, -v1, v8, v7
	v_div_fmas_f32 v1, v1, v6, v8
	v_div_fixup_f32 v1, v1, v4, v5
	v_fmac_f32_e32 v4, v5, v1
	v_div_scale_f32 v5, s[8:9], v4, v4, 1.0
	v_rcp_f32_e32 v6, v5
	s_nop 0
	v_fma_f32 v7, -v5, v6, 1.0
	v_fmac_f32_e32 v6, v7, v6
	v_div_scale_f32 v7, vcc, 1.0, v4, 1.0
	v_mul_f32_e32 v8, v7, v6
	v_fma_f32 v9, -v5, v8, v7
	v_fmac_f32_e32 v8, v9, v6
	v_fma_f32 v5, -v5, v8, v7
	v_div_fmas_f32 v5, v5, v6, v8
	v_div_fixup_f32 v6, v5, v4, 1.0
	v_xor_b32_e32 v8, 0x80000000, v6
	v_mul_f32_e64 v7, v1, -v6
.LBB43_17:
	s_or_b64 exec, exec, s[4:5]
	scratch_store_dwordx2 v3, v[6:7], off
	scratch_load_dwordx2 v[4:5], off, off offset:8
	v_xor_b32_e32 v9, 0x80000000, v7
	v_add_u32_e32 v1, 0x160, v2
	s_waitcnt vmcnt(0)
	ds_write2_b64 v2, v[8:9], v[4:5] offset1:44
	s_waitcnt lgkmcnt(0)
	; wave barrier
	s_and_saveexec_b64 s[4:5], s[0:1]
	s_cbranch_execz .LBB43_19
; %bb.18:
	scratch_load_dwordx2 v[4:5], v3, off
	ds_read_b64 v[6:7], v1
	v_mov_b32_e32 v8, 0
	ds_read_b64 v[8:9], v8 offset:8
	s_waitcnt vmcnt(0) lgkmcnt(1)
	v_pk_mul_f32 v[10:11], v[6:7], v[4:5] op_sel:[1,1] op_sel_hi:[0,1]
	v_pk_fma_f32 v[12:13], v[6:7], v[4:5], v[10:11] neg_lo:[0,0,1] neg_hi:[0,0,1]
	v_pk_fma_f32 v[4:5], v[6:7], v[4:5], v[10:11] op_sel_hi:[1,0,1]
	s_nop 0
	v_mov_b32_e32 v13, v5
	v_pk_add_f32 v[4:5], v[12:13], 0 op_sel_hi:[1,0]
	s_waitcnt lgkmcnt(0)
	v_pk_mul_f32 v[6:7], v[4:5], v[8:9] op_sel:[1,1] op_sel_hi:[0,1]
	v_pk_fma_f32 v[10:11], v[4:5], v[8:9], v[6:7] neg_lo:[0,0,1] neg_hi:[0,0,1]
	v_pk_fma_f32 v[4:5], v[4:5], v[8:9], v[6:7] op_sel_hi:[1,0,1]
	s_nop 0
	v_mov_b32_e32 v11, v5
	scratch_store_dwordx2 off, v[10:11], off offset:8
.LBB43_19:
	s_or_b64 exec, exec, s[4:5]
	; wave barrier
	scratch_load_dwordx2 v[4:5], off, off offset:16
	v_cmp_gt_u32_e32 vcc, 2, v0
	s_waitcnt vmcnt(0)
	ds_write_b64 v1, v[4:5]
	s_waitcnt lgkmcnt(0)
	; wave barrier
	s_and_saveexec_b64 s[4:5], vcc
	s_cbranch_execz .LBB43_23
; %bb.20:
	scratch_load_dwordx2 v[4:5], v3, off
	ds_read_b64 v[6:7], v1
	s_waitcnt vmcnt(0) lgkmcnt(0)
	v_pk_mul_f32 v[8:9], v[6:7], v[4:5] op_sel:[1,1] op_sel_hi:[0,1]
	v_pk_fma_f32 v[10:11], v[6:7], v[4:5], v[8:9] neg_lo:[0,0,1] neg_hi:[0,0,1]
	v_pk_fma_f32 v[4:5], v[6:7], v[4:5], v[8:9] op_sel_hi:[1,0,1]
	s_nop 0
	v_mov_b32_e32 v11, v5
	v_pk_add_f32 v[4:5], v[10:11], 0 op_sel_hi:[1,0]
	s_and_saveexec_b64 s[8:9], s[0:1]
	s_cbranch_execz .LBB43_22
; %bb.21:
	scratch_load_dwordx2 v[6:7], off, off offset:8
	v_mov_b32_e32 v3, 0
	ds_read_b64 v[8:9], v3 offset:360
	s_waitcnt vmcnt(0) lgkmcnt(0)
	v_pk_mul_f32 v[10:11], v[8:9], v[6:7] op_sel:[1,1] op_sel_hi:[0,1]
	v_pk_fma_f32 v[12:13], v[8:9], v[6:7], v[10:11] neg_lo:[0,0,1] neg_hi:[0,0,1]
	v_pk_fma_f32 v[6:7], v[8:9], v[6:7], v[10:11] op_sel_hi:[1,0,1]
	s_nop 0
	v_mov_b32_e32 v13, v7
	v_pk_add_f32 v[4:5], v[4:5], v[12:13]
.LBB43_22:
	s_or_b64 exec, exec, s[8:9]
	v_mov_b32_e32 v3, 0
	ds_read_b64 v[6:7], v3 offset:16
	s_waitcnt lgkmcnt(0)
	v_pk_mul_f32 v[8:9], v[4:5], v[6:7] op_sel:[1,1] op_sel_hi:[0,1]
	v_pk_fma_f32 v[10:11], v[4:5], v[6:7], v[8:9] neg_lo:[0,0,1] neg_hi:[0,0,1]
	v_pk_fma_f32 v[4:5], v[4:5], v[6:7], v[8:9] op_sel_hi:[1,0,1]
	s_nop 0
	v_mov_b32_e32 v11, v5
	scratch_store_dwordx2 off, v[10:11], off offset:16
.LBB43_23:
	s_or_b64 exec, exec, s[4:5]
	; wave barrier
	scratch_load_dwordx2 v[4:5], off, off offset:24
	v_cmp_gt_u32_e32 vcc, 3, v0
	v_add_u32_e32 v6, -1, v0
	s_waitcnt vmcnt(0)
	ds_write_b64 v1, v[4:5]
	s_waitcnt lgkmcnt(0)
	; wave barrier
	s_and_saveexec_b64 s[0:1], vcc
	s_cbranch_execz .LBB43_27
; %bb.24:
	v_mov_b32_e32 v4, 0
	v_add_u32_e32 v3, -1, v0
	v_add_u32_e32 v7, 0x160, v2
	v_mov_b32_e32 v8, v2
	s_mov_b64 s[4:5], 0
	v_mov_b32_e32 v5, v4
.LBB43_25:                              ; =>This Inner Loop Header: Depth=1
	scratch_load_dwordx2 v[10:11], v8, off
	ds_read_b64 v[12:13], v7
	v_add_u32_e32 v3, 1, v3
	v_cmp_lt_u32_e32 vcc, 1, v3
	v_add_u32_e32 v7, 8, v7
	v_add_u32_e32 v8, 8, v8
	s_or_b64 s[4:5], vcc, s[4:5]
	s_waitcnt vmcnt(0) lgkmcnt(0)
	v_pk_mul_f32 v[14:15], v[12:13], v[10:11] op_sel:[1,1] op_sel_hi:[0,1]
	v_pk_fma_f32 v[16:17], v[12:13], v[10:11], v[14:15] neg_lo:[0,0,1] neg_hi:[0,0,1]
	v_pk_fma_f32 v[10:11], v[12:13], v[10:11], v[14:15] op_sel_hi:[1,0,1]
	s_nop 0
	v_mov_b32_e32 v17, v11
	v_pk_add_f32 v[4:5], v[4:5], v[16:17]
	s_andn2_b64 exec, exec, s[4:5]
	s_cbranch_execnz .LBB43_25
; %bb.26:
	s_or_b64 exec, exec, s[4:5]
	v_mov_b32_e32 v3, 0
	ds_read_b64 v[8:9], v3 offset:24
	s_waitcnt lgkmcnt(0)
	v_pk_mul_f32 v[10:11], v[4:5], v[8:9] op_sel:[1,1] op_sel_hi:[0,1]
	v_pk_fma_f32 v[12:13], v[4:5], v[8:9], v[10:11] neg_lo:[0,0,1] neg_hi:[0,0,1]
	v_pk_fma_f32 v[4:5], v[4:5], v[8:9], v[10:11] op_sel_hi:[1,0,1]
	s_nop 0
	v_mov_b32_e32 v13, v5
	scratch_store_dwordx2 off, v[12:13], off offset:24
.LBB43_27:
	s_or_b64 exec, exec, s[0:1]
	; wave barrier
	scratch_load_dwordx2 v[4:5], off, off offset:32
	v_cmp_gt_u32_e32 vcc, 4, v0
	s_waitcnt vmcnt(0)
	ds_write_b64 v1, v[4:5]
	s_waitcnt lgkmcnt(0)
	; wave barrier
	s_and_saveexec_b64 s[0:1], vcc
	s_cbranch_execz .LBB43_31
; %bb.28:
	v_mov_b32_e32 v4, 0
	v_add_u32_e32 v3, -1, v0
	v_add_u32_e32 v7, 0x160, v2
	v_mov_b32_e32 v8, v2
	s_mov_b64 s[4:5], 0
	v_mov_b32_e32 v5, v4
.LBB43_29:                              ; =>This Inner Loop Header: Depth=1
	scratch_load_dwordx2 v[10:11], v8, off
	ds_read_b64 v[12:13], v7
	v_add_u32_e32 v3, 1, v3
	v_cmp_lt_u32_e32 vcc, 2, v3
	v_add_u32_e32 v7, 8, v7
	v_add_u32_e32 v8, 8, v8
	s_or_b64 s[4:5], vcc, s[4:5]
	s_waitcnt vmcnt(0) lgkmcnt(0)
	v_pk_mul_f32 v[14:15], v[12:13], v[10:11] op_sel:[1,1] op_sel_hi:[0,1]
	v_pk_fma_f32 v[16:17], v[12:13], v[10:11], v[14:15] neg_lo:[0,0,1] neg_hi:[0,0,1]
	v_pk_fma_f32 v[10:11], v[12:13], v[10:11], v[14:15] op_sel_hi:[1,0,1]
	s_nop 0
	v_mov_b32_e32 v17, v11
	v_pk_add_f32 v[4:5], v[4:5], v[16:17]
	s_andn2_b64 exec, exec, s[4:5]
	s_cbranch_execnz .LBB43_29
; %bb.30:
	s_or_b64 exec, exec, s[4:5]
	v_mov_b32_e32 v3, 0
	ds_read_b64 v[8:9], v3 offset:32
	s_waitcnt lgkmcnt(0)
	v_pk_mul_f32 v[10:11], v[4:5], v[8:9] op_sel:[1,1] op_sel_hi:[0,1]
	v_pk_fma_f32 v[12:13], v[4:5], v[8:9], v[10:11] neg_lo:[0,0,1] neg_hi:[0,0,1]
	v_pk_fma_f32 v[4:5], v[4:5], v[8:9], v[10:11] op_sel_hi:[1,0,1]
	s_nop 0
	v_mov_b32_e32 v13, v5
	scratch_store_dwordx2 off, v[12:13], off offset:32
.LBB43_31:
	s_or_b64 exec, exec, s[0:1]
	; wave barrier
	scratch_load_dwordx2 v[4:5], off, off offset:40
	v_cmp_gt_u32_e32 vcc, 5, v0
	;; [unrolled: 46-line block ×19, first 2 shown]
	s_waitcnt vmcnt(0)
	ds_write_b64 v1, v[4:5]
	s_waitcnt lgkmcnt(0)
	; wave barrier
	s_and_saveexec_b64 s[0:1], vcc
	s_cbranch_execz .LBB43_103
; %bb.100:
	v_mov_b32_e32 v4, 0
	v_add_u32_e32 v3, -1, v0
	v_add_u32_e32 v7, 0x160, v2
	v_mov_b32_e32 v8, v2
	s_mov_b64 s[4:5], 0
	v_mov_b32_e32 v5, v4
.LBB43_101:                             ; =>This Inner Loop Header: Depth=1
	scratch_load_dwordx2 v[10:11], v8, off
	ds_read_b64 v[12:13], v7
	v_add_u32_e32 v3, 1, v3
	v_cmp_lt_u32_e32 vcc, 20, v3
	v_add_u32_e32 v7, 8, v7
	v_add_u32_e32 v8, 8, v8
	s_or_b64 s[4:5], vcc, s[4:5]
	s_waitcnt vmcnt(0) lgkmcnt(0)
	v_pk_mul_f32 v[14:15], v[12:13], v[10:11] op_sel:[1,1] op_sel_hi:[0,1]
	v_pk_fma_f32 v[16:17], v[12:13], v[10:11], v[14:15] neg_lo:[0,0,1] neg_hi:[0,0,1]
	v_pk_fma_f32 v[10:11], v[12:13], v[10:11], v[14:15] op_sel_hi:[1,0,1]
	s_nop 0
	v_mov_b32_e32 v17, v11
	v_pk_add_f32 v[4:5], v[4:5], v[16:17]
	s_andn2_b64 exec, exec, s[4:5]
	s_cbranch_execnz .LBB43_101
; %bb.102:
	s_or_b64 exec, exec, s[4:5]
	v_mov_b32_e32 v3, 0
	ds_read_b64 v[8:9], v3 offset:176
	s_waitcnt lgkmcnt(0)
	v_pk_mul_f32 v[10:11], v[4:5], v[8:9] op_sel:[1,1] op_sel_hi:[0,1]
	v_pk_fma_f32 v[12:13], v[4:5], v[8:9], v[10:11] neg_lo:[0,0,1] neg_hi:[0,0,1]
	v_pk_fma_f32 v[4:5], v[4:5], v[8:9], v[10:11] op_sel_hi:[1,0,1]
	s_nop 0
	v_mov_b32_e32 v13, v5
	scratch_store_dwordx2 off, v[12:13], off offset:176
.LBB43_103:
	s_or_b64 exec, exec, s[0:1]
	; wave barrier
	scratch_load_dwordx2 v[4:5], off, off offset:184
	v_cmp_gt_u32_e32 vcc, 23, v0
	s_waitcnt vmcnt(0)
	ds_write_b64 v1, v[4:5]
	s_waitcnt lgkmcnt(0)
	; wave barrier
	s_and_saveexec_b64 s[0:1], vcc
	s_cbranch_execz .LBB43_107
; %bb.104:
	v_mov_b32_e32 v4, 0
	v_add_u32_e32 v3, -1, v0
	v_add_u32_e32 v7, 0x160, v2
	v_mov_b32_e32 v8, v2
	s_mov_b64 s[4:5], 0
	v_mov_b32_e32 v5, v4
.LBB43_105:                             ; =>This Inner Loop Header: Depth=1
	scratch_load_dwordx2 v[10:11], v8, off
	ds_read_b64 v[12:13], v7
	v_add_u32_e32 v3, 1, v3
	v_cmp_lt_u32_e32 vcc, 21, v3
	v_add_u32_e32 v7, 8, v7
	v_add_u32_e32 v8, 8, v8
	s_or_b64 s[4:5], vcc, s[4:5]
	s_waitcnt vmcnt(0) lgkmcnt(0)
	v_pk_mul_f32 v[14:15], v[12:13], v[10:11] op_sel:[1,1] op_sel_hi:[0,1]
	v_pk_fma_f32 v[16:17], v[12:13], v[10:11], v[14:15] neg_lo:[0,0,1] neg_hi:[0,0,1]
	v_pk_fma_f32 v[10:11], v[12:13], v[10:11], v[14:15] op_sel_hi:[1,0,1]
	s_nop 0
	v_mov_b32_e32 v17, v11
	v_pk_add_f32 v[4:5], v[4:5], v[16:17]
	s_andn2_b64 exec, exec, s[4:5]
	s_cbranch_execnz .LBB43_105
; %bb.106:
	s_or_b64 exec, exec, s[4:5]
	v_mov_b32_e32 v3, 0
	ds_read_b64 v[8:9], v3 offset:184
	s_waitcnt lgkmcnt(0)
	v_pk_mul_f32 v[10:11], v[4:5], v[8:9] op_sel:[1,1] op_sel_hi:[0,1]
	v_pk_fma_f32 v[12:13], v[4:5], v[8:9], v[10:11] neg_lo:[0,0,1] neg_hi:[0,0,1]
	v_pk_fma_f32 v[4:5], v[4:5], v[8:9], v[10:11] op_sel_hi:[1,0,1]
	s_nop 0
	v_mov_b32_e32 v13, v5
	scratch_store_dwordx2 off, v[12:13], off offset:184
.LBB43_107:
	s_or_b64 exec, exec, s[0:1]
	; wave barrier
	scratch_load_dwordx2 v[4:5], off, off offset:192
	v_cmp_gt_u32_e32 vcc, 24, v0
	;; [unrolled: 46-line block ×20, first 2 shown]
	s_waitcnt vmcnt(0)
	ds_write_b64 v1, v[4:5]
	s_waitcnt lgkmcnt(0)
	; wave barrier
	s_and_saveexec_b64 s[0:1], vcc
	s_cbranch_execz .LBB43_183
; %bb.180:
	v_mov_b32_e32 v4, 0
	v_add_u32_e32 v3, -1, v0
	v_add_u32_e32 v7, 0x160, v2
	v_mov_b32_e32 v8, v2
	s_mov_b64 s[4:5], 0
	v_mov_b32_e32 v5, v4
.LBB43_181:                             ; =>This Inner Loop Header: Depth=1
	scratch_load_dwordx2 v[10:11], v8, off
	ds_read_b64 v[12:13], v7
	v_add_u32_e32 v3, 1, v3
	v_cmp_lt_u32_e32 vcc, 40, v3
	v_add_u32_e32 v7, 8, v7
	v_add_u32_e32 v8, 8, v8
	s_or_b64 s[4:5], vcc, s[4:5]
	s_waitcnt vmcnt(0) lgkmcnt(0)
	v_pk_mul_f32 v[14:15], v[12:13], v[10:11] op_sel:[1,1] op_sel_hi:[0,1]
	v_pk_fma_f32 v[16:17], v[12:13], v[10:11], v[14:15] neg_lo:[0,0,1] neg_hi:[0,0,1]
	v_pk_fma_f32 v[10:11], v[12:13], v[10:11], v[14:15] op_sel_hi:[1,0,1]
	s_nop 0
	v_mov_b32_e32 v17, v11
	v_pk_add_f32 v[4:5], v[4:5], v[16:17]
	s_andn2_b64 exec, exec, s[4:5]
	s_cbranch_execnz .LBB43_181
; %bb.182:
	s_or_b64 exec, exec, s[4:5]
	v_mov_b32_e32 v3, 0
	ds_read_b64 v[8:9], v3 offset:336
	s_waitcnt lgkmcnt(0)
	v_pk_mul_f32 v[10:11], v[4:5], v[8:9] op_sel:[1,1] op_sel_hi:[0,1]
	v_pk_fma_f32 v[12:13], v[4:5], v[8:9], v[10:11] neg_lo:[0,0,1] neg_hi:[0,0,1]
	v_pk_fma_f32 v[4:5], v[4:5], v[8:9], v[10:11] op_sel_hi:[1,0,1]
	s_nop 0
	v_mov_b32_e32 v13, v5
	scratch_store_dwordx2 off, v[12:13], off offset:336
.LBB43_183:
	s_or_b64 exec, exec, s[0:1]
	; wave barrier
	scratch_load_dwordx2 v[4:5], off, off offset:344
	v_cmp_ne_u32_e32 vcc, 43, v0
	s_waitcnt vmcnt(0)
	ds_write_b64 v1, v[4:5]
	s_waitcnt lgkmcnt(0)
	; wave barrier
	s_and_saveexec_b64 s[0:1], vcc
	s_cbranch_execz .LBB43_187
; %bb.184:
	v_add_u32_e32 v1, 0x160, v2
	v_mov_b32_e32 v4, v2
	v_mov_b32_e32 v2, 0
	s_mov_b64 s[4:5], 0
	v_mov_b32_e32 v3, v2
.LBB43_185:                             ; =>This Inner Loop Header: Depth=1
	scratch_load_dwordx2 v[8:9], v4, off
	ds_read_b64 v[10:11], v1
	v_add_u32_e32 v6, 1, v6
	v_cmp_lt_u32_e32 vcc, 41, v6
	v_add_u32_e32 v1, 8, v1
	v_add_u32_e32 v4, 8, v4
	s_or_b64 s[4:5], vcc, s[4:5]
	s_waitcnt vmcnt(0) lgkmcnt(0)
	v_pk_mul_f32 v[12:13], v[10:11], v[8:9] op_sel:[1,1] op_sel_hi:[0,1]
	v_pk_fma_f32 v[14:15], v[10:11], v[8:9], v[12:13] neg_lo:[0,0,1] neg_hi:[0,0,1]
	v_pk_fma_f32 v[8:9], v[10:11], v[8:9], v[12:13] op_sel_hi:[1,0,1]
	s_nop 0
	v_mov_b32_e32 v15, v9
	v_pk_add_f32 v[2:3], v[2:3], v[14:15]
	s_andn2_b64 exec, exec, s[4:5]
	s_cbranch_execnz .LBB43_185
; %bb.186:
	s_or_b64 exec, exec, s[4:5]
	v_mov_b32_e32 v1, 0
	ds_read_b64 v[4:5], v1 offset:344
	s_waitcnt lgkmcnt(0)
	v_pk_mul_f32 v[6:7], v[2:3], v[4:5] op_sel:[1,1] op_sel_hi:[0,1]
	v_pk_fma_f32 v[8:9], v[2:3], v[4:5], v[6:7] neg_lo:[0,0,1] neg_hi:[0,0,1]
	v_pk_fma_f32 v[2:3], v[2:3], v[4:5], v[6:7] op_sel_hi:[1,0,1]
	s_nop 0
	v_mov_b32_e32 v9, v3
	scratch_store_dwordx2 off, v[8:9], off offset:344
.LBB43_187:
	s_or_b64 exec, exec, s[0:1]
	s_mov_b64 s[4:5], -1
	; wave barrier
.LBB43_188:
	s_and_b64 vcc, exec, s[4:5]
	s_cbranch_vccz .LBB43_190
; %bb.189:
	s_lshl_b64 s[0:1], s[2:3], 2
	s_add_u32 s0, s6, s0
	s_addc_u32 s1, s7, s1
	v_mov_b32_e32 v1, 0
	global_load_dword v1, v1, s[0:1]
	s_waitcnt vmcnt(0)
	v_cmp_ne_u32_e32 vcc, 0, v1
	s_cbranch_vccz .LBB43_191
.LBB43_190:
	s_endpgm
.LBB43_191:
	v_mov_b32_e32 v1, 0x160
	v_lshl_add_u32 v1, v0, 3, v1
	v_cmp_eq_u32_e32 vcc, 43, v0
	s_and_saveexec_b64 s[0:1], vcc
	s_cbranch_execz .LBB43_193
; %bb.192:
	scratch_load_dwordx2 v[2:3], off, off offset:336
	v_mov_b32_e32 v4, 0
	v_mov_b32_e32 v5, v4
	scratch_store_dwordx2 off, v[4:5], off offset:336
	s_waitcnt vmcnt(1)
	ds_write_b64 v1, v[2:3]
.LBB43_193:
	s_or_b64 exec, exec, s[0:1]
	s_waitcnt lgkmcnt(0)
	; wave barrier
	scratch_load_dwordx2 v[4:5], off, off offset:344
	scratch_load_dwordx2 v[6:7], off, off offset:336
	v_mov_b32_e32 v2, 0
	ds_read_b64 v[8:9], v2 offset:696
	v_cmp_lt_u32_e32 vcc, 41, v0
	s_waitcnt vmcnt(1) lgkmcnt(0)
	v_pk_mul_f32 v[10:11], v[8:9], v[4:5] op_sel:[1,1] op_sel_hi:[0,1]
	v_pk_fma_f32 v[12:13], v[8:9], v[4:5], v[10:11] neg_lo:[0,0,1] neg_hi:[0,0,1]
	v_pk_fma_f32 v[4:5], v[8:9], v[4:5], v[10:11] op_sel_hi:[1,0,1]
	s_nop 0
	v_mov_b32_e32 v13, v5
	v_pk_add_f32 v[4:5], v[12:13], 0 op_sel_hi:[1,0]
	s_waitcnt vmcnt(0)
	v_pk_add_f32 v[4:5], v[6:7], v[4:5] neg_lo:[0,1] neg_hi:[0,1]
	scratch_store_dwordx2 off, v[4:5], off offset:336
	s_and_saveexec_b64 s[0:1], vcc
	s_cbranch_execz .LBB43_195
; %bb.194:
	scratch_load_dwordx2 v[4:5], off, off offset:328
	v_mov_b32_e32 v3, v2
	scratch_store_dwordx2 off, v[2:3], off offset:328
	s_waitcnt vmcnt(1)
	ds_write_b64 v1, v[4:5]
.LBB43_195:
	s_or_b64 exec, exec, s[0:1]
	s_waitcnt lgkmcnt(0)
	; wave barrier
	scratch_load_dwordx4 v[4:7], off, off offset:336
	scratch_load_dwordx2 v[12:13], off, off offset:328
	ds_read_b128 v[8:11], v2 offset:688
	v_cmp_lt_u32_e32 vcc, 40, v0
	s_waitcnt vmcnt(1) lgkmcnt(0)
	v_pk_mul_f32 v[2:3], v[8:9], v[4:5] op_sel:[1,1] op_sel_hi:[0,1]
	v_mov_b32_e32 v14, v7
	v_pk_fma_f32 v[16:17], v[8:9], v[4:5], v[2:3] neg_lo:[0,0,1] neg_hi:[0,0,1]
	v_pk_fma_f32 v[2:3], v[8:9], v[4:5], v[2:3] op_sel_hi:[1,0,1]
	v_pk_mul_f32 v[4:5], v[10:11], v[14:15] op_sel:[1,0] op_sel_hi:[0,0]
	v_mov_b32_e32 v17, v3
	v_pk_fma_f32 v[2:3], v[10:11], v[6:7], v[4:5] neg_lo:[0,0,1] neg_hi:[0,0,1]
	v_pk_fma_f32 v[4:5], v[10:11], v[6:7], v[4:5] op_sel_hi:[1,0,1]
	v_pk_add_f32 v[6:7], v[16:17], 0 op_sel_hi:[1,0]
	v_mov_b32_e32 v3, v5
	v_pk_add_f32 v[2:3], v[6:7], v[2:3]
	s_waitcnt vmcnt(0)
	v_pk_add_f32 v[2:3], v[12:13], v[2:3] neg_lo:[0,1] neg_hi:[0,1]
	scratch_store_dwordx2 off, v[2:3], off offset:328
	s_and_saveexec_b64 s[0:1], vcc
	s_cbranch_execz .LBB43_197
; %bb.196:
	scratch_load_dwordx2 v[2:3], off, off offset:320
	v_mov_b32_e32 v4, 0
	v_mov_b32_e32 v5, v4
	scratch_store_dwordx2 off, v[4:5], off offset:320
	s_waitcnt vmcnt(1)
	ds_write_b64 v1, v[2:3]
.LBB43_197:
	s_or_b64 exec, exec, s[0:1]
	s_waitcnt lgkmcnt(0)
	; wave barrier
	scratch_load_dwordx4 v[4:7], off, off offset:328
	scratch_load_dwordx2 v[12:13], off, off offset:344
	scratch_load_dwordx2 v[14:15], off, off offset:320
	v_mov_b32_e32 v2, 0
	ds_read2_b64 v[8:11], v2 offset0:85 offset1:86
	ds_read_b64 v[16:17], v2 offset:696
	v_cmp_lt_u32_e32 vcc, 39, v0
	s_waitcnt vmcnt(2) lgkmcnt(1)
	v_pk_mul_f32 v[18:19], v[8:9], v[4:5] op_sel:[1,1] op_sel_hi:[0,1]
	v_mov_b32_e32 v20, v7
	v_pk_fma_f32 v[24:25], v[8:9], v[4:5], v[18:19] neg_lo:[0,0,1] neg_hi:[0,0,1]
	v_pk_fma_f32 v[4:5], v[8:9], v[4:5], v[18:19] op_sel_hi:[1,0,1]
	v_pk_mul_f32 v[8:9], v[10:11], v[20:21] op_sel:[1,0] op_sel_hi:[0,0]
	s_waitcnt vmcnt(1) lgkmcnt(0)
	v_pk_mul_f32 v[22:23], v[16:17], v[12:13] op_sel:[1,1] op_sel_hi:[0,1]
	v_mov_b32_e32 v25, v5
	v_pk_fma_f32 v[4:5], v[10:11], v[6:7], v[8:9] neg_lo:[0,0,1] neg_hi:[0,0,1]
	v_pk_fma_f32 v[6:7], v[10:11], v[6:7], v[8:9] op_sel_hi:[1,0,1]
	v_pk_fma_f32 v[18:19], v[16:17], v[12:13], v[22:23] neg_lo:[0,0,1] neg_hi:[0,0,1]
	v_pk_fma_f32 v[12:13], v[16:17], v[12:13], v[22:23] op_sel_hi:[1,0,1]
	v_pk_add_f32 v[8:9], v[24:25], 0 op_sel_hi:[1,0]
	v_mov_b32_e32 v5, v7
	v_mov_b32_e32 v19, v13
	v_pk_add_f32 v[4:5], v[8:9], v[4:5]
	s_nop 0
	v_pk_add_f32 v[4:5], v[4:5], v[18:19]
	s_waitcnt vmcnt(0)
	v_pk_add_f32 v[4:5], v[14:15], v[4:5] neg_lo:[0,1] neg_hi:[0,1]
	scratch_store_dwordx2 off, v[4:5], off offset:320
	s_and_saveexec_b64 s[0:1], vcc
	s_cbranch_execz .LBB43_199
; %bb.198:
	scratch_load_dwordx2 v[4:5], off, off offset:312
	v_mov_b32_e32 v3, v2
	scratch_store_dwordx2 off, v[2:3], off offset:312
	s_waitcnt vmcnt(1)
	ds_write_b64 v1, v[4:5]
.LBB43_199:
	s_or_b64 exec, exec, s[0:1]
	s_waitcnt lgkmcnt(0)
	; wave barrier
	scratch_load_dwordx4 v[4:7], off, off offset:320
	scratch_load_dwordx4 v[8:11], off, off offset:336
	scratch_load_dwordx2 v[20:21], off, off offset:312
	ds_read_b128 v[12:15], v2 offset:672
	ds_read_b128 v[16:19], v2 offset:688
	v_cmp_lt_u32_e32 vcc, 38, v0
	s_waitcnt vmcnt(2) lgkmcnt(1)
	v_pk_mul_f32 v[2:3], v[12:13], v[4:5] op_sel:[1,1] op_sel_hi:[0,1]
	v_mov_b32_e32 v22, v7
	s_waitcnt vmcnt(1) lgkmcnt(0)
	v_pk_mul_f32 v[24:25], v[16:17], v[8:9] op_sel:[1,1] op_sel_hi:[0,1]
	v_mov_b32_e32 v26, v11
	v_pk_fma_f32 v[28:29], v[12:13], v[4:5], v[2:3] neg_lo:[0,0,1] neg_hi:[0,0,1]
	v_pk_fma_f32 v[2:3], v[12:13], v[4:5], v[2:3] op_sel_hi:[1,0,1]
	v_pk_mul_f32 v[4:5], v[14:15], v[22:23] op_sel:[1,0] op_sel_hi:[0,0]
	v_pk_fma_f32 v[12:13], v[16:17], v[8:9], v[24:25] neg_lo:[0,0,1] neg_hi:[0,0,1]
	v_pk_fma_f32 v[8:9], v[16:17], v[8:9], v[24:25] op_sel_hi:[1,0,1]
	v_pk_mul_f32 v[16:17], v[18:19], v[26:27] op_sel:[1,0] op_sel_hi:[0,0]
	v_mov_b32_e32 v29, v3
	v_pk_fma_f32 v[2:3], v[14:15], v[6:7], v[4:5] neg_lo:[0,0,1] neg_hi:[0,0,1]
	v_pk_fma_f32 v[4:5], v[14:15], v[6:7], v[4:5] op_sel_hi:[1,0,1]
	v_mov_b32_e32 v13, v9
	v_pk_fma_f32 v[6:7], v[18:19], v[10:11], v[16:17] neg_lo:[0,0,1] neg_hi:[0,0,1]
	v_pk_fma_f32 v[8:9], v[18:19], v[10:11], v[16:17] op_sel_hi:[1,0,1]
	v_pk_add_f32 v[10:11], v[28:29], 0 op_sel_hi:[1,0]
	v_mov_b32_e32 v3, v5
	v_pk_add_f32 v[2:3], v[10:11], v[2:3]
	v_mov_b32_e32 v7, v9
	v_pk_add_f32 v[2:3], v[2:3], v[12:13]
	s_nop 0
	v_pk_add_f32 v[2:3], v[2:3], v[6:7]
	s_waitcnt vmcnt(0)
	v_pk_add_f32 v[2:3], v[20:21], v[2:3] neg_lo:[0,1] neg_hi:[0,1]
	scratch_store_dwordx2 off, v[2:3], off offset:312
	s_and_saveexec_b64 s[0:1], vcc
	s_cbranch_execz .LBB43_201
; %bb.200:
	scratch_load_dwordx2 v[2:3], off, off offset:304
	v_mov_b32_e32 v4, 0
	v_mov_b32_e32 v5, v4
	scratch_store_dwordx2 off, v[4:5], off offset:304
	s_waitcnt vmcnt(1)
	ds_write_b64 v1, v[2:3]
.LBB43_201:
	s_or_b64 exec, exec, s[0:1]
	s_waitcnt lgkmcnt(0)
	; wave barrier
	scratch_load_dwordx4 v[4:7], off, off offset:312
	scratch_load_dwordx4 v[8:11], off, off offset:328
	scratch_load_dwordx2 v[20:21], off, off offset:344
	scratch_load_dwordx2 v[22:23], off, off offset:304
	v_mov_b32_e32 v2, 0
	ds_read2_b64 v[12:15], v2 offset0:83 offset1:84
	ds_read2_b64 v[16:19], v2 offset0:85 offset1:86
	ds_read_b64 v[24:25], v2 offset:696
	v_cmp_lt_u32_e32 vcc, 37, v0
	s_waitcnt vmcnt(3) lgkmcnt(2)
	v_pk_mul_f32 v[26:27], v[12:13], v[4:5] op_sel:[1,1] op_sel_hi:[0,1]
	v_mov_b32_e32 v28, v7
	v_pk_fma_f32 v[36:37], v[12:13], v[4:5], v[26:27] neg_lo:[0,0,1] neg_hi:[0,0,1]
	v_pk_fma_f32 v[4:5], v[12:13], v[4:5], v[26:27] op_sel_hi:[1,0,1]
	v_pk_mul_f32 v[12:13], v[14:15], v[28:29] op_sel:[1,0] op_sel_hi:[0,0]
	s_waitcnt vmcnt(2) lgkmcnt(1)
	v_pk_mul_f32 v[30:31], v[16:17], v[8:9] op_sel:[1,1] op_sel_hi:[0,1]
	v_mov_b32_e32 v32, v11
	v_mov_b32_e32 v37, v5
	v_pk_fma_f32 v[4:5], v[14:15], v[6:7], v[12:13] neg_lo:[0,0,1] neg_hi:[0,0,1]
	v_pk_fma_f32 v[6:7], v[14:15], v[6:7], v[12:13] op_sel_hi:[1,0,1]
	v_pk_fma_f32 v[26:27], v[16:17], v[8:9], v[30:31] neg_lo:[0,0,1] neg_hi:[0,0,1]
	v_pk_fma_f32 v[8:9], v[16:17], v[8:9], v[30:31] op_sel_hi:[1,0,1]
	v_pk_mul_f32 v[16:17], v[18:19], v[32:33] op_sel:[1,0] op_sel_hi:[0,0]
	v_pk_add_f32 v[12:13], v[36:37], 0 op_sel_hi:[1,0]
	v_mov_b32_e32 v5, v7
	s_waitcnt vmcnt(1) lgkmcnt(0)
	v_pk_mul_f32 v[34:35], v[24:25], v[20:21] op_sel:[1,1] op_sel_hi:[0,1]
	v_mov_b32_e32 v27, v9
	v_pk_fma_f32 v[8:9], v[18:19], v[10:11], v[16:17] neg_lo:[0,0,1] neg_hi:[0,0,1]
	v_pk_fma_f32 v[10:11], v[18:19], v[10:11], v[16:17] op_sel_hi:[1,0,1]
	v_pk_add_f32 v[4:5], v[12:13], v[4:5]
	v_pk_fma_f32 v[28:29], v[24:25], v[20:21], v[34:35] neg_lo:[0,0,1] neg_hi:[0,0,1]
	v_pk_fma_f32 v[20:21], v[24:25], v[20:21], v[34:35] op_sel_hi:[1,0,1]
	v_mov_b32_e32 v9, v11
	v_pk_add_f32 v[4:5], v[4:5], v[26:27]
	v_mov_b32_e32 v29, v21
	v_pk_add_f32 v[4:5], v[4:5], v[8:9]
	s_nop 0
	v_pk_add_f32 v[4:5], v[4:5], v[28:29]
	s_waitcnt vmcnt(0)
	v_pk_add_f32 v[4:5], v[22:23], v[4:5] neg_lo:[0,1] neg_hi:[0,1]
	scratch_store_dwordx2 off, v[4:5], off offset:304
	s_and_saveexec_b64 s[0:1], vcc
	s_cbranch_execz .LBB43_203
; %bb.202:
	scratch_load_dwordx2 v[4:5], off, off offset:296
	v_mov_b32_e32 v3, v2
	scratch_store_dwordx2 off, v[2:3], off offset:296
	s_waitcnt vmcnt(1)
	ds_write_b64 v1, v[4:5]
.LBB43_203:
	s_or_b64 exec, exec, s[0:1]
	s_waitcnt lgkmcnt(0)
	; wave barrier
	scratch_load_dwordx4 v[4:7], off, off offset:304
	scratch_load_dwordx4 v[8:11], off, off offset:320
	;; [unrolled: 1-line block ×3, first 2 shown]
	scratch_load_dwordx2 v[28:29], off, off offset:296
	ds_read_b128 v[16:19], v2 offset:656
	ds_read_b128 v[20:23], v2 offset:672
	;; [unrolled: 1-line block ×3, first 2 shown]
	v_cmp_lt_u32_e32 vcc, 36, v0
	s_waitcnt vmcnt(3) lgkmcnt(2)
	v_pk_mul_f32 v[2:3], v[16:17], v[4:5] op_sel:[1,1] op_sel_hi:[0,1]
	v_mov_b32_e32 v30, v7
	s_waitcnt vmcnt(2) lgkmcnt(1)
	v_pk_mul_f32 v[32:33], v[20:21], v[8:9] op_sel:[1,1] op_sel_hi:[0,1]
	v_mov_b32_e32 v34, v11
	;; [unrolled: 3-line block ×3, first 2 shown]
	v_pk_fma_f32 v[40:41], v[16:17], v[4:5], v[2:3] neg_lo:[0,0,1] neg_hi:[0,0,1]
	v_pk_fma_f32 v[2:3], v[16:17], v[4:5], v[2:3] op_sel_hi:[1,0,1]
	v_pk_mul_f32 v[4:5], v[18:19], v[30:31] op_sel:[1,0] op_sel_hi:[0,0]
	v_pk_fma_f32 v[16:17], v[20:21], v[8:9], v[32:33] neg_lo:[0,0,1] neg_hi:[0,0,1]
	v_pk_fma_f32 v[8:9], v[20:21], v[8:9], v[32:33] op_sel_hi:[1,0,1]
	v_pk_mul_f32 v[20:21], v[22:23], v[34:35] op_sel:[1,0] op_sel_hi:[0,0]
	v_pk_fma_f32 v[30:31], v[24:25], v[12:13], v[36:37] neg_lo:[0,0,1] neg_hi:[0,0,1]
	v_pk_fma_f32 v[12:13], v[24:25], v[12:13], v[36:37] op_sel_hi:[1,0,1]
	v_pk_mul_f32 v[24:25], v[26:27], v[38:39] op_sel:[1,0] op_sel_hi:[0,0]
	v_mov_b32_e32 v41, v3
	v_pk_fma_f32 v[2:3], v[18:19], v[6:7], v[4:5] neg_lo:[0,0,1] neg_hi:[0,0,1]
	v_pk_fma_f32 v[4:5], v[18:19], v[6:7], v[4:5] op_sel_hi:[1,0,1]
	v_mov_b32_e32 v17, v9
	v_pk_fma_f32 v[6:7], v[22:23], v[10:11], v[20:21] neg_lo:[0,0,1] neg_hi:[0,0,1]
	v_pk_fma_f32 v[8:9], v[22:23], v[10:11], v[20:21] op_sel_hi:[1,0,1]
	v_mov_b32_e32 v31, v13
	v_pk_fma_f32 v[10:11], v[26:27], v[14:15], v[24:25] neg_lo:[0,0,1] neg_hi:[0,0,1]
	v_pk_fma_f32 v[12:13], v[26:27], v[14:15], v[24:25] op_sel_hi:[1,0,1]
	v_pk_add_f32 v[14:15], v[40:41], 0 op_sel_hi:[1,0]
	v_mov_b32_e32 v3, v5
	v_pk_add_f32 v[2:3], v[14:15], v[2:3]
	v_mov_b32_e32 v7, v9
	v_pk_add_f32 v[2:3], v[2:3], v[16:17]
	;; [unrolled: 2-line block ×3, first 2 shown]
	s_nop 0
	v_pk_add_f32 v[2:3], v[2:3], v[30:31]
	s_nop 0
	v_pk_add_f32 v[2:3], v[2:3], v[10:11]
	s_waitcnt vmcnt(0)
	v_pk_add_f32 v[2:3], v[28:29], v[2:3] neg_lo:[0,1] neg_hi:[0,1]
	scratch_store_dwordx2 off, v[2:3], off offset:296
	s_and_saveexec_b64 s[0:1], vcc
	s_cbranch_execz .LBB43_205
; %bb.204:
	scratch_load_dwordx2 v[2:3], off, off offset:288
	v_mov_b32_e32 v4, 0
	v_mov_b32_e32 v5, v4
	scratch_store_dwordx2 off, v[4:5], off offset:288
	s_waitcnt vmcnt(1)
	ds_write_b64 v1, v[2:3]
.LBB43_205:
	s_or_b64 exec, exec, s[0:1]
	s_waitcnt lgkmcnt(0)
	; wave barrier
	scratch_load_dwordx4 v[4:7], off, off offset:296
	scratch_load_dwordx4 v[8:11], off, off offset:312
	;; [unrolled: 1-line block ×3, first 2 shown]
	scratch_load_dwordx2 v[28:29], off, off offset:344
	v_mov_b32_e32 v2, 0
	ds_read2_b64 v[16:19], v2 offset0:81 offset1:82
	ds_read2_b64 v[20:23], v2 offset0:83 offset1:84
	;; [unrolled: 1-line block ×3, first 2 shown]
	ds_read_b64 v[30:31], v2 offset:696
	v_cmp_lt_u32_e32 vcc, 35, v0
	s_waitcnt vmcnt(3) lgkmcnt(3)
	v_pk_mul_f32 v[32:33], v[16:17], v[4:5] op_sel:[1,1] op_sel_hi:[0,1]
	v_pk_fma_f32 v[34:35], v[16:17], v[4:5], v[32:33] neg_lo:[0,0,1] neg_hi:[0,0,1]
	v_pk_fma_f32 v[4:5], v[16:17], v[4:5], v[32:33] op_sel_hi:[1,0,1]
	v_mov_b32_e32 v16, v7
	v_pk_mul_f32 v[16:17], v[18:19], v[16:17] op_sel:[1,0] op_sel_hi:[0,0]
	v_pk_fma_f32 v[32:33], v[18:19], v[6:7], v[16:17] neg_lo:[0,0,1] neg_hi:[0,0,1]
	v_pk_fma_f32 v[6:7], v[18:19], v[6:7], v[16:17] op_sel_hi:[1,0,1]
	v_mov_b32_e32 v35, v5
	v_mov_b32_e32 v33, v7
	s_waitcnt vmcnt(2) lgkmcnt(2)
	v_pk_mul_f32 v[6:7], v[20:21], v[8:9] op_sel:[1,1] op_sel_hi:[0,1]
	v_pk_fma_f32 v[16:17], v[20:21], v[8:9], v[6:7] neg_lo:[0,0,1] neg_hi:[0,0,1]
	v_pk_fma_f32 v[6:7], v[20:21], v[8:9], v[6:7] op_sel_hi:[1,0,1]
	v_pk_add_f32 v[4:5], v[34:35], 0 op_sel_hi:[1,0]
	v_mov_b32_e32 v6, v11
	v_mov_b32_e32 v17, v7
	v_pk_mul_f32 v[6:7], v[22:23], v[6:7] op_sel:[1,0] op_sel_hi:[0,0]
	v_pk_add_f32 v[4:5], v[4:5], v[32:33]
	v_pk_fma_f32 v[8:9], v[22:23], v[10:11], v[6:7] neg_lo:[0,0,1] neg_hi:[0,0,1]
	v_pk_fma_f32 v[6:7], v[22:23], v[10:11], v[6:7] op_sel_hi:[1,0,1]
	v_pk_add_f32 v[4:5], v[4:5], v[16:17]
	v_mov_b32_e32 v9, v7
	s_waitcnt vmcnt(1) lgkmcnt(1)
	v_pk_mul_f32 v[6:7], v[24:25], v[12:13] op_sel:[1,1] op_sel_hi:[0,1]
	v_pk_add_f32 v[4:5], v[4:5], v[8:9]
	v_pk_fma_f32 v[8:9], v[24:25], v[12:13], v[6:7] neg_lo:[0,0,1] neg_hi:[0,0,1]
	v_pk_fma_f32 v[6:7], v[24:25], v[12:13], v[6:7] op_sel_hi:[1,0,1]
	s_nop 0
	v_mov_b32_e32 v6, v15
	v_mov_b32_e32 v9, v7
	v_pk_mul_f32 v[6:7], v[26:27], v[6:7] op_sel:[1,0] op_sel_hi:[0,0]
	v_pk_add_f32 v[4:5], v[4:5], v[8:9]
	v_pk_fma_f32 v[8:9], v[26:27], v[14:15], v[6:7] neg_lo:[0,0,1] neg_hi:[0,0,1]
	v_pk_fma_f32 v[6:7], v[26:27], v[14:15], v[6:7] op_sel_hi:[1,0,1]
	s_nop 0
	v_mov_b32_e32 v9, v7
	s_waitcnt vmcnt(0) lgkmcnt(0)
	v_pk_mul_f32 v[6:7], v[30:31], v[28:29] op_sel:[1,1] op_sel_hi:[0,1]
	v_pk_add_f32 v[4:5], v[4:5], v[8:9]
	v_pk_fma_f32 v[8:9], v[30:31], v[28:29], v[6:7] neg_lo:[0,0,1] neg_hi:[0,0,1]
	v_pk_fma_f32 v[6:7], v[30:31], v[28:29], v[6:7] op_sel_hi:[1,0,1]
	s_nop 0
	v_mov_b32_e32 v9, v7
	scratch_load_dwordx2 v[6:7], off, off offset:288
	v_pk_add_f32 v[4:5], v[4:5], v[8:9]
	s_waitcnt vmcnt(0)
	v_pk_add_f32 v[4:5], v[6:7], v[4:5] neg_lo:[0,1] neg_hi:[0,1]
	scratch_store_dwordx2 off, v[4:5], off offset:288
	s_and_saveexec_b64 s[0:1], vcc
	s_cbranch_execz .LBB43_207
; %bb.206:
	scratch_load_dwordx2 v[4:5], off, off offset:280
	v_mov_b32_e32 v3, v2
	scratch_store_dwordx2 off, v[2:3], off offset:280
	s_waitcnt vmcnt(1)
	ds_write_b64 v1, v[4:5]
.LBB43_207:
	s_or_b64 exec, exec, s[0:1]
	s_waitcnt lgkmcnt(0)
	; wave barrier
	scratch_load_dwordx4 v[4:7], off, off offset:288
	scratch_load_dwordx4 v[8:11], off, off offset:304
	;; [unrolled: 1-line block ×4, first 2 shown]
	ds_read_b128 v[20:23], v2 offset:640
	ds_read_b128 v[24:27], v2 offset:656
	;; [unrolled: 1-line block ×4, first 2 shown]
	v_cmp_lt_u32_e32 vcc, 34, v0
	s_waitcnt vmcnt(3) lgkmcnt(3)
	v_pk_mul_f32 v[2:3], v[20:21], v[4:5] op_sel:[1,1] op_sel_hi:[0,1]
	v_pk_fma_f32 v[36:37], v[20:21], v[4:5], v[2:3] neg_lo:[0,0,1] neg_hi:[0,0,1]
	v_pk_fma_f32 v[2:3], v[20:21], v[4:5], v[2:3] op_sel_hi:[1,0,1]
	v_mov_b32_e32 v4, v7
	v_pk_mul_f32 v[4:5], v[22:23], v[4:5] op_sel:[1,0] op_sel_hi:[0,0]
	v_pk_fma_f32 v[20:21], v[22:23], v[6:7], v[4:5] neg_lo:[0,0,1] neg_hi:[0,0,1]
	v_pk_fma_f32 v[4:5], v[22:23], v[6:7], v[4:5] op_sel_hi:[1,0,1]
	v_mov_b32_e32 v37, v3
	v_mov_b32_e32 v21, v5
	s_waitcnt vmcnt(2) lgkmcnt(2)
	v_pk_mul_f32 v[4:5], v[24:25], v[8:9] op_sel:[1,1] op_sel_hi:[0,1]
	v_pk_fma_f32 v[6:7], v[24:25], v[8:9], v[4:5] neg_lo:[0,0,1] neg_hi:[0,0,1]
	v_pk_fma_f32 v[4:5], v[24:25], v[8:9], v[4:5] op_sel_hi:[1,0,1]
	v_pk_add_f32 v[2:3], v[36:37], 0 op_sel_hi:[1,0]
	v_mov_b32_e32 v4, v11
	v_pk_add_f32 v[2:3], v[2:3], v[20:21]
	v_mov_b32_e32 v7, v5
	v_pk_mul_f32 v[4:5], v[26:27], v[4:5] op_sel:[1,0] op_sel_hi:[0,0]
	v_pk_add_f32 v[2:3], v[2:3], v[6:7]
	v_pk_fma_f32 v[6:7], v[26:27], v[10:11], v[4:5] neg_lo:[0,0,1] neg_hi:[0,0,1]
	v_pk_fma_f32 v[4:5], v[26:27], v[10:11], v[4:5] op_sel_hi:[1,0,1]
	s_nop 0
	v_mov_b32_e32 v7, v5
	s_waitcnt vmcnt(1) lgkmcnt(1)
	v_pk_mul_f32 v[4:5], v[28:29], v[12:13] op_sel:[1,1] op_sel_hi:[0,1]
	v_pk_add_f32 v[2:3], v[2:3], v[6:7]
	v_pk_fma_f32 v[6:7], v[28:29], v[12:13], v[4:5] neg_lo:[0,0,1] neg_hi:[0,0,1]
	v_pk_fma_f32 v[4:5], v[28:29], v[12:13], v[4:5] op_sel_hi:[1,0,1]
	s_nop 0
	v_mov_b32_e32 v4, v15
	v_mov_b32_e32 v7, v5
	v_pk_mul_f32 v[4:5], v[30:31], v[4:5] op_sel:[1,0] op_sel_hi:[0,0]
	v_pk_add_f32 v[2:3], v[2:3], v[6:7]
	v_pk_fma_f32 v[6:7], v[30:31], v[14:15], v[4:5] neg_lo:[0,0,1] neg_hi:[0,0,1]
	v_pk_fma_f32 v[4:5], v[30:31], v[14:15], v[4:5] op_sel_hi:[1,0,1]
	s_nop 0
	v_mov_b32_e32 v7, v5
	s_waitcnt vmcnt(0) lgkmcnt(0)
	v_pk_mul_f32 v[4:5], v[32:33], v[16:17] op_sel:[1,1] op_sel_hi:[0,1]
	v_pk_add_f32 v[2:3], v[2:3], v[6:7]
	v_pk_fma_f32 v[6:7], v[32:33], v[16:17], v[4:5] neg_lo:[0,0,1] neg_hi:[0,0,1]
	v_pk_fma_f32 v[4:5], v[32:33], v[16:17], v[4:5] op_sel_hi:[1,0,1]
	s_nop 0
	v_mov_b32_e32 v4, v19
	v_mov_b32_e32 v7, v5
	v_pk_mul_f32 v[4:5], v[34:35], v[4:5] op_sel:[1,0] op_sel_hi:[0,0]
	v_pk_add_f32 v[2:3], v[2:3], v[6:7]
	v_pk_fma_f32 v[6:7], v[34:35], v[18:19], v[4:5] neg_lo:[0,0,1] neg_hi:[0,0,1]
	v_pk_fma_f32 v[4:5], v[34:35], v[18:19], v[4:5] op_sel_hi:[1,0,1]
	s_nop 0
	v_mov_b32_e32 v7, v5
	scratch_load_dwordx2 v[4:5], off, off offset:280
	v_pk_add_f32 v[2:3], v[2:3], v[6:7]
	s_waitcnt vmcnt(0)
	v_pk_add_f32 v[2:3], v[4:5], v[2:3] neg_lo:[0,1] neg_hi:[0,1]
	scratch_store_dwordx2 off, v[2:3], off offset:280
	s_and_saveexec_b64 s[0:1], vcc
	s_cbranch_execz .LBB43_209
; %bb.208:
	scratch_load_dwordx2 v[2:3], off, off offset:272
	v_mov_b32_e32 v4, 0
	v_mov_b32_e32 v5, v4
	scratch_store_dwordx2 off, v[4:5], off offset:272
	s_waitcnt vmcnt(1)
	ds_write_b64 v1, v[2:3]
.LBB43_209:
	s_or_b64 exec, exec, s[0:1]
	s_waitcnt lgkmcnt(0)
	; wave barrier
	scratch_load_dwordx4 v[4:7], off, off offset:280
	scratch_load_dwordx4 v[8:11], off, off offset:296
	;; [unrolled: 1-line block ×4, first 2 shown]
	scratch_load_dwordx2 v[36:37], off, off offset:344
	scratch_load_dwordx2 v[38:39], off, off offset:272
	v_mov_b32_e32 v2, 0
	ds_read2_b64 v[20:23], v2 offset0:79 offset1:80
	ds_read2_b64 v[24:27], v2 offset0:81 offset1:82
	;; [unrolled: 1-line block ×4, first 2 shown]
	ds_read_b64 v[40:41], v2 offset:696
	v_cmp_lt_u32_e32 vcc, 33, v0
	s_waitcnt vmcnt(5) lgkmcnt(4)
	v_mul_f32_e32 v43, v20, v5
	v_mul_f32_e32 v3, v21, v5
	v_mov_b32_e32 v44, v7
	s_waitcnt vmcnt(4) lgkmcnt(3)
	v_pk_mul_f32 v[46:47], v[24:25], v[8:9] op_sel:[1,1] op_sel_hi:[0,1]
	v_mov_b32_e32 v48, v11
	s_waitcnt vmcnt(1) lgkmcnt(0)
	v_pk_mul_f32 v[58:59], v[40:41], v[36:37] op_sel:[1,1] op_sel_hi:[0,1]
	v_fmac_f32_e32 v43, v21, v4
	v_fma_f32 v42, v20, v4, -v3
	v_pk_mul_f32 v[4:5], v[22:23], v[44:45] op_sel:[1,0] op_sel_hi:[0,0]
	v_pk_fma_f32 v[20:21], v[24:25], v[8:9], v[46:47] neg_lo:[0,0,1] neg_hi:[0,0,1]
	v_pk_fma_f32 v[8:9], v[24:25], v[8:9], v[46:47] op_sel_hi:[1,0,1]
	v_pk_mul_f32 v[24:25], v[26:27], v[48:49] op_sel:[1,0] op_sel_hi:[0,0]
	v_pk_fma_f32 v[48:49], v[40:41], v[36:37], v[58:59] neg_lo:[0,0,1] neg_hi:[0,0,1]
	v_pk_fma_f32 v[36:37], v[40:41], v[36:37], v[58:59] op_sel_hi:[1,0,1]
	v_pk_add_f32 v[40:41], v[42:43], 0 op_sel_hi:[1,0]
	v_pk_fma_f32 v[42:43], v[22:23], v[6:7], v[4:5] neg_lo:[0,0,1] neg_hi:[0,0,1]
	v_pk_fma_f32 v[4:5], v[22:23], v[6:7], v[4:5] op_sel_hi:[1,0,1]
	v_pk_mul_f32 v[50:51], v[28:29], v[12:13] op_sel:[1,1] op_sel_hi:[0,1]
	v_mov_b32_e32 v43, v5
	v_mov_b32_e32 v52, v15
	;; [unrolled: 1-line block ×3, first 2 shown]
	v_pk_fma_f32 v[6:7], v[26:27], v[10:11], v[24:25] neg_lo:[0,0,1] neg_hi:[0,0,1]
	v_pk_fma_f32 v[8:9], v[26:27], v[10:11], v[24:25] op_sel_hi:[1,0,1]
	v_pk_add_f32 v[4:5], v[40:41], v[42:43]
	v_pk_fma_f32 v[44:45], v[28:29], v[12:13], v[50:51] neg_lo:[0,0,1] neg_hi:[0,0,1]
	v_pk_fma_f32 v[12:13], v[28:29], v[12:13], v[50:51] op_sel_hi:[1,0,1]
	v_pk_mul_f32 v[28:29], v[30:31], v[52:53] op_sel:[1,0] op_sel_hi:[0,0]
	v_mov_b32_e32 v7, v9
	v_pk_add_f32 v[4:5], v[4:5], v[20:21]
	v_pk_mul_f32 v[54:55], v[32:33], v[16:17] op_sel:[1,1] op_sel_hi:[0,1]
	v_mov_b32_e32 v56, v19
	v_mov_b32_e32 v45, v13
	v_pk_fma_f32 v[10:11], v[30:31], v[14:15], v[28:29] neg_lo:[0,0,1] neg_hi:[0,0,1]
	v_pk_fma_f32 v[12:13], v[30:31], v[14:15], v[28:29] op_sel_hi:[1,0,1]
	v_pk_add_f32 v[4:5], v[4:5], v[6:7]
	v_pk_fma_f32 v[46:47], v[32:33], v[16:17], v[54:55] neg_lo:[0,0,1] neg_hi:[0,0,1]
	v_pk_fma_f32 v[16:17], v[32:33], v[16:17], v[54:55] op_sel_hi:[1,0,1]
	v_pk_mul_f32 v[32:33], v[34:35], v[56:57] op_sel:[1,0] op_sel_hi:[0,0]
	v_mov_b32_e32 v11, v13
	v_pk_add_f32 v[4:5], v[4:5], v[44:45]
	v_mov_b32_e32 v47, v17
	v_pk_fma_f32 v[14:15], v[34:35], v[18:19], v[32:33] neg_lo:[0,0,1] neg_hi:[0,0,1]
	v_pk_fma_f32 v[16:17], v[34:35], v[18:19], v[32:33] op_sel_hi:[1,0,1]
	v_pk_add_f32 v[4:5], v[4:5], v[10:11]
	v_mov_b32_e32 v15, v17
	v_pk_add_f32 v[4:5], v[4:5], v[46:47]
	v_mov_b32_e32 v49, v37
	v_pk_add_f32 v[4:5], v[4:5], v[14:15]
	s_nop 0
	v_pk_add_f32 v[4:5], v[4:5], v[48:49]
	s_waitcnt vmcnt(0)
	v_pk_add_f32 v[4:5], v[38:39], v[4:5] neg_lo:[0,1] neg_hi:[0,1]
	scratch_store_dwordx2 off, v[4:5], off offset:272
	s_and_saveexec_b64 s[0:1], vcc
	s_cbranch_execz .LBB43_211
; %bb.210:
	scratch_load_dwordx2 v[4:5], off, off offset:264
	v_mov_b32_e32 v3, v2
	scratch_store_dwordx2 off, v[2:3], off offset:264
	s_waitcnt vmcnt(1)
	ds_write_b64 v1, v[4:5]
.LBB43_211:
	s_or_b64 exec, exec, s[0:1]
	s_waitcnt lgkmcnt(0)
	; wave barrier
	scratch_load_dwordx4 v[4:7], off, off offset:272
	scratch_load_dwordx4 v[8:11], off, off offset:288
	;; [unrolled: 1-line block ×5, first 2 shown]
	scratch_load_dwordx2 v[44:45], off, off offset:264
	ds_read_b128 v[24:27], v2 offset:624
	ds_read_b128 v[28:31], v2 offset:640
	;; [unrolled: 1-line block ×5, first 2 shown]
	v_cmp_lt_u32_e32 vcc, 32, v0
	s_waitcnt vmcnt(5) lgkmcnt(4)
	v_mul_f32_e32 v3, v24, v5
	v_mul_f32_e32 v2, v25, v5
	;; [unrolled: 1-line block ×4, first 2 shown]
	s_waitcnt vmcnt(4) lgkmcnt(3)
	v_pk_mul_f32 v[48:49], v[28:29], v[8:9] op_sel:[1,1] op_sel_hi:[0,1]
	v_mov_b32_e32 v50, v11
	v_fmac_f32_e32 v3, v25, v4
	v_fma_f32 v2, v24, v4, -v2
	v_fmac_f32_e32 v47, v27, v6
	v_fma_f32 v46, v26, v6, -v5
	v_pk_fma_f32 v[4:5], v[28:29], v[8:9], v[48:49] neg_lo:[0,0,1] neg_hi:[0,0,1]
	v_pk_fma_f32 v[6:7], v[28:29], v[8:9], v[48:49] op_sel_hi:[1,0,1]
	v_pk_mul_f32 v[8:9], v[30:31], v[50:51] op_sel:[1,0] op_sel_hi:[0,0]
	v_pk_add_f32 v[2:3], v[2:3], 0 op_sel_hi:[1,0]
	s_waitcnt vmcnt(3) lgkmcnt(2)
	v_pk_mul_f32 v[52:53], v[32:33], v[12:13] op_sel:[1,1] op_sel_hi:[0,1]
	v_mov_b32_e32 v54, v15
	v_mov_b32_e32 v5, v7
	v_pk_fma_f32 v[6:7], v[30:31], v[10:11], v[8:9] neg_lo:[0,0,1] neg_hi:[0,0,1]
	v_pk_fma_f32 v[8:9], v[30:31], v[10:11], v[8:9] op_sel_hi:[1,0,1]
	v_pk_add_f32 v[2:3], v[2:3], v[46:47]
	v_pk_fma_f32 v[24:25], v[32:33], v[12:13], v[52:53] neg_lo:[0,0,1] neg_hi:[0,0,1]
	v_pk_fma_f32 v[12:13], v[32:33], v[12:13], v[52:53] op_sel_hi:[1,0,1]
	v_pk_mul_f32 v[26:27], v[34:35], v[54:55] op_sel:[1,0] op_sel_hi:[0,0]
	v_mov_b32_e32 v7, v9
	v_pk_add_f32 v[2:3], v[2:3], v[4:5]
	s_waitcnt vmcnt(2) lgkmcnt(1)
	v_pk_mul_f32 v[56:57], v[36:37], v[16:17] op_sel:[1,1] op_sel_hi:[0,1]
	v_mov_b32_e32 v58, v19
	v_mov_b32_e32 v25, v13
	v_pk_fma_f32 v[10:11], v[34:35], v[14:15], v[26:27] neg_lo:[0,0,1] neg_hi:[0,0,1]
	v_pk_fma_f32 v[12:13], v[34:35], v[14:15], v[26:27] op_sel_hi:[1,0,1]
	v_pk_add_f32 v[2:3], v[2:3], v[6:7]
	v_pk_fma_f32 v[28:29], v[36:37], v[16:17], v[56:57] neg_lo:[0,0,1] neg_hi:[0,0,1]
	v_pk_fma_f32 v[16:17], v[36:37], v[16:17], v[56:57] op_sel_hi:[1,0,1]
	v_pk_mul_f32 v[32:33], v[38:39], v[58:59] op_sel:[1,0] op_sel_hi:[0,0]
	v_mov_b32_e32 v11, v13
	v_pk_add_f32 v[2:3], v[2:3], v[24:25]
	;; [unrolled: 12-line block ×3, first 2 shown]
	v_mov_b32_e32 v37, v21
	v_pk_fma_f32 v[18:19], v[42:43], v[22:23], v[40:41] neg_lo:[0,0,1] neg_hi:[0,0,1]
	v_pk_fma_f32 v[20:21], v[42:43], v[22:23], v[40:41] op_sel_hi:[1,0,1]
	v_pk_add_f32 v[2:3], v[2:3], v[14:15]
	v_mov_b32_e32 v19, v21
	v_pk_add_f32 v[2:3], v[2:3], v[36:37]
	s_nop 0
	v_pk_add_f32 v[2:3], v[2:3], v[18:19]
	s_waitcnt vmcnt(0)
	v_pk_add_f32 v[2:3], v[44:45], v[2:3] neg_lo:[0,1] neg_hi:[0,1]
	scratch_store_dwordx2 off, v[2:3], off offset:264
	s_and_saveexec_b64 s[0:1], vcc
	s_cbranch_execz .LBB43_213
; %bb.212:
	scratch_load_dwordx2 v[2:3], off, off offset:256
	v_mov_b32_e32 v4, 0
	v_mov_b32_e32 v5, v4
	scratch_store_dwordx2 off, v[4:5], off offset:256
	s_waitcnt vmcnt(1)
	ds_write_b64 v1, v[2:3]
.LBB43_213:
	s_or_b64 exec, exec, s[0:1]
	s_waitcnt lgkmcnt(0)
	; wave barrier
	scratch_load_dwordx4 v[4:7], off, off offset:264
	scratch_load_dwordx4 v[8:11], off, off offset:280
	;; [unrolled: 1-line block ×5, first 2 shown]
	scratch_load_dwordx2 v[44:45], off, off offset:344
	scratch_load_dwordx2 v[46:47], off, off offset:256
	v_mov_b32_e32 v2, 0
	ds_read2_b64 v[24:27], v2 offset0:77 offset1:78
	ds_read2_b64 v[28:31], v2 offset0:79 offset1:80
	;; [unrolled: 1-line block ×5, first 2 shown]
	ds_read_b64 v[48:49], v2 offset:696
	v_cmp_lt_u32_e32 vcc, 31, v0
	s_waitcnt vmcnt(6) lgkmcnt(5)
	v_mul_f32_e32 v3, v24, v5
	v_mul_f32_e32 v5, v25, v5
	;; [unrolled: 1-line block ×3, first 2 shown]
	s_waitcnt vmcnt(5) lgkmcnt(4)
	v_mul_f32_e32 v53, v28, v9
	v_mul_f32_e32 v7, v27, v7
	;; [unrolled: 1-line block ×3, first 2 shown]
	v_mov_b32_e32 v54, v11
	s_waitcnt vmcnt(3) lgkmcnt(2)
	v_pk_mul_f32 v[60:61], v[36:37], v[16:17] op_sel:[1,1] op_sel_hi:[0,1]
	s_waitcnt vmcnt(2) lgkmcnt(1)
	v_pk_mul_f32 v[64:65], v[40:41], v[20:21] op_sel:[1,1] op_sel_hi:[0,1]
	;; [unrolled: 2-line block ×3, first 2 shown]
	v_fmac_f32_e32 v3, v25, v4
	v_fma_f32 v55, v24, v4, -v5
	v_fmac_f32_e32 v51, v27, v6
	v_fmac_f32_e32 v53, v29, v8
	v_fma_f32 v50, v26, v6, -v7
	v_fma_f32 v52, v28, v8, -v9
	v_pk_mul_f32 v[4:5], v[30:31], v[54:55] op_sel:[1,0] op_sel_hi:[0,0]
	v_pk_fma_f32 v[24:25], v[36:37], v[16:17], v[60:61] neg_lo:[0,0,1] neg_hi:[0,0,1]
	v_pk_fma_f32 v[16:17], v[36:37], v[16:17], v[60:61] op_sel_hi:[1,0,1]
	v_pk_fma_f32 v[28:29], v[40:41], v[20:21], v[64:65] neg_lo:[0,0,1] neg_hi:[0,0,1]
	v_pk_fma_f32 v[20:21], v[40:41], v[20:21], v[64:65] op_sel_hi:[1,0,1]
	;; [unrolled: 2-line block ×3, first 2 shown]
	v_add_f32_e32 v45, 0, v3
	v_add_f32_e32 v44, 0, v55
	v_pk_mul_f32 v[56:57], v[32:33], v[12:13] op_sel:[1,1] op_sel_hi:[0,1]
	v_mov_b32_e32 v58, v15
	v_pk_fma_f32 v[48:49], v[30:31], v[10:11], v[4:5] neg_lo:[0,0,1] neg_hi:[0,0,1]
	v_pk_fma_f32 v[4:5], v[30:31], v[10:11], v[4:5] op_sel_hi:[1,0,1]
	v_mov_b32_e32 v29, v21
	v_pk_add_f32 v[20:21], v[44:45], v[50:51]
	v_pk_fma_f32 v[6:7], v[32:33], v[12:13], v[56:57] neg_lo:[0,0,1] neg_hi:[0,0,1]
	v_pk_fma_f32 v[8:9], v[32:33], v[12:13], v[56:57] op_sel_hi:[1,0,1]
	v_pk_mul_f32 v[12:13], v[34:35], v[58:59] op_sel:[1,0] op_sel_hi:[0,0]
	v_mov_b32_e32 v49, v5
	v_pk_add_f32 v[4:5], v[20:21], v[52:53]
	v_mov_b32_e32 v62, v19
	v_mov_b32_e32 v7, v9
	v_pk_fma_f32 v[8:9], v[34:35], v[14:15], v[12:13] neg_lo:[0,0,1] neg_hi:[0,0,1]
	v_pk_fma_f32 v[10:11], v[34:35], v[14:15], v[12:13] op_sel_hi:[1,0,1]
	v_pk_add_f32 v[4:5], v[4:5], v[48:49]
	v_pk_mul_f32 v[26:27], v[38:39], v[62:63] op_sel:[1,0] op_sel_hi:[0,0]
	v_mov_b32_e32 v9, v11
	v_pk_add_f32 v[4:5], v[4:5], v[6:7]
	v_mov_b32_e32 v66, v23
	v_mov_b32_e32 v25, v17
	v_pk_fma_f32 v[12:13], v[38:39], v[18:19], v[26:27] neg_lo:[0,0,1] neg_hi:[0,0,1]
	v_pk_fma_f32 v[14:15], v[38:39], v[18:19], v[26:27] op_sel_hi:[1,0,1]
	v_pk_add_f32 v[4:5], v[4:5], v[8:9]
	v_pk_mul_f32 v[32:33], v[42:43], v[66:67] op_sel:[1,0] op_sel_hi:[0,0]
	v_mov_b32_e32 v13, v15
	v_pk_add_f32 v[4:5], v[4:5], v[24:25]
	v_pk_fma_f32 v[16:17], v[42:43], v[22:23], v[32:33] neg_lo:[0,0,1] neg_hi:[0,0,1]
	v_pk_fma_f32 v[18:19], v[42:43], v[22:23], v[32:33] op_sel_hi:[1,0,1]
	v_pk_add_f32 v[4:5], v[4:5], v[12:13]
	v_mov_b32_e32 v17, v19
	v_pk_add_f32 v[4:5], v[4:5], v[28:29]
	v_mov_b32_e32 v37, v41
	v_pk_add_f32 v[4:5], v[4:5], v[16:17]
	s_nop 0
	v_pk_add_f32 v[4:5], v[4:5], v[36:37]
	s_waitcnt vmcnt(0)
	v_pk_add_f32 v[4:5], v[46:47], v[4:5] neg_lo:[0,1] neg_hi:[0,1]
	scratch_store_dwordx2 off, v[4:5], off offset:256
	s_and_saveexec_b64 s[0:1], vcc
	s_cbranch_execz .LBB43_215
; %bb.214:
	scratch_load_dwordx2 v[4:5], off, off offset:248
	v_mov_b32_e32 v3, v2
	scratch_store_dwordx2 off, v[2:3], off offset:248
	s_waitcnt vmcnt(1)
	ds_write_b64 v1, v[4:5]
.LBB43_215:
	s_or_b64 exec, exec, s[0:1]
	s_waitcnt lgkmcnt(0)
	; wave barrier
	scratch_load_dwordx4 v[4:7], off, off offset:256
	scratch_load_dwordx4 v[8:11], off, off offset:272
	;; [unrolled: 1-line block ×6, first 2 shown]
	scratch_load_dwordx2 v[52:53], off, off offset:248
	ds_read_b128 v[28:31], v2 offset:608
	ds_read_b128 v[32:35], v2 offset:624
	;; [unrolled: 1-line block ×6, first 2 shown]
	v_cmp_lt_u32_e32 vcc, 30, v0
	s_waitcnt vmcnt(6) lgkmcnt(5)
	v_mul_f32_e32 v59, v28, v5
	v_mul_f32_e32 v63, v30, v7
	s_waitcnt vmcnt(5) lgkmcnt(4)
	v_mul_f32_e32 v3, v32, v9
	v_mul_f32_e32 v2, v29, v5
	;; [unrolled: 1-line block ×4, first 2 shown]
	s_waitcnt vmcnt(1) lgkmcnt(0)
	v_pk_mul_f32 v[68:69], v[48:49], v[24:25] op_sel:[1,1] op_sel_hi:[0,1]
	v_pk_mul_f32 v[56:57], v[36:37], v[12:13] op_sel:[1,1] op_sel_hi:[0,1]
	v_fmac_f32_e32 v59, v29, v4
	v_fmac_f32_e32 v3, v33, v8
	v_fma_f32 v67, v28, v4, -v2
	v_fma_f32 v2, v32, v8, -v7
	v_pk_fma_f32 v[32:33], v[48:49], v[24:25], v[68:69] neg_lo:[0,0,1] neg_hi:[0,0,1]
	v_pk_fma_f32 v[24:25], v[48:49], v[24:25], v[68:69] op_sel_hi:[1,0,1]
	v_fmac_f32_e32 v63, v31, v6
	v_fma_f32 v71, v30, v6, -v5
	v_pk_fma_f32 v[4:5], v[36:37], v[12:13], v[56:57] neg_lo:[0,0,1] neg_hi:[0,0,1]
	v_pk_fma_f32 v[6:7], v[36:37], v[12:13], v[56:57] op_sel_hi:[1,0,1]
	v_add_f32_e32 v24, 0, v59
	v_add_f32_e32 v36, 0, v67
	v_mul_f32_e32 v55, v34, v11
	v_mul_f32_e32 v9, v35, v11
	v_mov_b32_e32 v58, v15
	v_mov_b32_e32 v33, v25
	v_add_f32_e32 v25, v24, v63
	v_add_f32_e32 v24, v36, v71
	v_fmac_f32_e32 v55, v35, v10
	v_fma_f32 v54, v34, v10, -v9
	v_pk_mul_f32 v[8:9], v[38:39], v[58:59] op_sel:[1,0] op_sel_hi:[0,0]
	v_pk_add_f32 v[2:3], v[24:25], v[2:3]
	v_pk_mul_f32 v[60:61], v[40:41], v[16:17] op_sel:[1,1] op_sel_hi:[0,1]
	v_mov_b32_e32 v62, v19
	v_mov_b32_e32 v5, v7
	v_pk_fma_f32 v[6:7], v[38:39], v[14:15], v[8:9] neg_lo:[0,0,1] neg_hi:[0,0,1]
	v_pk_fma_f32 v[8:9], v[38:39], v[14:15], v[8:9] op_sel_hi:[1,0,1]
	v_pk_add_f32 v[2:3], v[2:3], v[54:55]
	v_pk_fma_f32 v[10:11], v[40:41], v[16:17], v[60:61] neg_lo:[0,0,1] neg_hi:[0,0,1]
	v_pk_fma_f32 v[12:13], v[40:41], v[16:17], v[60:61] op_sel_hi:[1,0,1]
	v_pk_mul_f32 v[16:17], v[42:43], v[62:63] op_sel:[1,0] op_sel_hi:[0,0]
	v_mov_b32_e32 v7, v9
	v_pk_add_f32 v[2:3], v[2:3], v[4:5]
	v_pk_mul_f32 v[64:65], v[44:45], v[20:21] op_sel:[1,1] op_sel_hi:[0,1]
	v_mov_b32_e32 v66, v23
	v_mov_b32_e32 v11, v13
	v_pk_fma_f32 v[12:13], v[42:43], v[18:19], v[16:17] neg_lo:[0,0,1] neg_hi:[0,0,1]
	v_pk_fma_f32 v[14:15], v[42:43], v[18:19], v[16:17] op_sel_hi:[1,0,1]
	v_pk_add_f32 v[2:3], v[2:3], v[6:7]
	v_pk_fma_f32 v[28:29], v[44:45], v[20:21], v[64:65] neg_lo:[0,0,1] neg_hi:[0,0,1]
	v_pk_fma_f32 v[20:21], v[44:45], v[20:21], v[64:65] op_sel_hi:[1,0,1]
	v_pk_mul_f32 v[30:31], v[46:47], v[66:67] op_sel:[1,0] op_sel_hi:[0,0]
	v_mov_b32_e32 v13, v15
	v_pk_add_f32 v[2:3], v[2:3], v[10:11]
	v_mov_b32_e32 v70, v27
	v_mov_b32_e32 v29, v21
	v_pk_fma_f32 v[16:17], v[46:47], v[22:23], v[30:31] neg_lo:[0,0,1] neg_hi:[0,0,1]
	v_pk_fma_f32 v[18:19], v[46:47], v[22:23], v[30:31] op_sel_hi:[1,0,1]
	v_pk_add_f32 v[2:3], v[2:3], v[12:13]
	v_pk_mul_f32 v[34:35], v[50:51], v[70:71] op_sel:[1,0] op_sel_hi:[0,0]
	v_mov_b32_e32 v17, v19
	v_pk_add_f32 v[2:3], v[2:3], v[28:29]
	v_pk_fma_f32 v[20:21], v[50:51], v[26:27], v[34:35] neg_lo:[0,0,1] neg_hi:[0,0,1]
	v_pk_fma_f32 v[22:23], v[50:51], v[26:27], v[34:35] op_sel_hi:[1,0,1]
	v_pk_add_f32 v[2:3], v[2:3], v[16:17]
	v_mov_b32_e32 v21, v23
	v_pk_add_f32 v[2:3], v[2:3], v[32:33]
	s_nop 0
	v_pk_add_f32 v[2:3], v[2:3], v[20:21]
	s_waitcnt vmcnt(0)
	v_pk_add_f32 v[2:3], v[52:53], v[2:3] neg_lo:[0,1] neg_hi:[0,1]
	scratch_store_dwordx2 off, v[2:3], off offset:248
	s_and_saveexec_b64 s[0:1], vcc
	s_cbranch_execz .LBB43_217
; %bb.216:
	scratch_load_dwordx2 v[2:3], off, off offset:240
	v_mov_b32_e32 v4, 0
	v_mov_b32_e32 v5, v4
	scratch_store_dwordx2 off, v[4:5], off offset:240
	s_waitcnt vmcnt(1)
	ds_write_b64 v1, v[2:3]
.LBB43_217:
	s_or_b64 exec, exec, s[0:1]
	s_waitcnt lgkmcnt(0)
	; wave barrier
	scratch_load_dwordx4 v[4:7], off, off offset:248
	scratch_load_dwordx4 v[8:11], off, off offset:264
	;; [unrolled: 1-line block ×6, first 2 shown]
	scratch_load_dwordx2 v[52:53], off, off offset:344
	scratch_load_dwordx2 v[54:55], off, off offset:240
	v_mov_b32_e32 v2, 0
	ds_read2_b64 v[28:31], v2 offset0:75 offset1:76
	ds_read2_b64 v[32:35], v2 offset0:77 offset1:78
	;; [unrolled: 1-line block ×6, first 2 shown]
	ds_read_b64 v[56:57], v2 offset:696
	v_cmp_lt_u32_e32 vcc, 29, v0
	s_waitcnt vmcnt(7) lgkmcnt(6)
	v_mul_f32_e32 v63, v30, v7
	v_mul_f32_e32 v3, v28, v5
	s_waitcnt vmcnt(5) lgkmcnt(4)
	v_mul_f32_e32 v61, v36, v13
	v_mul_f32_e32 v5, v29, v5
	v_mov_b32_e32 v62, v15
	s_waitcnt vmcnt(2) lgkmcnt(1)
	v_pk_mul_f32 v[72:73], v[48:49], v[24:25] op_sel:[1,1] op_sel_hi:[0,1]
	v_fmac_f32_e32 v63, v31, v6
	v_mul_f32_e32 v7, v31, v7
	v_mul_f32_e32 v13, v37, v13
	v_fmac_f32_e32 v3, v29, v4
	v_fmac_f32_e32 v61, v37, v12
	v_fma_f32 v37, v28, v4, -v5
	v_pk_mul_f32 v[4:5], v[38:39], v[62:63] op_sel:[1,0] op_sel_hi:[0,0]
	v_pk_fma_f32 v[28:29], v[48:49], v[24:25], v[72:73] neg_lo:[0,0,1] neg_hi:[0,0,1]
	v_pk_fma_f32 v[24:25], v[48:49], v[24:25], v[72:73] op_sel_hi:[1,0,1]
	v_mul_f32_e32 v67, v32, v9
	v_mul_f32_e32 v9, v33, v9
	v_fma_f32 v71, v30, v6, -v7
	v_fma_f32 v60, v36, v12, -v13
	v_add_f32_e32 v3, 0, v3
	v_add_f32_e32 v24, 0, v37
	v_pk_fma_f32 v[36:37], v[38:39], v[14:15], v[4:5] neg_lo:[0,0,1] neg_hi:[0,0,1]
	v_pk_fma_f32 v[4:5], v[38:39], v[14:15], v[4:5] op_sel_hi:[1,0,1]
	v_mul_f32_e32 v59, v34, v11
	v_mul_f32_e32 v11, v35, v11
	v_fmac_f32_e32 v67, v33, v8
	v_fma_f32 v75, v32, v8, -v9
	v_add_f32_e32 v3, v3, v63
	v_add_f32_e32 v4, v24, v71
	v_fmac_f32_e32 v59, v35, v10
	v_fma_f32 v58, v34, v10, -v11
	v_mov_b32_e32 v37, v5
	v_add_f32_e32 v5, v3, v67
	v_add_f32_e32 v4, v4, v75
	v_pk_mul_f32 v[64:65], v[40:41], v[16:17] op_sel:[1,1] op_sel_hi:[0,1]
	v_mov_b32_e32 v66, v19
	v_pk_add_f32 v[4:5], v[4:5], v[58:59]
	v_pk_fma_f32 v[6:7], v[40:41], v[16:17], v[64:65] neg_lo:[0,0,1] neg_hi:[0,0,1]
	v_pk_fma_f32 v[8:9], v[40:41], v[16:17], v[64:65] op_sel_hi:[1,0,1]
	v_pk_mul_f32 v[10:11], v[42:43], v[66:67] op_sel:[1,0] op_sel_hi:[0,0]
	v_pk_add_f32 v[4:5], v[4:5], v[60:61]
	v_pk_mul_f32 v[68:69], v[44:45], v[20:21] op_sel:[1,1] op_sel_hi:[0,1]
	v_mov_b32_e32 v70, v23
	v_mov_b32_e32 v7, v9
	v_pk_fma_f32 v[8:9], v[42:43], v[18:19], v[10:11] neg_lo:[0,0,1] neg_hi:[0,0,1]
	v_pk_fma_f32 v[10:11], v[42:43], v[18:19], v[10:11] op_sel_hi:[1,0,1]
	v_pk_add_f32 v[4:5], v[4:5], v[36:37]
	v_pk_fma_f32 v[12:13], v[44:45], v[20:21], v[68:69] neg_lo:[0,0,1] neg_hi:[0,0,1]
	v_pk_fma_f32 v[16:17], v[44:45], v[20:21], v[68:69] op_sel_hi:[1,0,1]
	v_pk_mul_f32 v[20:21], v[46:47], v[70:71] op_sel:[1,0] op_sel_hi:[0,0]
	v_mov_b32_e32 v9, v11
	v_pk_add_f32 v[4:5], v[4:5], v[6:7]
	v_mov_b32_e32 v74, v27
	v_mov_b32_e32 v13, v17
	v_pk_fma_f32 v[14:15], v[46:47], v[22:23], v[20:21] neg_lo:[0,0,1] neg_hi:[0,0,1]
	v_pk_fma_f32 v[16:17], v[46:47], v[22:23], v[20:21] op_sel_hi:[1,0,1]
	v_pk_add_f32 v[4:5], v[4:5], v[8:9]
	v_pk_mul_f32 v[30:31], v[50:51], v[74:75] op_sel:[1,0] op_sel_hi:[0,0]
	v_mov_b32_e32 v15, v17
	v_pk_add_f32 v[4:5], v[4:5], v[12:13]
	s_waitcnt vmcnt(1) lgkmcnt(0)
	v_pk_mul_f32 v[76:77], v[56:57], v[52:53] op_sel:[1,1] op_sel_hi:[0,1]
	v_mov_b32_e32 v29, v25
	v_pk_fma_f32 v[18:19], v[50:51], v[26:27], v[30:31] neg_lo:[0,0,1] neg_hi:[0,0,1]
	v_pk_fma_f32 v[20:21], v[50:51], v[26:27], v[30:31] op_sel_hi:[1,0,1]
	v_pk_add_f32 v[4:5], v[4:5], v[14:15]
	v_pk_fma_f32 v[32:33], v[56:57], v[52:53], v[76:77] neg_lo:[0,0,1] neg_hi:[0,0,1]
	v_pk_fma_f32 v[34:35], v[56:57], v[52:53], v[76:77] op_sel_hi:[1,0,1]
	v_mov_b32_e32 v19, v21
	v_pk_add_f32 v[4:5], v[4:5], v[28:29]
	v_mov_b32_e32 v33, v35
	v_pk_add_f32 v[4:5], v[4:5], v[18:19]
	s_nop 0
	v_pk_add_f32 v[4:5], v[4:5], v[32:33]
	s_waitcnt vmcnt(0)
	v_pk_add_f32 v[4:5], v[54:55], v[4:5] neg_lo:[0,1] neg_hi:[0,1]
	scratch_store_dwordx2 off, v[4:5], off offset:240
	s_and_saveexec_b64 s[0:1], vcc
	s_cbranch_execz .LBB43_219
; %bb.218:
	scratch_load_dwordx2 v[4:5], off, off offset:232
	v_mov_b32_e32 v3, v2
	scratch_store_dwordx2 off, v[2:3], off offset:232
	s_waitcnt vmcnt(1)
	ds_write_b64 v1, v[4:5]
.LBB43_219:
	s_or_b64 exec, exec, s[0:1]
	s_waitcnt lgkmcnt(0)
	; wave barrier
	scratch_load_dwordx4 v[4:7], off, off offset:240
	scratch_load_dwordx4 v[8:11], off, off offset:256
	;; [unrolled: 1-line block ×7, first 2 shown]
	ds_read_b128 v[32:35], v2 offset:592
	ds_read_b128 v[36:39], v2 offset:608
	;; [unrolled: 1-line block ×6, first 2 shown]
	scratch_load_dwordx2 v[60:61], off, off offset:232
	ds_read_b128 v[56:59], v2 offset:688
	v_cmp_lt_u32_e32 vcc, 28, v0
	s_waitcnt vmcnt(7) lgkmcnt(6)
	v_mul_f32_e32 v67, v32, v5
	v_mul_f32_e32 v71, v34, v7
	s_waitcnt vmcnt(6) lgkmcnt(5)
	v_mul_f32_e32 v75, v36, v9
	v_mul_f32_e32 v79, v38, v11
	;; [unrolled: 3-line block ×3, first 2 shown]
	v_mul_f32_e32 v2, v33, v5
	v_mul_f32_e32 v5, v35, v7
	;; [unrolled: 1-line block ×6, first 2 shown]
	s_waitcnt vmcnt(4) lgkmcnt(3)
	v_pk_mul_f32 v[64:65], v[44:45], v[16:17] op_sel:[1,1] op_sel_hi:[0,1]
	v_mov_b32_e32 v66, v19
	s_waitcnt vmcnt(3) lgkmcnt(2)
	v_pk_mul_f32 v[68:69], v[48:49], v[20:21] op_sel:[1,1] op_sel_hi:[0,1]
	v_mov_b32_e32 v70, v23
	s_waitcnt vmcnt(1) lgkmcnt(0)
	v_pk_mul_f32 v[76:77], v[56:57], v[28:29] op_sel:[1,1] op_sel_hi:[0,1]
	v_fmac_f32_e32 v67, v33, v4
	v_fmac_f32_e32 v71, v35, v6
	;; [unrolled: 1-line block ×6, first 2 shown]
	v_fma_f32 v37, v32, v4, -v2
	v_fma_f32 v39, v34, v6, -v5
	v_fma_f32 v36, v36, v8, -v7
	v_fma_f32 v38, v38, v10, -v9
	v_fma_f32 v2, v40, v12, -v11
	v_fma_f32 v62, v42, v14, -v13
	v_pk_fma_f32 v[4:5], v[44:45], v[16:17], v[64:65] neg_lo:[0,0,1] neg_hi:[0,0,1]
	v_pk_fma_f32 v[6:7], v[44:45], v[16:17], v[64:65] op_sel_hi:[1,0,1]
	v_pk_mul_f32 v[8:9], v[46:47], v[66:67] op_sel:[1,0] op_sel_hi:[0,0]
	v_pk_fma_f32 v[10:11], v[48:49], v[20:21], v[68:69] neg_lo:[0,0,1] neg_hi:[0,0,1]
	v_pk_fma_f32 v[12:13], v[48:49], v[20:21], v[68:69] op_sel_hi:[1,0,1]
	v_pk_mul_f32 v[14:15], v[50:51], v[70:71] op_sel:[1,0] op_sel_hi:[0,0]
	v_pk_fma_f32 v[32:33], v[56:57], v[28:29], v[76:77] neg_lo:[0,0,1] neg_hi:[0,0,1]
	v_pk_fma_f32 v[28:29], v[56:57], v[28:29], v[76:77] op_sel_hi:[1,0,1]
	v_add_f32_e32 v37, 0, v37
	v_add_f32_e32 v28, 0, v67
	v_mov_b32_e32 v5, v7
	v_pk_fma_f32 v[6:7], v[46:47], v[18:19], v[8:9] neg_lo:[0,0,1] neg_hi:[0,0,1]
	v_pk_fma_f32 v[8:9], v[46:47], v[18:19], v[8:9] op_sel_hi:[1,0,1]
	v_mov_b32_e32 v11, v13
	v_pk_fma_f32 v[12:13], v[50:51], v[22:23], v[14:15] neg_lo:[0,0,1] neg_hi:[0,0,1]
	v_pk_fma_f32 v[14:15], v[50:51], v[22:23], v[14:15] op_sel_hi:[1,0,1]
	v_add_f32_e32 v8, v28, v71
	v_add_f32_e32 v14, v37, v39
	;; [unrolled: 1-line block ×4, first 2 shown]
	v_mov_b32_e32 v7, v9
	v_add_f32_e32 v9, v8, v79
	v_add_f32_e32 v8, v14, v38
	v_pk_add_f32 v[2:3], v[8:9], v[2:3]
	v_pk_mul_f32 v[72:73], v[52:53], v[24:25] op_sel:[1,1] op_sel_hi:[0,1]
	v_pk_add_f32 v[2:3], v[2:3], v[62:63]
	v_mov_b32_e32 v74, v27
	v_pk_add_f32 v[2:3], v[2:3], v[4:5]
	v_pk_fma_f32 v[16:17], v[52:53], v[24:25], v[72:73] neg_lo:[0,0,1] neg_hi:[0,0,1]
	v_pk_add_f32 v[2:3], v[2:3], v[6:7]
	v_pk_fma_f32 v[20:21], v[52:53], v[24:25], v[72:73] op_sel_hi:[1,0,1]
	v_pk_mul_f32 v[24:25], v[54:55], v[74:75] op_sel:[1,0] op_sel_hi:[0,0]
	v_mov_b32_e32 v13, v15
	v_pk_add_f32 v[2:3], v[2:3], v[10:11]
	v_mov_b32_e32 v78, v31
	v_mov_b32_e32 v17, v21
	v_pk_fma_f32 v[18:19], v[54:55], v[26:27], v[24:25] neg_lo:[0,0,1] neg_hi:[0,0,1]
	v_pk_fma_f32 v[20:21], v[54:55], v[26:27], v[24:25] op_sel_hi:[1,0,1]
	v_pk_add_f32 v[2:3], v[2:3], v[12:13]
	v_pk_mul_f32 v[34:35], v[58:59], v[78:79] op_sel:[1,0] op_sel_hi:[0,0]
	v_mov_b32_e32 v19, v21
	v_pk_add_f32 v[2:3], v[2:3], v[16:17]
	v_mov_b32_e32 v33, v29
	v_pk_fma_f32 v[22:23], v[58:59], v[30:31], v[34:35] neg_lo:[0,0,1] neg_hi:[0,0,1]
	v_pk_fma_f32 v[24:25], v[58:59], v[30:31], v[34:35] op_sel_hi:[1,0,1]
	v_pk_add_f32 v[2:3], v[2:3], v[18:19]
	v_mov_b32_e32 v23, v25
	v_pk_add_f32 v[2:3], v[2:3], v[32:33]
	s_nop 0
	v_pk_add_f32 v[2:3], v[2:3], v[22:23]
	s_waitcnt vmcnt(0)
	v_pk_add_f32 v[2:3], v[60:61], v[2:3] neg_lo:[0,1] neg_hi:[0,1]
	scratch_store_dwordx2 off, v[2:3], off offset:232
	s_and_saveexec_b64 s[0:1], vcc
	s_cbranch_execz .LBB43_221
; %bb.220:
	scratch_load_dwordx2 v[2:3], off, off offset:224
	v_mov_b32_e32 v4, 0
	v_mov_b32_e32 v5, v4
	scratch_store_dwordx2 off, v[4:5], off offset:224
	s_waitcnt vmcnt(1)
	ds_write_b64 v1, v[2:3]
.LBB43_221:
	s_or_b64 exec, exec, s[0:1]
	s_waitcnt lgkmcnt(0)
	; wave barrier
	scratch_load_dwordx4 v[8:11], off, off offset:232
	scratch_load_dwordx4 v[16:19], off, off offset:248
	;; [unrolled: 1-line block ×4, first 2 shown]
	v_mov_b32_e32 v2, 0
	ds_read2_b64 v[4:7], v2 offset0:73 offset1:74
	v_cmp_lt_u32_e32 vcc, 27, v0
	s_waitcnt vmcnt(3) lgkmcnt(0)
	v_mul_f32_e32 v3, v4, v9
	v_fmac_f32_e32 v3, v5, v8
	v_mul_f32_e32 v12, v6, v11
	v_add_f32_e32 v3, 0, v3
	v_fmac_f32_e32 v12, v7, v10
	v_add_f32_e32 v3, v3, v12
	ds_read2_b64 v[12:15], v2 offset0:75 offset1:76
	s_waitcnt vmcnt(2) lgkmcnt(0)
	v_mul_f32_e32 v20, v12, v17
	v_fmac_f32_e32 v20, v13, v16
	v_add_f32_e32 v3, v3, v20
	v_mul_f32_e32 v20, v14, v19
	v_fmac_f32_e32 v20, v15, v18
	v_add_f32_e32 v3, v3, v20
	ds_read2_b64 v[20:23], v2 offset0:77 offset1:78
	s_waitcnt vmcnt(1) lgkmcnt(0)
	v_mul_f32_e32 v28, v20, v25
	v_fmac_f32_e32 v28, v21, v24
	v_add_f32_e32 v49, v3, v28
	ds_read2_b64 v[28:31], v2 offset0:79 offset1:80
	scratch_load_dwordx4 v[36:39], off, off offset:296
	scratch_load_dwordx4 v[40:43], off, off offset:312
	;; [unrolled: 1-line block ×3, first 2 shown]
	scratch_load_dwordx2 v[54:55], off, off offset:344
	v_mul_f32_e32 v3, v5, v9
	v_fma_f32 v3, v4, v8, -v3
	v_mul_f32_e32 v4, v7, v11
	v_add_f32_e32 v3, 0, v3
	v_fma_f32 v4, v6, v10, -v4
	v_add_f32_e32 v3, v3, v4
	v_mul_f32_e32 v4, v13, v17
	v_fma_f32 v4, v12, v16, -v4
	v_add_f32_e32 v3, v3, v4
	v_mul_f32_e32 v4, v15, v19
	;; [unrolled: 3-line block ×3, first 2 shown]
	v_fma_f32 v4, v20, v24, -v4
	v_mul_f32_e32 v51, v22, v27
	v_add_f32_e32 v48, v3, v4
	v_mul_f32_e32 v3, v23, v27
	s_waitcnt vmcnt(4)
	v_mov_b32_e32 v20, v35
	v_fmac_f32_e32 v51, v23, v26
	s_waitcnt lgkmcnt(0)
	v_mul_f32_e32 v53, v28, v33
	v_fma_f32 v50, v22, v26, -v3
	v_mul_f32_e32 v3, v29, v33
	ds_read2_b64 v[4:7], v2 offset0:81 offset1:82
	ds_read2_b64 v[8:11], v2 offset0:83 offset1:84
	ds_read2_b64 v[12:15], v2 offset0:85 offset1:86
	ds_read_b64 v[16:17], v2 offset:696
	v_pk_mul_f32 v[20:21], v[30:31], v[20:21] op_sel:[1,0] op_sel_hi:[0,0]
	v_fmac_f32_e32 v53, v29, v32
	v_fma_f32 v52, v28, v32, -v3
	v_pk_add_f32 v[18:19], v[48:49], v[50:51]
	v_pk_fma_f32 v[22:23], v[30:31], v[34:35], v[20:21] neg_lo:[0,0,1] neg_hi:[0,0,1]
	v_pk_fma_f32 v[20:21], v[30:31], v[34:35], v[20:21] op_sel_hi:[1,0,1]
	v_pk_add_f32 v[18:19], v[18:19], v[52:53]
	v_mov_b32_e32 v23, v21
	v_pk_add_f32 v[18:19], v[18:19], v[22:23]
	s_waitcnt vmcnt(3) lgkmcnt(3)
	v_pk_mul_f32 v[20:21], v[4:5], v[36:37] op_sel:[1,1] op_sel_hi:[0,1]
	v_pk_fma_f32 v[22:23], v[4:5], v[36:37], v[20:21] neg_lo:[0,0,1] neg_hi:[0,0,1]
	v_pk_fma_f32 v[4:5], v[4:5], v[36:37], v[20:21] op_sel_hi:[1,0,1]
	s_nop 0
	v_mov_b32_e32 v23, v5
	v_pk_add_f32 v[4:5], v[18:19], v[22:23]
	v_mov_b32_e32 v18, v39
	v_pk_mul_f32 v[18:19], v[6:7], v[18:19] op_sel:[1,0] op_sel_hi:[0,0]
	v_pk_fma_f32 v[20:21], v[6:7], v[38:39], v[18:19] neg_lo:[0,0,1] neg_hi:[0,0,1]
	v_pk_fma_f32 v[6:7], v[6:7], v[38:39], v[18:19] op_sel_hi:[1,0,1]
	s_nop 0
	v_mov_b32_e32 v21, v7
	s_waitcnt vmcnt(2) lgkmcnt(2)
	v_pk_mul_f32 v[6:7], v[8:9], v[40:41] op_sel:[1,1] op_sel_hi:[0,1]
	v_pk_fma_f32 v[18:19], v[8:9], v[40:41], v[6:7] neg_lo:[0,0,1] neg_hi:[0,0,1]
	v_pk_fma_f32 v[6:7], v[8:9], v[40:41], v[6:7] op_sel_hi:[1,0,1]
	v_pk_add_f32 v[4:5], v[4:5], v[20:21]
	v_mov_b32_e32 v6, v43
	v_mov_b32_e32 v19, v7
	v_pk_mul_f32 v[6:7], v[10:11], v[6:7] op_sel:[1,0] op_sel_hi:[0,0]
	v_pk_fma_f32 v[8:9], v[10:11], v[42:43], v[6:7] neg_lo:[0,0,1] neg_hi:[0,0,1]
	v_pk_fma_f32 v[6:7], v[10:11], v[42:43], v[6:7] op_sel_hi:[1,0,1]
	v_pk_add_f32 v[4:5], v[4:5], v[18:19]
	v_mov_b32_e32 v9, v7
	s_waitcnt vmcnt(1) lgkmcnt(1)
	v_pk_mul_f32 v[6:7], v[12:13], v[44:45] op_sel:[1,1] op_sel_hi:[0,1]
	v_pk_add_f32 v[4:5], v[4:5], v[8:9]
	v_pk_fma_f32 v[8:9], v[12:13], v[44:45], v[6:7] neg_lo:[0,0,1] neg_hi:[0,0,1]
	v_pk_fma_f32 v[6:7], v[12:13], v[44:45], v[6:7] op_sel_hi:[1,0,1]
	s_nop 0
	v_mov_b32_e32 v6, v47
	v_mov_b32_e32 v9, v7
	v_pk_mul_f32 v[6:7], v[14:15], v[6:7] op_sel:[1,0] op_sel_hi:[0,0]
	v_pk_add_f32 v[4:5], v[4:5], v[8:9]
	v_pk_fma_f32 v[8:9], v[14:15], v[46:47], v[6:7] neg_lo:[0,0,1] neg_hi:[0,0,1]
	v_pk_fma_f32 v[6:7], v[14:15], v[46:47], v[6:7] op_sel_hi:[1,0,1]
	s_nop 0
	v_mov_b32_e32 v9, v7
	s_waitcnt vmcnt(0) lgkmcnt(0)
	v_pk_mul_f32 v[6:7], v[16:17], v[54:55] op_sel:[1,1] op_sel_hi:[0,1]
	v_pk_add_f32 v[4:5], v[4:5], v[8:9]
	v_pk_fma_f32 v[8:9], v[16:17], v[54:55], v[6:7] neg_lo:[0,0,1] neg_hi:[0,0,1]
	v_pk_fma_f32 v[6:7], v[16:17], v[54:55], v[6:7] op_sel_hi:[1,0,1]
	s_nop 0
	v_mov_b32_e32 v9, v7
	scratch_load_dwordx2 v[6:7], off, off offset:224
	v_pk_add_f32 v[4:5], v[4:5], v[8:9]
	s_waitcnt vmcnt(0)
	v_pk_add_f32 v[4:5], v[6:7], v[4:5] neg_lo:[0,1] neg_hi:[0,1]
	scratch_store_dwordx2 off, v[4:5], off offset:224
	s_and_saveexec_b64 s[0:1], vcc
	s_cbranch_execz .LBB43_223
; %bb.222:
	scratch_load_dwordx2 v[4:5], off, off offset:216
	v_mov_b32_e32 v3, v2
	scratch_store_dwordx2 off, v[2:3], off offset:216
	s_waitcnt vmcnt(1)
	ds_write_b64 v1, v[4:5]
.LBB43_223:
	s_or_b64 exec, exec, s[0:1]
	s_waitcnt lgkmcnt(0)
	; wave barrier
	ds_read_b128 v[4:7], v2 offset:576
	ds_read_b128 v[8:11], v2 offset:592
	;; [unrolled: 1-line block ×4, first 2 shown]
	scratch_load_dwordx4 v[20:23], off, off offset:224
	v_cmp_lt_u32_e32 vcc, 26, v0
	s_waitcnt vmcnt(0) lgkmcnt(3)
	v_mul_f32_e32 v3, v4, v21
	v_fmac_f32_e32 v3, v5, v20
	v_mul_f32_e32 v24, v6, v23
	v_add_f32_e32 v3, 0, v3
	v_fmac_f32_e32 v24, v7, v22
	v_add_f32_e32 v3, v3, v24
	scratch_load_dwordx4 v[24:27], off, off offset:240
	s_waitcnt vmcnt(0) lgkmcnt(2)
	v_mul_f32_e32 v28, v8, v25
	v_fmac_f32_e32 v28, v9, v24
	v_add_f32_e32 v3, v3, v28
	v_mul_f32_e32 v28, v10, v27
	v_fmac_f32_e32 v28, v11, v26
	v_add_f32_e32 v3, v3, v28
	scratch_load_dwordx4 v[28:31], off, off offset:256
	s_waitcnt vmcnt(0) lgkmcnt(1)
	v_mul_f32_e32 v32, v12, v29
	v_fmac_f32_e32 v32, v13, v28
	v_add_f32_e32 v3, v3, v32
	v_mul_f32_e32 v32, v14, v31
	v_fmac_f32_e32 v32, v15, v30
	v_add_f32_e32 v53, v3, v32
	scratch_load_dwordx4 v[32:35], off, off offset:272
	scratch_load_dwordx4 v[36:39], off, off offset:288
	;; [unrolled: 1-line block ×5, first 2 shown]
	v_mul_f32_e32 v3, v5, v21
	v_fma_f32 v3, v4, v20, -v3
	v_mul_f32_e32 v4, v7, v23
	v_add_f32_e32 v3, 0, v3
	v_fma_f32 v4, v6, v22, -v4
	v_add_f32_e32 v3, v3, v4
	v_mul_f32_e32 v4, v9, v25
	v_fma_f32 v4, v8, v24, -v4
	v_add_f32_e32 v3, v3, v4
	v_mul_f32_e32 v4, v11, v27
	;; [unrolled: 3-line block ×4, first 2 shown]
	v_fma_f32 v4, v14, v30, -v4
	v_add_f32_e32 v52, v3, v4
	s_waitcnt vmcnt(4) lgkmcnt(0)
	v_mul_f32_e32 v3, v17, v33
	v_mul_f32_e32 v55, v16, v33
	;; [unrolled: 1-line block ×3, first 2 shown]
	v_fma_f32 v54, v16, v32, -v3
	v_mul_f32_e32 v3, v19, v35
	v_fmac_f32_e32 v55, v17, v32
	v_fmac_f32_e32 v57, v19, v34
	v_fma_f32 v56, v18, v34, -v3
	ds_read_b128 v[4:7], v2 offset:640
	ds_read_b128 v[8:11], v2 offset:656
	;; [unrolled: 1-line block ×4, first 2 shown]
	v_pk_add_f32 v[2:3], v[52:53], v[54:55]
	s_waitcnt vmcnt(3) lgkmcnt(3)
	v_pk_mul_f32 v[20:21], v[4:5], v[36:37] op_sel:[1,1] op_sel_hi:[0,1]
	v_pk_fma_f32 v[22:23], v[4:5], v[36:37], v[20:21] neg_lo:[0,0,1] neg_hi:[0,0,1]
	v_pk_fma_f32 v[4:5], v[4:5], v[36:37], v[20:21] op_sel_hi:[1,0,1]
	v_pk_add_f32 v[2:3], v[2:3], v[56:57]
	v_mov_b32_e32 v4, v39
	v_mov_b32_e32 v23, v5
	v_pk_mul_f32 v[4:5], v[6:7], v[4:5] op_sel:[1,0] op_sel_hi:[0,0]
	v_pk_fma_f32 v[20:21], v[6:7], v[38:39], v[4:5] neg_lo:[0,0,1] neg_hi:[0,0,1]
	v_pk_fma_f32 v[4:5], v[6:7], v[38:39], v[4:5] op_sel_hi:[1,0,1]
	v_pk_add_f32 v[2:3], v[2:3], v[22:23]
	v_mov_b32_e32 v21, v5
	s_waitcnt vmcnt(2) lgkmcnt(2)
	v_pk_mul_f32 v[4:5], v[8:9], v[40:41] op_sel:[1,1] op_sel_hi:[0,1]
	v_pk_fma_f32 v[6:7], v[8:9], v[40:41], v[4:5] neg_lo:[0,0,1] neg_hi:[0,0,1]
	v_pk_fma_f32 v[4:5], v[8:9], v[40:41], v[4:5] op_sel_hi:[1,0,1]
	v_pk_add_f32 v[2:3], v[2:3], v[20:21]
	v_mov_b32_e32 v4, v43
	v_mov_b32_e32 v7, v5
	v_pk_mul_f32 v[4:5], v[10:11], v[4:5] op_sel:[1,0] op_sel_hi:[0,0]
	v_pk_add_f32 v[2:3], v[2:3], v[6:7]
	v_pk_fma_f32 v[6:7], v[10:11], v[42:43], v[4:5] neg_lo:[0,0,1] neg_hi:[0,0,1]
	v_pk_fma_f32 v[4:5], v[10:11], v[42:43], v[4:5] op_sel_hi:[1,0,1]
	s_nop 0
	v_mov_b32_e32 v7, v5
	s_waitcnt vmcnt(1) lgkmcnt(1)
	v_pk_mul_f32 v[4:5], v[12:13], v[44:45] op_sel:[1,1] op_sel_hi:[0,1]
	v_pk_add_f32 v[2:3], v[2:3], v[6:7]
	v_pk_fma_f32 v[6:7], v[12:13], v[44:45], v[4:5] neg_lo:[0,0,1] neg_hi:[0,0,1]
	v_pk_fma_f32 v[4:5], v[12:13], v[44:45], v[4:5] op_sel_hi:[1,0,1]
	s_nop 0
	v_mov_b32_e32 v4, v47
	v_mov_b32_e32 v7, v5
	v_pk_mul_f32 v[4:5], v[14:15], v[4:5] op_sel:[1,0] op_sel_hi:[0,0]
	v_pk_add_f32 v[2:3], v[2:3], v[6:7]
	v_pk_fma_f32 v[6:7], v[14:15], v[46:47], v[4:5] neg_lo:[0,0,1] neg_hi:[0,0,1]
	v_pk_fma_f32 v[4:5], v[14:15], v[46:47], v[4:5] op_sel_hi:[1,0,1]
	s_nop 0
	v_mov_b32_e32 v7, v5
	s_waitcnt vmcnt(0) lgkmcnt(0)
	v_pk_mul_f32 v[4:5], v[16:17], v[48:49] op_sel:[1,1] op_sel_hi:[0,1]
	v_pk_add_f32 v[2:3], v[2:3], v[6:7]
	v_pk_fma_f32 v[6:7], v[16:17], v[48:49], v[4:5] neg_lo:[0,0,1] neg_hi:[0,0,1]
	v_pk_fma_f32 v[4:5], v[16:17], v[48:49], v[4:5] op_sel_hi:[1,0,1]
	s_nop 0
	v_mov_b32_e32 v4, v51
	v_mov_b32_e32 v7, v5
	v_pk_mul_f32 v[4:5], v[18:19], v[4:5] op_sel:[1,0] op_sel_hi:[0,0]
	v_pk_add_f32 v[2:3], v[2:3], v[6:7]
	v_pk_fma_f32 v[6:7], v[18:19], v[50:51], v[4:5] neg_lo:[0,0,1] neg_hi:[0,0,1]
	v_pk_fma_f32 v[4:5], v[18:19], v[50:51], v[4:5] op_sel_hi:[1,0,1]
	s_nop 0
	v_mov_b32_e32 v7, v5
	scratch_load_dwordx2 v[4:5], off, off offset:216
	v_pk_add_f32 v[2:3], v[2:3], v[6:7]
	s_waitcnt vmcnt(0)
	v_pk_add_f32 v[2:3], v[4:5], v[2:3] neg_lo:[0,1] neg_hi:[0,1]
	scratch_store_dwordx2 off, v[2:3], off offset:216
	s_and_saveexec_b64 s[0:1], vcc
	s_cbranch_execz .LBB43_225
; %bb.224:
	scratch_load_dwordx2 v[2:3], off, off offset:208
	v_mov_b32_e32 v4, 0
	v_mov_b32_e32 v5, v4
	scratch_store_dwordx2 off, v[4:5], off offset:208
	s_waitcnt vmcnt(1)
	ds_write_b64 v1, v[2:3]
.LBB43_225:
	s_or_b64 exec, exec, s[0:1]
	s_waitcnt lgkmcnt(0)
	; wave barrier
	scratch_load_dwordx4 v[8:11], off, off offset:216
	scratch_load_dwordx4 v[16:19], off, off offset:232
	;; [unrolled: 1-line block ×4, first 2 shown]
	v_mov_b32_e32 v2, 0
	ds_read2_b64 v[4:7], v2 offset0:71 offset1:72
	scratch_load_dwordx4 v[40:43], off, off offset:280
	v_cmp_lt_u32_e32 vcc, 25, v0
	s_waitcnt vmcnt(4) lgkmcnt(0)
	v_mul_f32_e32 v3, v4, v9
	v_fmac_f32_e32 v3, v5, v8
	v_mul_f32_e32 v12, v6, v11
	v_add_f32_e32 v3, 0, v3
	v_fmac_f32_e32 v12, v7, v10
	v_add_f32_e32 v3, v3, v12
	ds_read2_b64 v[12:15], v2 offset0:73 offset1:74
	s_waitcnt vmcnt(3) lgkmcnt(0)
	v_mul_f32_e32 v20, v12, v17
	v_fmac_f32_e32 v20, v13, v16
	v_add_f32_e32 v3, v3, v20
	v_mul_f32_e32 v20, v14, v19
	v_fmac_f32_e32 v20, v15, v18
	v_add_f32_e32 v3, v3, v20
	ds_read2_b64 v[20:23], v2 offset0:75 offset1:76
	s_waitcnt vmcnt(2) lgkmcnt(0)
	v_mul_f32_e32 v28, v20, v25
	v_fmac_f32_e32 v28, v21, v24
	v_add_f32_e32 v3, v3, v28
	v_mul_f32_e32 v28, v22, v27
	v_fmac_f32_e32 v28, v23, v26
	v_add_f32_e32 v3, v3, v28
	ds_read2_b64 v[28:31], v2 offset0:77 offset1:78
	s_waitcnt vmcnt(1) lgkmcnt(0)
	v_mul_f32_e32 v36, v28, v33
	v_fmac_f32_e32 v36, v29, v32
	v_add_f32_e32 v57, v3, v36
	ds_read2_b64 v[36:39], v2 offset0:79 offset1:80
	scratch_load_dwordx4 v[44:47], off, off offset:296
	scratch_load_dwordx4 v[48:51], off, off offset:312
	;; [unrolled: 1-line block ×3, first 2 shown]
	scratch_load_dwordx2 v[62:63], off, off offset:344
	v_mul_f32_e32 v3, v5, v9
	v_fma_f32 v3, v4, v8, -v3
	v_mul_f32_e32 v4, v7, v11
	v_add_f32_e32 v3, 0, v3
	v_fma_f32 v4, v6, v10, -v4
	v_add_f32_e32 v3, v3, v4
	v_mul_f32_e32 v4, v13, v17
	v_fma_f32 v4, v12, v16, -v4
	v_add_f32_e32 v3, v3, v4
	v_mul_f32_e32 v4, v15, v19
	;; [unrolled: 3-line block ×5, first 2 shown]
	v_fma_f32 v4, v28, v32, -v4
	v_mul_f32_e32 v59, v30, v35
	v_add_f32_e32 v56, v3, v4
	v_mul_f32_e32 v3, v31, v35
	s_waitcnt vmcnt(4)
	v_mov_b32_e32 v20, v43
	v_fmac_f32_e32 v59, v31, v34
	s_waitcnt lgkmcnt(0)
	v_mul_f32_e32 v61, v36, v41
	v_fma_f32 v58, v30, v34, -v3
	v_mul_f32_e32 v3, v37, v41
	ds_read2_b64 v[4:7], v2 offset0:81 offset1:82
	ds_read2_b64 v[8:11], v2 offset0:83 offset1:84
	ds_read2_b64 v[12:15], v2 offset0:85 offset1:86
	ds_read_b64 v[16:17], v2 offset:696
	v_pk_mul_f32 v[20:21], v[38:39], v[20:21] op_sel:[1,0] op_sel_hi:[0,0]
	v_fmac_f32_e32 v61, v37, v40
	v_fma_f32 v60, v36, v40, -v3
	v_pk_add_f32 v[18:19], v[56:57], v[58:59]
	v_pk_fma_f32 v[22:23], v[38:39], v[42:43], v[20:21] neg_lo:[0,0,1] neg_hi:[0,0,1]
	v_pk_fma_f32 v[20:21], v[38:39], v[42:43], v[20:21] op_sel_hi:[1,0,1]
	v_pk_add_f32 v[18:19], v[18:19], v[60:61]
	v_mov_b32_e32 v23, v21
	v_pk_add_f32 v[18:19], v[18:19], v[22:23]
	s_waitcnt vmcnt(3) lgkmcnt(3)
	v_pk_mul_f32 v[20:21], v[4:5], v[44:45] op_sel:[1,1] op_sel_hi:[0,1]
	v_pk_fma_f32 v[22:23], v[4:5], v[44:45], v[20:21] neg_lo:[0,0,1] neg_hi:[0,0,1]
	v_pk_fma_f32 v[4:5], v[4:5], v[44:45], v[20:21] op_sel_hi:[1,0,1]
	s_nop 0
	v_mov_b32_e32 v23, v5
	v_pk_add_f32 v[4:5], v[18:19], v[22:23]
	v_mov_b32_e32 v18, v47
	v_pk_mul_f32 v[18:19], v[6:7], v[18:19] op_sel:[1,0] op_sel_hi:[0,0]
	v_pk_fma_f32 v[20:21], v[6:7], v[46:47], v[18:19] neg_lo:[0,0,1] neg_hi:[0,0,1]
	v_pk_fma_f32 v[6:7], v[6:7], v[46:47], v[18:19] op_sel_hi:[1,0,1]
	s_nop 0
	v_mov_b32_e32 v21, v7
	s_waitcnt vmcnt(2) lgkmcnt(2)
	v_pk_mul_f32 v[6:7], v[8:9], v[48:49] op_sel:[1,1] op_sel_hi:[0,1]
	v_pk_fma_f32 v[18:19], v[8:9], v[48:49], v[6:7] neg_lo:[0,0,1] neg_hi:[0,0,1]
	v_pk_fma_f32 v[6:7], v[8:9], v[48:49], v[6:7] op_sel_hi:[1,0,1]
	v_pk_add_f32 v[4:5], v[4:5], v[20:21]
	v_mov_b32_e32 v6, v51
	v_mov_b32_e32 v19, v7
	v_pk_mul_f32 v[6:7], v[10:11], v[6:7] op_sel:[1,0] op_sel_hi:[0,0]
	v_pk_fma_f32 v[8:9], v[10:11], v[50:51], v[6:7] neg_lo:[0,0,1] neg_hi:[0,0,1]
	v_pk_fma_f32 v[6:7], v[10:11], v[50:51], v[6:7] op_sel_hi:[1,0,1]
	v_pk_add_f32 v[4:5], v[4:5], v[18:19]
	v_mov_b32_e32 v9, v7
	s_waitcnt vmcnt(1) lgkmcnt(1)
	v_pk_mul_f32 v[6:7], v[12:13], v[52:53] op_sel:[1,1] op_sel_hi:[0,1]
	v_pk_add_f32 v[4:5], v[4:5], v[8:9]
	v_pk_fma_f32 v[8:9], v[12:13], v[52:53], v[6:7] neg_lo:[0,0,1] neg_hi:[0,0,1]
	v_pk_fma_f32 v[6:7], v[12:13], v[52:53], v[6:7] op_sel_hi:[1,0,1]
	s_nop 0
	v_mov_b32_e32 v6, v55
	v_mov_b32_e32 v9, v7
	v_pk_mul_f32 v[6:7], v[14:15], v[6:7] op_sel:[1,0] op_sel_hi:[0,0]
	v_pk_add_f32 v[4:5], v[4:5], v[8:9]
	v_pk_fma_f32 v[8:9], v[14:15], v[54:55], v[6:7] neg_lo:[0,0,1] neg_hi:[0,0,1]
	v_pk_fma_f32 v[6:7], v[14:15], v[54:55], v[6:7] op_sel_hi:[1,0,1]
	s_nop 0
	v_mov_b32_e32 v9, v7
	s_waitcnt vmcnt(0) lgkmcnt(0)
	v_pk_mul_f32 v[6:7], v[16:17], v[62:63] op_sel:[1,1] op_sel_hi:[0,1]
	v_pk_add_f32 v[4:5], v[4:5], v[8:9]
	v_pk_fma_f32 v[8:9], v[16:17], v[62:63], v[6:7] neg_lo:[0,0,1] neg_hi:[0,0,1]
	v_pk_fma_f32 v[6:7], v[16:17], v[62:63], v[6:7] op_sel_hi:[1,0,1]
	s_nop 0
	v_mov_b32_e32 v9, v7
	scratch_load_dwordx2 v[6:7], off, off offset:208
	v_pk_add_f32 v[4:5], v[4:5], v[8:9]
	s_waitcnt vmcnt(0)
	v_pk_add_f32 v[4:5], v[6:7], v[4:5] neg_lo:[0,1] neg_hi:[0,1]
	scratch_store_dwordx2 off, v[4:5], off offset:208
	s_and_saveexec_b64 s[0:1], vcc
	s_cbranch_execz .LBB43_227
; %bb.226:
	scratch_load_dwordx2 v[4:5], off, off offset:200
	v_mov_b32_e32 v3, v2
	scratch_store_dwordx2 off, v[2:3], off offset:200
	s_waitcnt vmcnt(1)
	ds_write_b64 v1, v[4:5]
.LBB43_227:
	s_or_b64 exec, exec, s[0:1]
	s_waitcnt lgkmcnt(0)
	; wave barrier
	ds_read_b128 v[4:7], v2 offset:560
	ds_read_b128 v[8:11], v2 offset:576
	;; [unrolled: 1-line block ×4, first 2 shown]
	scratch_load_dwordx4 v[20:23], off, off offset:208
	scratch_load_dwordx4 v[40:43], off, off offset:272
	v_cmp_lt_u32_e32 vcc, 24, v0
	s_waitcnt vmcnt(1) lgkmcnt(3)
	v_mul_f32_e32 v3, v4, v21
	v_fmac_f32_e32 v3, v5, v20
	v_mul_f32_e32 v24, v6, v23
	v_add_f32_e32 v3, 0, v3
	v_fmac_f32_e32 v24, v7, v22
	v_add_f32_e32 v3, v3, v24
	scratch_load_dwordx4 v[24:27], off, off offset:224
	s_waitcnt vmcnt(0) lgkmcnt(2)
	v_mul_f32_e32 v28, v8, v25
	v_fmac_f32_e32 v28, v9, v24
	v_add_f32_e32 v3, v3, v28
	v_mul_f32_e32 v28, v10, v27
	v_fmac_f32_e32 v28, v11, v26
	v_add_f32_e32 v3, v3, v28
	scratch_load_dwordx4 v[28:31], off, off offset:240
	s_waitcnt vmcnt(0) lgkmcnt(1)
	v_mul_f32_e32 v32, v12, v29
	v_fmac_f32_e32 v32, v13, v28
	v_add_f32_e32 v3, v3, v32
	v_mul_f32_e32 v32, v14, v31
	;; [unrolled: 8-line block ×3, first 2 shown]
	v_fmac_f32_e32 v36, v19, v34
	v_add_f32_e32 v61, v3, v36
	ds_read_b128 v[36:39], v2 offset:624
	scratch_load_dwordx4 v[44:47], off, off offset:288
	scratch_load_dwordx4 v[48:51], off, off offset:304
	;; [unrolled: 1-line block ×4, first 2 shown]
	v_mul_f32_e32 v3, v5, v21
	v_fma_f32 v3, v4, v20, -v3
	v_mul_f32_e32 v4, v7, v23
	v_add_f32_e32 v3, 0, v3
	v_fma_f32 v4, v6, v22, -v4
	v_add_f32_e32 v3, v3, v4
	v_mul_f32_e32 v4, v9, v25
	v_fma_f32 v4, v8, v24, -v4
	v_add_f32_e32 v3, v3, v4
	v_mul_f32_e32 v4, v11, v27
	;; [unrolled: 3-line block ×6, first 2 shown]
	v_fma_f32 v4, v18, v34, -v4
	v_add_f32_e32 v60, v3, v4
	ds_read_b128 v[4:7], v2 offset:640
	ds_read_b128 v[8:11], v2 offset:656
	;; [unrolled: 1-line block ×4, first 2 shown]
	s_waitcnt lgkmcnt(4)
	v_mul_f32_e32 v63, v36, v41
	v_mul_f32_e32 v3, v37, v41
	v_fmac_f32_e32 v63, v37, v40
	v_mul_f32_e32 v65, v38, v43
	v_fma_f32 v62, v36, v40, -v3
	v_mul_f32_e32 v3, v39, v43
	v_fmac_f32_e32 v65, v39, v42
	v_fma_f32 v64, v38, v42, -v3
	v_pk_add_f32 v[2:3], v[60:61], v[62:63]
	s_waitcnt vmcnt(3) lgkmcnt(3)
	v_pk_mul_f32 v[20:21], v[4:5], v[44:45] op_sel:[1,1] op_sel_hi:[0,1]
	v_pk_fma_f32 v[22:23], v[4:5], v[44:45], v[20:21] neg_lo:[0,0,1] neg_hi:[0,0,1]
	v_pk_fma_f32 v[4:5], v[4:5], v[44:45], v[20:21] op_sel_hi:[1,0,1]
	v_pk_add_f32 v[2:3], v[2:3], v[64:65]
	v_mov_b32_e32 v4, v47
	v_mov_b32_e32 v23, v5
	v_pk_mul_f32 v[4:5], v[6:7], v[4:5] op_sel:[1,0] op_sel_hi:[0,0]
	v_pk_fma_f32 v[20:21], v[6:7], v[46:47], v[4:5] neg_lo:[0,0,1] neg_hi:[0,0,1]
	v_pk_fma_f32 v[4:5], v[6:7], v[46:47], v[4:5] op_sel_hi:[1,0,1]
	v_pk_add_f32 v[2:3], v[2:3], v[22:23]
	v_mov_b32_e32 v21, v5
	s_waitcnt vmcnt(2) lgkmcnt(2)
	v_pk_mul_f32 v[4:5], v[8:9], v[48:49] op_sel:[1,1] op_sel_hi:[0,1]
	v_pk_fma_f32 v[6:7], v[8:9], v[48:49], v[4:5] neg_lo:[0,0,1] neg_hi:[0,0,1]
	v_pk_fma_f32 v[4:5], v[8:9], v[48:49], v[4:5] op_sel_hi:[1,0,1]
	v_pk_add_f32 v[2:3], v[2:3], v[20:21]
	v_mov_b32_e32 v4, v51
	v_mov_b32_e32 v7, v5
	v_pk_mul_f32 v[4:5], v[10:11], v[4:5] op_sel:[1,0] op_sel_hi:[0,0]
	v_pk_add_f32 v[2:3], v[2:3], v[6:7]
	v_pk_fma_f32 v[6:7], v[10:11], v[50:51], v[4:5] neg_lo:[0,0,1] neg_hi:[0,0,1]
	v_pk_fma_f32 v[4:5], v[10:11], v[50:51], v[4:5] op_sel_hi:[1,0,1]
	s_nop 0
	v_mov_b32_e32 v7, v5
	s_waitcnt vmcnt(1) lgkmcnt(1)
	v_pk_mul_f32 v[4:5], v[12:13], v[52:53] op_sel:[1,1] op_sel_hi:[0,1]
	v_pk_add_f32 v[2:3], v[2:3], v[6:7]
	v_pk_fma_f32 v[6:7], v[12:13], v[52:53], v[4:5] neg_lo:[0,0,1] neg_hi:[0,0,1]
	v_pk_fma_f32 v[4:5], v[12:13], v[52:53], v[4:5] op_sel_hi:[1,0,1]
	s_nop 0
	v_mov_b32_e32 v4, v55
	v_mov_b32_e32 v7, v5
	v_pk_mul_f32 v[4:5], v[14:15], v[4:5] op_sel:[1,0] op_sel_hi:[0,0]
	v_pk_add_f32 v[2:3], v[2:3], v[6:7]
	v_pk_fma_f32 v[6:7], v[14:15], v[54:55], v[4:5] neg_lo:[0,0,1] neg_hi:[0,0,1]
	v_pk_fma_f32 v[4:5], v[14:15], v[54:55], v[4:5] op_sel_hi:[1,0,1]
	s_nop 0
	v_mov_b32_e32 v7, v5
	s_waitcnt vmcnt(0) lgkmcnt(0)
	v_pk_mul_f32 v[4:5], v[16:17], v[56:57] op_sel:[1,1] op_sel_hi:[0,1]
	v_pk_add_f32 v[2:3], v[2:3], v[6:7]
	v_pk_fma_f32 v[6:7], v[16:17], v[56:57], v[4:5] neg_lo:[0,0,1] neg_hi:[0,0,1]
	v_pk_fma_f32 v[4:5], v[16:17], v[56:57], v[4:5] op_sel_hi:[1,0,1]
	s_nop 0
	v_mov_b32_e32 v4, v59
	v_mov_b32_e32 v7, v5
	v_pk_mul_f32 v[4:5], v[18:19], v[4:5] op_sel:[1,0] op_sel_hi:[0,0]
	v_pk_add_f32 v[2:3], v[2:3], v[6:7]
	v_pk_fma_f32 v[6:7], v[18:19], v[58:59], v[4:5] neg_lo:[0,0,1] neg_hi:[0,0,1]
	v_pk_fma_f32 v[4:5], v[18:19], v[58:59], v[4:5] op_sel_hi:[1,0,1]
	s_nop 0
	v_mov_b32_e32 v7, v5
	scratch_load_dwordx2 v[4:5], off, off offset:200
	v_pk_add_f32 v[2:3], v[2:3], v[6:7]
	s_waitcnt vmcnt(0)
	v_pk_add_f32 v[2:3], v[4:5], v[2:3] neg_lo:[0,1] neg_hi:[0,1]
	scratch_store_dwordx2 off, v[2:3], off offset:200
	s_and_saveexec_b64 s[0:1], vcc
	s_cbranch_execz .LBB43_229
; %bb.228:
	scratch_load_dwordx2 v[2:3], off, off offset:192
	v_mov_b32_e32 v4, 0
	v_mov_b32_e32 v5, v4
	scratch_store_dwordx2 off, v[4:5], off offset:192
	s_waitcnt vmcnt(1)
	ds_write_b64 v1, v[2:3]
.LBB43_229:
	s_or_b64 exec, exec, s[0:1]
	s_waitcnt lgkmcnt(0)
	; wave barrier
	scratch_load_dwordx4 v[8:11], off, off offset:200
	scratch_load_dwordx4 v[16:19], off, off offset:216
	;; [unrolled: 1-line block ×6, first 2 shown]
	v_mov_b32_e32 v2, 0
	ds_read2_b64 v[4:7], v2 offset0:69 offset1:70
	v_cmp_lt_u32_e32 vcc, 23, v0
	s_waitcnt vmcnt(5) lgkmcnt(0)
	v_mul_f32_e32 v3, v4, v9
	v_fmac_f32_e32 v3, v5, v8
	v_mul_f32_e32 v12, v6, v11
	v_add_f32_e32 v3, 0, v3
	v_fmac_f32_e32 v12, v7, v10
	v_add_f32_e32 v3, v3, v12
	ds_read2_b64 v[12:15], v2 offset0:71 offset1:72
	s_waitcnt vmcnt(4) lgkmcnt(0)
	v_mul_f32_e32 v20, v12, v17
	v_fmac_f32_e32 v20, v13, v16
	v_add_f32_e32 v3, v3, v20
	v_mul_f32_e32 v20, v14, v19
	v_fmac_f32_e32 v20, v15, v18
	v_add_f32_e32 v3, v3, v20
	ds_read2_b64 v[20:23], v2 offset0:73 offset1:74
	s_waitcnt vmcnt(3) lgkmcnt(0)
	v_mul_f32_e32 v28, v20, v25
	v_fmac_f32_e32 v28, v21, v24
	v_add_f32_e32 v3, v3, v28
	v_mul_f32_e32 v28, v22, v27
	;; [unrolled: 8-line block ×3, first 2 shown]
	v_fmac_f32_e32 v36, v31, v34
	v_add_f32_e32 v3, v3, v36
	ds_read2_b64 v[36:39], v2 offset0:77 offset1:78
	s_waitcnt vmcnt(1) lgkmcnt(0)
	v_mul_f32_e32 v44, v36, v41
	v_fmac_f32_e32 v44, v37, v40
	v_add_f32_e32 v65, v3, v44
	ds_read2_b64 v[44:47], v2 offset0:79 offset1:80
	scratch_load_dwordx4 v[52:55], off, off offset:296
	scratch_load_dwordx4 v[56:59], off, off offset:312
	;; [unrolled: 1-line block ×3, first 2 shown]
	scratch_load_dwordx2 v[70:71], off, off offset:344
	v_mul_f32_e32 v3, v5, v9
	v_fma_f32 v3, v4, v8, -v3
	v_mul_f32_e32 v4, v7, v11
	v_add_f32_e32 v3, 0, v3
	v_fma_f32 v4, v6, v10, -v4
	v_add_f32_e32 v3, v3, v4
	v_mul_f32_e32 v4, v13, v17
	v_fma_f32 v4, v12, v16, -v4
	v_add_f32_e32 v3, v3, v4
	v_mul_f32_e32 v4, v15, v19
	v_fma_f32 v4, v14, v18, -v4
	v_add_f32_e32 v3, v3, v4
	v_mul_f32_e32 v4, v21, v25
	v_fma_f32 v4, v20, v24, -v4
	v_add_f32_e32 v3, v3, v4
	v_mul_f32_e32 v4, v23, v27
	v_fma_f32 v4, v22, v26, -v4
	v_add_f32_e32 v3, v3, v4
	v_mul_f32_e32 v4, v29, v33
	v_fma_f32 v4, v28, v32, -v4
	v_add_f32_e32 v3, v3, v4
	v_mul_f32_e32 v4, v31, v35
	v_fma_f32 v4, v30, v34, -v4
	v_add_f32_e32 v3, v3, v4
	v_mul_f32_e32 v4, v37, v41
	v_fma_f32 v4, v36, v40, -v4
	v_mul_f32_e32 v67, v38, v43
	v_add_f32_e32 v64, v3, v4
	v_mul_f32_e32 v3, v39, v43
	s_waitcnt vmcnt(4)
	v_mov_b32_e32 v20, v51
	v_fmac_f32_e32 v67, v39, v42
	s_waitcnt lgkmcnt(0)
	v_mul_f32_e32 v69, v44, v49
	v_fma_f32 v66, v38, v42, -v3
	v_mul_f32_e32 v3, v45, v49
	ds_read2_b64 v[4:7], v2 offset0:81 offset1:82
	ds_read2_b64 v[8:11], v2 offset0:83 offset1:84
	;; [unrolled: 1-line block ×3, first 2 shown]
	ds_read_b64 v[16:17], v2 offset:696
	v_pk_mul_f32 v[20:21], v[46:47], v[20:21] op_sel:[1,0] op_sel_hi:[0,0]
	v_fmac_f32_e32 v69, v45, v48
	v_fma_f32 v68, v44, v48, -v3
	v_pk_add_f32 v[18:19], v[64:65], v[66:67]
	v_pk_fma_f32 v[22:23], v[46:47], v[50:51], v[20:21] neg_lo:[0,0,1] neg_hi:[0,0,1]
	v_pk_fma_f32 v[20:21], v[46:47], v[50:51], v[20:21] op_sel_hi:[1,0,1]
	v_pk_add_f32 v[18:19], v[18:19], v[68:69]
	v_mov_b32_e32 v23, v21
	v_pk_add_f32 v[18:19], v[18:19], v[22:23]
	s_waitcnt vmcnt(3) lgkmcnt(3)
	v_pk_mul_f32 v[20:21], v[4:5], v[52:53] op_sel:[1,1] op_sel_hi:[0,1]
	v_pk_fma_f32 v[22:23], v[4:5], v[52:53], v[20:21] neg_lo:[0,0,1] neg_hi:[0,0,1]
	v_pk_fma_f32 v[4:5], v[4:5], v[52:53], v[20:21] op_sel_hi:[1,0,1]
	s_nop 0
	v_mov_b32_e32 v23, v5
	v_pk_add_f32 v[4:5], v[18:19], v[22:23]
	v_mov_b32_e32 v18, v55
	v_pk_mul_f32 v[18:19], v[6:7], v[18:19] op_sel:[1,0] op_sel_hi:[0,0]
	v_pk_fma_f32 v[20:21], v[6:7], v[54:55], v[18:19] neg_lo:[0,0,1] neg_hi:[0,0,1]
	v_pk_fma_f32 v[6:7], v[6:7], v[54:55], v[18:19] op_sel_hi:[1,0,1]
	s_nop 0
	v_mov_b32_e32 v21, v7
	s_waitcnt vmcnt(2) lgkmcnt(2)
	v_pk_mul_f32 v[6:7], v[8:9], v[56:57] op_sel:[1,1] op_sel_hi:[0,1]
	v_pk_fma_f32 v[18:19], v[8:9], v[56:57], v[6:7] neg_lo:[0,0,1] neg_hi:[0,0,1]
	v_pk_fma_f32 v[6:7], v[8:9], v[56:57], v[6:7] op_sel_hi:[1,0,1]
	v_pk_add_f32 v[4:5], v[4:5], v[20:21]
	v_mov_b32_e32 v6, v59
	v_mov_b32_e32 v19, v7
	v_pk_mul_f32 v[6:7], v[10:11], v[6:7] op_sel:[1,0] op_sel_hi:[0,0]
	v_pk_fma_f32 v[8:9], v[10:11], v[58:59], v[6:7] neg_lo:[0,0,1] neg_hi:[0,0,1]
	v_pk_fma_f32 v[6:7], v[10:11], v[58:59], v[6:7] op_sel_hi:[1,0,1]
	v_pk_add_f32 v[4:5], v[4:5], v[18:19]
	v_mov_b32_e32 v9, v7
	s_waitcnt vmcnt(1) lgkmcnt(1)
	v_pk_mul_f32 v[6:7], v[12:13], v[60:61] op_sel:[1,1] op_sel_hi:[0,1]
	v_pk_add_f32 v[4:5], v[4:5], v[8:9]
	v_pk_fma_f32 v[8:9], v[12:13], v[60:61], v[6:7] neg_lo:[0,0,1] neg_hi:[0,0,1]
	v_pk_fma_f32 v[6:7], v[12:13], v[60:61], v[6:7] op_sel_hi:[1,0,1]
	s_nop 0
	v_mov_b32_e32 v6, v63
	v_mov_b32_e32 v9, v7
	v_pk_mul_f32 v[6:7], v[14:15], v[6:7] op_sel:[1,0] op_sel_hi:[0,0]
	v_pk_add_f32 v[4:5], v[4:5], v[8:9]
	v_pk_fma_f32 v[8:9], v[14:15], v[62:63], v[6:7] neg_lo:[0,0,1] neg_hi:[0,0,1]
	v_pk_fma_f32 v[6:7], v[14:15], v[62:63], v[6:7] op_sel_hi:[1,0,1]
	s_nop 0
	v_mov_b32_e32 v9, v7
	s_waitcnt vmcnt(0) lgkmcnt(0)
	v_pk_mul_f32 v[6:7], v[16:17], v[70:71] op_sel:[1,1] op_sel_hi:[0,1]
	v_pk_add_f32 v[4:5], v[4:5], v[8:9]
	v_pk_fma_f32 v[8:9], v[16:17], v[70:71], v[6:7] neg_lo:[0,0,1] neg_hi:[0,0,1]
	v_pk_fma_f32 v[6:7], v[16:17], v[70:71], v[6:7] op_sel_hi:[1,0,1]
	s_nop 0
	v_mov_b32_e32 v9, v7
	scratch_load_dwordx2 v[6:7], off, off offset:192
	v_pk_add_f32 v[4:5], v[4:5], v[8:9]
	s_waitcnt vmcnt(0)
	v_pk_add_f32 v[4:5], v[6:7], v[4:5] neg_lo:[0,1] neg_hi:[0,1]
	scratch_store_dwordx2 off, v[4:5], off offset:192
	s_and_saveexec_b64 s[0:1], vcc
	s_cbranch_execz .LBB43_231
; %bb.230:
	scratch_load_dwordx2 v[4:5], off, off offset:184
	v_mov_b32_e32 v3, v2
	scratch_store_dwordx2 off, v[2:3], off offset:184
	s_waitcnt vmcnt(1)
	ds_write_b64 v1, v[4:5]
.LBB43_231:
	s_or_b64 exec, exec, s[0:1]
	s_waitcnt lgkmcnt(0)
	; wave barrier
	ds_read_b128 v[4:7], v2 offset:544
	ds_read_b128 v[8:11], v2 offset:560
	ds_read_b128 v[12:15], v2 offset:576
	ds_read_b128 v[16:19], v2 offset:592
	scratch_load_dwordx4 v[20:23], off, off offset:192
	scratch_load_dwordx4 v[40:43], off, off offset:256
	v_cmp_lt_u32_e32 vcc, 22, v0
	scratch_load_dwordx4 v[48:51], off, off offset:272
	s_waitcnt vmcnt(2) lgkmcnt(3)
	v_mul_f32_e32 v3, v4, v21
	v_fmac_f32_e32 v3, v5, v20
	v_mul_f32_e32 v24, v6, v23
	v_add_f32_e32 v3, 0, v3
	v_fmac_f32_e32 v24, v7, v22
	v_add_f32_e32 v3, v3, v24
	scratch_load_dwordx4 v[24:27], off, off offset:208
	s_waitcnt vmcnt(0) lgkmcnt(2)
	v_mul_f32_e32 v28, v8, v25
	v_fmac_f32_e32 v28, v9, v24
	v_add_f32_e32 v3, v3, v28
	v_mul_f32_e32 v28, v10, v27
	v_fmac_f32_e32 v28, v11, v26
	v_add_f32_e32 v3, v3, v28
	scratch_load_dwordx4 v[28:31], off, off offset:224
	s_waitcnt vmcnt(0) lgkmcnt(1)
	v_mul_f32_e32 v32, v12, v29
	v_fmac_f32_e32 v32, v13, v28
	v_add_f32_e32 v3, v3, v32
	v_mul_f32_e32 v32, v14, v31
	;; [unrolled: 8-line block ×3, first 2 shown]
	v_fmac_f32_e32 v36, v19, v34
	v_add_f32_e32 v3, v3, v36
	ds_read_b128 v[36:39], v2 offset:608
	s_waitcnt lgkmcnt(0)
	v_mul_f32_e32 v44, v36, v41
	v_fmac_f32_e32 v44, v37, v40
	v_add_f32_e32 v3, v3, v44
	v_mul_f32_e32 v44, v38, v43
	v_fmac_f32_e32 v44, v39, v42
	v_add_f32_e32 v69, v3, v44
	ds_read_b128 v[44:47], v2 offset:624
	scratch_load_dwordx4 v[52:55], off, off offset:288
	scratch_load_dwordx4 v[56:59], off, off offset:304
	;; [unrolled: 1-line block ×4, first 2 shown]
	v_mul_f32_e32 v3, v5, v21
	v_fma_f32 v3, v4, v20, -v3
	v_mul_f32_e32 v4, v7, v23
	v_add_f32_e32 v3, 0, v3
	v_fma_f32 v4, v6, v22, -v4
	v_add_f32_e32 v3, v3, v4
	v_mul_f32_e32 v4, v9, v25
	v_fma_f32 v4, v8, v24, -v4
	v_add_f32_e32 v3, v3, v4
	v_mul_f32_e32 v4, v11, v27
	v_fma_f32 v4, v10, v26, -v4
	v_add_f32_e32 v3, v3, v4
	v_mul_f32_e32 v4, v13, v29
	v_fma_f32 v4, v12, v28, -v4
	v_add_f32_e32 v3, v3, v4
	v_mul_f32_e32 v4, v15, v31
	v_fma_f32 v4, v14, v30, -v4
	v_add_f32_e32 v3, v3, v4
	v_mul_f32_e32 v4, v17, v33
	v_fma_f32 v4, v16, v32, -v4
	v_add_f32_e32 v3, v3, v4
	v_mul_f32_e32 v4, v19, v35
	v_fma_f32 v4, v18, v34, -v4
	v_add_f32_e32 v3, v3, v4
	v_mul_f32_e32 v4, v37, v41
	v_fma_f32 v4, v36, v40, -v4
	v_add_f32_e32 v3, v3, v4
	v_mul_f32_e32 v4, v39, v43
	v_fma_f32 v4, v38, v42, -v4
	v_add_f32_e32 v68, v3, v4
	ds_read_b128 v[4:7], v2 offset:640
	ds_read_b128 v[8:11], v2 offset:656
	;; [unrolled: 1-line block ×4, first 2 shown]
	s_waitcnt lgkmcnt(4)
	v_mul_f32_e32 v71, v44, v49
	v_mul_f32_e32 v3, v45, v49
	v_fmac_f32_e32 v71, v45, v48
	v_mul_f32_e32 v73, v46, v51
	v_fma_f32 v70, v44, v48, -v3
	v_mul_f32_e32 v3, v47, v51
	v_fmac_f32_e32 v73, v47, v50
	v_fma_f32 v72, v46, v50, -v3
	v_pk_add_f32 v[2:3], v[68:69], v[70:71]
	s_waitcnt vmcnt(3) lgkmcnt(3)
	v_pk_mul_f32 v[20:21], v[4:5], v[52:53] op_sel:[1,1] op_sel_hi:[0,1]
	v_pk_fma_f32 v[22:23], v[4:5], v[52:53], v[20:21] neg_lo:[0,0,1] neg_hi:[0,0,1]
	v_pk_fma_f32 v[4:5], v[4:5], v[52:53], v[20:21] op_sel_hi:[1,0,1]
	v_pk_add_f32 v[2:3], v[2:3], v[72:73]
	v_mov_b32_e32 v4, v55
	v_mov_b32_e32 v23, v5
	v_pk_mul_f32 v[4:5], v[6:7], v[4:5] op_sel:[1,0] op_sel_hi:[0,0]
	v_pk_fma_f32 v[20:21], v[6:7], v[54:55], v[4:5] neg_lo:[0,0,1] neg_hi:[0,0,1]
	v_pk_fma_f32 v[4:5], v[6:7], v[54:55], v[4:5] op_sel_hi:[1,0,1]
	v_pk_add_f32 v[2:3], v[2:3], v[22:23]
	v_mov_b32_e32 v21, v5
	s_waitcnt vmcnt(2) lgkmcnt(2)
	v_pk_mul_f32 v[4:5], v[8:9], v[56:57] op_sel:[1,1] op_sel_hi:[0,1]
	v_pk_fma_f32 v[6:7], v[8:9], v[56:57], v[4:5] neg_lo:[0,0,1] neg_hi:[0,0,1]
	v_pk_fma_f32 v[4:5], v[8:9], v[56:57], v[4:5] op_sel_hi:[1,0,1]
	v_pk_add_f32 v[2:3], v[2:3], v[20:21]
	v_mov_b32_e32 v4, v59
	v_mov_b32_e32 v7, v5
	v_pk_mul_f32 v[4:5], v[10:11], v[4:5] op_sel:[1,0] op_sel_hi:[0,0]
	v_pk_add_f32 v[2:3], v[2:3], v[6:7]
	v_pk_fma_f32 v[6:7], v[10:11], v[58:59], v[4:5] neg_lo:[0,0,1] neg_hi:[0,0,1]
	v_pk_fma_f32 v[4:5], v[10:11], v[58:59], v[4:5] op_sel_hi:[1,0,1]
	s_nop 0
	v_mov_b32_e32 v7, v5
	s_waitcnt vmcnt(1) lgkmcnt(1)
	v_pk_mul_f32 v[4:5], v[12:13], v[60:61] op_sel:[1,1] op_sel_hi:[0,1]
	v_pk_add_f32 v[2:3], v[2:3], v[6:7]
	v_pk_fma_f32 v[6:7], v[12:13], v[60:61], v[4:5] neg_lo:[0,0,1] neg_hi:[0,0,1]
	v_pk_fma_f32 v[4:5], v[12:13], v[60:61], v[4:5] op_sel_hi:[1,0,1]
	s_nop 0
	v_mov_b32_e32 v4, v63
	v_mov_b32_e32 v7, v5
	v_pk_mul_f32 v[4:5], v[14:15], v[4:5] op_sel:[1,0] op_sel_hi:[0,0]
	v_pk_add_f32 v[2:3], v[2:3], v[6:7]
	v_pk_fma_f32 v[6:7], v[14:15], v[62:63], v[4:5] neg_lo:[0,0,1] neg_hi:[0,0,1]
	v_pk_fma_f32 v[4:5], v[14:15], v[62:63], v[4:5] op_sel_hi:[1,0,1]
	s_nop 0
	v_mov_b32_e32 v7, v5
	s_waitcnt vmcnt(0) lgkmcnt(0)
	v_pk_mul_f32 v[4:5], v[16:17], v[64:65] op_sel:[1,1] op_sel_hi:[0,1]
	v_pk_add_f32 v[2:3], v[2:3], v[6:7]
	v_pk_fma_f32 v[6:7], v[16:17], v[64:65], v[4:5] neg_lo:[0,0,1] neg_hi:[0,0,1]
	v_pk_fma_f32 v[4:5], v[16:17], v[64:65], v[4:5] op_sel_hi:[1,0,1]
	s_nop 0
	v_mov_b32_e32 v4, v67
	v_mov_b32_e32 v7, v5
	v_pk_mul_f32 v[4:5], v[18:19], v[4:5] op_sel:[1,0] op_sel_hi:[0,0]
	v_pk_add_f32 v[2:3], v[2:3], v[6:7]
	v_pk_fma_f32 v[6:7], v[18:19], v[66:67], v[4:5] neg_lo:[0,0,1] neg_hi:[0,0,1]
	v_pk_fma_f32 v[4:5], v[18:19], v[66:67], v[4:5] op_sel_hi:[1,0,1]
	s_nop 0
	v_mov_b32_e32 v7, v5
	scratch_load_dwordx2 v[4:5], off, off offset:184
	v_pk_add_f32 v[2:3], v[2:3], v[6:7]
	s_waitcnt vmcnt(0)
	v_pk_add_f32 v[2:3], v[4:5], v[2:3] neg_lo:[0,1] neg_hi:[0,1]
	scratch_store_dwordx2 off, v[2:3], off offset:184
	s_and_saveexec_b64 s[0:1], vcc
	s_cbranch_execz .LBB43_233
; %bb.232:
	scratch_load_dwordx2 v[2:3], off, off offset:176
	v_mov_b32_e32 v4, 0
	v_mov_b32_e32 v5, v4
	scratch_store_dwordx2 off, v[4:5], off offset:176
	s_waitcnt vmcnt(1)
	ds_write_b64 v1, v[2:3]
.LBB43_233:
	s_or_b64 exec, exec, s[0:1]
	s_waitcnt lgkmcnt(0)
	; wave barrier
	scratch_load_dwordx4 v[8:11], off, off offset:184
	scratch_load_dwordx4 v[16:19], off, off offset:200
	;; [unrolled: 1-line block ×6, first 2 shown]
	v_mov_b32_e32 v2, 0
	ds_read2_b64 v[4:7], v2 offset0:67 offset1:68
	scratch_load_dwordx4 v[56:59], off, off offset:280
	v_cmp_lt_u32_e32 vcc, 21, v0
	s_waitcnt vmcnt(6) lgkmcnt(0)
	v_mul_f32_e32 v3, v4, v9
	v_fmac_f32_e32 v3, v5, v8
	v_mul_f32_e32 v12, v6, v11
	v_add_f32_e32 v3, 0, v3
	v_fmac_f32_e32 v12, v7, v10
	v_add_f32_e32 v3, v3, v12
	ds_read2_b64 v[12:15], v2 offset0:69 offset1:70
	s_waitcnt vmcnt(5) lgkmcnt(0)
	v_mul_f32_e32 v20, v12, v17
	v_fmac_f32_e32 v20, v13, v16
	v_add_f32_e32 v3, v3, v20
	v_mul_f32_e32 v20, v14, v19
	v_fmac_f32_e32 v20, v15, v18
	v_add_f32_e32 v3, v3, v20
	ds_read2_b64 v[20:23], v2 offset0:71 offset1:72
	s_waitcnt vmcnt(4) lgkmcnt(0)
	v_mul_f32_e32 v28, v20, v25
	v_fmac_f32_e32 v28, v21, v24
	v_add_f32_e32 v3, v3, v28
	v_mul_f32_e32 v28, v22, v27
	;; [unrolled: 8-line block ×4, first 2 shown]
	v_fmac_f32_e32 v44, v39, v42
	v_add_f32_e32 v3, v3, v44
	ds_read2_b64 v[44:47], v2 offset0:77 offset1:78
	s_waitcnt vmcnt(1) lgkmcnt(0)
	v_mul_f32_e32 v52, v44, v49
	v_fmac_f32_e32 v52, v45, v48
	v_add_f32_e32 v73, v3, v52
	ds_read2_b64 v[52:55], v2 offset0:79 offset1:80
	scratch_load_dwordx4 v[60:63], off, off offset:296
	scratch_load_dwordx4 v[64:67], off, off offset:312
	;; [unrolled: 1-line block ×3, first 2 shown]
	scratch_load_dwordx2 v[78:79], off, off offset:344
	v_mul_f32_e32 v3, v5, v9
	v_fma_f32 v3, v4, v8, -v3
	v_mul_f32_e32 v4, v7, v11
	v_add_f32_e32 v3, 0, v3
	v_fma_f32 v4, v6, v10, -v4
	v_add_f32_e32 v3, v3, v4
	v_mul_f32_e32 v4, v13, v17
	v_fma_f32 v4, v12, v16, -v4
	v_add_f32_e32 v3, v3, v4
	v_mul_f32_e32 v4, v15, v19
	;; [unrolled: 3-line block ×9, first 2 shown]
	v_fma_f32 v4, v44, v48, -v4
	v_mul_f32_e32 v75, v46, v51
	v_add_f32_e32 v72, v3, v4
	v_mul_f32_e32 v3, v47, v51
	s_waitcnt vmcnt(4)
	v_mov_b32_e32 v20, v59
	v_fmac_f32_e32 v75, v47, v50
	s_waitcnt lgkmcnt(0)
	v_mul_f32_e32 v77, v52, v57
	v_fma_f32 v74, v46, v50, -v3
	v_mul_f32_e32 v3, v53, v57
	ds_read2_b64 v[4:7], v2 offset0:81 offset1:82
	ds_read2_b64 v[8:11], v2 offset0:83 offset1:84
	ds_read2_b64 v[12:15], v2 offset0:85 offset1:86
	ds_read_b64 v[16:17], v2 offset:696
	v_pk_mul_f32 v[20:21], v[54:55], v[20:21] op_sel:[1,0] op_sel_hi:[0,0]
	v_fmac_f32_e32 v77, v53, v56
	v_fma_f32 v76, v52, v56, -v3
	v_pk_add_f32 v[18:19], v[72:73], v[74:75]
	v_pk_fma_f32 v[22:23], v[54:55], v[58:59], v[20:21] neg_lo:[0,0,1] neg_hi:[0,0,1]
	v_pk_fma_f32 v[20:21], v[54:55], v[58:59], v[20:21] op_sel_hi:[1,0,1]
	v_pk_add_f32 v[18:19], v[18:19], v[76:77]
	v_mov_b32_e32 v23, v21
	v_pk_add_f32 v[18:19], v[18:19], v[22:23]
	s_waitcnt vmcnt(3) lgkmcnt(3)
	v_pk_mul_f32 v[20:21], v[4:5], v[60:61] op_sel:[1,1] op_sel_hi:[0,1]
	v_pk_fma_f32 v[22:23], v[4:5], v[60:61], v[20:21] neg_lo:[0,0,1] neg_hi:[0,0,1]
	v_pk_fma_f32 v[4:5], v[4:5], v[60:61], v[20:21] op_sel_hi:[1,0,1]
	s_nop 0
	v_mov_b32_e32 v23, v5
	v_pk_add_f32 v[4:5], v[18:19], v[22:23]
	v_mov_b32_e32 v18, v63
	v_pk_mul_f32 v[18:19], v[6:7], v[18:19] op_sel:[1,0] op_sel_hi:[0,0]
	v_pk_fma_f32 v[20:21], v[6:7], v[62:63], v[18:19] neg_lo:[0,0,1] neg_hi:[0,0,1]
	v_pk_fma_f32 v[6:7], v[6:7], v[62:63], v[18:19] op_sel_hi:[1,0,1]
	s_nop 0
	v_mov_b32_e32 v21, v7
	s_waitcnt vmcnt(2) lgkmcnt(2)
	v_pk_mul_f32 v[6:7], v[8:9], v[64:65] op_sel:[1,1] op_sel_hi:[0,1]
	v_pk_fma_f32 v[18:19], v[8:9], v[64:65], v[6:7] neg_lo:[0,0,1] neg_hi:[0,0,1]
	v_pk_fma_f32 v[6:7], v[8:9], v[64:65], v[6:7] op_sel_hi:[1,0,1]
	v_pk_add_f32 v[4:5], v[4:5], v[20:21]
	v_mov_b32_e32 v6, v67
	v_mov_b32_e32 v19, v7
	v_pk_mul_f32 v[6:7], v[10:11], v[6:7] op_sel:[1,0] op_sel_hi:[0,0]
	v_pk_fma_f32 v[8:9], v[10:11], v[66:67], v[6:7] neg_lo:[0,0,1] neg_hi:[0,0,1]
	v_pk_fma_f32 v[6:7], v[10:11], v[66:67], v[6:7] op_sel_hi:[1,0,1]
	v_pk_add_f32 v[4:5], v[4:5], v[18:19]
	v_mov_b32_e32 v9, v7
	s_waitcnt vmcnt(1) lgkmcnt(1)
	v_pk_mul_f32 v[6:7], v[12:13], v[68:69] op_sel:[1,1] op_sel_hi:[0,1]
	v_pk_add_f32 v[4:5], v[4:5], v[8:9]
	v_pk_fma_f32 v[8:9], v[12:13], v[68:69], v[6:7] neg_lo:[0,0,1] neg_hi:[0,0,1]
	v_pk_fma_f32 v[6:7], v[12:13], v[68:69], v[6:7] op_sel_hi:[1,0,1]
	s_nop 0
	v_mov_b32_e32 v6, v71
	v_mov_b32_e32 v9, v7
	v_pk_mul_f32 v[6:7], v[14:15], v[6:7] op_sel:[1,0] op_sel_hi:[0,0]
	v_pk_add_f32 v[4:5], v[4:5], v[8:9]
	v_pk_fma_f32 v[8:9], v[14:15], v[70:71], v[6:7] neg_lo:[0,0,1] neg_hi:[0,0,1]
	v_pk_fma_f32 v[6:7], v[14:15], v[70:71], v[6:7] op_sel_hi:[1,0,1]
	s_nop 0
	v_mov_b32_e32 v9, v7
	s_waitcnt vmcnt(0) lgkmcnt(0)
	v_pk_mul_f32 v[6:7], v[16:17], v[78:79] op_sel:[1,1] op_sel_hi:[0,1]
	v_pk_add_f32 v[4:5], v[4:5], v[8:9]
	v_pk_fma_f32 v[8:9], v[16:17], v[78:79], v[6:7] neg_lo:[0,0,1] neg_hi:[0,0,1]
	v_pk_fma_f32 v[6:7], v[16:17], v[78:79], v[6:7] op_sel_hi:[1,0,1]
	s_nop 0
	v_mov_b32_e32 v9, v7
	scratch_load_dwordx2 v[6:7], off, off offset:176
	v_pk_add_f32 v[4:5], v[4:5], v[8:9]
	s_waitcnt vmcnt(0)
	v_pk_add_f32 v[4:5], v[6:7], v[4:5] neg_lo:[0,1] neg_hi:[0,1]
	scratch_store_dwordx2 off, v[4:5], off offset:176
	s_and_saveexec_b64 s[0:1], vcc
	s_cbranch_execz .LBB43_235
; %bb.234:
	scratch_load_dwordx2 v[4:5], off, off offset:168
	v_mov_b32_e32 v3, v2
	scratch_store_dwordx2 off, v[2:3], off offset:168
	s_waitcnt vmcnt(1)
	ds_write_b64 v1, v[4:5]
.LBB43_235:
	s_or_b64 exec, exec, s[0:1]
	s_waitcnt lgkmcnt(0)
	; wave barrier
	ds_read_b128 v[4:7], v2 offset:528
	ds_read_b128 v[8:11], v2 offset:544
	;; [unrolled: 1-line block ×4, first 2 shown]
	scratch_load_dwordx4 v[20:23], off, off offset:176
	scratch_load_dwordx4 v[40:43], off, off offset:240
	v_cmp_lt_u32_e32 vcc, 20, v0
	scratch_load_dwordx4 v[48:51], off, off offset:256
	scratch_load_dwordx4 v[56:59], off, off offset:272
	s_waitcnt vmcnt(3) lgkmcnt(3)
	v_mul_f32_e32 v3, v4, v21
	v_fmac_f32_e32 v3, v5, v20
	v_mul_f32_e32 v24, v6, v23
	v_add_f32_e32 v3, 0, v3
	v_fmac_f32_e32 v24, v7, v22
	v_add_f32_e32 v3, v3, v24
	scratch_load_dwordx4 v[24:27], off, off offset:192
	s_waitcnt vmcnt(0) lgkmcnt(2)
	v_mul_f32_e32 v28, v8, v25
	v_fmac_f32_e32 v28, v9, v24
	v_add_f32_e32 v3, v3, v28
	v_mul_f32_e32 v28, v10, v27
	v_fmac_f32_e32 v28, v11, v26
	v_add_f32_e32 v3, v3, v28
	scratch_load_dwordx4 v[28:31], off, off offset:208
	s_waitcnt vmcnt(0) lgkmcnt(1)
	v_mul_f32_e32 v32, v12, v29
	v_fmac_f32_e32 v32, v13, v28
	v_add_f32_e32 v3, v3, v32
	v_mul_f32_e32 v32, v14, v31
	;; [unrolled: 8-line block ×3, first 2 shown]
	v_fmac_f32_e32 v36, v19, v34
	v_add_f32_e32 v3, v3, v36
	ds_read_b128 v[36:39], v2 offset:592
	s_waitcnt lgkmcnt(0)
	v_mul_f32_e32 v44, v36, v41
	v_fmac_f32_e32 v44, v37, v40
	v_add_f32_e32 v3, v3, v44
	v_mul_f32_e32 v44, v38, v43
	v_fmac_f32_e32 v44, v39, v42
	v_add_f32_e32 v3, v3, v44
	ds_read_b128 v[44:47], v2 offset:608
	s_waitcnt lgkmcnt(0)
	v_mul_f32_e32 v52, v44, v49
	v_fmac_f32_e32 v52, v45, v48
	v_add_f32_e32 v3, v3, v52
	v_mul_f32_e32 v52, v46, v51
	v_fmac_f32_e32 v52, v47, v50
	v_add_f32_e32 v77, v3, v52
	ds_read_b128 v[52:55], v2 offset:624
	scratch_load_dwordx4 v[60:63], off, off offset:288
	scratch_load_dwordx4 v[64:67], off, off offset:304
	;; [unrolled: 1-line block ×4, first 2 shown]
	v_mul_f32_e32 v3, v5, v21
	v_fma_f32 v3, v4, v20, -v3
	v_mul_f32_e32 v4, v7, v23
	v_add_f32_e32 v3, 0, v3
	v_fma_f32 v4, v6, v22, -v4
	v_add_f32_e32 v3, v3, v4
	v_mul_f32_e32 v4, v9, v25
	v_fma_f32 v4, v8, v24, -v4
	v_add_f32_e32 v3, v3, v4
	v_mul_f32_e32 v4, v11, v27
	v_fma_f32 v4, v10, v26, -v4
	v_add_f32_e32 v3, v3, v4
	v_mul_f32_e32 v4, v13, v29
	v_fma_f32 v4, v12, v28, -v4
	v_add_f32_e32 v3, v3, v4
	v_mul_f32_e32 v4, v15, v31
	v_fma_f32 v4, v14, v30, -v4
	v_add_f32_e32 v3, v3, v4
	v_mul_f32_e32 v4, v17, v33
	v_fma_f32 v4, v16, v32, -v4
	v_add_f32_e32 v3, v3, v4
	v_mul_f32_e32 v4, v19, v35
	v_fma_f32 v4, v18, v34, -v4
	v_add_f32_e32 v3, v3, v4
	v_mul_f32_e32 v4, v37, v41
	v_fma_f32 v4, v36, v40, -v4
	v_add_f32_e32 v3, v3, v4
	v_mul_f32_e32 v4, v39, v43
	v_fma_f32 v4, v38, v42, -v4
	v_add_f32_e32 v3, v3, v4
	v_mul_f32_e32 v4, v45, v49
	v_fma_f32 v4, v44, v48, -v4
	v_add_f32_e32 v3, v3, v4
	v_mul_f32_e32 v4, v47, v51
	v_fma_f32 v4, v46, v50, -v4
	v_add_f32_e32 v76, v3, v4
	ds_read_b128 v[4:7], v2 offset:640
	ds_read_b128 v[8:11], v2 offset:656
	;; [unrolled: 1-line block ×4, first 2 shown]
	s_waitcnt lgkmcnt(4)
	v_mul_f32_e32 v79, v52, v57
	v_mul_f32_e32 v3, v53, v57
	v_fmac_f32_e32 v79, v53, v56
	v_mul_f32_e32 v81, v54, v59
	v_fma_f32 v78, v52, v56, -v3
	v_mul_f32_e32 v3, v55, v59
	v_fmac_f32_e32 v81, v55, v58
	v_fma_f32 v80, v54, v58, -v3
	v_pk_add_f32 v[2:3], v[76:77], v[78:79]
	s_waitcnt vmcnt(3) lgkmcnt(3)
	v_pk_mul_f32 v[20:21], v[4:5], v[60:61] op_sel:[1,1] op_sel_hi:[0,1]
	v_pk_fma_f32 v[22:23], v[4:5], v[60:61], v[20:21] neg_lo:[0,0,1] neg_hi:[0,0,1]
	v_pk_fma_f32 v[4:5], v[4:5], v[60:61], v[20:21] op_sel_hi:[1,0,1]
	v_pk_add_f32 v[2:3], v[2:3], v[80:81]
	v_mov_b32_e32 v4, v63
	v_mov_b32_e32 v23, v5
	v_pk_mul_f32 v[4:5], v[6:7], v[4:5] op_sel:[1,0] op_sel_hi:[0,0]
	v_pk_fma_f32 v[20:21], v[6:7], v[62:63], v[4:5] neg_lo:[0,0,1] neg_hi:[0,0,1]
	v_pk_fma_f32 v[4:5], v[6:7], v[62:63], v[4:5] op_sel_hi:[1,0,1]
	v_pk_add_f32 v[2:3], v[2:3], v[22:23]
	v_mov_b32_e32 v21, v5
	s_waitcnt vmcnt(2) lgkmcnt(2)
	v_pk_mul_f32 v[4:5], v[8:9], v[64:65] op_sel:[1,1] op_sel_hi:[0,1]
	v_pk_fma_f32 v[6:7], v[8:9], v[64:65], v[4:5] neg_lo:[0,0,1] neg_hi:[0,0,1]
	v_pk_fma_f32 v[4:5], v[8:9], v[64:65], v[4:5] op_sel_hi:[1,0,1]
	v_pk_add_f32 v[2:3], v[2:3], v[20:21]
	v_mov_b32_e32 v4, v67
	v_mov_b32_e32 v7, v5
	v_pk_mul_f32 v[4:5], v[10:11], v[4:5] op_sel:[1,0] op_sel_hi:[0,0]
	v_pk_add_f32 v[2:3], v[2:3], v[6:7]
	v_pk_fma_f32 v[6:7], v[10:11], v[66:67], v[4:5] neg_lo:[0,0,1] neg_hi:[0,0,1]
	v_pk_fma_f32 v[4:5], v[10:11], v[66:67], v[4:5] op_sel_hi:[1,0,1]
	s_nop 0
	v_mov_b32_e32 v7, v5
	s_waitcnt vmcnt(1) lgkmcnt(1)
	v_pk_mul_f32 v[4:5], v[12:13], v[68:69] op_sel:[1,1] op_sel_hi:[0,1]
	v_pk_add_f32 v[2:3], v[2:3], v[6:7]
	v_pk_fma_f32 v[6:7], v[12:13], v[68:69], v[4:5] neg_lo:[0,0,1] neg_hi:[0,0,1]
	v_pk_fma_f32 v[4:5], v[12:13], v[68:69], v[4:5] op_sel_hi:[1,0,1]
	s_nop 0
	v_mov_b32_e32 v4, v71
	v_mov_b32_e32 v7, v5
	v_pk_mul_f32 v[4:5], v[14:15], v[4:5] op_sel:[1,0] op_sel_hi:[0,0]
	v_pk_add_f32 v[2:3], v[2:3], v[6:7]
	v_pk_fma_f32 v[6:7], v[14:15], v[70:71], v[4:5] neg_lo:[0,0,1] neg_hi:[0,0,1]
	v_pk_fma_f32 v[4:5], v[14:15], v[70:71], v[4:5] op_sel_hi:[1,0,1]
	s_nop 0
	v_mov_b32_e32 v7, v5
	s_waitcnt vmcnt(0) lgkmcnt(0)
	v_pk_mul_f32 v[4:5], v[16:17], v[72:73] op_sel:[1,1] op_sel_hi:[0,1]
	v_pk_add_f32 v[2:3], v[2:3], v[6:7]
	v_pk_fma_f32 v[6:7], v[16:17], v[72:73], v[4:5] neg_lo:[0,0,1] neg_hi:[0,0,1]
	v_pk_fma_f32 v[4:5], v[16:17], v[72:73], v[4:5] op_sel_hi:[1,0,1]
	s_nop 0
	v_mov_b32_e32 v4, v75
	v_mov_b32_e32 v7, v5
	v_pk_mul_f32 v[4:5], v[18:19], v[4:5] op_sel:[1,0] op_sel_hi:[0,0]
	v_pk_add_f32 v[2:3], v[2:3], v[6:7]
	v_pk_fma_f32 v[6:7], v[18:19], v[74:75], v[4:5] neg_lo:[0,0,1] neg_hi:[0,0,1]
	v_pk_fma_f32 v[4:5], v[18:19], v[74:75], v[4:5] op_sel_hi:[1,0,1]
	s_nop 0
	v_mov_b32_e32 v7, v5
	scratch_load_dwordx2 v[4:5], off, off offset:168
	v_pk_add_f32 v[2:3], v[2:3], v[6:7]
	s_waitcnt vmcnt(0)
	v_pk_add_f32 v[2:3], v[4:5], v[2:3] neg_lo:[0,1] neg_hi:[0,1]
	scratch_store_dwordx2 off, v[2:3], off offset:168
	s_and_saveexec_b64 s[0:1], vcc
	s_cbranch_execz .LBB43_237
; %bb.236:
	scratch_load_dwordx2 v[2:3], off, off offset:160
	v_mov_b32_e32 v4, 0
	v_mov_b32_e32 v5, v4
	scratch_store_dwordx2 off, v[4:5], off offset:160
	s_waitcnt vmcnt(1)
	ds_write_b64 v1, v[2:3]
.LBB43_237:
	s_or_b64 exec, exec, s[0:1]
	s_waitcnt lgkmcnt(0)
	; wave barrier
	scratch_load_dwordx4 v[2:5], off, off offset:168
	scratch_load_dwordx4 v[14:17], off, off offset:184
	;; [unrolled: 1-line block ×11, first 2 shown]
	scratch_load_dwordx2 v[22:23], off, off offset:344
	scratch_load_dwordx2 v[36:37], off, off offset:160
	v_mov_b32_e32 v38, 0
	ds_read2_b64 v[52:55], v38 offset0:65 offset1:66
	ds_read2_b64 v[56:59], v38 offset0:67 offset1:68
	;; [unrolled: 1-line block ×8, first 2 shown]
	v_cmp_lt_u32_e32 vcc, 19, v0
	s_waitcnt vmcnt(12) lgkmcnt(7)
	v_mul_f32_e32 v39, v52, v3
	v_mul_f32_e32 v84, v54, v5
	;; [unrolled: 1-line block ×3, first 2 shown]
	v_fmac_f32_e32 v39, v53, v2
	s_waitcnt vmcnt(8) lgkmcnt(3)
	v_mul_f32_e32 v93, v68, v19
	v_mul_f32_e32 v19, v69, v19
	;; [unrolled: 1-line block ×4, first 2 shown]
	v_fmac_f32_e32 v84, v55, v4
	v_fmac_f32_e32 v93, v69, v18
	v_fma_f32 v2, v52, v2, -v3
	v_fma_f32 v18, v68, v18, -v19
	v_add_f32_e32 v19, 0, v39
	v_mul_f32_e32 v88, v58, v17
	v_fmac_f32_e32 v86, v57, v14
	v_fma_f32 v3, v54, v4, -v5
	v_add_f32_e32 v2, 0, v2
	v_add_f32_e32 v19, v19, v84
	v_mul_f32_e32 v89, v60, v25
	v_fmac_f32_e32 v88, v59, v16
	v_add_f32_e32 v2, v2, v3
	v_add_f32_e32 v3, v19, v86
	v_mul_f32_e32 v90, v62, v27
	v_fmac_f32_e32 v89, v61, v24
	v_add_f32_e32 v3, v3, v88
	v_mul_f32_e32 v91, v64, v29
	v_mul_f32_e32 v15, v57, v15
	v_fmac_f32_e32 v90, v63, v26
	v_add_f32_e32 v3, v3, v89
	v_mul_f32_e32 v92, v66, v31
	v_mul_f32_e32 v17, v59, v17
	v_fmac_f32_e32 v91, v65, v28
	v_fma_f32 v4, v56, v14, -v15
	v_add_f32_e32 v3, v3, v90
	v_mul_f32_e32 v25, v61, v25
	v_fmac_f32_e32 v92, v67, v30
	v_fma_f32 v5, v58, v16, -v17
	v_add_f32_e32 v2, v2, v4
	v_add_f32_e32 v3, v3, v91
	v_mul_f32_e32 v94, v70, v21
	v_mul_f32_e32 v27, v63, v27
	v_fma_f32 v14, v60, v24, -v25
	v_add_f32_e32 v2, v2, v5
	v_add_f32_e32 v3, v3, v92
	s_waitcnt vmcnt(7) lgkmcnt(2)
	v_mul_f32_e32 v95, v72, v33
	v_mul_f32_e32 v29, v65, v29
	v_fmac_f32_e32 v94, v71, v20
	v_fma_f32 v15, v62, v26, -v27
	v_add_f32_e32 v2, v2, v14
	v_add_f32_e32 v3, v3, v93
	v_mul_f32_e32 v96, v74, v35
	v_mul_f32_e32 v31, v67, v31
	v_fmac_f32_e32 v95, v73, v32
	v_fma_f32 v16, v64, v28, -v29
	v_add_f32_e32 v2, v2, v15
	v_add_f32_e32 v3, v3, v94
	s_waitcnt vmcnt(6) lgkmcnt(1)
	v_mul_f32_e32 v97, v76, v41
	v_fmac_f32_e32 v96, v75, v34
	v_fma_f32 v17, v66, v30, -v31
	v_add_f32_e32 v2, v2, v16
	v_add_f32_e32 v3, v3, v95
	v_mul_f32_e32 v21, v71, v21
	v_fmac_f32_e32 v97, v77, v40
	v_add_f32_e32 v2, v2, v17
	v_add_f32_e32 v3, v3, v96
	;; [unrolled: 1-line block ×4, first 2 shown]
	v_fma_f32 v3, v70, v20, -v21
	v_add_f32_e32 v2, v2, v3
	v_mul_f32_e32 v3, v73, v33
	v_fma_f32 v3, v72, v32, -v3
	v_add_f32_e32 v2, v2, v3
	v_mul_f32_e32 v3, v75, v35
	;; [unrolled: 3-line block ×4, first 2 shown]
	v_mul_f32_e32 v85, v78, v43
	v_fma_f32 v84, v78, v42, -v2
	s_waitcnt vmcnt(5) lgkmcnt(0)
	v_mul_f32_e32 v2, v81, v45
	v_mov_b32_e32 v28, v47
	v_mul_f32_e32 v87, v80, v45
	v_fmac_f32_e32 v85, v79, v42
	v_fma_f32 v86, v80, v44, -v2
	ds_read2_b64 v[2:5], v38 offset0:81 offset1:82
	ds_read2_b64 v[14:17], v38 offset0:83 offset1:84
	;; [unrolled: 1-line block ×3, first 2 shown]
	ds_read_b64 v[26:27], v38 offset:696
	v_pk_mul_f32 v[28:29], v[82:83], v[28:29] op_sel:[1,0] op_sel_hi:[0,0]
	v_fmac_f32_e32 v87, v81, v44
	v_pk_add_f32 v[24:25], v[24:25], v[84:85]
	v_pk_fma_f32 v[30:31], v[82:83], v[46:47], v[28:29] neg_lo:[0,0,1] neg_hi:[0,0,1]
	v_pk_fma_f32 v[28:29], v[82:83], v[46:47], v[28:29] op_sel_hi:[1,0,1]
	v_pk_add_f32 v[24:25], v[24:25], v[86:87]
	v_mov_b32_e32 v31, v29
	s_waitcnt vmcnt(4) lgkmcnt(3)
	v_pk_mul_f32 v[28:29], v[2:3], v[48:49] op_sel:[1,1] op_sel_hi:[0,1]
	v_pk_add_f32 v[24:25], v[24:25], v[30:31]
	v_pk_fma_f32 v[30:31], v[2:3], v[48:49], v[28:29] neg_lo:[0,0,1] neg_hi:[0,0,1]
	v_pk_fma_f32 v[2:3], v[2:3], v[48:49], v[28:29] op_sel_hi:[1,0,1]
	s_nop 0
	v_mov_b32_e32 v31, v3
	v_pk_add_f32 v[2:3], v[24:25], v[30:31]
	v_mov_b32_e32 v24, v51
	v_pk_mul_f32 v[24:25], v[4:5], v[24:25] op_sel:[1,0] op_sel_hi:[0,0]
	v_pk_fma_f32 v[28:29], v[4:5], v[50:51], v[24:25] neg_lo:[0,0,1] neg_hi:[0,0,1]
	v_pk_fma_f32 v[4:5], v[4:5], v[50:51], v[24:25] op_sel_hi:[1,0,1]
	s_nop 0
	v_mov_b32_e32 v29, v5
	s_waitcnt vmcnt(3) lgkmcnt(2)
	v_pk_mul_f32 v[4:5], v[14:15], v[10:11] op_sel:[1,1] op_sel_hi:[0,1]
	v_pk_fma_f32 v[24:25], v[14:15], v[10:11], v[4:5] neg_lo:[0,0,1] neg_hi:[0,0,1]
	v_pk_fma_f32 v[4:5], v[14:15], v[10:11], v[4:5] op_sel_hi:[1,0,1]
	v_pk_add_f32 v[2:3], v[2:3], v[28:29]
	v_mov_b32_e32 v4, v13
	v_mov_b32_e32 v25, v5
	v_pk_mul_f32 v[4:5], v[16:17], v[4:5] op_sel:[1,0] op_sel_hi:[0,0]
	v_pk_fma_f32 v[10:11], v[16:17], v[12:13], v[4:5] neg_lo:[0,0,1] neg_hi:[0,0,1]
	v_pk_fma_f32 v[4:5], v[16:17], v[12:13], v[4:5] op_sel_hi:[1,0,1]
	v_pk_add_f32 v[2:3], v[2:3], v[24:25]
	v_mov_b32_e32 v11, v5
	s_waitcnt vmcnt(2) lgkmcnt(1)
	v_pk_mul_f32 v[4:5], v[18:19], v[6:7] op_sel:[1,1] op_sel_hi:[0,1]
	v_pk_add_f32 v[2:3], v[2:3], v[10:11]
	v_pk_fma_f32 v[10:11], v[18:19], v[6:7], v[4:5] neg_lo:[0,0,1] neg_hi:[0,0,1]
	v_pk_fma_f32 v[4:5], v[18:19], v[6:7], v[4:5] op_sel_hi:[1,0,1]
	s_nop 0
	v_mov_b32_e32 v4, v9
	v_mov_b32_e32 v11, v5
	v_pk_mul_f32 v[4:5], v[20:21], v[4:5] op_sel:[1,0] op_sel_hi:[0,0]
	v_pk_fma_f32 v[6:7], v[20:21], v[8:9], v[4:5] neg_lo:[0,0,1] neg_hi:[0,0,1]
	v_pk_fma_f32 v[4:5], v[20:21], v[8:9], v[4:5] op_sel_hi:[1,0,1]
	v_pk_add_f32 v[2:3], v[2:3], v[10:11]
	v_mov_b32_e32 v7, v5
	s_waitcnt vmcnt(1) lgkmcnt(0)
	v_pk_mul_f32 v[4:5], v[26:27], v[22:23] op_sel:[1,1] op_sel_hi:[0,1]
	v_pk_add_f32 v[2:3], v[2:3], v[6:7]
	v_pk_fma_f32 v[6:7], v[26:27], v[22:23], v[4:5] neg_lo:[0,0,1] neg_hi:[0,0,1]
	v_pk_fma_f32 v[4:5], v[26:27], v[22:23], v[4:5] op_sel_hi:[1,0,1]
	s_nop 0
	v_mov_b32_e32 v7, v5
	v_pk_add_f32 v[2:3], v[2:3], v[6:7]
	s_waitcnt vmcnt(0)
	v_pk_add_f32 v[2:3], v[36:37], v[2:3] neg_lo:[0,1] neg_hi:[0,1]
	scratch_store_dwordx2 off, v[2:3], off offset:160
	s_and_saveexec_b64 s[0:1], vcc
	s_cbranch_execz .LBB43_239
; %bb.238:
	scratch_load_dwordx2 v[2:3], off, off offset:152
	v_mov_b32_e32 v39, v38
	scratch_store_dwordx2 off, v[38:39], off offset:152
	s_waitcnt vmcnt(1)
	ds_write_b64 v1, v[2:3]
.LBB43_239:
	s_or_b64 exec, exec, s[0:1]
	s_waitcnt lgkmcnt(0)
	; wave barrier
	scratch_load_dwordx4 v[6:9], off, off offset:160
	scratch_load_dwordx4 v[18:21], off, off offset:176
	;; [unrolled: 1-line block ×8, first 2 shown]
	ds_read_b128 v[48:51], v38 offset:512
	ds_read_b128 v[52:55], v38 offset:528
	;; [unrolled: 1-line block ×8, first 2 shown]
	scratch_load_dwordx4 v[80:83], off, off offset:288
	scratch_load_dwordx4 v[26:29], off, off offset:304
	;; [unrolled: 1-line block ×4, first 2 shown]
	scratch_load_dwordx2 v[84:85], off, off offset:152
	v_cmp_lt_u32_e32 vcc, 18, v0
	s_waitcnt vmcnt(12) lgkmcnt(7)
	v_mul_f32_e32 v39, v48, v7
	v_mul_f32_e32 v86, v50, v9
	;; [unrolled: 1-line block ×3, first 2 shown]
	v_fmac_f32_e32 v39, v49, v6
	s_waitcnt vmcnt(8) lgkmcnt(3)
	v_mul_f32_e32 v95, v64, v15
	v_mul_f32_e32 v15, v65, v15
	;; [unrolled: 1-line block ×4, first 2 shown]
	v_fmac_f32_e32 v86, v51, v8
	v_fmac_f32_e32 v95, v65, v14
	v_fma_f32 v6, v48, v6, -v7
	v_fma_f32 v14, v64, v14, -v15
	v_add_f32_e32 v15, 0, v39
	v_mul_f32_e32 v90, v54, v21
	v_fmac_f32_e32 v88, v53, v18
	v_fma_f32 v7, v50, v8, -v9
	v_add_f32_e32 v6, 0, v6
	v_add_f32_e32 v15, v15, v86
	v_mul_f32_e32 v91, v56, v35
	v_fmac_f32_e32 v90, v55, v20
	v_add_f32_e32 v6, v6, v7
	v_add_f32_e32 v7, v15, v88
	v_mul_f32_e32 v92, v58, v37
	v_fmac_f32_e32 v91, v57, v34
	v_add_f32_e32 v7, v7, v90
	v_mul_f32_e32 v93, v60, v41
	v_fmac_f32_e32 v92, v59, v36
	;; [unrolled: 3-line block ×4, first 2 shown]
	v_add_f32_e32 v7, v7, v93
	v_mul_f32_e32 v96, v66, v17
	v_mul_f32_e32 v21, v55, v21
	v_fma_f32 v8, v52, v18, -v19
	v_add_f32_e32 v7, v7, v94
	s_waitcnt vmcnt(7) lgkmcnt(2)
	v_mul_f32_e32 v97, v68, v23
	v_mul_f32_e32 v35, v57, v35
	v_fmac_f32_e32 v96, v67, v16
	v_fma_f32 v9, v54, v20, -v21
	v_add_f32_e32 v6, v6, v8
	v_add_f32_e32 v7, v7, v95
	v_mul_f32_e32 v98, v70, v25
	v_mul_f32_e32 v37, v59, v37
	v_fmac_f32_e32 v97, v69, v22
	v_fma_f32 v18, v56, v34, -v35
	v_add_f32_e32 v6, v6, v9
	v_add_f32_e32 v7, v7, v96
	s_waitcnt vmcnt(6) lgkmcnt(1)
	v_mul_f32_e32 v99, v72, v31
	v_mul_f32_e32 v41, v61, v41
	v_fmac_f32_e32 v98, v71, v24
	v_fma_f32 v19, v58, v36, -v37
	v_add_f32_e32 v6, v6, v18
	v_add_f32_e32 v7, v7, v97
	v_mul_f32_e32 v100, v74, v33
	v_mul_f32_e32 v43, v63, v43
	v_fmac_f32_e32 v99, v73, v30
	v_fma_f32 v20, v60, v40, -v41
	v_add_f32_e32 v6, v6, v19
	v_add_f32_e32 v7, v7, v98
	v_fmac_f32_e32 v100, v75, v32
	v_fma_f32 v21, v62, v42, -v43
	v_add_f32_e32 v6, v6, v20
	v_add_f32_e32 v7, v7, v99
	;; [unrolled: 1-line block ×4, first 2 shown]
	v_mul_f32_e32 v7, v67, v17
	v_add_f32_e32 v6, v6, v14
	v_fma_f32 v7, v66, v16, -v7
	v_add_f32_e32 v6, v6, v7
	v_mul_f32_e32 v7, v69, v23
	v_fma_f32 v7, v68, v22, -v7
	v_add_f32_e32 v6, v6, v7
	v_mul_f32_e32 v7, v71, v25
	;; [unrolled: 3-line block ×4, first 2 shown]
	v_fma_f32 v7, v74, v32, -v7
	v_add_f32_e32 v34, v6, v7
	s_waitcnt vmcnt(5) lgkmcnt(0)
	v_mul_f32_e32 v6, v77, v45
	v_fma_f32 v86, v76, v44, -v6
	v_mul_f32_e32 v6, v79, v47
	v_fma_f32 v88, v78, v46, -v6
	ds_read_b128 v[6:9], v38 offset:640
	ds_read_b128 v[14:17], v38 offset:656
	;; [unrolled: 1-line block ×4, first 2 shown]
	v_mul_f32_e32 v87, v76, v45
	v_mul_f32_e32 v89, v78, v47
	v_fmac_f32_e32 v87, v77, v44
	s_waitcnt vmcnt(4) lgkmcnt(3)
	v_pk_mul_f32 v[32:33], v[6:7], v[80:81] op_sel:[1,1] op_sel_hi:[0,1]
	v_fmac_f32_e32 v89, v79, v46
	v_pk_add_f32 v[30:31], v[34:35], v[86:87]
	v_pk_fma_f32 v[34:35], v[6:7], v[80:81], v[32:33] neg_lo:[0,0,1] neg_hi:[0,0,1]
	v_pk_fma_f32 v[6:7], v[6:7], v[80:81], v[32:33] op_sel_hi:[1,0,1]
	v_pk_add_f32 v[30:31], v[30:31], v[88:89]
	v_mov_b32_e32 v35, v7
	v_pk_add_f32 v[6:7], v[30:31], v[34:35]
	v_mov_b32_e32 v30, v83
	v_pk_mul_f32 v[30:31], v[8:9], v[30:31] op_sel:[1,0] op_sel_hi:[0,0]
	v_pk_fma_f32 v[32:33], v[8:9], v[82:83], v[30:31] neg_lo:[0,0,1] neg_hi:[0,0,1]
	v_pk_fma_f32 v[8:9], v[8:9], v[82:83], v[30:31] op_sel_hi:[1,0,1]
	s_nop 0
	v_mov_b32_e32 v33, v9
	s_waitcnt vmcnt(3) lgkmcnt(2)
	v_pk_mul_f32 v[8:9], v[14:15], v[26:27] op_sel:[1,1] op_sel_hi:[0,1]
	v_pk_fma_f32 v[30:31], v[14:15], v[26:27], v[8:9] neg_lo:[0,0,1] neg_hi:[0,0,1]
	v_pk_fma_f32 v[8:9], v[14:15], v[26:27], v[8:9] op_sel_hi:[1,0,1]
	v_pk_add_f32 v[6:7], v[6:7], v[32:33]
	v_mov_b32_e32 v8, v29
	v_mov_b32_e32 v31, v9
	v_pk_mul_f32 v[8:9], v[16:17], v[8:9] op_sel:[1,0] op_sel_hi:[0,0]
	v_pk_fma_f32 v[14:15], v[16:17], v[28:29], v[8:9] neg_lo:[0,0,1] neg_hi:[0,0,1]
	v_pk_fma_f32 v[8:9], v[16:17], v[28:29], v[8:9] op_sel_hi:[1,0,1]
	v_pk_add_f32 v[6:7], v[6:7], v[30:31]
	v_mov_b32_e32 v15, v9
	s_waitcnt vmcnt(2) lgkmcnt(1)
	v_pk_mul_f32 v[8:9], v[18:19], v[10:11] op_sel:[1,1] op_sel_hi:[0,1]
	v_pk_add_f32 v[6:7], v[6:7], v[14:15]
	v_pk_fma_f32 v[14:15], v[18:19], v[10:11], v[8:9] neg_lo:[0,0,1] neg_hi:[0,0,1]
	v_pk_fma_f32 v[8:9], v[18:19], v[10:11], v[8:9] op_sel_hi:[1,0,1]
	s_nop 0
	v_mov_b32_e32 v8, v13
	v_mov_b32_e32 v15, v9
	v_pk_mul_f32 v[8:9], v[20:21], v[8:9] op_sel:[1,0] op_sel_hi:[0,0]
	v_pk_fma_f32 v[10:11], v[20:21], v[12:13], v[8:9] neg_lo:[0,0,1] neg_hi:[0,0,1]
	v_pk_fma_f32 v[8:9], v[20:21], v[12:13], v[8:9] op_sel_hi:[1,0,1]
	v_pk_add_f32 v[6:7], v[6:7], v[14:15]
	v_mov_b32_e32 v11, v9
	s_waitcnt vmcnt(1) lgkmcnt(0)
	v_pk_mul_f32 v[8:9], v[22:23], v[2:3] op_sel:[1,1] op_sel_hi:[0,1]
	v_pk_add_f32 v[6:7], v[6:7], v[10:11]
	v_pk_fma_f32 v[10:11], v[22:23], v[2:3], v[8:9] neg_lo:[0,0,1] neg_hi:[0,0,1]
	v_pk_fma_f32 v[2:3], v[22:23], v[2:3], v[8:9] op_sel_hi:[1,0,1]
	s_nop 0
	v_mov_b32_e32 v11, v3
	v_pk_add_f32 v[2:3], v[6:7], v[10:11]
	v_mov_b32_e32 v6, v5
	v_pk_mul_f32 v[6:7], v[24:25], v[6:7] op_sel:[1,0] op_sel_hi:[0,0]
	v_pk_fma_f32 v[8:9], v[24:25], v[4:5], v[6:7] neg_lo:[0,0,1] neg_hi:[0,0,1]
	v_pk_fma_f32 v[4:5], v[24:25], v[4:5], v[6:7] op_sel_hi:[1,0,1]
	s_nop 0
	v_mov_b32_e32 v9, v5
	v_pk_add_f32 v[2:3], v[2:3], v[8:9]
	s_waitcnt vmcnt(0)
	v_pk_add_f32 v[2:3], v[84:85], v[2:3] neg_lo:[0,1] neg_hi:[0,1]
	scratch_store_dwordx2 off, v[2:3], off offset:152
	s_and_saveexec_b64 s[0:1], vcc
	s_cbranch_execz .LBB43_241
; %bb.240:
	scratch_load_dwordx2 v[2:3], off, off offset:144
	v_mov_b32_e32 v4, 0
	v_mov_b32_e32 v5, v4
	scratch_store_dwordx2 off, v[4:5], off offset:144
	s_waitcnt vmcnt(1)
	ds_write_b64 v1, v[2:3]
.LBB43_241:
	s_or_b64 exec, exec, s[0:1]
	s_waitcnt lgkmcnt(0)
	; wave barrier
	scratch_load_dwordx4 v[2:5], off, off offset:152
	scratch_load_dwordx4 v[22:25], off, off offset:168
	;; [unrolled: 1-line block ×12, first 2 shown]
	scratch_load_dwordx2 v[50:51], off, off offset:344
	scratch_load_dwordx2 v[56:57], off, off offset:144
	v_mov_b32_e32 v58, 0
	ds_read2_b64 v[52:55], v58 offset0:63 offset1:64
	ds_read2_b64 v[60:63], v58 offset0:65 offset1:66
	;; [unrolled: 1-line block ×10, first 2 shown]
	v_cmp_lt_u32_e32 vcc, 17, v0
	s_waitcnt vmcnt(13) lgkmcnt(9)
	v_mul_f32_e32 v59, v52, v3
	v_mul_f32_e32 v96, v54, v5
	;; [unrolled: 1-line block ×3, first 2 shown]
	s_waitcnt vmcnt(10) lgkmcnt(6)
	v_mul_f32_e32 v103, v68, v11
	v_mul_f32_e32 v11, v69, v11
	v_fmac_f32_e32 v59, v53, v2
	v_mul_f32_e32 v98, v60, v23
	v_mul_f32_e32 v5, v55, v5
	v_fmac_f32_e32 v96, v55, v4
	v_fmac_f32_e32 v103, v69, v10
	v_fma_f32 v2, v52, v2, -v3
	v_fma_f32 v10, v68, v10, -v11
	v_add_f32_e32 v11, 0, v59
	v_mul_f32_e32 v100, v62, v25
	v_fmac_f32_e32 v98, v61, v22
	v_fma_f32 v3, v54, v4, -v5
	v_add_f32_e32 v2, 0, v2
	v_add_f32_e32 v11, v11, v96
	v_mul_f32_e32 v101, v64, v39
	v_fmac_f32_e32 v100, v63, v24
	v_add_f32_e32 v2, v2, v3
	v_add_f32_e32 v3, v11, v98
	v_mul_f32_e32 v102, v66, v41
	v_fmac_f32_e32 v101, v65, v38
	v_add_f32_e32 v3, v3, v100
	v_fmac_f32_e32 v102, v67, v40
	v_add_f32_e32 v3, v3, v101
	v_mul_f32_e32 v104, v70, v13
	v_add_f32_e32 v3, v3, v102
	s_waitcnt vmcnt(9) lgkmcnt(5)
	v_mul_f32_e32 v105, v72, v15
	v_fmac_f32_e32 v104, v71, v12
	v_add_f32_e32 v3, v3, v103
	v_mul_f32_e32 v106, v74, v17
	v_fmac_f32_e32 v105, v73, v14
	v_add_f32_e32 v3, v3, v104
	s_waitcnt vmcnt(8) lgkmcnt(4)
	v_mul_f32_e32 v107, v76, v27
	v_fmac_f32_e32 v106, v75, v16
	v_add_f32_e32 v3, v3, v105
	v_mul_f32_e32 v108, v78, v29
	v_mul_f32_e32 v23, v61, v23
	v_fmac_f32_e32 v107, v77, v26
	v_add_f32_e32 v3, v3, v106
	s_waitcnt vmcnt(7) lgkmcnt(3)
	v_mul_f32_e32 v109, v80, v31
	v_mul_f32_e32 v25, v63, v25
	v_fmac_f32_e32 v108, v79, v28
	v_fma_f32 v4, v60, v22, -v23
	v_add_f32_e32 v3, v3, v107
	v_mul_f32_e32 v110, v82, v33
	v_mul_f32_e32 v39, v65, v39
	v_fmac_f32_e32 v109, v81, v30
	v_fma_f32 v5, v62, v24, -v25
	v_add_f32_e32 v2, v2, v4
	v_add_f32_e32 v3, v3, v108
	s_waitcnt vmcnt(6) lgkmcnt(2)
	v_mul_f32_e32 v111, v84, v43
	v_mul_f32_e32 v41, v67, v41
	v_fmac_f32_e32 v110, v83, v32
	v_fma_f32 v22, v64, v38, -v39
	v_add_f32_e32 v2, v2, v5
	v_add_f32_e32 v3, v3, v109
	v_fmac_f32_e32 v111, v85, v42
	v_fma_f32 v23, v66, v40, -v41
	v_add_f32_e32 v2, v2, v22
	v_add_f32_e32 v3, v3, v110
	;; [unrolled: 1-line block ×4, first 2 shown]
	v_mul_f32_e32 v3, v71, v13
	v_add_f32_e32 v2, v2, v10
	v_fma_f32 v3, v70, v12, -v3
	v_add_f32_e32 v2, v2, v3
	v_mul_f32_e32 v3, v73, v15
	v_fma_f32 v3, v72, v14, -v3
	v_add_f32_e32 v2, v2, v3
	v_mul_f32_e32 v3, v75, v17
	;; [unrolled: 3-line block ×7, first 2 shown]
	v_fma_f32 v3, v84, v42, -v3
	v_mul_f32_e32 v97, v86, v45
	v_add_f32_e32 v22, v2, v3
	v_mul_f32_e32 v2, v87, v45
	v_fmac_f32_e32 v97, v87, v44
	v_fma_f32 v96, v86, v44, -v2
	v_pk_add_f32 v[16:17], v[22:23], v[96:97]
	s_waitcnt vmcnt(5)
	v_mov_b32_e32 v22, v49
	s_waitcnt lgkmcnt(1)
	v_mul_f32_e32 v99, v88, v47
	v_mul_f32_e32 v2, v89, v47
	v_pk_mul_f32 v[22:23], v[90:91], v[22:23] op_sel:[1,0] op_sel_hi:[0,0]
	v_fmac_f32_e32 v99, v89, v46
	v_fma_f32 v98, v88, v46, -v2
	v_pk_fma_f32 v[24:25], v[90:91], v[48:49], v[22:23] neg_lo:[0,0,1] neg_hi:[0,0,1]
	v_pk_fma_f32 v[22:23], v[90:91], v[48:49], v[22:23] op_sel_hi:[1,0,1]
	v_pk_add_f32 v[16:17], v[16:17], v[98:99]
	v_mov_b32_e32 v25, v23
	s_waitcnt vmcnt(4) lgkmcnt(0)
	v_pk_mul_f32 v[22:23], v[92:93], v[34:35] op_sel:[1,1] op_sel_hi:[0,1]
	v_pk_add_f32 v[16:17], v[16:17], v[24:25]
	v_pk_fma_f32 v[24:25], v[92:93], v[34:35], v[22:23] neg_lo:[0,0,1] neg_hi:[0,0,1]
	v_pk_fma_f32 v[22:23], v[92:93], v[34:35], v[22:23] op_sel_hi:[1,0,1]
	ds_read2_b64 v[2:5], v58 offset0:83 offset1:84
	ds_read2_b64 v[10:13], v58 offset0:85 offset1:86
	ds_read_b64 v[14:15], v58 offset:696
	v_mov_b32_e32 v22, v37
	v_mov_b32_e32 v25, v23
	v_pk_mul_f32 v[22:23], v[94:95], v[22:23] op_sel:[1,0] op_sel_hi:[0,0]
	v_pk_add_f32 v[16:17], v[16:17], v[24:25]
	v_pk_fma_f32 v[24:25], v[94:95], v[36:37], v[22:23] neg_lo:[0,0,1] neg_hi:[0,0,1]
	v_pk_fma_f32 v[22:23], v[94:95], v[36:37], v[22:23] op_sel_hi:[1,0,1]
	s_nop 0
	v_mov_b32_e32 v25, v23
	s_waitcnt vmcnt(3) lgkmcnt(2)
	v_pk_mul_f32 v[22:23], v[2:3], v[18:19] op_sel:[1,1] op_sel_hi:[0,1]
	v_pk_add_f32 v[16:17], v[16:17], v[24:25]
	v_pk_fma_f32 v[24:25], v[2:3], v[18:19], v[22:23] neg_lo:[0,0,1] neg_hi:[0,0,1]
	v_pk_fma_f32 v[2:3], v[2:3], v[18:19], v[22:23] op_sel_hi:[1,0,1]
	s_nop 0
	v_mov_b32_e32 v25, v3
	v_pk_add_f32 v[2:3], v[16:17], v[24:25]
	v_mov_b32_e32 v16, v21
	v_pk_mul_f32 v[16:17], v[4:5], v[16:17] op_sel:[1,0] op_sel_hi:[0,0]
	v_pk_fma_f32 v[18:19], v[4:5], v[20:21], v[16:17] neg_lo:[0,0,1] neg_hi:[0,0,1]
	v_pk_fma_f32 v[4:5], v[4:5], v[20:21], v[16:17] op_sel_hi:[1,0,1]
	s_nop 0
	v_mov_b32_e32 v19, v5
	s_waitcnt vmcnt(2) lgkmcnt(1)
	v_pk_mul_f32 v[4:5], v[10:11], v[6:7] op_sel:[1,1] op_sel_hi:[0,1]
	v_pk_fma_f32 v[16:17], v[10:11], v[6:7], v[4:5] neg_lo:[0,0,1] neg_hi:[0,0,1]
	v_pk_fma_f32 v[4:5], v[10:11], v[6:7], v[4:5] op_sel_hi:[1,0,1]
	v_pk_add_f32 v[2:3], v[2:3], v[18:19]
	v_mov_b32_e32 v4, v9
	v_mov_b32_e32 v17, v5
	v_pk_mul_f32 v[4:5], v[12:13], v[4:5] op_sel:[1,0] op_sel_hi:[0,0]
	v_pk_fma_f32 v[6:7], v[12:13], v[8:9], v[4:5] neg_lo:[0,0,1] neg_hi:[0,0,1]
	v_pk_fma_f32 v[4:5], v[12:13], v[8:9], v[4:5] op_sel_hi:[1,0,1]
	v_pk_add_f32 v[2:3], v[2:3], v[16:17]
	v_mov_b32_e32 v7, v5
	s_waitcnt vmcnt(1) lgkmcnt(0)
	v_pk_mul_f32 v[4:5], v[14:15], v[50:51] op_sel:[1,1] op_sel_hi:[0,1]
	v_pk_add_f32 v[2:3], v[2:3], v[6:7]
	v_pk_fma_f32 v[6:7], v[14:15], v[50:51], v[4:5] neg_lo:[0,0,1] neg_hi:[0,0,1]
	v_pk_fma_f32 v[4:5], v[14:15], v[50:51], v[4:5] op_sel_hi:[1,0,1]
	s_nop 0
	v_mov_b32_e32 v7, v5
	v_pk_add_f32 v[2:3], v[2:3], v[6:7]
	s_waitcnt vmcnt(0)
	v_pk_add_f32 v[2:3], v[56:57], v[2:3] neg_lo:[0,1] neg_hi:[0,1]
	scratch_store_dwordx2 off, v[2:3], off offset:144
	s_and_saveexec_b64 s[0:1], vcc
	s_cbranch_execz .LBB43_243
; %bb.242:
	scratch_load_dwordx2 v[2:3], off, off offset:136
	v_mov_b32_e32 v59, v58
	scratch_store_dwordx2 off, v[58:59], off offset:136
	s_waitcnt vmcnt(1)
	ds_write_b64 v1, v[2:3]
.LBB43_243:
	s_or_b64 exec, exec, s[0:1]
	s_waitcnt lgkmcnt(0)
	; wave barrier
	scratch_load_dwordx4 v[10:13], off, off offset:144
	scratch_load_dwordx4 v[26:29], off, off offset:160
	;; [unrolled: 1-line block ×9, first 2 shown]
	ds_read_b128 v[60:63], v58 offset:496
	ds_read_b128 v[64:67], v58 offset:512
	ds_read_b128 v[68:71], v58 offset:528
	ds_read_b128 v[72:75], v58 offset:544
	ds_read_b128 v[76:79], v58 offset:560
	ds_read_b128 v[80:83], v58 offset:576
	ds_read_b128 v[84:87], v58 offset:592
	ds_read_b128 v[54:57], v58 offset:608
	scratch_load_dwordx4 v[50:53], off, off offset:288
	scratch_load_dwordx4 v[34:37], off, off offset:304
	;; [unrolled: 1-line block ×4, first 2 shown]
	ds_read_b128 v[88:91], v58 offset:624
	ds_read_b128 v[92:95], v58 offset:640
	scratch_load_dwordx2 v[96:97], off, off offset:136
	v_cmp_lt_u32_e32 vcc, 16, v0
	s_waitcnt vmcnt(13) lgkmcnt(9)
	v_mul_f32_e32 v59, v60, v11
	v_mul_f32_e32 v98, v62, v13
	v_fmac_f32_e32 v59, v61, v10
	s_waitcnt vmcnt(10) lgkmcnt(6)
	v_mul_f32_e32 v105, v72, v3
	v_mul_f32_e32 v3, v73, v3
	;; [unrolled: 1-line block ×3, first 2 shown]
	v_fmac_f32_e32 v98, v63, v12
	v_fmac_f32_e32 v105, v73, v2
	v_fma_f32 v2, v72, v2, -v3
	v_add_f32_e32 v3, 0, v59
	v_mul_f32_e32 v102, v66, v29
	v_fmac_f32_e32 v100, v65, v26
	v_add_f32_e32 v3, v3, v98
	v_mul_f32_e32 v103, v68, v43
	v_fmac_f32_e32 v102, v67, v28
	;; [unrolled: 3-line block ×3, first 2 shown]
	v_add_f32_e32 v3, v3, v102
	v_fmac_f32_e32 v104, v71, v44
	v_add_f32_e32 v3, v3, v103
	v_mul_f32_e32 v106, v74, v5
	v_add_f32_e32 v3, v3, v104
	s_waitcnt vmcnt(9) lgkmcnt(5)
	v_mul_f32_e32 v107, v76, v15
	v_fmac_f32_e32 v106, v75, v4
	v_add_f32_e32 v3, v3, v105
	v_mul_f32_e32 v108, v78, v17
	v_fmac_f32_e32 v107, v77, v14
	v_add_f32_e32 v3, v3, v106
	s_waitcnt vmcnt(8) lgkmcnt(4)
	v_mul_f32_e32 v109, v80, v19
	v_mul_f32_e32 v11, v61, v11
	v_fmac_f32_e32 v108, v79, v16
	v_add_f32_e32 v3, v3, v107
	v_mul_f32_e32 v110, v82, v21
	v_mul_f32_e32 v13, v63, v13
	v_fmac_f32_e32 v109, v81, v18
	v_fma_f32 v10, v60, v10, -v11
	v_add_f32_e32 v3, v3, v108
	s_waitcnt vmcnt(7) lgkmcnt(3)
	v_mul_f32_e32 v111, v84, v31
	v_mul_f32_e32 v27, v65, v27
	v_fmac_f32_e32 v110, v83, v20
	v_fma_f32 v11, v62, v12, -v13
	v_add_f32_e32 v10, 0, v10
	v_add_f32_e32 v3, v3, v109
	v_mul_f32_e32 v112, v86, v33
	v_mul_f32_e32 v29, v67, v29
	v_fmac_f32_e32 v111, v85, v30
	v_fma_f32 v12, v64, v26, -v27
	v_add_f32_e32 v10, v10, v11
	v_add_f32_e32 v3, v3, v110
	s_waitcnt vmcnt(6) lgkmcnt(2)
	v_mul_f32_e32 v113, v54, v39
	v_mul_f32_e32 v43, v69, v43
	v_fmac_f32_e32 v112, v87, v32
	v_fma_f32 v13, v66, v28, -v29
	v_add_f32_e32 v10, v10, v12
	v_add_f32_e32 v3, v3, v111
	v_mul_f32_e32 v114, v56, v41
	v_mul_f32_e32 v45, v71, v45
	v_fmac_f32_e32 v113, v55, v38
	v_fma_f32 v26, v68, v42, -v43
	v_add_f32_e32 v10, v10, v13
	v_add_f32_e32 v3, v3, v112
	v_fmac_f32_e32 v114, v57, v40
	v_fma_f32 v27, v70, v44, -v45
	v_add_f32_e32 v10, v10, v26
	v_add_f32_e32 v3, v3, v113
	v_add_f32_e32 v10, v10, v27
	v_add_f32_e32 v27, v3, v114
	v_mul_f32_e32 v3, v75, v5
	v_add_f32_e32 v2, v10, v2
	v_fma_f32 v3, v74, v4, -v3
	v_add_f32_e32 v2, v2, v3
	v_mul_f32_e32 v3, v77, v15
	v_fma_f32 v3, v76, v14, -v3
	v_add_f32_e32 v2, v2, v3
	v_mul_f32_e32 v3, v79, v17
	;; [unrolled: 3-line block ×8, first 2 shown]
	v_fma_f32 v3, v56, v40, -v3
	s_waitcnt vmcnt(5) lgkmcnt(1)
	v_mul_f32_e32 v99, v88, v47
	v_add_f32_e32 v26, v2, v3
	v_mul_f32_e32 v2, v89, v47
	v_fmac_f32_e32 v99, v89, v46
	v_fma_f32 v98, v88, v46, -v2
	s_waitcnt vmcnt(4) lgkmcnt(0)
	v_pk_mul_f32 v[20:21], v[92:93], v[50:51] op_sel:[1,1] op_sel_hi:[0,1]
	v_mul_f32_e32 v101, v90, v49
	v_mul_f32_e32 v2, v91, v49
	v_pk_add_f32 v[18:19], v[26:27], v[98:99]
	v_pk_fma_f32 v[26:27], v[92:93], v[50:51], v[20:21] neg_lo:[0,0,1] neg_hi:[0,0,1]
	v_pk_fma_f32 v[20:21], v[92:93], v[50:51], v[20:21] op_sel_hi:[1,0,1]
	v_fmac_f32_e32 v101, v91, v48
	v_fma_f32 v100, v90, v48, -v2
	ds_read_b128 v[2:5], v58 offset:656
	ds_read_b128 v[10:13], v58 offset:672
	;; [unrolled: 1-line block ×3, first 2 shown]
	v_mov_b32_e32 v20, v53
	v_pk_add_f32 v[18:19], v[18:19], v[100:101]
	v_mov_b32_e32 v27, v21
	v_pk_mul_f32 v[20:21], v[94:95], v[20:21] op_sel:[1,0] op_sel_hi:[0,0]
	v_pk_add_f32 v[18:19], v[18:19], v[26:27]
	v_pk_fma_f32 v[26:27], v[94:95], v[52:53], v[20:21] neg_lo:[0,0,1] neg_hi:[0,0,1]
	v_pk_fma_f32 v[20:21], v[94:95], v[52:53], v[20:21] op_sel_hi:[1,0,1]
	s_nop 0
	v_mov_b32_e32 v27, v21
	s_waitcnt vmcnt(3) lgkmcnt(2)
	v_pk_mul_f32 v[20:21], v[2:3], v[34:35] op_sel:[1,1] op_sel_hi:[0,1]
	v_pk_add_f32 v[18:19], v[18:19], v[26:27]
	v_pk_fma_f32 v[26:27], v[2:3], v[34:35], v[20:21] neg_lo:[0,0,1] neg_hi:[0,0,1]
	v_pk_fma_f32 v[2:3], v[2:3], v[34:35], v[20:21] op_sel_hi:[1,0,1]
	s_nop 0
	v_mov_b32_e32 v27, v3
	v_pk_add_f32 v[2:3], v[18:19], v[26:27]
	v_mov_b32_e32 v18, v37
	v_pk_mul_f32 v[18:19], v[4:5], v[18:19] op_sel:[1,0] op_sel_hi:[0,0]
	v_pk_fma_f32 v[20:21], v[4:5], v[36:37], v[18:19] neg_lo:[0,0,1] neg_hi:[0,0,1]
	v_pk_fma_f32 v[4:5], v[4:5], v[36:37], v[18:19] op_sel_hi:[1,0,1]
	s_nop 0
	v_mov_b32_e32 v21, v5
	s_waitcnt vmcnt(2) lgkmcnt(1)
	v_pk_mul_f32 v[4:5], v[10:11], v[22:23] op_sel:[1,1] op_sel_hi:[0,1]
	v_pk_fma_f32 v[18:19], v[10:11], v[22:23], v[4:5] neg_lo:[0,0,1] neg_hi:[0,0,1]
	v_pk_fma_f32 v[4:5], v[10:11], v[22:23], v[4:5] op_sel_hi:[1,0,1]
	v_pk_add_f32 v[2:3], v[2:3], v[20:21]
	v_mov_b32_e32 v4, v25
	v_mov_b32_e32 v19, v5
	v_pk_mul_f32 v[4:5], v[12:13], v[4:5] op_sel:[1,0] op_sel_hi:[0,0]
	v_pk_fma_f32 v[10:11], v[12:13], v[24:25], v[4:5] neg_lo:[0,0,1] neg_hi:[0,0,1]
	v_pk_fma_f32 v[4:5], v[12:13], v[24:25], v[4:5] op_sel_hi:[1,0,1]
	v_pk_add_f32 v[2:3], v[2:3], v[18:19]
	v_mov_b32_e32 v11, v5
	s_waitcnt vmcnt(1) lgkmcnt(0)
	v_pk_mul_f32 v[4:5], v[14:15], v[6:7] op_sel:[1,1] op_sel_hi:[0,1]
	v_pk_add_f32 v[2:3], v[2:3], v[10:11]
	v_pk_fma_f32 v[10:11], v[14:15], v[6:7], v[4:5] neg_lo:[0,0,1] neg_hi:[0,0,1]
	v_pk_fma_f32 v[4:5], v[14:15], v[6:7], v[4:5] op_sel_hi:[1,0,1]
	s_nop 0
	v_mov_b32_e32 v4, v9
	v_mov_b32_e32 v11, v5
	v_pk_mul_f32 v[4:5], v[16:17], v[4:5] op_sel:[1,0] op_sel_hi:[0,0]
	v_pk_fma_f32 v[6:7], v[16:17], v[8:9], v[4:5] neg_lo:[0,0,1] neg_hi:[0,0,1]
	v_pk_fma_f32 v[4:5], v[16:17], v[8:9], v[4:5] op_sel_hi:[1,0,1]
	v_pk_add_f32 v[2:3], v[2:3], v[10:11]
	v_mov_b32_e32 v7, v5
	v_pk_add_f32 v[2:3], v[2:3], v[6:7]
	s_waitcnt vmcnt(0)
	v_pk_add_f32 v[2:3], v[96:97], v[2:3] neg_lo:[0,1] neg_hi:[0,1]
	scratch_store_dwordx2 off, v[2:3], off offset:136
	s_and_saveexec_b64 s[0:1], vcc
	s_cbranch_execz .LBB43_245
; %bb.244:
	scratch_load_dwordx2 v[2:3], off, off offset:128
	v_mov_b32_e32 v4, 0
	v_mov_b32_e32 v5, v4
	scratch_store_dwordx2 off, v[4:5], off offset:128
	s_waitcnt vmcnt(1)
	ds_write_b64 v1, v[2:3]
.LBB43_245:
	s_or_b64 exec, exec, s[0:1]
	s_waitcnt lgkmcnt(0)
	; wave barrier
	scratch_load_dwordx4 v[10:13], off, off offset:136
	scratch_load_dwordx4 v[30:33], off, off offset:152
	;; [unrolled: 1-line block ×13, first 2 shown]
	scratch_load_dwordx2 v[54:55], off, off offset:344
	scratch_load_dwordx2 v[80:81], off, off offset:128
	v_mov_b32_e32 v82, 0
	ds_read2_b64 v[56:59], v82 offset0:61 offset1:62
	ds_read2_b64 v[60:63], v82 offset0:63 offset1:64
	;; [unrolled: 1-line block ×10, first 2 shown]
	v_cmp_lt_u32_e32 vcc, 15, v0
	s_waitcnt vmcnt(14) lgkmcnt(9)
	v_mul_f32_e32 v83, v56, v11
	v_mul_f32_e32 v100, v58, v13
	s_waitcnt vmcnt(12) lgkmcnt(7)
	v_mul_f32_e32 v105, v64, v3
	v_mul_f32_e32 v3, v65, v3
	v_fmac_f32_e32 v83, v57, v10
	v_mul_f32_e32 v102, v60, v31
	v_fmac_f32_e32 v100, v59, v12
	v_fmac_f32_e32 v105, v65, v2
	v_fma_f32 v2, v64, v2, -v3
	v_add_f32_e32 v3, 0, v83
	v_mul_f32_e32 v104, v62, v33
	v_fmac_f32_e32 v102, v61, v30
	v_add_f32_e32 v3, v3, v100
	v_fmac_f32_e32 v104, v63, v32
	v_add_f32_e32 v3, v3, v102
	v_mul_f32_e32 v106, v66, v5
	v_add_f32_e32 v3, v3, v104
	s_waitcnt vmcnt(11) lgkmcnt(6)
	v_mul_f32_e32 v107, v68, v7
	v_fmac_f32_e32 v106, v67, v4
	v_add_f32_e32 v3, v3, v105
	v_mul_f32_e32 v108, v70, v9
	v_fmac_f32_e32 v107, v69, v6
	v_add_f32_e32 v3, v3, v106
	s_waitcnt vmcnt(10) lgkmcnt(5)
	v_mul_f32_e32 v109, v72, v19
	v_fmac_f32_e32 v108, v71, v8
	v_add_f32_e32 v3, v3, v107
	v_mul_f32_e32 v110, v74, v21
	v_fmac_f32_e32 v109, v73, v18
	;; [unrolled: 7-line block ×3, first 2 shown]
	v_add_f32_e32 v3, v3, v110
	s_waitcnt vmcnt(8) lgkmcnt(3)
	v_mul_f32_e32 v113, v84, v35
	v_mul_f32_e32 v11, v57, v11
	v_fmac_f32_e32 v112, v79, v24
	v_add_f32_e32 v3, v3, v111
	v_mul_f32_e32 v114, v86, v37
	v_mul_f32_e32 v13, v59, v13
	v_fmac_f32_e32 v113, v85, v34
	v_fma_f32 v10, v56, v10, -v11
	v_add_f32_e32 v3, v3, v112
	s_waitcnt vmcnt(7) lgkmcnt(2)
	v_mul_f32_e32 v115, v88, v39
	v_mul_f32_e32 v31, v61, v31
	v_fmac_f32_e32 v114, v87, v36
	v_fma_f32 v11, v58, v12, -v13
	v_add_f32_e32 v10, 0, v10
	v_add_f32_e32 v3, v3, v113
	v_mul_f32_e32 v116, v90, v41
	v_mul_f32_e32 v33, v63, v33
	v_fmac_f32_e32 v115, v89, v38
	v_fma_f32 v12, v60, v30, -v31
	v_add_f32_e32 v10, v10, v11
	v_add_f32_e32 v3, v3, v114
	s_waitcnt vmcnt(6) lgkmcnt(1)
	v_mul_f32_e32 v117, v92, v51
	v_fmac_f32_e32 v116, v91, v40
	v_fma_f32 v13, v62, v32, -v33
	v_add_f32_e32 v10, v10, v12
	v_add_f32_e32 v3, v3, v115
	v_mul_f32_e32 v5, v67, v5
	v_fmac_f32_e32 v117, v93, v50
	v_add_f32_e32 v10, v10, v13
	v_add_f32_e32 v3, v3, v116
	v_add_f32_e32 v2, v10, v2
	v_add_f32_e32 v31, v3, v117
	v_fma_f32 v3, v66, v4, -v5
	v_add_f32_e32 v2, v2, v3
	v_mul_f32_e32 v3, v69, v7
	v_fma_f32 v3, v68, v6, -v3
	v_add_f32_e32 v2, v2, v3
	v_mul_f32_e32 v3, v71, v9
	;; [unrolled: 3-line block ×12, first 2 shown]
	v_mul_f32_e32 v101, v94, v53
	v_fma_f32 v100, v94, v52, -v2
	s_waitcnt vmcnt(5) lgkmcnt(0)
	v_mul_f32_e32 v2, v97, v47
	v_mov_b32_e32 v22, v49
	v_mul_f32_e32 v103, v96, v47
	v_fmac_f32_e32 v101, v95, v52
	v_fma_f32 v102, v96, v46, -v2
	ds_read2_b64 v[2:5], v82 offset0:81 offset1:82
	ds_read2_b64 v[6:9], v82 offset0:83 offset1:84
	;; [unrolled: 1-line block ×3, first 2 shown]
	ds_read_b64 v[18:19], v82 offset:696
	v_pk_mul_f32 v[22:23], v[98:99], v[22:23] op_sel:[1,0] op_sel_hi:[0,0]
	v_fmac_f32_e32 v103, v97, v46
	v_pk_add_f32 v[20:21], v[30:31], v[100:101]
	v_pk_fma_f32 v[24:25], v[98:99], v[48:49], v[22:23] neg_lo:[0,0,1] neg_hi:[0,0,1]
	v_pk_fma_f32 v[22:23], v[98:99], v[48:49], v[22:23] op_sel_hi:[1,0,1]
	v_pk_add_f32 v[20:21], v[20:21], v[102:103]
	v_mov_b32_e32 v25, v23
	s_waitcnt vmcnt(4) lgkmcnt(3)
	v_pk_mul_f32 v[22:23], v[2:3], v[42:43] op_sel:[1,1] op_sel_hi:[0,1]
	v_pk_add_f32 v[20:21], v[20:21], v[24:25]
	v_pk_fma_f32 v[24:25], v[2:3], v[42:43], v[22:23] neg_lo:[0,0,1] neg_hi:[0,0,1]
	v_pk_fma_f32 v[2:3], v[2:3], v[42:43], v[22:23] op_sel_hi:[1,0,1]
	s_nop 0
	v_mov_b32_e32 v25, v3
	v_pk_add_f32 v[2:3], v[20:21], v[24:25]
	v_mov_b32_e32 v20, v45
	v_pk_mul_f32 v[20:21], v[4:5], v[20:21] op_sel:[1,0] op_sel_hi:[0,0]
	v_pk_fma_f32 v[22:23], v[4:5], v[44:45], v[20:21] neg_lo:[0,0,1] neg_hi:[0,0,1]
	v_pk_fma_f32 v[4:5], v[4:5], v[44:45], v[20:21] op_sel_hi:[1,0,1]
	s_nop 0
	v_mov_b32_e32 v23, v5
	s_waitcnt vmcnt(3) lgkmcnt(2)
	v_pk_mul_f32 v[4:5], v[6:7], v[26:27] op_sel:[1,1] op_sel_hi:[0,1]
	v_pk_fma_f32 v[20:21], v[6:7], v[26:27], v[4:5] neg_lo:[0,0,1] neg_hi:[0,0,1]
	v_pk_fma_f32 v[4:5], v[6:7], v[26:27], v[4:5] op_sel_hi:[1,0,1]
	v_pk_add_f32 v[2:3], v[2:3], v[22:23]
	v_mov_b32_e32 v4, v29
	v_mov_b32_e32 v21, v5
	v_pk_mul_f32 v[4:5], v[8:9], v[4:5] op_sel:[1,0] op_sel_hi:[0,0]
	v_pk_fma_f32 v[6:7], v[8:9], v[28:29], v[4:5] neg_lo:[0,0,1] neg_hi:[0,0,1]
	v_pk_fma_f32 v[4:5], v[8:9], v[28:29], v[4:5] op_sel_hi:[1,0,1]
	v_pk_add_f32 v[2:3], v[2:3], v[20:21]
	v_mov_b32_e32 v7, v5
	s_waitcnt vmcnt(2) lgkmcnt(1)
	v_pk_mul_f32 v[4:5], v[10:11], v[14:15] op_sel:[1,1] op_sel_hi:[0,1]
	v_pk_add_f32 v[2:3], v[2:3], v[6:7]
	v_pk_fma_f32 v[6:7], v[10:11], v[14:15], v[4:5] neg_lo:[0,0,1] neg_hi:[0,0,1]
	v_pk_fma_f32 v[4:5], v[10:11], v[14:15], v[4:5] op_sel_hi:[1,0,1]
	s_nop 0
	v_mov_b32_e32 v4, v17
	v_mov_b32_e32 v7, v5
	v_pk_mul_f32 v[4:5], v[12:13], v[4:5] op_sel:[1,0] op_sel_hi:[0,0]
	v_pk_add_f32 v[2:3], v[2:3], v[6:7]
	v_pk_fma_f32 v[6:7], v[12:13], v[16:17], v[4:5] neg_lo:[0,0,1] neg_hi:[0,0,1]
	v_pk_fma_f32 v[4:5], v[12:13], v[16:17], v[4:5] op_sel_hi:[1,0,1]
	s_nop 0
	v_mov_b32_e32 v7, v5
	s_waitcnt vmcnt(1) lgkmcnt(0)
	v_pk_mul_f32 v[4:5], v[18:19], v[54:55] op_sel:[1,1] op_sel_hi:[0,1]
	v_pk_add_f32 v[2:3], v[2:3], v[6:7]
	v_pk_fma_f32 v[6:7], v[18:19], v[54:55], v[4:5] neg_lo:[0,0,1] neg_hi:[0,0,1]
	v_pk_fma_f32 v[4:5], v[18:19], v[54:55], v[4:5] op_sel_hi:[1,0,1]
	s_nop 0
	v_mov_b32_e32 v7, v5
	v_pk_add_f32 v[2:3], v[2:3], v[6:7]
	s_waitcnt vmcnt(0)
	v_pk_add_f32 v[2:3], v[80:81], v[2:3] neg_lo:[0,1] neg_hi:[0,1]
	scratch_store_dwordx2 off, v[2:3], off offset:128
	s_and_saveexec_b64 s[0:1], vcc
	s_cbranch_execz .LBB43_247
; %bb.246:
	scratch_load_dwordx2 v[2:3], off, off offset:120
	v_mov_b32_e32 v83, v82
	scratch_store_dwordx2 off, v[82:83], off offset:120
	s_waitcnt vmcnt(1)
	ds_write_b64 v1, v[2:3]
.LBB43_247:
	s_or_b64 exec, exec, s[0:1]
	s_waitcnt lgkmcnt(0)
	; wave barrier
	scratch_load_dwordx4 v[18:21], off, off offset:128
	scratch_load_dwordx4 v[34:37], off, off offset:144
	;; [unrolled: 1-line block ×10, first 2 shown]
	ds_read_b128 v[84:87], v82 offset:480
	ds_read_b128 v[88:91], v82 offset:496
	;; [unrolled: 1-line block ×10, first 2 shown]
	scratch_load_dwordx4 v[54:57], off, off offset:288
	scratch_load_dwordx4 v[46:49], off, off offset:304
	;; [unrolled: 1-line block ×4, first 2 shown]
	scratch_load_dwordx2 v[100:101], off, off offset:120
	v_cmp_lt_u32_e32 vcc, 14, v0
	s_waitcnt vmcnt(14) lgkmcnt(9)
	v_mul_f32_e32 v83, v84, v19
	v_mul_f32_e32 v102, v86, v21
	s_waitcnt vmcnt(12) lgkmcnt(7)
	v_mul_f32_e32 v107, v92, v3
	v_mul_f32_e32 v3, v93, v3
	v_fmac_f32_e32 v83, v85, v18
	v_mul_f32_e32 v104, v88, v35
	v_fmac_f32_e32 v102, v87, v20
	v_fmac_f32_e32 v107, v93, v2
	v_fma_f32 v2, v92, v2, -v3
	v_add_f32_e32 v3, 0, v83
	v_mul_f32_e32 v106, v90, v37
	v_fmac_f32_e32 v104, v89, v34
	v_add_f32_e32 v3, v3, v102
	v_fmac_f32_e32 v106, v91, v36
	v_add_f32_e32 v3, v3, v104
	v_mul_f32_e32 v108, v94, v5
	v_add_f32_e32 v3, v3, v106
	s_waitcnt vmcnt(11) lgkmcnt(6)
	v_mul_f32_e32 v109, v96, v7
	v_fmac_f32_e32 v108, v95, v4
	v_add_f32_e32 v3, v3, v107
	v_mul_f32_e32 v110, v98, v9
	v_fmac_f32_e32 v109, v97, v6
	v_add_f32_e32 v3, v3, v108
	s_waitcnt vmcnt(10) lgkmcnt(5)
	v_mul_f32_e32 v111, v78, v11
	v_fmac_f32_e32 v110, v99, v8
	v_add_f32_e32 v3, v3, v109
	v_mul_f32_e32 v112, v80, v13
	v_fmac_f32_e32 v111, v79, v10
	v_add_f32_e32 v3, v3, v110
	s_waitcnt vmcnt(9) lgkmcnt(4)
	v_mul_f32_e32 v113, v74, v23
	v_fmac_f32_e32 v112, v81, v12
	v_add_f32_e32 v3, v3, v111
	v_mul_f32_e32 v114, v76, v25
	v_fmac_f32_e32 v113, v75, v22
	v_add_f32_e32 v3, v3, v112
	s_waitcnt vmcnt(8) lgkmcnt(3)
	v_mul_f32_e32 v115, v70, v27
	v_fmac_f32_e32 v114, v77, v24
	v_add_f32_e32 v3, v3, v113
	v_mul_f32_e32 v116, v72, v29
	v_fmac_f32_e32 v115, v71, v26
	v_add_f32_e32 v3, v3, v114
	s_waitcnt vmcnt(7) lgkmcnt(2)
	v_mul_f32_e32 v117, v66, v39
	v_mul_f32_e32 v19, v85, v19
	v_fmac_f32_e32 v116, v73, v28
	v_add_f32_e32 v3, v3, v115
	v_mul_f32_e32 v118, v68, v41
	v_mul_f32_e32 v21, v87, v21
	v_fmac_f32_e32 v117, v67, v38
	v_fma_f32 v18, v84, v18, -v19
	v_add_f32_e32 v3, v3, v116
	s_waitcnt vmcnt(6) lgkmcnt(1)
	v_mul_f32_e32 v119, v62, v43
	v_mul_f32_e32 v35, v89, v35
	v_fmac_f32_e32 v118, v69, v40
	v_fma_f32 v19, v86, v20, -v21
	v_add_f32_e32 v18, 0, v18
	v_add_f32_e32 v3, v3, v117
	v_mul_f32_e32 v120, v64, v45
	v_mul_f32_e32 v37, v91, v37
	v_fmac_f32_e32 v119, v63, v42
	v_fma_f32 v20, v88, v34, -v35
	v_add_f32_e32 v18, v18, v19
	v_add_f32_e32 v3, v3, v118
	v_fmac_f32_e32 v120, v65, v44
	v_fma_f32 v21, v90, v36, -v37
	v_add_f32_e32 v18, v18, v20
	v_add_f32_e32 v3, v3, v119
	;; [unrolled: 1-line block ×4, first 2 shown]
	v_mul_f32_e32 v3, v95, v5
	v_add_f32_e32 v2, v18, v2
	v_fma_f32 v3, v94, v4, -v3
	v_add_f32_e32 v2, v2, v3
	v_mul_f32_e32 v3, v97, v7
	v_fma_f32 v3, v96, v6, -v3
	v_add_f32_e32 v2, v2, v3
	v_mul_f32_e32 v3, v99, v9
	;; [unrolled: 3-line block ×12, first 2 shown]
	v_fma_f32 v3, v64, v44, -v3
	v_add_f32_e32 v34, v2, v3
	s_waitcnt vmcnt(5) lgkmcnt(0)
	v_mul_f32_e32 v2, v59, v51
	v_fma_f32 v102, v58, v50, -v2
	v_mul_f32_e32 v2, v61, v53
	v_fma_f32 v104, v60, v52, -v2
	ds_read_b128 v[2:5], v82 offset:640
	ds_read_b128 v[6:9], v82 offset:656
	;; [unrolled: 1-line block ×4, first 2 shown]
	v_mul_f32_e32 v103, v58, v51
	v_mul_f32_e32 v105, v60, v53
	v_fmac_f32_e32 v103, v59, v50
	s_waitcnt vmcnt(4) lgkmcnt(3)
	v_pk_mul_f32 v[24:25], v[2:3], v[54:55] op_sel:[1,1] op_sel_hi:[0,1]
	v_fmac_f32_e32 v105, v61, v52
	v_pk_add_f32 v[22:23], v[34:35], v[102:103]
	v_pk_fma_f32 v[26:27], v[2:3], v[54:55], v[24:25] neg_lo:[0,0,1] neg_hi:[0,0,1]
	v_pk_fma_f32 v[2:3], v[2:3], v[54:55], v[24:25] op_sel_hi:[1,0,1]
	v_pk_add_f32 v[22:23], v[22:23], v[104:105]
	v_mov_b32_e32 v27, v3
	v_pk_add_f32 v[2:3], v[22:23], v[26:27]
	v_mov_b32_e32 v22, v57
	v_pk_mul_f32 v[22:23], v[4:5], v[22:23] op_sel:[1,0] op_sel_hi:[0,0]
	v_pk_fma_f32 v[24:25], v[4:5], v[56:57], v[22:23] neg_lo:[0,0,1] neg_hi:[0,0,1]
	v_pk_fma_f32 v[4:5], v[4:5], v[56:57], v[22:23] op_sel_hi:[1,0,1]
	s_nop 0
	v_mov_b32_e32 v25, v5
	s_waitcnt vmcnt(3) lgkmcnt(2)
	v_pk_mul_f32 v[4:5], v[6:7], v[46:47] op_sel:[1,1] op_sel_hi:[0,1]
	v_pk_fma_f32 v[22:23], v[6:7], v[46:47], v[4:5] neg_lo:[0,0,1] neg_hi:[0,0,1]
	v_pk_fma_f32 v[4:5], v[6:7], v[46:47], v[4:5] op_sel_hi:[1,0,1]
	v_pk_add_f32 v[2:3], v[2:3], v[24:25]
	v_mov_b32_e32 v4, v49
	v_mov_b32_e32 v23, v5
	v_pk_mul_f32 v[4:5], v[8:9], v[4:5] op_sel:[1,0] op_sel_hi:[0,0]
	v_pk_fma_f32 v[6:7], v[8:9], v[48:49], v[4:5] neg_lo:[0,0,1] neg_hi:[0,0,1]
	v_pk_fma_f32 v[4:5], v[8:9], v[48:49], v[4:5] op_sel_hi:[1,0,1]
	v_pk_add_f32 v[2:3], v[2:3], v[22:23]
	v_mov_b32_e32 v7, v5
	s_waitcnt vmcnt(2) lgkmcnt(1)
	v_pk_mul_f32 v[4:5], v[10:11], v[30:31] op_sel:[1,1] op_sel_hi:[0,1]
	v_pk_add_f32 v[2:3], v[2:3], v[6:7]
	v_pk_fma_f32 v[6:7], v[10:11], v[30:31], v[4:5] neg_lo:[0,0,1] neg_hi:[0,0,1]
	v_pk_fma_f32 v[4:5], v[10:11], v[30:31], v[4:5] op_sel_hi:[1,0,1]
	s_nop 0
	v_mov_b32_e32 v4, v33
	v_mov_b32_e32 v7, v5
	v_pk_mul_f32 v[4:5], v[12:13], v[4:5] op_sel:[1,0] op_sel_hi:[0,0]
	v_pk_add_f32 v[2:3], v[2:3], v[6:7]
	v_pk_fma_f32 v[6:7], v[12:13], v[32:33], v[4:5] neg_lo:[0,0,1] neg_hi:[0,0,1]
	v_pk_fma_f32 v[4:5], v[12:13], v[32:33], v[4:5] op_sel_hi:[1,0,1]
	s_nop 0
	v_mov_b32_e32 v7, v5
	s_waitcnt vmcnt(1) lgkmcnt(0)
	v_pk_mul_f32 v[4:5], v[18:19], v[14:15] op_sel:[1,1] op_sel_hi:[0,1]
	v_pk_add_f32 v[2:3], v[2:3], v[6:7]
	v_pk_fma_f32 v[6:7], v[18:19], v[14:15], v[4:5] neg_lo:[0,0,1] neg_hi:[0,0,1]
	v_pk_fma_f32 v[4:5], v[18:19], v[14:15], v[4:5] op_sel_hi:[1,0,1]
	s_nop 0
	v_mov_b32_e32 v4, v17
	v_mov_b32_e32 v7, v5
	v_pk_mul_f32 v[4:5], v[20:21], v[4:5] op_sel:[1,0] op_sel_hi:[0,0]
	v_pk_add_f32 v[2:3], v[2:3], v[6:7]
	v_pk_fma_f32 v[6:7], v[20:21], v[16:17], v[4:5] neg_lo:[0,0,1] neg_hi:[0,0,1]
	v_pk_fma_f32 v[4:5], v[20:21], v[16:17], v[4:5] op_sel_hi:[1,0,1]
	s_nop 0
	v_mov_b32_e32 v7, v5
	v_pk_add_f32 v[2:3], v[2:3], v[6:7]
	s_waitcnt vmcnt(0)
	v_pk_add_f32 v[2:3], v[100:101], v[2:3] neg_lo:[0,1] neg_hi:[0,1]
	scratch_store_dwordx2 off, v[2:3], off offset:120
	s_and_saveexec_b64 s[0:1], vcc
	s_cbranch_execz .LBB43_249
; %bb.248:
	scratch_load_dwordx2 v[2:3], off, off offset:112
	v_mov_b32_e32 v4, 0
	v_mov_b32_e32 v5, v4
	scratch_store_dwordx2 off, v[4:5], off offset:112
	s_waitcnt vmcnt(1)
	ds_write_b64 v1, v[2:3]
.LBB43_249:
	s_or_b64 exec, exec, s[0:1]
	s_waitcnt lgkmcnt(0)
	; wave barrier
	scratch_load_dwordx4 v[18:21], off, off offset:120
	scratch_load_dwordx4 v[2:5], off, off offset:136
	;; [unrolled: 1-line block ×14, first 2 shown]
	scratch_load_dwordx2 v[58:59], off, off offset:344
	scratch_load_dwordx2 v[100:101], off, off offset:112
	v_mov_b32_e32 v102, 0
	ds_read2_b64 v[60:63], v102 offset0:59 offset1:60
	ds_read2_b64 v[64:67], v102 offset0:61 offset1:62
	;; [unrolled: 1-line block ×12, first 2 shown]
	v_cmp_lt_u32_e32 vcc, 13, v0
	s_waitcnt vmcnt(15) lgkmcnt(11)
	v_mul_f32_e32 v103, v60, v19
	v_mul_f32_e32 v112, v62, v21
	s_waitcnt vmcnt(14) lgkmcnt(10)
	v_mul_f32_e32 v114, v64, v3
	v_mul_f32_e32 v3, v65, v3
	v_fmac_f32_e32 v103, v61, v18
	v_fmac_f32_e32 v112, v63, v20
	;; [unrolled: 1-line block ×3, first 2 shown]
	v_fma_f32 v2, v64, v2, -v3
	v_add_f32_e32 v3, 0, v103
	v_mul_f32_e32 v116, v66, v5
	v_add_f32_e32 v3, v3, v112
	s_waitcnt vmcnt(13) lgkmcnt(9)
	v_mul_f32_e32 v117, v68, v7
	v_fmac_f32_e32 v116, v67, v4
	v_add_f32_e32 v3, v3, v114
	v_mul_f32_e32 v118, v70, v9
	v_fmac_f32_e32 v117, v69, v6
	v_add_f32_e32 v3, v3, v116
	s_waitcnt vmcnt(12) lgkmcnt(8)
	v_mul_f32_e32 v119, v72, v11
	v_fmac_f32_e32 v118, v71, v8
	v_add_f32_e32 v3, v3, v117
	v_mul_f32_e32 v120, v74, v13
	v_fmac_f32_e32 v119, v73, v10
	;; [unrolled: 7-line block ×6, first 2 shown]
	v_add_f32_e32 v3, v3, v214
	s_waitcnt vmcnt(7) lgkmcnt(3)
	v_mul_f32_e32 v217, v92, v43
	v_fmac_f32_e32 v216, v91, v40
	v_add_f32_e32 v3, v3, v215
	v_mul_f32_e32 v218, v94, v45
	v_mul_f32_e32 v19, v61, v19
	v_fmac_f32_e32 v217, v93, v42
	v_add_f32_e32 v3, v3, v216
	s_waitcnt vmcnt(6) lgkmcnt(2)
	v_mul_f32_e32 v219, v96, v51
	v_mul_f32_e32 v21, v63, v21
	v_fmac_f32_e32 v218, v95, v44
	v_fma_f32 v18, v60, v18, -v19
	v_add_f32_e32 v3, v3, v217
	v_fmac_f32_e32 v219, v97, v50
	v_fma_f32 v19, v62, v20, -v21
	v_add_f32_e32 v18, 0, v18
	v_add_f32_e32 v3, v3, v218
	;; [unrolled: 1-line block ×4, first 2 shown]
	v_mul_f32_e32 v3, v67, v5
	v_add_f32_e32 v2, v18, v2
	v_fma_f32 v3, v66, v4, -v3
	v_add_f32_e32 v2, v2, v3
	v_mul_f32_e32 v3, v69, v7
	v_fma_f32 v3, v68, v6, -v3
	v_add_f32_e32 v2, v2, v3
	v_mul_f32_e32 v3, v71, v9
	v_fma_f32 v3, v70, v8, -v3
	v_add_f32_e32 v2, v2, v3
	v_mul_f32_e32 v3, v73, v11
	v_fma_f32 v3, v72, v10, -v3
	v_add_f32_e32 v2, v2, v3
	v_mul_f32_e32 v3, v75, v13
	v_fma_f32 v3, v74, v12, -v3
	v_add_f32_e32 v2, v2, v3
	v_mul_f32_e32 v3, v77, v15
	v_fma_f32 v3, v76, v14, -v3
	v_add_f32_e32 v2, v2, v3
	v_mul_f32_e32 v3, v79, v17
	v_fma_f32 v3, v78, v16, -v3
	v_add_f32_e32 v2, v2, v3
	v_mul_f32_e32 v3, v81, v27
	v_fma_f32 v3, v80, v26, -v3
	v_add_f32_e32 v2, v2, v3
	v_mul_f32_e32 v3, v83, v29
	v_fma_f32 v3, v82, v28, -v3
	v_add_f32_e32 v2, v2, v3
	v_mul_f32_e32 v3, v85, v31
	v_fma_f32 v3, v84, v30, -v3
	v_add_f32_e32 v2, v2, v3
	v_mul_f32_e32 v3, v87, v33
	v_fma_f32 v3, v86, v32, -v3
	v_add_f32_e32 v2, v2, v3
	v_mul_f32_e32 v3, v89, v39
	v_fma_f32 v3, v88, v38, -v3
	v_add_f32_e32 v2, v2, v3
	v_mul_f32_e32 v3, v91, v41
	v_fma_f32 v3, v90, v40, -v3
	v_add_f32_e32 v2, v2, v3
	v_mul_f32_e32 v3, v93, v43
	v_fma_f32 v3, v92, v42, -v3
	v_add_f32_e32 v2, v2, v3
	v_mul_f32_e32 v3, v95, v45
	v_fma_f32 v3, v94, v44, -v3
	v_add_f32_e32 v2, v2, v3
	v_mul_f32_e32 v3, v97, v51
	v_fma_f32 v3, v96, v50, -v3
	v_mul_f32_e32 v113, v98, v53
	v_add_f32_e32 v18, v2, v3
	v_mul_f32_e32 v2, v99, v53
	s_waitcnt vmcnt(5)
	v_mov_b32_e32 v14, v57
	s_waitcnt lgkmcnt(1)
	v_mul_f32_e32 v115, v104, v55
	v_fmac_f32_e32 v113, v99, v52
	v_fma_f32 v112, v98, v52, -v2
	v_mul_f32_e32 v2, v105, v55
	v_pk_mul_f32 v[14:15], v[106:107], v[14:15] op_sel:[1,0] op_sel_hi:[0,0]
	v_fmac_f32_e32 v115, v105, v54
	v_fma_f32 v114, v104, v54, -v2
	v_pk_add_f32 v[12:13], v[18:19], v[112:113]
	v_pk_fma_f32 v[16:17], v[106:107], v[56:57], v[14:15] neg_lo:[0,0,1] neg_hi:[0,0,1]
	v_pk_fma_f32 v[14:15], v[106:107], v[56:57], v[14:15] op_sel_hi:[1,0,1]
	v_pk_add_f32 v[12:13], v[12:13], v[114:115]
	v_mov_b32_e32 v17, v15
	s_waitcnt vmcnt(4) lgkmcnt(0)
	v_pk_mul_f32 v[14:15], v[108:109], v[46:47] op_sel:[1,1] op_sel_hi:[0,1]
	v_pk_add_f32 v[12:13], v[12:13], v[16:17]
	v_pk_fma_f32 v[16:17], v[108:109], v[46:47], v[14:15] neg_lo:[0,0,1] neg_hi:[0,0,1]
	v_pk_fma_f32 v[14:15], v[108:109], v[46:47], v[14:15] op_sel_hi:[1,0,1]
	ds_read2_b64 v[2:5], v102 offset0:83 offset1:84
	ds_read2_b64 v[6:9], v102 offset0:85 offset1:86
	ds_read_b64 v[10:11], v102 offset:696
	v_mov_b32_e32 v14, v49
	v_mov_b32_e32 v17, v15
	v_pk_mul_f32 v[14:15], v[110:111], v[14:15] op_sel:[1,0] op_sel_hi:[0,0]
	v_pk_add_f32 v[12:13], v[12:13], v[16:17]
	v_pk_fma_f32 v[16:17], v[110:111], v[48:49], v[14:15] neg_lo:[0,0,1] neg_hi:[0,0,1]
	v_pk_fma_f32 v[14:15], v[110:111], v[48:49], v[14:15] op_sel_hi:[1,0,1]
	s_nop 0
	v_mov_b32_e32 v17, v15
	s_waitcnt vmcnt(3) lgkmcnt(2)
	v_pk_mul_f32 v[14:15], v[2:3], v[34:35] op_sel:[1,1] op_sel_hi:[0,1]
	v_pk_add_f32 v[12:13], v[12:13], v[16:17]
	v_pk_fma_f32 v[16:17], v[2:3], v[34:35], v[14:15] neg_lo:[0,0,1] neg_hi:[0,0,1]
	v_pk_fma_f32 v[2:3], v[2:3], v[34:35], v[14:15] op_sel_hi:[1,0,1]
	s_nop 0
	v_mov_b32_e32 v17, v3
	v_pk_add_f32 v[2:3], v[12:13], v[16:17]
	v_mov_b32_e32 v12, v37
	v_pk_mul_f32 v[12:13], v[4:5], v[12:13] op_sel:[1,0] op_sel_hi:[0,0]
	v_pk_fma_f32 v[14:15], v[4:5], v[36:37], v[12:13] neg_lo:[0,0,1] neg_hi:[0,0,1]
	v_pk_fma_f32 v[4:5], v[4:5], v[36:37], v[12:13] op_sel_hi:[1,0,1]
	s_nop 0
	v_mov_b32_e32 v15, v5
	s_waitcnt vmcnt(2) lgkmcnt(1)
	v_pk_mul_f32 v[4:5], v[6:7], v[22:23] op_sel:[1,1] op_sel_hi:[0,1]
	v_pk_fma_f32 v[12:13], v[6:7], v[22:23], v[4:5] neg_lo:[0,0,1] neg_hi:[0,0,1]
	v_pk_fma_f32 v[4:5], v[6:7], v[22:23], v[4:5] op_sel_hi:[1,0,1]
	v_pk_add_f32 v[2:3], v[2:3], v[14:15]
	v_mov_b32_e32 v4, v25
	v_mov_b32_e32 v13, v5
	v_pk_mul_f32 v[4:5], v[8:9], v[4:5] op_sel:[1,0] op_sel_hi:[0,0]
	v_pk_fma_f32 v[6:7], v[8:9], v[24:25], v[4:5] neg_lo:[0,0,1] neg_hi:[0,0,1]
	v_pk_fma_f32 v[4:5], v[8:9], v[24:25], v[4:5] op_sel_hi:[1,0,1]
	v_pk_add_f32 v[2:3], v[2:3], v[12:13]
	v_mov_b32_e32 v7, v5
	s_waitcnt vmcnt(1) lgkmcnt(0)
	v_pk_mul_f32 v[4:5], v[10:11], v[58:59] op_sel:[1,1] op_sel_hi:[0,1]
	v_pk_add_f32 v[2:3], v[2:3], v[6:7]
	v_pk_fma_f32 v[6:7], v[10:11], v[58:59], v[4:5] neg_lo:[0,0,1] neg_hi:[0,0,1]
	v_pk_fma_f32 v[4:5], v[10:11], v[58:59], v[4:5] op_sel_hi:[1,0,1]
	s_nop 0
	v_mov_b32_e32 v7, v5
	v_pk_add_f32 v[2:3], v[2:3], v[6:7]
	s_waitcnt vmcnt(0)
	v_pk_add_f32 v[2:3], v[100:101], v[2:3] neg_lo:[0,1] neg_hi:[0,1]
	scratch_store_dwordx2 off, v[2:3], off offset:112
	s_and_saveexec_b64 s[0:1], vcc
	s_cbranch_execz .LBB43_251
; %bb.250:
	scratch_load_dwordx2 v[2:3], off, off offset:104
	v_mov_b32_e32 v103, v102
	scratch_store_dwordx2 off, v[102:103], off offset:104
	s_waitcnt vmcnt(1)
	ds_write_b64 v1, v[2:3]
.LBB43_251:
	s_or_b64 exec, exec, s[0:1]
	s_waitcnt lgkmcnt(0)
	; wave barrier
	scratch_load_dwordx4 v[22:25], off, off offset:112
	scratch_load_dwordx4 v[2:5], off, off offset:128
	scratch_load_dwordx4 v[6:9], off, off offset:144
	scratch_load_dwordx4 v[10:13], off, off offset:160
	scratch_load_dwordx4 v[14:17], off, off offset:176
	scratch_load_dwordx4 v[18:21], off, off offset:192
	scratch_load_dwordx4 v[30:33], off, off offset:208
	scratch_load_dwordx4 v[34:37], off, off offset:224
	scratch_load_dwordx4 v[42:45], off, off offset:240
	scratch_load_dwordx4 v[46:49], off, off offset:256
	scratch_load_dwordx4 v[54:57], off, off offset:272
	ds_read_b128 v[104:107], v102 offset:464
	ds_read_b128 v[98:101], v102 offset:480
	;; [unrolled: 1-line block ×10, first 2 shown]
	scratch_load_dwordx4 v[58:61], off, off offset:288
	scratch_load_dwordx4 v[50:53], off, off offset:304
	;; [unrolled: 1-line block ×4, first 2 shown]
	ds_read_b128 v[78:81], v102 offset:624
	ds_read_b128 v[108:111], v102 offset:640
	scratch_load_dwordx2 v[112:113], off, off offset:104
	v_cmp_lt_u32_e32 vcc, 12, v0
	s_waitcnt vmcnt(15) lgkmcnt(11)
	v_mul_f32_e32 v103, v104, v23
	v_mul_f32_e32 v114, v106, v25
	s_waitcnt vmcnt(14) lgkmcnt(10)
	v_mul_f32_e32 v116, v98, v3
	v_mul_f32_e32 v3, v99, v3
	v_fmac_f32_e32 v103, v105, v22
	v_fmac_f32_e32 v114, v107, v24
	;; [unrolled: 1-line block ×3, first 2 shown]
	v_fma_f32 v2, v98, v2, -v3
	v_add_f32_e32 v3, 0, v103
	v_mul_f32_e32 v118, v100, v5
	v_add_f32_e32 v3, v3, v114
	s_waitcnt vmcnt(13) lgkmcnt(9)
	v_mul_f32_e32 v119, v94, v7
	v_fmac_f32_e32 v118, v101, v4
	v_add_f32_e32 v3, v3, v116
	v_mul_f32_e32 v120, v96, v9
	v_fmac_f32_e32 v119, v95, v6
	v_add_f32_e32 v3, v3, v118
	s_waitcnt vmcnt(12) lgkmcnt(8)
	v_mul_f32_e32 v121, v90, v11
	v_fmac_f32_e32 v120, v97, v8
	v_add_f32_e32 v3, v3, v119
	v_mul_f32_e32 v122, v92, v13
	v_fmac_f32_e32 v121, v91, v10
	v_add_f32_e32 v3, v3, v120
	s_waitcnt vmcnt(11) lgkmcnt(7)
	v_mul_f32_e32 v123, v86, v15
	v_fmac_f32_e32 v122, v93, v12
	v_add_f32_e32 v3, v3, v121
	v_mul_f32_e32 v124, v88, v17
	v_fmac_f32_e32 v123, v87, v14
	v_add_f32_e32 v3, v3, v122
	s_waitcnt vmcnt(10) lgkmcnt(6)
	v_mul_f32_e32 v125, v82, v19
	v_fmac_f32_e32 v124, v89, v16
	v_add_f32_e32 v3, v3, v123
	v_mul_f32_e32 v214, v84, v21
	v_fmac_f32_e32 v125, v83, v18
	v_add_f32_e32 v3, v3, v124
	s_waitcnt vmcnt(9) lgkmcnt(5)
	v_mul_f32_e32 v215, v74, v31
	v_fmac_f32_e32 v214, v85, v20
	v_add_f32_e32 v3, v3, v125
	v_mul_f32_e32 v216, v76, v33
	v_fmac_f32_e32 v215, v75, v30
	v_add_f32_e32 v3, v3, v214
	s_waitcnt vmcnt(8) lgkmcnt(4)
	v_mul_f32_e32 v217, v70, v35
	v_fmac_f32_e32 v216, v77, v32
	v_add_f32_e32 v3, v3, v215
	v_mul_f32_e32 v218, v72, v37
	v_fmac_f32_e32 v217, v71, v34
	v_add_f32_e32 v3, v3, v216
	s_waitcnt vmcnt(7) lgkmcnt(3)
	v_mul_f32_e32 v219, v66, v43
	v_fmac_f32_e32 v218, v73, v36
	v_add_f32_e32 v3, v3, v217
	v_mul_f32_e32 v220, v68, v45
	v_fmac_f32_e32 v219, v67, v42
	v_add_f32_e32 v3, v3, v218
	s_waitcnt vmcnt(6) lgkmcnt(2)
	v_mul_f32_e32 v221, v62, v47
	v_mul_f32_e32 v23, v105, v23
	v_fmac_f32_e32 v220, v69, v44
	v_add_f32_e32 v3, v3, v219
	v_mul_f32_e32 v222, v64, v49
	v_mul_f32_e32 v25, v107, v25
	v_fmac_f32_e32 v221, v63, v46
	v_fma_f32 v22, v104, v22, -v23
	v_add_f32_e32 v3, v3, v220
	v_fmac_f32_e32 v222, v65, v48
	v_fma_f32 v23, v106, v24, -v25
	v_add_f32_e32 v22, 0, v22
	v_add_f32_e32 v3, v3, v221
	;; [unrolled: 1-line block ×4, first 2 shown]
	v_mul_f32_e32 v3, v101, v5
	v_add_f32_e32 v2, v22, v2
	v_fma_f32 v3, v100, v4, -v3
	v_add_f32_e32 v2, v2, v3
	v_mul_f32_e32 v3, v95, v7
	v_fma_f32 v3, v94, v6, -v3
	v_add_f32_e32 v2, v2, v3
	v_mul_f32_e32 v3, v97, v9
	;; [unrolled: 3-line block ×16, first 2 shown]
	v_fma_f32 v3, v64, v48, -v3
	s_waitcnt vmcnt(5) lgkmcnt(1)
	v_mul_f32_e32 v115, v78, v55
	v_add_f32_e32 v22, v2, v3
	v_mul_f32_e32 v2, v79, v55
	s_waitcnt vmcnt(4) lgkmcnt(0)
	v_pk_mul_f32 v[16:17], v[108:109], v[58:59] op_sel:[1,1] op_sel_hi:[0,1]
	v_mul_f32_e32 v117, v80, v57
	v_fmac_f32_e32 v115, v79, v54
	v_fma_f32 v114, v78, v54, -v2
	v_mul_f32_e32 v2, v81, v57
	v_pk_fma_f32 v[18:19], v[108:109], v[58:59], v[16:17] neg_lo:[0,0,1] neg_hi:[0,0,1]
	v_pk_fma_f32 v[16:17], v[108:109], v[58:59], v[16:17] op_sel_hi:[1,0,1]
	v_fmac_f32_e32 v117, v81, v56
	v_fma_f32 v116, v80, v56, -v2
	ds_read_b128 v[2:5], v102 offset:656
	ds_read_b128 v[6:9], v102 offset:672
	;; [unrolled: 1-line block ×3, first 2 shown]
	v_pk_add_f32 v[14:15], v[22:23], v[114:115]
	v_mov_b32_e32 v16, v61
	v_pk_add_f32 v[14:15], v[14:15], v[116:117]
	v_mov_b32_e32 v19, v17
	v_pk_mul_f32 v[16:17], v[110:111], v[16:17] op_sel:[1,0] op_sel_hi:[0,0]
	v_pk_add_f32 v[14:15], v[14:15], v[18:19]
	v_pk_fma_f32 v[18:19], v[110:111], v[60:61], v[16:17] neg_lo:[0,0,1] neg_hi:[0,0,1]
	v_pk_fma_f32 v[16:17], v[110:111], v[60:61], v[16:17] op_sel_hi:[1,0,1]
	s_nop 0
	v_mov_b32_e32 v19, v17
	s_waitcnt vmcnt(3) lgkmcnt(2)
	v_pk_mul_f32 v[16:17], v[2:3], v[50:51] op_sel:[1,1] op_sel_hi:[0,1]
	v_pk_add_f32 v[14:15], v[14:15], v[18:19]
	v_pk_fma_f32 v[18:19], v[2:3], v[50:51], v[16:17] neg_lo:[0,0,1] neg_hi:[0,0,1]
	v_pk_fma_f32 v[2:3], v[2:3], v[50:51], v[16:17] op_sel_hi:[1,0,1]
	s_nop 0
	v_mov_b32_e32 v19, v3
	v_pk_add_f32 v[2:3], v[14:15], v[18:19]
	v_mov_b32_e32 v14, v53
	v_pk_mul_f32 v[14:15], v[4:5], v[14:15] op_sel:[1,0] op_sel_hi:[0,0]
	v_pk_fma_f32 v[16:17], v[4:5], v[52:53], v[14:15] neg_lo:[0,0,1] neg_hi:[0,0,1]
	v_pk_fma_f32 v[4:5], v[4:5], v[52:53], v[14:15] op_sel_hi:[1,0,1]
	s_nop 0
	v_mov_b32_e32 v17, v5
	s_waitcnt vmcnt(2) lgkmcnt(1)
	v_pk_mul_f32 v[4:5], v[6:7], v[38:39] op_sel:[1,1] op_sel_hi:[0,1]
	v_pk_fma_f32 v[14:15], v[6:7], v[38:39], v[4:5] neg_lo:[0,0,1] neg_hi:[0,0,1]
	v_pk_fma_f32 v[4:5], v[6:7], v[38:39], v[4:5] op_sel_hi:[1,0,1]
	v_pk_add_f32 v[2:3], v[2:3], v[16:17]
	v_mov_b32_e32 v4, v41
	v_mov_b32_e32 v15, v5
	v_pk_mul_f32 v[4:5], v[8:9], v[4:5] op_sel:[1,0] op_sel_hi:[0,0]
	v_pk_fma_f32 v[6:7], v[8:9], v[40:41], v[4:5] neg_lo:[0,0,1] neg_hi:[0,0,1]
	v_pk_fma_f32 v[4:5], v[8:9], v[40:41], v[4:5] op_sel_hi:[1,0,1]
	v_pk_add_f32 v[2:3], v[2:3], v[14:15]
	v_mov_b32_e32 v7, v5
	s_waitcnt vmcnt(1) lgkmcnt(0)
	v_pk_mul_f32 v[4:5], v[10:11], v[26:27] op_sel:[1,1] op_sel_hi:[0,1]
	v_pk_add_f32 v[2:3], v[2:3], v[6:7]
	v_pk_fma_f32 v[6:7], v[10:11], v[26:27], v[4:5] neg_lo:[0,0,1] neg_hi:[0,0,1]
	v_pk_fma_f32 v[4:5], v[10:11], v[26:27], v[4:5] op_sel_hi:[1,0,1]
	s_nop 0
	v_mov_b32_e32 v4, v29
	v_mov_b32_e32 v7, v5
	v_pk_mul_f32 v[4:5], v[12:13], v[4:5] op_sel:[1,0] op_sel_hi:[0,0]
	v_pk_add_f32 v[2:3], v[2:3], v[6:7]
	v_pk_fma_f32 v[6:7], v[12:13], v[28:29], v[4:5] neg_lo:[0,0,1] neg_hi:[0,0,1]
	v_pk_fma_f32 v[4:5], v[12:13], v[28:29], v[4:5] op_sel_hi:[1,0,1]
	s_nop 0
	v_mov_b32_e32 v7, v5
	v_pk_add_f32 v[2:3], v[2:3], v[6:7]
	s_waitcnt vmcnt(0)
	v_pk_add_f32 v[2:3], v[112:113], v[2:3] neg_lo:[0,1] neg_hi:[0,1]
	scratch_store_dwordx2 off, v[2:3], off offset:104
	s_and_saveexec_b64 s[0:1], vcc
	s_cbranch_execz .LBB43_253
; %bb.252:
	scratch_load_dwordx2 v[2:3], off, off offset:96
	v_mov_b32_e32 v4, 0
	v_mov_b32_e32 v5, v4
	scratch_store_dwordx2 off, v[4:5], off offset:96
	s_waitcnt vmcnt(1)
	ds_write_b64 v1, v[2:3]
.LBB43_253:
	s_or_b64 exec, exec, s[0:1]
	s_waitcnt lgkmcnt(0)
	; wave barrier
	scratch_load_dwordx4 v[2:5], off, off offset:104
	scratch_load_dwordx4 v[6:9], off, off offset:120
	scratch_load_dwordx4 v[10:13], off, off offset:136
	scratch_load_dwordx4 v[14:17], off, off offset:152
	scratch_load_dwordx4 v[18:21], off, off offset:168
	scratch_load_dwordx4 v[22:25], off, off offset:184
	scratch_load_dwordx4 v[30:33], off, off offset:200
	scratch_load_dwordx4 v[34:37], off, off offset:216
	scratch_load_dwordx4 v[42:45], off, off offset:232
	scratch_load_dwordx4 v[46:49], off, off offset:248
	scratch_load_dwordx4 v[58:61], off, off offset:264
	scratch_load_dwordx4 v[54:57], off, off offset:280
	scratch_load_dwordx4 v[50:53], off, off offset:296
	scratch_load_dwordx4 v[38:41], off, off offset:312
	scratch_load_dwordx4 v[26:29], off, off offset:328
	scratch_load_dwordx2 v[62:63], off, off offset:344
	scratch_load_dwordx2 v[112:113], off, off offset:96
	v_mov_b32_e32 v114, 0
	ds_read2_b64 v[64:67], v114 offset0:57 offset1:58
	ds_read2_b64 v[68:71], v114 offset0:59 offset1:60
	;; [unrolled: 1-line block ×12, first 2 shown]
	v_cmp_lt_u32_e32 vcc, 11, v0
	s_waitcnt vmcnt(16) lgkmcnt(11)
	v_mul_f32_e32 v115, v64, v3
	v_mul_f32_e32 v116, v66, v5
	;; [unrolled: 1-line block ×3, first 2 shown]
	v_fmac_f32_e32 v115, v65, v2
	s_waitcnt vmcnt(15) lgkmcnt(10)
	v_mul_f32_e32 v118, v68, v7
	v_fmac_f32_e32 v116, v67, v4
	v_fma_f32 v2, v64, v2, -v3
	v_add_f32_e32 v3, 0, v115
	v_mul_f32_e32 v120, v70, v9
	v_fmac_f32_e32 v118, v69, v6
	v_add_f32_e32 v3, v3, v116
	s_waitcnt vmcnt(14) lgkmcnt(9)
	v_mul_f32_e32 v121, v72, v11
	v_fmac_f32_e32 v120, v71, v8
	v_add_f32_e32 v3, v3, v118
	v_mul_f32_e32 v122, v74, v13
	v_fmac_f32_e32 v121, v73, v10
	v_add_f32_e32 v3, v3, v120
	s_waitcnt vmcnt(13) lgkmcnt(8)
	v_mul_f32_e32 v123, v76, v15
	v_fmac_f32_e32 v122, v75, v12
	;; [unrolled: 7-line block ×9, first 2 shown]
	v_add_f32_e32 v3, v3, v223
	v_mul_f32_e32 v5, v67, v5
	v_fmac_f32_e32 v225, v105, v58
	v_add_f32_e32 v3, v3, v224
	v_add_f32_e32 v2, 0, v2
	;; [unrolled: 1-line block ×3, first 2 shown]
	v_fma_f32 v3, v66, v4, -v5
	v_add_f32_e32 v2, v2, v3
	v_mul_f32_e32 v3, v69, v7
	v_fma_f32 v3, v68, v6, -v3
	v_add_f32_e32 v2, v2, v3
	v_mul_f32_e32 v3, v71, v9
	v_fma_f32 v3, v70, v8, -v3
	v_add_f32_e32 v2, v2, v3
	v_mul_f32_e32 v3, v73, v11
	v_fma_f32 v3, v72, v10, -v3
	v_add_f32_e32 v2, v2, v3
	v_mul_f32_e32 v3, v75, v13
	v_fma_f32 v3, v74, v12, -v3
	v_add_f32_e32 v2, v2, v3
	v_mul_f32_e32 v3, v77, v15
	v_fma_f32 v3, v76, v14, -v3
	v_add_f32_e32 v2, v2, v3
	v_mul_f32_e32 v3, v79, v17
	v_fma_f32 v3, v78, v16, -v3
	v_add_f32_e32 v2, v2, v3
	v_mul_f32_e32 v3, v81, v19
	v_fma_f32 v3, v80, v18, -v3
	v_add_f32_e32 v2, v2, v3
	v_mul_f32_e32 v3, v83, v21
	v_fma_f32 v3, v82, v20, -v3
	v_add_f32_e32 v2, v2, v3
	v_mul_f32_e32 v3, v85, v23
	v_fma_f32 v3, v84, v22, -v3
	v_add_f32_e32 v2, v2, v3
	v_mul_f32_e32 v3, v87, v25
	v_fma_f32 v3, v86, v24, -v3
	v_add_f32_e32 v2, v2, v3
	v_mul_f32_e32 v3, v89, v31
	v_fma_f32 v3, v88, v30, -v3
	v_add_f32_e32 v2, v2, v3
	v_mul_f32_e32 v3, v91, v33
	v_fma_f32 v3, v90, v32, -v3
	v_add_f32_e32 v2, v2, v3
	v_mul_f32_e32 v3, v93, v35
	v_fma_f32 v3, v92, v34, -v3
	v_add_f32_e32 v2, v2, v3
	v_mul_f32_e32 v3, v95, v37
	v_fma_f32 v3, v94, v36, -v3
	v_add_f32_e32 v2, v2, v3
	v_mul_f32_e32 v3, v97, v43
	v_fma_f32 v3, v96, v42, -v3
	v_add_f32_e32 v2, v2, v3
	v_mul_f32_e32 v3, v99, v45
	v_fma_f32 v3, v98, v44, -v3
	v_add_f32_e32 v2, v2, v3
	v_mul_f32_e32 v3, v101, v47
	v_fma_f32 v3, v100, v46, -v3
	v_add_f32_e32 v2, v2, v3
	v_mul_f32_e32 v3, v103, v49
	v_fma_f32 v3, v102, v48, -v3
	v_add_f32_e32 v2, v2, v3
	v_mul_f32_e32 v3, v105, v59
	v_fma_f32 v3, v104, v58, -v3
	v_add_f32_e32 v64, v2, v3
	v_mul_f32_e32 v2, v107, v61
	v_mul_f32_e32 v117, v106, v61
	v_fma_f32 v116, v106, v60, -v2
	s_waitcnt vmcnt(5) lgkmcnt(0)
	v_mul_f32_e32 v2, v109, v55
	v_mov_b32_e32 v18, v57
	v_mul_f32_e32 v119, v108, v55
	v_fmac_f32_e32 v117, v107, v60
	v_fma_f32 v118, v108, v54, -v2
	ds_read2_b64 v[2:5], v114 offset0:81 offset1:82
	ds_read2_b64 v[6:9], v114 offset0:83 offset1:84
	;; [unrolled: 1-line block ×3, first 2 shown]
	ds_read_b64 v[14:15], v114 offset:696
	v_pk_mul_f32 v[18:19], v[110:111], v[18:19] op_sel:[1,0] op_sel_hi:[0,0]
	v_fmac_f32_e32 v119, v109, v54
	v_pk_add_f32 v[16:17], v[64:65], v[116:117]
	v_pk_fma_f32 v[20:21], v[110:111], v[56:57], v[18:19] neg_lo:[0,0,1] neg_hi:[0,0,1]
	v_pk_fma_f32 v[18:19], v[110:111], v[56:57], v[18:19] op_sel_hi:[1,0,1]
	v_pk_add_f32 v[16:17], v[16:17], v[118:119]
	v_mov_b32_e32 v21, v19
	s_waitcnt vmcnt(4) lgkmcnt(3)
	v_pk_mul_f32 v[18:19], v[2:3], v[50:51] op_sel:[1,1] op_sel_hi:[0,1]
	v_pk_add_f32 v[16:17], v[16:17], v[20:21]
	v_pk_fma_f32 v[20:21], v[2:3], v[50:51], v[18:19] neg_lo:[0,0,1] neg_hi:[0,0,1]
	v_pk_fma_f32 v[2:3], v[2:3], v[50:51], v[18:19] op_sel_hi:[1,0,1]
	s_nop 0
	v_mov_b32_e32 v21, v3
	v_pk_add_f32 v[2:3], v[16:17], v[20:21]
	v_mov_b32_e32 v16, v53
	v_pk_mul_f32 v[16:17], v[4:5], v[16:17] op_sel:[1,0] op_sel_hi:[0,0]
	v_pk_fma_f32 v[18:19], v[4:5], v[52:53], v[16:17] neg_lo:[0,0,1] neg_hi:[0,0,1]
	v_pk_fma_f32 v[4:5], v[4:5], v[52:53], v[16:17] op_sel_hi:[1,0,1]
	s_nop 0
	v_mov_b32_e32 v19, v5
	s_waitcnt vmcnt(3) lgkmcnt(2)
	v_pk_mul_f32 v[4:5], v[6:7], v[38:39] op_sel:[1,1] op_sel_hi:[0,1]
	v_pk_fma_f32 v[16:17], v[6:7], v[38:39], v[4:5] neg_lo:[0,0,1] neg_hi:[0,0,1]
	v_pk_fma_f32 v[4:5], v[6:7], v[38:39], v[4:5] op_sel_hi:[1,0,1]
	v_pk_add_f32 v[2:3], v[2:3], v[18:19]
	v_mov_b32_e32 v4, v41
	v_mov_b32_e32 v17, v5
	v_pk_mul_f32 v[4:5], v[8:9], v[4:5] op_sel:[1,0] op_sel_hi:[0,0]
	v_pk_fma_f32 v[6:7], v[8:9], v[40:41], v[4:5] neg_lo:[0,0,1] neg_hi:[0,0,1]
	v_pk_fma_f32 v[4:5], v[8:9], v[40:41], v[4:5] op_sel_hi:[1,0,1]
	v_pk_add_f32 v[2:3], v[2:3], v[16:17]
	v_mov_b32_e32 v7, v5
	s_waitcnt vmcnt(2) lgkmcnt(1)
	v_pk_mul_f32 v[4:5], v[10:11], v[26:27] op_sel:[1,1] op_sel_hi:[0,1]
	v_pk_add_f32 v[2:3], v[2:3], v[6:7]
	v_pk_fma_f32 v[6:7], v[10:11], v[26:27], v[4:5] neg_lo:[0,0,1] neg_hi:[0,0,1]
	v_pk_fma_f32 v[4:5], v[10:11], v[26:27], v[4:5] op_sel_hi:[1,0,1]
	s_nop 0
	v_mov_b32_e32 v4, v29
	v_mov_b32_e32 v7, v5
	v_pk_mul_f32 v[4:5], v[12:13], v[4:5] op_sel:[1,0] op_sel_hi:[0,0]
	v_pk_add_f32 v[2:3], v[2:3], v[6:7]
	v_pk_fma_f32 v[6:7], v[12:13], v[28:29], v[4:5] neg_lo:[0,0,1] neg_hi:[0,0,1]
	v_pk_fma_f32 v[4:5], v[12:13], v[28:29], v[4:5] op_sel_hi:[1,0,1]
	s_nop 0
	v_mov_b32_e32 v7, v5
	s_waitcnt vmcnt(1) lgkmcnt(0)
	v_pk_mul_f32 v[4:5], v[14:15], v[62:63] op_sel:[1,1] op_sel_hi:[0,1]
	v_pk_add_f32 v[2:3], v[2:3], v[6:7]
	v_pk_fma_f32 v[6:7], v[14:15], v[62:63], v[4:5] neg_lo:[0,0,1] neg_hi:[0,0,1]
	v_pk_fma_f32 v[4:5], v[14:15], v[62:63], v[4:5] op_sel_hi:[1,0,1]
	s_nop 0
	v_mov_b32_e32 v7, v5
	v_pk_add_f32 v[2:3], v[2:3], v[6:7]
	s_waitcnt vmcnt(0)
	v_pk_add_f32 v[2:3], v[112:113], v[2:3] neg_lo:[0,1] neg_hi:[0,1]
	scratch_store_dwordx2 off, v[2:3], off offset:96
	s_and_saveexec_b64 s[0:1], vcc
	s_cbranch_execz .LBB43_255
; %bb.254:
	scratch_load_dwordx2 v[2:3], off, off offset:88
	v_mov_b32_e32 v115, v114
	scratch_store_dwordx2 off, v[114:115], off offset:88
	s_waitcnt vmcnt(1)
	ds_write_b64 v1, v[2:3]
.LBB43_255:
	s_or_b64 exec, exec, s[0:1]
	s_waitcnt lgkmcnt(0)
	; wave barrier
	scratch_load_dwordx4 v[2:5], off, off offset:96
	scratch_load_dwordx4 v[6:9], off, off offset:112
	;; [unrolled: 1-line block ×12, first 2 shown]
	ds_read_b128 v[110:113], v114 offset:448
	ds_read_b128 v[106:109], v114 offset:464
	;; [unrolled: 1-line block ×12, first 2 shown]
	scratch_load_dwordx4 v[62:65], off, off offset:288
	scratch_load_dwordx4 v[54:57], off, off offset:304
	;; [unrolled: 1-line block ×4, first 2 shown]
	scratch_load_dwordx2 v[116:117], off, off offset:88
	v_cmp_lt_u32_e32 vcc, 10, v0
	s_waitcnt vmcnt(16) lgkmcnt(11)
	v_mul_f32_e32 v115, v110, v3
	v_mul_f32_e32 v118, v112, v5
	;; [unrolled: 1-line block ×3, first 2 shown]
	v_fmac_f32_e32 v115, v111, v2
	s_waitcnt vmcnt(15) lgkmcnt(10)
	v_mul_f32_e32 v120, v106, v7
	v_fmac_f32_e32 v118, v113, v4
	v_fma_f32 v2, v110, v2, -v3
	v_add_f32_e32 v3, 0, v115
	v_mul_f32_e32 v122, v108, v9
	v_fmac_f32_e32 v120, v107, v6
	v_add_f32_e32 v3, v3, v118
	s_waitcnt vmcnt(14) lgkmcnt(9)
	v_mul_f32_e32 v123, v102, v11
	v_fmac_f32_e32 v122, v109, v8
	v_add_f32_e32 v3, v3, v120
	v_mul_f32_e32 v124, v104, v13
	v_fmac_f32_e32 v123, v103, v10
	v_add_f32_e32 v3, v3, v122
	s_waitcnt vmcnt(13) lgkmcnt(8)
	v_mul_f32_e32 v125, v98, v15
	v_fmac_f32_e32 v124, v105, v12
	v_add_f32_e32 v3, v3, v123
	v_mul_f32_e32 v214, v100, v17
	v_fmac_f32_e32 v125, v99, v14
	v_add_f32_e32 v3, v3, v124
	s_waitcnt vmcnt(12) lgkmcnt(7)
	v_mul_f32_e32 v215, v94, v19
	v_fmac_f32_e32 v214, v101, v16
	v_add_f32_e32 v3, v3, v125
	v_mul_f32_e32 v216, v96, v21
	v_fmac_f32_e32 v215, v95, v18
	v_add_f32_e32 v3, v3, v214
	s_waitcnt vmcnt(11) lgkmcnt(6)
	v_mul_f32_e32 v217, v90, v23
	v_fmac_f32_e32 v216, v97, v20
	v_add_f32_e32 v3, v3, v215
	v_mul_f32_e32 v218, v92, v25
	v_fmac_f32_e32 v217, v91, v22
	v_add_f32_e32 v3, v3, v216
	s_waitcnt vmcnt(10) lgkmcnt(5)
	v_mul_f32_e32 v219, v86, v27
	v_fmac_f32_e32 v218, v93, v24
	v_add_f32_e32 v3, v3, v217
	v_mul_f32_e32 v220, v88, v29
	v_fmac_f32_e32 v219, v87, v26
	v_add_f32_e32 v3, v3, v218
	s_waitcnt vmcnt(9) lgkmcnt(4)
	v_mul_f32_e32 v221, v82, v31
	v_fmac_f32_e32 v220, v89, v28
	v_add_f32_e32 v3, v3, v219
	v_mul_f32_e32 v222, v84, v33
	v_fmac_f32_e32 v221, v83, v30
	v_add_f32_e32 v3, v3, v220
	s_waitcnt vmcnt(8) lgkmcnt(3)
	v_mul_f32_e32 v223, v78, v39
	v_fmac_f32_e32 v222, v85, v32
	v_add_f32_e32 v3, v3, v221
	v_mul_f32_e32 v224, v80, v41
	v_fmac_f32_e32 v223, v79, v38
	v_add_f32_e32 v3, v3, v222
	s_waitcnt vmcnt(7) lgkmcnt(2)
	v_mul_f32_e32 v225, v74, v47
	v_fmac_f32_e32 v224, v81, v40
	v_add_f32_e32 v3, v3, v223
	v_mul_f32_e32 v226, v76, v49
	v_fmac_f32_e32 v225, v75, v46
	v_add_f32_e32 v3, v3, v224
	s_waitcnt vmcnt(6) lgkmcnt(1)
	v_mul_f32_e32 v227, v70, v51
	v_fmac_f32_e32 v226, v77, v48
	v_add_f32_e32 v3, v3, v225
	v_mul_f32_e32 v228, v72, v53
	v_fmac_f32_e32 v227, v71, v50
	v_add_f32_e32 v3, v3, v226
	v_fmac_f32_e32 v228, v73, v52
	v_add_f32_e32 v3, v3, v227
	v_add_f32_e32 v111, v3, v228
	v_mul_f32_e32 v3, v113, v5
	v_add_f32_e32 v2, 0, v2
	v_fma_f32 v3, v112, v4, -v3
	v_add_f32_e32 v2, v2, v3
	v_mul_f32_e32 v3, v107, v7
	v_fma_f32 v3, v106, v6, -v3
	v_add_f32_e32 v2, v2, v3
	v_mul_f32_e32 v3, v109, v9
	;; [unrolled: 3-line block ×20, first 2 shown]
	v_fma_f32 v3, v72, v52, -v3
	v_add_f32_e32 v110, v2, v3
	s_waitcnt vmcnt(5) lgkmcnt(0)
	v_mul_f32_e32 v2, v67, v59
	v_fma_f32 v118, v66, v58, -v2
	v_mul_f32_e32 v2, v69, v61
	v_fma_f32 v120, v68, v60, -v2
	ds_read_b128 v[2:5], v114 offset:640
	ds_read_b128 v[6:9], v114 offset:656
	;; [unrolled: 1-line block ×4, first 2 shown]
	v_mul_f32_e32 v119, v66, v59
	v_mul_f32_e32 v121, v68, v61
	v_fmac_f32_e32 v119, v67, v58
	s_waitcnt vmcnt(4) lgkmcnt(3)
	v_pk_mul_f32 v[20:21], v[2:3], v[62:63] op_sel:[1,1] op_sel_hi:[0,1]
	v_fmac_f32_e32 v121, v69, v60
	v_pk_add_f32 v[18:19], v[110:111], v[118:119]
	v_pk_fma_f32 v[22:23], v[2:3], v[62:63], v[20:21] neg_lo:[0,0,1] neg_hi:[0,0,1]
	v_pk_fma_f32 v[2:3], v[2:3], v[62:63], v[20:21] op_sel_hi:[1,0,1]
	v_pk_add_f32 v[18:19], v[18:19], v[120:121]
	v_mov_b32_e32 v23, v3
	v_pk_add_f32 v[2:3], v[18:19], v[22:23]
	v_mov_b32_e32 v18, v65
	v_pk_mul_f32 v[18:19], v[4:5], v[18:19] op_sel:[1,0] op_sel_hi:[0,0]
	v_pk_fma_f32 v[20:21], v[4:5], v[64:65], v[18:19] neg_lo:[0,0,1] neg_hi:[0,0,1]
	v_pk_fma_f32 v[4:5], v[4:5], v[64:65], v[18:19] op_sel_hi:[1,0,1]
	s_nop 0
	v_mov_b32_e32 v21, v5
	s_waitcnt vmcnt(3) lgkmcnt(2)
	v_pk_mul_f32 v[4:5], v[6:7], v[54:55] op_sel:[1,1] op_sel_hi:[0,1]
	v_pk_fma_f32 v[18:19], v[6:7], v[54:55], v[4:5] neg_lo:[0,0,1] neg_hi:[0,0,1]
	v_pk_fma_f32 v[4:5], v[6:7], v[54:55], v[4:5] op_sel_hi:[1,0,1]
	v_pk_add_f32 v[2:3], v[2:3], v[20:21]
	v_mov_b32_e32 v4, v57
	v_mov_b32_e32 v19, v5
	v_pk_mul_f32 v[4:5], v[8:9], v[4:5] op_sel:[1,0] op_sel_hi:[0,0]
	v_pk_fma_f32 v[6:7], v[8:9], v[56:57], v[4:5] neg_lo:[0,0,1] neg_hi:[0,0,1]
	v_pk_fma_f32 v[4:5], v[8:9], v[56:57], v[4:5] op_sel_hi:[1,0,1]
	v_pk_add_f32 v[2:3], v[2:3], v[18:19]
	v_mov_b32_e32 v7, v5
	s_waitcnt vmcnt(2) lgkmcnt(1)
	v_pk_mul_f32 v[4:5], v[10:11], v[42:43] op_sel:[1,1] op_sel_hi:[0,1]
	v_pk_add_f32 v[2:3], v[2:3], v[6:7]
	v_pk_fma_f32 v[6:7], v[10:11], v[42:43], v[4:5] neg_lo:[0,0,1] neg_hi:[0,0,1]
	v_pk_fma_f32 v[4:5], v[10:11], v[42:43], v[4:5] op_sel_hi:[1,0,1]
	s_nop 0
	v_mov_b32_e32 v4, v45
	v_mov_b32_e32 v7, v5
	v_pk_mul_f32 v[4:5], v[12:13], v[4:5] op_sel:[1,0] op_sel_hi:[0,0]
	v_pk_add_f32 v[2:3], v[2:3], v[6:7]
	v_pk_fma_f32 v[6:7], v[12:13], v[44:45], v[4:5] neg_lo:[0,0,1] neg_hi:[0,0,1]
	v_pk_fma_f32 v[4:5], v[12:13], v[44:45], v[4:5] op_sel_hi:[1,0,1]
	s_nop 0
	v_mov_b32_e32 v7, v5
	s_waitcnt vmcnt(1) lgkmcnt(0)
	v_pk_mul_f32 v[4:5], v[14:15], v[34:35] op_sel:[1,1] op_sel_hi:[0,1]
	v_pk_add_f32 v[2:3], v[2:3], v[6:7]
	v_pk_fma_f32 v[6:7], v[14:15], v[34:35], v[4:5] neg_lo:[0,0,1] neg_hi:[0,0,1]
	v_pk_fma_f32 v[4:5], v[14:15], v[34:35], v[4:5] op_sel_hi:[1,0,1]
	s_nop 0
	v_mov_b32_e32 v4, v37
	v_mov_b32_e32 v7, v5
	v_pk_mul_f32 v[4:5], v[16:17], v[4:5] op_sel:[1,0] op_sel_hi:[0,0]
	v_pk_add_f32 v[2:3], v[2:3], v[6:7]
	v_pk_fma_f32 v[6:7], v[16:17], v[36:37], v[4:5] neg_lo:[0,0,1] neg_hi:[0,0,1]
	v_pk_fma_f32 v[4:5], v[16:17], v[36:37], v[4:5] op_sel_hi:[1,0,1]
	s_nop 0
	v_mov_b32_e32 v7, v5
	v_pk_add_f32 v[2:3], v[2:3], v[6:7]
	s_waitcnt vmcnt(0)
	v_pk_add_f32 v[2:3], v[116:117], v[2:3] neg_lo:[0,1] neg_hi:[0,1]
	scratch_store_dwordx2 off, v[2:3], off offset:88
	s_and_saveexec_b64 s[0:1], vcc
	s_cbranch_execz .LBB43_257
; %bb.256:
	scratch_load_dwordx2 v[2:3], off, off offset:80
	v_mov_b32_e32 v4, 0
	v_mov_b32_e32 v5, v4
	scratch_store_dwordx2 off, v[4:5], off offset:80
	s_waitcnt vmcnt(1)
	ds_write_b64 v1, v[2:3]
.LBB43_257:
	s_or_b64 exec, exec, s[0:1]
	s_waitcnt lgkmcnt(0)
	; wave barrier
	scratch_load_dwordx4 v[2:5], off, off offset:88
	scratch_load_dwordx4 v[6:9], off, off offset:104
	;; [unrolled: 1-line block ×13, first 2 shown]
	v_mov_b32_e32 v106, 0
	scratch_load_dwordx2 v[124:125], off, off offset:80
	ds_read2_b64 v[54:57], v106 offset0:55 offset1:56
	ds_read2_b64 v[58:61], v106 offset0:57 offset1:58
	;; [unrolled: 1-line block ×14, first 2 shown]
	v_cmp_lt_u32_e32 vcc, 9, v0
	s_waitcnt vmcnt(13) lgkmcnt(13)
	v_mul_f32_e32 v107, v54, v3
	v_mul_f32_e32 v112, v56, v5
	v_fmac_f32_e32 v107, v55, v2
	s_waitcnt vmcnt(12) lgkmcnt(12)
	v_mul_f32_e32 v113, v58, v7
	v_fmac_f32_e32 v112, v57, v4
	v_add_f32_e32 v107, 0, v107
	v_mul_f32_e32 v114, v60, v9
	v_fmac_f32_e32 v113, v59, v6
	v_add_f32_e32 v107, v107, v112
	s_waitcnt vmcnt(11) lgkmcnt(11)
	v_mul_f32_e32 v115, v62, v11
	v_fmac_f32_e32 v114, v61, v8
	v_add_f32_e32 v107, v107, v113
	v_mul_f32_e32 v116, v64, v13
	v_fmac_f32_e32 v115, v63, v10
	v_add_f32_e32 v107, v107, v114
	;; [unrolled: 7-line block ×8, first 2 shown]
	s_waitcnt vmcnt(4) lgkmcnt(4)
	v_mul_f32_e32 v221, v90, v39
	v_fmac_f32_e32 v220, v89, v36
	v_add_f32_e32 v107, v107, v219
	v_fmac_f32_e32 v221, v91, v38
	v_add_f32_e32 v107, v107, v220
	v_add_f32_e32 v107, v107, v221
	scratch_load_dwordx4 v[112:115], off, off offset:296
	scratch_load_dwordx4 v[116:119], off, off offset:312
	;; [unrolled: 1-line block ×3, first 2 shown]
	scratch_load_dwordx2 v[220:221], off, off offset:344
	v_mul_f32_e32 v3, v55, v3
	v_fma_f32 v2, v54, v2, -v3
	v_mul_f32_e32 v3, v57, v5
	v_add_f32_e32 v2, 0, v2
	v_fma_f32 v3, v56, v4, -v3
	v_add_f32_e32 v2, v2, v3
	v_mul_f32_e32 v3, v59, v7
	v_fma_f32 v3, v58, v6, -v3
	v_add_f32_e32 v2, v2, v3
	v_mul_f32_e32 v3, v61, v9
	;; [unrolled: 3-line block ×18, first 2 shown]
	v_fma_f32 v3, v92, v40, -v3
	v_add_f32_e32 v2, v2, v3
	s_waitcnt vmcnt(7) lgkmcnt(3)
	v_mul_f32_e32 v3, v95, v43
	v_fma_f32 v3, v94, v42, -v3
	v_mul_f32_e32 v222, v92, v41
	v_add_f32_e32 v2, v2, v3
	v_mul_f32_e32 v3, v97, v45
	v_mul_f32_e32 v223, v94, v43
	v_fmac_f32_e32 v222, v93, v40
	v_fma_f32 v3, v96, v44, -v3
	v_mul_f32_e32 v224, v96, v45
	v_fmac_f32_e32 v223, v95, v42
	v_add_f32_e32 v107, v107, v222
	v_add_f32_e32 v2, v2, v3
	s_waitcnt vmcnt(6) lgkmcnt(2)
	v_mul_f32_e32 v3, v99, v47
	v_mul_f32_e32 v225, v98, v47
	v_fmac_f32_e32 v224, v97, v44
	v_add_f32_e32 v107, v107, v223
	v_fma_f32 v3, v98, v46, -v3
	v_mul_f32_e32 v215, v100, v49
	v_fmac_f32_e32 v225, v99, v46
	v_add_f32_e32 v107, v107, v224
	v_add_f32_e32 v218, v2, v3
	v_mul_f32_e32 v2, v101, v49
	s_waitcnt vmcnt(5)
	v_mov_b32_e32 v14, v53
	s_waitcnt lgkmcnt(1)
	v_mul_f32_e32 v217, v102, v51
	v_fmac_f32_e32 v215, v101, v48
	v_add_f32_e32 v219, v107, v225
	v_fma_f32 v214, v100, v48, -v2
	v_mul_f32_e32 v2, v103, v51
	v_pk_mul_f32 v[14:15], v[104:105], v[14:15] op_sel:[1,0] op_sel_hi:[0,0]
	v_fmac_f32_e32 v217, v103, v50
	v_fma_f32 v216, v102, v50, -v2
	v_pk_add_f32 v[12:13], v[218:219], v[214:215]
	v_pk_fma_f32 v[16:17], v[104:105], v[52:53], v[14:15] neg_lo:[0,0,1] neg_hi:[0,0,1]
	v_pk_fma_f32 v[14:15], v[104:105], v[52:53], v[14:15] op_sel_hi:[1,0,1]
	v_pk_add_f32 v[12:13], v[12:13], v[216:217]
	v_mov_b32_e32 v17, v15
	s_waitcnt vmcnt(3) lgkmcnt(0)
	v_pk_mul_f32 v[14:15], v[108:109], v[112:113] op_sel:[1,1] op_sel_hi:[0,1]
	v_pk_add_f32 v[12:13], v[12:13], v[16:17]
	v_pk_fma_f32 v[16:17], v[108:109], v[112:113], v[14:15] neg_lo:[0,0,1] neg_hi:[0,0,1]
	v_pk_fma_f32 v[14:15], v[108:109], v[112:113], v[14:15] op_sel_hi:[1,0,1]
	ds_read2_b64 v[2:5], v106 offset0:83 offset1:84
	ds_read2_b64 v[6:9], v106 offset0:85 offset1:86
	ds_read_b64 v[10:11], v106 offset:696
	v_mov_b32_e32 v14, v115
	v_mov_b32_e32 v17, v15
	v_pk_mul_f32 v[14:15], v[110:111], v[14:15] op_sel:[1,0] op_sel_hi:[0,0]
	v_pk_add_f32 v[12:13], v[12:13], v[16:17]
	v_pk_fma_f32 v[16:17], v[110:111], v[114:115], v[14:15] neg_lo:[0,0,1] neg_hi:[0,0,1]
	v_pk_fma_f32 v[14:15], v[110:111], v[114:115], v[14:15] op_sel_hi:[1,0,1]
	s_nop 0
	v_mov_b32_e32 v17, v15
	s_waitcnt vmcnt(2) lgkmcnt(2)
	v_pk_mul_f32 v[14:15], v[2:3], v[116:117] op_sel:[1,1] op_sel_hi:[0,1]
	v_pk_add_f32 v[12:13], v[12:13], v[16:17]
	v_pk_fma_f32 v[16:17], v[2:3], v[116:117], v[14:15] neg_lo:[0,0,1] neg_hi:[0,0,1]
	v_pk_fma_f32 v[2:3], v[2:3], v[116:117], v[14:15] op_sel_hi:[1,0,1]
	s_nop 0
	v_mov_b32_e32 v17, v3
	v_pk_add_f32 v[2:3], v[12:13], v[16:17]
	v_mov_b32_e32 v12, v119
	v_pk_mul_f32 v[12:13], v[4:5], v[12:13] op_sel:[1,0] op_sel_hi:[0,0]
	v_pk_fma_f32 v[14:15], v[4:5], v[118:119], v[12:13] neg_lo:[0,0,1] neg_hi:[0,0,1]
	v_pk_fma_f32 v[4:5], v[4:5], v[118:119], v[12:13] op_sel_hi:[1,0,1]
	s_nop 0
	v_mov_b32_e32 v15, v5
	s_waitcnt vmcnt(1) lgkmcnt(1)
	v_pk_mul_f32 v[4:5], v[6:7], v[120:121] op_sel:[1,1] op_sel_hi:[0,1]
	v_pk_fma_f32 v[12:13], v[6:7], v[120:121], v[4:5] neg_lo:[0,0,1] neg_hi:[0,0,1]
	v_pk_fma_f32 v[4:5], v[6:7], v[120:121], v[4:5] op_sel_hi:[1,0,1]
	v_pk_add_f32 v[2:3], v[2:3], v[14:15]
	v_mov_b32_e32 v4, v123
	v_mov_b32_e32 v13, v5
	v_pk_mul_f32 v[4:5], v[8:9], v[4:5] op_sel:[1,0] op_sel_hi:[0,0]
	v_pk_fma_f32 v[6:7], v[8:9], v[122:123], v[4:5] neg_lo:[0,0,1] neg_hi:[0,0,1]
	v_pk_fma_f32 v[4:5], v[8:9], v[122:123], v[4:5] op_sel_hi:[1,0,1]
	v_pk_add_f32 v[2:3], v[2:3], v[12:13]
	v_mov_b32_e32 v7, v5
	s_waitcnt vmcnt(0) lgkmcnt(0)
	v_pk_mul_f32 v[4:5], v[10:11], v[220:221] op_sel:[1,1] op_sel_hi:[0,1]
	v_pk_add_f32 v[2:3], v[2:3], v[6:7]
	v_pk_fma_f32 v[6:7], v[10:11], v[220:221], v[4:5] neg_lo:[0,0,1] neg_hi:[0,0,1]
	v_pk_fma_f32 v[4:5], v[10:11], v[220:221], v[4:5] op_sel_hi:[1,0,1]
	s_nop 0
	v_mov_b32_e32 v7, v5
	v_pk_add_f32 v[2:3], v[2:3], v[6:7]
	s_nop 0
	v_pk_add_f32 v[2:3], v[124:125], v[2:3] neg_lo:[0,1] neg_hi:[0,1]
	scratch_store_dwordx2 off, v[2:3], off offset:80
	s_and_saveexec_b64 s[0:1], vcc
	s_cbranch_execz .LBB43_259
; %bb.258:
	scratch_load_dwordx2 v[2:3], off, off offset:72
	v_mov_b32_e32 v107, v106
	scratch_store_dwordx2 off, v[106:107], off offset:72
	s_waitcnt vmcnt(1)
	ds_write_b64 v1, v[2:3]
.LBB43_259:
	s_or_b64 exec, exec, s[0:1]
	s_waitcnt lgkmcnt(0)
	; wave barrier
	scratch_load_dwordx4 v[2:5], off, off offset:80
	scratch_load_dwordx4 v[6:9], off, off offset:96
	;; [unrolled: 1-line block ×13, first 2 shown]
	ds_read_b128 v[102:105], v106 offset:432
	ds_read_b128 v[98:101], v106 offset:448
	;; [unrolled: 1-line block ×14, first 2 shown]
	scratch_load_dwordx2 v[124:125], off, off offset:72
	v_cmp_lt_u32_e32 vcc, 8, v0
	s_waitcnt vmcnt(13) lgkmcnt(13)
	v_mul_f32_e32 v107, v102, v3
	v_mul_f32_e32 v112, v104, v5
	v_fmac_f32_e32 v107, v103, v2
	s_waitcnt vmcnt(12) lgkmcnt(12)
	v_mul_f32_e32 v113, v98, v7
	v_fmac_f32_e32 v112, v105, v4
	v_add_f32_e32 v107, 0, v107
	v_mul_f32_e32 v114, v100, v9
	v_fmac_f32_e32 v113, v99, v6
	v_add_f32_e32 v107, v107, v112
	s_waitcnt vmcnt(11) lgkmcnt(11)
	v_mul_f32_e32 v115, v94, v11
	v_fmac_f32_e32 v114, v101, v8
	v_add_f32_e32 v107, v107, v113
	v_mul_f32_e32 v116, v96, v13
	v_fmac_f32_e32 v115, v95, v10
	v_add_f32_e32 v107, v107, v114
	;; [unrolled: 7-line block ×7, first 2 shown]
	s_waitcnt vmcnt(5) lgkmcnt(5)
	v_mul_f32_e32 v217, v70, v35
	v_fmac_f32_e32 v216, v77, v32
	v_add_f32_e32 v107, v107, v215
	v_fmac_f32_e32 v217, v71, v34
	v_add_f32_e32 v107, v107, v216
	v_add_f32_e32 v107, v107, v217
	scratch_load_dwordx4 v[112:115], off, off offset:288
	scratch_load_dwordx4 v[116:119], off, off offset:304
	;; [unrolled: 1-line block ×4, first 2 shown]
	v_mul_f32_e32 v3, v103, v3
	v_fma_f32 v2, v102, v2, -v3
	v_mul_f32_e32 v3, v105, v5
	v_add_f32_e32 v2, 0, v2
	v_fma_f32 v3, v104, v4, -v3
	v_add_f32_e32 v2, v2, v3
	v_mul_f32_e32 v3, v99, v7
	v_fma_f32 v3, v98, v6, -v3
	v_add_f32_e32 v2, v2, v3
	v_mul_f32_e32 v3, v101, v9
	;; [unrolled: 3-line block ×16, first 2 shown]
	v_fma_f32 v3, v72, v36, -v3
	v_add_f32_e32 v2, v2, v3
	s_waitcnt vmcnt(8) lgkmcnt(4)
	v_mul_f32_e32 v3, v67, v39
	v_fma_f32 v3, v66, v38, -v3
	v_add_f32_e32 v2, v2, v3
	v_mul_f32_e32 v3, v69, v41
	v_fma_f32 v3, v68, v40, -v3
	v_add_f32_e32 v2, v2, v3
	s_waitcnt vmcnt(7) lgkmcnt(3)
	v_mul_f32_e32 v3, v63, v43
	v_mul_f32_e32 v218, v72, v37
	v_fma_f32 v3, v62, v42, -v3
	v_mul_f32_e32 v220, v66, v39
	v_fmac_f32_e32 v218, v73, v36
	v_add_f32_e32 v2, v2, v3
	v_mul_f32_e32 v3, v65, v45
	v_mul_f32_e32 v222, v68, v41
	v_fmac_f32_e32 v220, v67, v38
	v_add_f32_e32 v107, v107, v218
	v_fma_f32 v3, v64, v44, -v3
	v_mul_f32_e32 v223, v62, v43
	v_fmac_f32_e32 v222, v69, v40
	v_add_f32_e32 v107, v107, v220
	v_add_f32_e32 v2, v2, v3
	s_waitcnt vmcnt(6) lgkmcnt(2)
	v_mul_f32_e32 v3, v59, v47
	v_mul_f32_e32 v224, v64, v45
	v_fmac_f32_e32 v223, v63, v42
	v_add_f32_e32 v107, v107, v222
	v_fma_f32 v3, v58, v46, -v3
	v_mul_f32_e32 v225, v58, v47
	v_fmac_f32_e32 v224, v65, v44
	v_add_f32_e32 v107, v107, v223
	v_add_f32_e32 v2, v2, v3
	v_mul_f32_e32 v3, v61, v49
	v_mul_f32_e32 v226, v60, v49
	v_fmac_f32_e32 v225, v59, v46
	v_add_f32_e32 v107, v107, v224
	v_fma_f32 v3, v60, v48, -v3
	s_waitcnt vmcnt(5) lgkmcnt(1)
	v_mul_f32_e32 v219, v54, v51
	v_fmac_f32_e32 v226, v61, v48
	v_add_f32_e32 v107, v107, v225
	v_add_f32_e32 v222, v2, v3
	v_mul_f32_e32 v2, v55, v51
	s_waitcnt vmcnt(3) lgkmcnt(0)
	v_pk_mul_f32 v[16:17], v[108:109], v[112:113] op_sel:[1,1] op_sel_hi:[0,1]
	v_mul_f32_e32 v221, v56, v53
	v_fmac_f32_e32 v219, v55, v50
	v_add_f32_e32 v223, v107, v226
	v_fma_f32 v218, v54, v50, -v2
	v_mul_f32_e32 v2, v57, v53
	v_pk_fma_f32 v[18:19], v[108:109], v[112:113], v[16:17] neg_lo:[0,0,1] neg_hi:[0,0,1]
	v_pk_fma_f32 v[16:17], v[108:109], v[112:113], v[16:17] op_sel_hi:[1,0,1]
	v_fmac_f32_e32 v221, v57, v52
	v_fma_f32 v220, v56, v52, -v2
	ds_read_b128 v[2:5], v106 offset:656
	ds_read_b128 v[6:9], v106 offset:672
	ds_read_b128 v[10:13], v106 offset:688
	v_pk_add_f32 v[14:15], v[222:223], v[218:219]
	v_mov_b32_e32 v16, v115
	v_pk_add_f32 v[14:15], v[14:15], v[220:221]
	v_mov_b32_e32 v19, v17
	v_pk_mul_f32 v[16:17], v[110:111], v[16:17] op_sel:[1,0] op_sel_hi:[0,0]
	v_pk_add_f32 v[14:15], v[14:15], v[18:19]
	v_pk_fma_f32 v[18:19], v[110:111], v[114:115], v[16:17] neg_lo:[0,0,1] neg_hi:[0,0,1]
	v_pk_fma_f32 v[16:17], v[110:111], v[114:115], v[16:17] op_sel_hi:[1,0,1]
	s_nop 0
	v_mov_b32_e32 v19, v17
	s_waitcnt vmcnt(2) lgkmcnt(2)
	v_pk_mul_f32 v[16:17], v[2:3], v[116:117] op_sel:[1,1] op_sel_hi:[0,1]
	v_pk_add_f32 v[14:15], v[14:15], v[18:19]
	v_pk_fma_f32 v[18:19], v[2:3], v[116:117], v[16:17] neg_lo:[0,0,1] neg_hi:[0,0,1]
	v_pk_fma_f32 v[2:3], v[2:3], v[116:117], v[16:17] op_sel_hi:[1,0,1]
	s_nop 0
	v_mov_b32_e32 v19, v3
	v_pk_add_f32 v[2:3], v[14:15], v[18:19]
	v_mov_b32_e32 v14, v119
	v_pk_mul_f32 v[14:15], v[4:5], v[14:15] op_sel:[1,0] op_sel_hi:[0,0]
	v_pk_fma_f32 v[16:17], v[4:5], v[118:119], v[14:15] neg_lo:[0,0,1] neg_hi:[0,0,1]
	v_pk_fma_f32 v[4:5], v[4:5], v[118:119], v[14:15] op_sel_hi:[1,0,1]
	s_nop 0
	v_mov_b32_e32 v17, v5
	s_waitcnt vmcnt(1) lgkmcnt(1)
	v_pk_mul_f32 v[4:5], v[6:7], v[120:121] op_sel:[1,1] op_sel_hi:[0,1]
	v_pk_fma_f32 v[14:15], v[6:7], v[120:121], v[4:5] neg_lo:[0,0,1] neg_hi:[0,0,1]
	v_pk_fma_f32 v[4:5], v[6:7], v[120:121], v[4:5] op_sel_hi:[1,0,1]
	v_pk_add_f32 v[2:3], v[2:3], v[16:17]
	v_mov_b32_e32 v4, v123
	v_mov_b32_e32 v15, v5
	v_pk_mul_f32 v[4:5], v[8:9], v[4:5] op_sel:[1,0] op_sel_hi:[0,0]
	v_pk_fma_f32 v[6:7], v[8:9], v[122:123], v[4:5] neg_lo:[0,0,1] neg_hi:[0,0,1]
	v_pk_fma_f32 v[4:5], v[8:9], v[122:123], v[4:5] op_sel_hi:[1,0,1]
	v_pk_add_f32 v[2:3], v[2:3], v[14:15]
	v_mov_b32_e32 v7, v5
	s_waitcnt vmcnt(0) lgkmcnt(0)
	v_pk_mul_f32 v[4:5], v[10:11], v[214:215] op_sel:[1,1] op_sel_hi:[0,1]
	v_pk_add_f32 v[2:3], v[2:3], v[6:7]
	v_pk_fma_f32 v[6:7], v[10:11], v[214:215], v[4:5] neg_lo:[0,0,1] neg_hi:[0,0,1]
	v_pk_fma_f32 v[4:5], v[10:11], v[214:215], v[4:5] op_sel_hi:[1,0,1]
	s_nop 0
	v_mov_b32_e32 v4, v217
	v_mov_b32_e32 v7, v5
	v_pk_mul_f32 v[4:5], v[12:13], v[4:5] op_sel:[1,0] op_sel_hi:[0,0]
	v_pk_add_f32 v[2:3], v[2:3], v[6:7]
	v_pk_fma_f32 v[6:7], v[12:13], v[216:217], v[4:5] neg_lo:[0,0,1] neg_hi:[0,0,1]
	v_pk_fma_f32 v[4:5], v[12:13], v[216:217], v[4:5] op_sel_hi:[1,0,1]
	s_nop 0
	v_mov_b32_e32 v7, v5
	v_pk_add_f32 v[2:3], v[2:3], v[6:7]
	s_nop 0
	v_pk_add_f32 v[2:3], v[124:125], v[2:3] neg_lo:[0,1] neg_hi:[0,1]
	scratch_store_dwordx2 off, v[2:3], off offset:72
	s_and_saveexec_b64 s[0:1], vcc
	s_cbranch_execz .LBB43_261
; %bb.260:
	scratch_load_dwordx2 v[2:3], off, off offset:64
	v_mov_b32_e32 v4, 0
	v_mov_b32_e32 v5, v4
	scratch_store_dwordx2 off, v[4:5], off offset:64
	s_waitcnt vmcnt(1)
	ds_write_b64 v1, v[2:3]
.LBB43_261:
	s_or_b64 exec, exec, s[0:1]
	s_waitcnt lgkmcnt(0)
	; wave barrier
	scratch_load_dwordx4 v[2:5], off, off offset:72
	scratch_load_dwordx4 v[6:9], off, off offset:88
	;; [unrolled: 1-line block ×13, first 2 shown]
	v_mov_b32_e32 v114, 0
	scratch_load_dwordx4 v[54:57], off, off offset:280
	scratch_load_dwordx2 v[124:125], off, off offset:64
	ds_read2_b64 v[58:61], v114 offset0:53 offset1:54
	ds_read2_b64 v[62:65], v114 offset0:55 offset1:56
	;; [unrolled: 1-line block ×14, first 2 shown]
	v_cmp_lt_u32_e32 vcc, 7, v0
	s_waitcnt vmcnt(14) lgkmcnt(13)
	v_mul_f32_e32 v115, v58, v3
	v_mul_f32_e32 v116, v60, v5
	v_fmac_f32_e32 v115, v59, v2
	s_waitcnt vmcnt(13) lgkmcnt(12)
	v_mul_f32_e32 v117, v62, v7
	v_fmac_f32_e32 v116, v61, v4
	v_add_f32_e32 v115, 0, v115
	v_mul_f32_e32 v118, v64, v9
	v_fmac_f32_e32 v117, v63, v6
	v_add_f32_e32 v115, v115, v116
	s_waitcnt vmcnt(12) lgkmcnt(11)
	v_mul_f32_e32 v119, v66, v11
	v_fmac_f32_e32 v118, v65, v8
	v_add_f32_e32 v115, v115, v117
	v_mul_f32_e32 v120, v68, v13
	v_fmac_f32_e32 v119, v67, v10
	v_add_f32_e32 v115, v115, v118
	;; [unrolled: 7-line block ×6, first 2 shown]
	s_waitcnt vmcnt(7) lgkmcnt(6)
	v_mul_f32_e32 v219, v86, v31
	v_fmac_f32_e32 v218, v85, v28
	v_add_f32_e32 v115, v115, v217
	scratch_load_dwordx4 v[116:119], off, off offset:296
	v_mul_f32_e32 v220, v88, v33
	v_fmac_f32_e32 v219, v87, v30
	v_add_f32_e32 v115, v115, v218
	s_waitcnt vmcnt(7) lgkmcnt(5)
	v_mul_f32_e32 v221, v90, v35
	v_fmac_f32_e32 v220, v89, v32
	v_add_f32_e32 v115, v115, v219
	v_mul_f32_e32 v222, v92, v37
	v_fmac_f32_e32 v221, v91, v34
	v_add_f32_e32 v115, v115, v220
	s_waitcnt vmcnt(6) lgkmcnt(4)
	v_mul_f32_e32 v223, v94, v39
	v_fmac_f32_e32 v222, v93, v36
	v_add_f32_e32 v115, v115, v221
	;; [unrolled: 7-line block ×3, first 2 shown]
	v_fmac_f32_e32 v225, v99, v42
	v_add_f32_e32 v115, v115, v224
	v_add_f32_e32 v115, v115, v225
	scratch_load_dwordx4 v[120:123], off, off offset:312
	scratch_load_dwordx4 v[214:217], off, off offset:328
	scratch_load_dwordx2 v[224:225], off, off offset:344
	v_mul_f32_e32 v3, v59, v3
	v_fma_f32 v2, v58, v2, -v3
	v_mul_f32_e32 v3, v61, v5
	v_add_f32_e32 v2, 0, v2
	v_fma_f32 v3, v60, v4, -v3
	v_add_f32_e32 v2, v2, v3
	v_mul_f32_e32 v3, v63, v7
	v_fma_f32 v3, v62, v6, -v3
	v_add_f32_e32 v2, v2, v3
	v_mul_f32_e32 v3, v65, v9
	;; [unrolled: 3-line block ×20, first 2 shown]
	v_fma_f32 v3, v100, v44, -v3
	v_add_f32_e32 v2, v2, v3
	s_waitcnt vmcnt(7) lgkmcnt(2)
	v_mul_f32_e32 v3, v103, v47
	v_fma_f32 v3, v102, v46, -v3
	v_add_f32_e32 v2, v2, v3
	v_mul_f32_e32 v3, v105, v49
	v_mul_f32_e32 v226, v100, v45
	v_fma_f32 v3, v104, v48, -v3
	v_mul_f32_e32 v227, v102, v47
	v_fmac_f32_e32 v226, v101, v44
	v_add_f32_e32 v2, v2, v3
	s_waitcnt vmcnt(6) lgkmcnt(1)
	v_mul_f32_e32 v3, v107, v51
	v_mul_f32_e32 v228, v104, v49
	v_fmac_f32_e32 v227, v103, v46
	v_add_f32_e32 v115, v115, v226
	v_fma_f32 v3, v106, v50, -v3
	v_mul_f32_e32 v229, v106, v51
	v_fmac_f32_e32 v228, v105, v48
	v_add_f32_e32 v115, v115, v227
	v_add_f32_e32 v218, v2, v3
	v_mul_f32_e32 v2, v109, v53
	v_fmac_f32_e32 v229, v107, v50
	v_add_f32_e32 v115, v115, v228
	v_mul_f32_e32 v221, v108, v53
	v_fma_f32 v220, v108, v52, -v2
	s_waitcnt vmcnt(5) lgkmcnt(0)
	v_mul_f32_e32 v2, v111, v55
	v_mov_b32_e32 v18, v57
	v_add_f32_e32 v219, v115, v229
	v_fmac_f32_e32 v221, v109, v52
	v_mul_f32_e32 v223, v110, v55
	v_fma_f32 v222, v110, v54, -v2
	ds_read2_b64 v[2:5], v114 offset0:81 offset1:82
	ds_read2_b64 v[6:9], v114 offset0:83 offset1:84
	;; [unrolled: 1-line block ×3, first 2 shown]
	ds_read_b64 v[14:15], v114 offset:696
	v_pk_mul_f32 v[18:19], v[112:113], v[18:19] op_sel:[1,0] op_sel_hi:[0,0]
	v_fmac_f32_e32 v223, v111, v54
	v_pk_add_f32 v[16:17], v[218:219], v[220:221]
	v_pk_fma_f32 v[20:21], v[112:113], v[56:57], v[18:19] neg_lo:[0,0,1] neg_hi:[0,0,1]
	v_pk_fma_f32 v[18:19], v[112:113], v[56:57], v[18:19] op_sel_hi:[1,0,1]
	v_pk_add_f32 v[16:17], v[16:17], v[222:223]
	v_mov_b32_e32 v21, v19
	s_waitcnt vmcnt(3) lgkmcnt(3)
	v_pk_mul_f32 v[18:19], v[2:3], v[116:117] op_sel:[1,1] op_sel_hi:[0,1]
	v_pk_add_f32 v[16:17], v[16:17], v[20:21]
	v_pk_fma_f32 v[20:21], v[2:3], v[116:117], v[18:19] neg_lo:[0,0,1] neg_hi:[0,0,1]
	v_pk_fma_f32 v[2:3], v[2:3], v[116:117], v[18:19] op_sel_hi:[1,0,1]
	s_nop 0
	v_mov_b32_e32 v21, v3
	v_pk_add_f32 v[2:3], v[16:17], v[20:21]
	v_mov_b32_e32 v16, v119
	v_pk_mul_f32 v[16:17], v[4:5], v[16:17] op_sel:[1,0] op_sel_hi:[0,0]
	v_pk_fma_f32 v[18:19], v[4:5], v[118:119], v[16:17] neg_lo:[0,0,1] neg_hi:[0,0,1]
	v_pk_fma_f32 v[4:5], v[4:5], v[118:119], v[16:17] op_sel_hi:[1,0,1]
	s_nop 0
	v_mov_b32_e32 v19, v5
	s_waitcnt vmcnt(2) lgkmcnt(2)
	v_pk_mul_f32 v[4:5], v[6:7], v[120:121] op_sel:[1,1] op_sel_hi:[0,1]
	v_pk_fma_f32 v[16:17], v[6:7], v[120:121], v[4:5] neg_lo:[0,0,1] neg_hi:[0,0,1]
	v_pk_fma_f32 v[4:5], v[6:7], v[120:121], v[4:5] op_sel_hi:[1,0,1]
	v_pk_add_f32 v[2:3], v[2:3], v[18:19]
	v_mov_b32_e32 v4, v123
	v_mov_b32_e32 v17, v5
	v_pk_mul_f32 v[4:5], v[8:9], v[4:5] op_sel:[1,0] op_sel_hi:[0,0]
	v_pk_fma_f32 v[6:7], v[8:9], v[122:123], v[4:5] neg_lo:[0,0,1] neg_hi:[0,0,1]
	v_pk_fma_f32 v[4:5], v[8:9], v[122:123], v[4:5] op_sel_hi:[1,0,1]
	v_pk_add_f32 v[2:3], v[2:3], v[16:17]
	v_mov_b32_e32 v7, v5
	s_waitcnt vmcnt(1) lgkmcnt(1)
	v_pk_mul_f32 v[4:5], v[10:11], v[214:215] op_sel:[1,1] op_sel_hi:[0,1]
	v_pk_add_f32 v[2:3], v[2:3], v[6:7]
	v_pk_fma_f32 v[6:7], v[10:11], v[214:215], v[4:5] neg_lo:[0,0,1] neg_hi:[0,0,1]
	v_pk_fma_f32 v[4:5], v[10:11], v[214:215], v[4:5] op_sel_hi:[1,0,1]
	s_nop 0
	v_mov_b32_e32 v4, v217
	v_mov_b32_e32 v7, v5
	v_pk_mul_f32 v[4:5], v[12:13], v[4:5] op_sel:[1,0] op_sel_hi:[0,0]
	v_pk_add_f32 v[2:3], v[2:3], v[6:7]
	v_pk_fma_f32 v[6:7], v[12:13], v[216:217], v[4:5] neg_lo:[0,0,1] neg_hi:[0,0,1]
	v_pk_fma_f32 v[4:5], v[12:13], v[216:217], v[4:5] op_sel_hi:[1,0,1]
	s_nop 0
	v_mov_b32_e32 v7, v5
	s_waitcnt vmcnt(0) lgkmcnt(0)
	v_pk_mul_f32 v[4:5], v[14:15], v[224:225] op_sel:[1,1] op_sel_hi:[0,1]
	v_pk_add_f32 v[2:3], v[2:3], v[6:7]
	v_pk_fma_f32 v[6:7], v[14:15], v[224:225], v[4:5] neg_lo:[0,0,1] neg_hi:[0,0,1]
	v_pk_fma_f32 v[4:5], v[14:15], v[224:225], v[4:5] op_sel_hi:[1,0,1]
	s_nop 0
	v_mov_b32_e32 v7, v5
	v_pk_add_f32 v[2:3], v[2:3], v[6:7]
	s_nop 0
	v_pk_add_f32 v[2:3], v[124:125], v[2:3] neg_lo:[0,1] neg_hi:[0,1]
	scratch_store_dwordx2 off, v[2:3], off offset:64
	s_and_saveexec_b64 s[0:1], vcc
	s_cbranch_execz .LBB43_263
; %bb.262:
	scratch_load_dwordx2 v[2:3], off, off offset:56
	v_mov_b32_e32 v115, v114
	scratch_store_dwordx2 off, v[114:115], off offset:56
	s_waitcnt vmcnt(1)
	ds_write_b64 v1, v[2:3]
.LBB43_263:
	s_or_b64 exec, exec, s[0:1]
	s_waitcnt lgkmcnt(0)
	; wave barrier
	scratch_load_dwordx4 v[2:5], off, off offset:64
	scratch_load_dwordx4 v[6:9], off, off offset:80
	;; [unrolled: 1-line block ×13, first 2 shown]
	ds_read_b128 v[110:113], v114 offset:416
	ds_read_b128 v[106:109], v114 offset:432
	;; [unrolled: 1-line block ×14, first 2 shown]
	scratch_load_dwordx4 v[66:69], off, off offset:272
	scratch_load_dwordx2 v[124:125], off, off offset:56
	v_cmp_lt_u32_e32 vcc, 6, v0
	s_waitcnt vmcnt(14) lgkmcnt(13)
	v_mul_f32_e32 v115, v110, v3
	v_mul_f32_e32 v116, v112, v5
	v_fmac_f32_e32 v115, v111, v2
	s_waitcnt vmcnt(13) lgkmcnt(12)
	v_mul_f32_e32 v117, v106, v7
	v_fmac_f32_e32 v116, v113, v4
	v_add_f32_e32 v115, 0, v115
	v_mul_f32_e32 v118, v108, v9
	v_fmac_f32_e32 v117, v107, v6
	v_add_f32_e32 v115, v115, v116
	s_waitcnt vmcnt(12) lgkmcnt(11)
	v_mul_f32_e32 v119, v102, v11
	v_fmac_f32_e32 v118, v109, v8
	v_add_f32_e32 v115, v115, v117
	v_mul_f32_e32 v120, v104, v13
	v_fmac_f32_e32 v119, v103, v10
	v_add_f32_e32 v115, v115, v118
	s_waitcnt vmcnt(11) lgkmcnt(10)
	v_mul_f32_e32 v121, v98, v15
	v_fmac_f32_e32 v120, v105, v12
	v_add_f32_e32 v115, v115, v119
	v_mul_f32_e32 v122, v100, v17
	v_fmac_f32_e32 v121, v99, v14
	v_add_f32_e32 v115, v115, v120
	s_waitcnt vmcnt(10) lgkmcnt(9)
	v_mul_f32_e32 v123, v94, v19
	v_fmac_f32_e32 v122, v101, v16
	v_add_f32_e32 v115, v115, v121
	v_mul_f32_e32 v214, v96, v21
	v_fmac_f32_e32 v123, v95, v18
	v_add_f32_e32 v115, v115, v122
	s_waitcnt vmcnt(9) lgkmcnt(8)
	v_mul_f32_e32 v215, v90, v23
	v_fmac_f32_e32 v214, v97, v20
	v_add_f32_e32 v115, v115, v123
	scratch_load_dwordx4 v[116:119], off, off offset:288
	v_mul_f32_e32 v216, v92, v25
	v_fmac_f32_e32 v215, v91, v22
	v_add_f32_e32 v115, v115, v214
	s_waitcnt vmcnt(9) lgkmcnt(7)
	v_mul_f32_e32 v217, v86, v27
	v_fmac_f32_e32 v216, v93, v24
	v_add_f32_e32 v115, v115, v215
	v_mul_f32_e32 v218, v88, v29
	v_fmac_f32_e32 v217, v87, v26
	v_add_f32_e32 v115, v115, v216
	s_waitcnt vmcnt(8) lgkmcnt(6)
	v_mul_f32_e32 v219, v82, v31
	v_fmac_f32_e32 v218, v89, v28
	v_add_f32_e32 v115, v115, v217
	;; [unrolled: 7-line block ×3, first 2 shown]
	v_fmac_f32_e32 v221, v79, v34
	v_add_f32_e32 v115, v115, v220
	v_add_f32_e32 v115, v115, v221
	scratch_load_dwordx4 v[120:123], off, off offset:304
	scratch_load_dwordx4 v[214:217], off, off offset:320
	;; [unrolled: 1-line block ×3, first 2 shown]
	v_mul_f32_e32 v3, v111, v3
	v_fma_f32 v2, v110, v2, -v3
	v_mul_f32_e32 v3, v113, v5
	v_add_f32_e32 v2, 0, v2
	v_fma_f32 v3, v112, v4, -v3
	v_add_f32_e32 v2, v2, v3
	v_mul_f32_e32 v3, v107, v7
	v_fma_f32 v3, v106, v6, -v3
	v_add_f32_e32 v2, v2, v3
	v_mul_f32_e32 v3, v109, v9
	;; [unrolled: 3-line block ×16, first 2 shown]
	v_fma_f32 v3, v80, v36, -v3
	v_add_f32_e32 v2, v2, v3
	s_waitcnt vmcnt(9) lgkmcnt(4)
	v_mul_f32_e32 v3, v75, v39
	v_fma_f32 v3, v74, v38, -v3
	v_add_f32_e32 v2, v2, v3
	v_mul_f32_e32 v3, v77, v41
	v_fma_f32 v3, v76, v40, -v3
	v_add_f32_e32 v2, v2, v3
	s_waitcnt vmcnt(8) lgkmcnt(3)
	v_mul_f32_e32 v3, v71, v43
	v_fma_f32 v3, v70, v42, -v3
	v_add_f32_e32 v2, v2, v3
	v_mul_f32_e32 v3, v73, v45
	v_fma_f32 v3, v72, v44, -v3
	v_add_f32_e32 v2, v2, v3
	s_waitcnt vmcnt(7) lgkmcnt(2)
	v_mul_f32_e32 v3, v63, v47
	v_fma_f32 v3, v62, v46, -v3
	v_mul_f32_e32 v222, v80, v37
	v_add_f32_e32 v2, v2, v3
	v_mul_f32_e32 v3, v65, v49
	v_mul_f32_e32 v223, v74, v39
	v_fmac_f32_e32 v222, v81, v36
	v_fma_f32 v3, v64, v48, -v3
	v_mul_f32_e32 v224, v76, v41
	v_fmac_f32_e32 v223, v75, v38
	v_add_f32_e32 v115, v115, v222
	v_add_f32_e32 v2, v2, v3
	s_waitcnt vmcnt(6) lgkmcnt(1)
	v_mul_f32_e32 v3, v55, v51
	v_mul_f32_e32 v225, v70, v43
	v_fmac_f32_e32 v224, v77, v40
	v_add_f32_e32 v115, v115, v223
	v_fma_f32 v3, v54, v50, -v3
	v_mul_f32_e32 v226, v72, v45
	v_fmac_f32_e32 v225, v71, v42
	v_add_f32_e32 v115, v115, v224
	v_add_f32_e32 v2, v2, v3
	v_mul_f32_e32 v3, v57, v53
	v_mul_f32_e32 v227, v62, v47
	v_fmac_f32_e32 v226, v73, v44
	v_add_f32_e32 v115, v115, v225
	v_fma_f32 v3, v56, v52, -v3
	v_mul_f32_e32 v228, v64, v49
	v_fmac_f32_e32 v227, v63, v46
	v_add_f32_e32 v115, v115, v226
	v_add_f32_e32 v222, v2, v3
	s_waitcnt vmcnt(5) lgkmcnt(0)
	v_mul_f32_e32 v2, v59, v67
	v_mul_f32_e32 v229, v54, v51
	v_fmac_f32_e32 v228, v65, v48
	v_add_f32_e32 v115, v115, v227
	v_fma_f32 v224, v58, v66, -v2
	v_mul_f32_e32 v2, v61, v69
	v_mul_f32_e32 v230, v56, v53
	v_fmac_f32_e32 v229, v55, v50
	v_add_f32_e32 v115, v115, v228
	v_fma_f32 v226, v60, v68, -v2
	ds_read_b128 v[2:5], v114 offset:640
	ds_read_b128 v[6:9], v114 offset:656
	;; [unrolled: 1-line block ×4, first 2 shown]
	v_add_f32_e32 v115, v115, v229
	v_fmac_f32_e32 v230, v57, v52
	v_mul_f32_e32 v225, v58, v67
	v_add_f32_e32 v223, v115, v230
	v_fmac_f32_e32 v225, v59, v66
	v_mul_f32_e32 v227, v60, v69
	s_waitcnt vmcnt(3) lgkmcnt(3)
	v_pk_mul_f32 v[20:21], v[2:3], v[116:117] op_sel:[1,1] op_sel_hi:[0,1]
	v_fmac_f32_e32 v227, v61, v68
	v_pk_add_f32 v[18:19], v[222:223], v[224:225]
	v_pk_fma_f32 v[22:23], v[2:3], v[116:117], v[20:21] neg_lo:[0,0,1] neg_hi:[0,0,1]
	v_pk_fma_f32 v[2:3], v[2:3], v[116:117], v[20:21] op_sel_hi:[1,0,1]
	v_pk_add_f32 v[18:19], v[18:19], v[226:227]
	v_mov_b32_e32 v23, v3
	v_pk_add_f32 v[2:3], v[18:19], v[22:23]
	v_mov_b32_e32 v18, v119
	v_pk_mul_f32 v[18:19], v[4:5], v[18:19] op_sel:[1,0] op_sel_hi:[0,0]
	v_pk_fma_f32 v[20:21], v[4:5], v[118:119], v[18:19] neg_lo:[0,0,1] neg_hi:[0,0,1]
	v_pk_fma_f32 v[4:5], v[4:5], v[118:119], v[18:19] op_sel_hi:[1,0,1]
	s_nop 0
	v_mov_b32_e32 v21, v5
	s_waitcnt vmcnt(2) lgkmcnt(2)
	v_pk_mul_f32 v[4:5], v[6:7], v[120:121] op_sel:[1,1] op_sel_hi:[0,1]
	v_pk_fma_f32 v[18:19], v[6:7], v[120:121], v[4:5] neg_lo:[0,0,1] neg_hi:[0,0,1]
	v_pk_fma_f32 v[4:5], v[6:7], v[120:121], v[4:5] op_sel_hi:[1,0,1]
	v_pk_add_f32 v[2:3], v[2:3], v[20:21]
	v_mov_b32_e32 v4, v123
	v_mov_b32_e32 v19, v5
	v_pk_mul_f32 v[4:5], v[8:9], v[4:5] op_sel:[1,0] op_sel_hi:[0,0]
	v_pk_fma_f32 v[6:7], v[8:9], v[122:123], v[4:5] neg_lo:[0,0,1] neg_hi:[0,0,1]
	v_pk_fma_f32 v[4:5], v[8:9], v[122:123], v[4:5] op_sel_hi:[1,0,1]
	v_pk_add_f32 v[2:3], v[2:3], v[18:19]
	v_mov_b32_e32 v7, v5
	s_waitcnt vmcnt(1) lgkmcnt(1)
	v_pk_mul_f32 v[4:5], v[10:11], v[214:215] op_sel:[1,1] op_sel_hi:[0,1]
	v_pk_add_f32 v[2:3], v[2:3], v[6:7]
	v_pk_fma_f32 v[6:7], v[10:11], v[214:215], v[4:5] neg_lo:[0,0,1] neg_hi:[0,0,1]
	v_pk_fma_f32 v[4:5], v[10:11], v[214:215], v[4:5] op_sel_hi:[1,0,1]
	s_nop 0
	v_mov_b32_e32 v4, v217
	v_mov_b32_e32 v7, v5
	v_pk_mul_f32 v[4:5], v[12:13], v[4:5] op_sel:[1,0] op_sel_hi:[0,0]
	v_pk_add_f32 v[2:3], v[2:3], v[6:7]
	v_pk_fma_f32 v[6:7], v[12:13], v[216:217], v[4:5] neg_lo:[0,0,1] neg_hi:[0,0,1]
	v_pk_fma_f32 v[4:5], v[12:13], v[216:217], v[4:5] op_sel_hi:[1,0,1]
	s_nop 0
	v_mov_b32_e32 v7, v5
	s_waitcnt vmcnt(0) lgkmcnt(0)
	v_pk_mul_f32 v[4:5], v[14:15], v[218:219] op_sel:[1,1] op_sel_hi:[0,1]
	v_pk_add_f32 v[2:3], v[2:3], v[6:7]
	v_pk_fma_f32 v[6:7], v[14:15], v[218:219], v[4:5] neg_lo:[0,0,1] neg_hi:[0,0,1]
	v_pk_fma_f32 v[4:5], v[14:15], v[218:219], v[4:5] op_sel_hi:[1,0,1]
	s_nop 0
	v_mov_b32_e32 v4, v221
	v_mov_b32_e32 v7, v5
	v_pk_mul_f32 v[4:5], v[16:17], v[4:5] op_sel:[1,0] op_sel_hi:[0,0]
	v_pk_add_f32 v[2:3], v[2:3], v[6:7]
	v_pk_fma_f32 v[6:7], v[16:17], v[220:221], v[4:5] neg_lo:[0,0,1] neg_hi:[0,0,1]
	v_pk_fma_f32 v[4:5], v[16:17], v[220:221], v[4:5] op_sel_hi:[1,0,1]
	s_nop 0
	v_mov_b32_e32 v7, v5
	v_pk_add_f32 v[2:3], v[2:3], v[6:7]
	s_nop 0
	v_pk_add_f32 v[2:3], v[124:125], v[2:3] neg_lo:[0,1] neg_hi:[0,1]
	scratch_store_dwordx2 off, v[2:3], off offset:56
	s_and_saveexec_b64 s[0:1], vcc
	s_cbranch_execz .LBB43_265
; %bb.264:
	scratch_load_dwordx2 v[2:3], off, off offset:48
	v_mov_b32_e32 v4, 0
	v_mov_b32_e32 v5, v4
	scratch_store_dwordx2 off, v[4:5], off offset:48
	s_waitcnt vmcnt(1)
	ds_write_b64 v1, v[2:3]
.LBB43_265:
	s_or_b64 exec, exec, s[0:1]
	s_waitcnt lgkmcnt(0)
	; wave barrier
	scratch_load_dwordx4 v[2:5], off, off offset:56
	scratch_load_dwordx4 v[6:9], off, off offset:72
	;; [unrolled: 1-line block ×15, first 2 shown]
	scratch_load_dwordx2 v[124:125], off, off offset:48
	v_mov_b32_e32 v118, 0
	ds_read2_b64 v[62:65], v118 offset0:51 offset1:52
	ds_read2_b64 v[66:69], v118 offset0:53 offset1:54
	;; [unrolled: 1-line block ×14, first 2 shown]
	v_cmp_lt_u32_e32 vcc, 5, v0
	s_waitcnt vmcnt(15) lgkmcnt(13)
	v_mul_f32_e32 v119, v62, v3
	v_mul_f32_e32 v120, v64, v5
	v_fmac_f32_e32 v119, v63, v2
	s_waitcnt vmcnt(14) lgkmcnt(12)
	v_mul_f32_e32 v121, v66, v7
	v_fmac_f32_e32 v120, v65, v4
	v_add_f32_e32 v119, 0, v119
	v_mul_f32_e32 v122, v68, v9
	v_fmac_f32_e32 v121, v67, v6
	v_add_f32_e32 v119, v119, v120
	s_waitcnt vmcnt(13) lgkmcnt(11)
	v_mul_f32_e32 v123, v70, v11
	v_fmac_f32_e32 v122, v69, v8
	v_add_f32_e32 v119, v119, v121
	v_mul_f32_e32 v214, v72, v13
	v_fmac_f32_e32 v123, v71, v10
	v_add_f32_e32 v119, v119, v122
	;; [unrolled: 7-line block ×11, first 2 shown]
	s_waitcnt vmcnt(3) lgkmcnt(1)
	v_mul_f32_e32 v233, v110, v51
	v_fmac_f32_e32 v232, v109, v48
	v_add_f32_e32 v119, v119, v231
	v_add_f32_e32 v119, v119, v232
	v_fmac_f32_e32 v233, v111, v50
	v_mul_f32_e32 v120, v112, v53
	v_add_f32_e32 v119, v119, v233
	v_fmac_f32_e32 v120, v113, v52
	s_waitcnt vmcnt(2) lgkmcnt(0)
	v_mul_f32_e32 v214, v114, v55
	v_add_f32_e32 v119, v119, v120
	v_fmac_f32_e32 v214, v115, v54
	ds_read2_b64 v[120:123], v118 offset0:79 offset1:80
	v_add_f32_e32 v231, v119, v214
	ds_read2_b64 v[214:217], v118 offset0:81 offset1:82
	scratch_load_dwordx4 v[218:221], off, off offset:296
	scratch_load_dwordx4 v[222:225], off, off offset:312
	;; [unrolled: 1-line block ×3, first 2 shown]
	scratch_load_dwordx2 v[236:237], off, off offset:344
	v_mul_f32_e32 v3, v63, v3
	v_fma_f32 v2, v62, v2, -v3
	v_mul_f32_e32 v3, v65, v5
	v_add_f32_e32 v2, 0, v2
	v_fma_f32 v3, v64, v4, -v3
	v_add_f32_e32 v2, v2, v3
	v_mul_f32_e32 v3, v67, v7
	v_fma_f32 v3, v66, v6, -v3
	v_add_f32_e32 v2, v2, v3
	v_mul_f32_e32 v3, v69, v9
	;; [unrolled: 3-line block ×25, first 2 shown]
	v_fma_f32 v3, v114, v54, -v3
	v_mul_f32_e32 v233, v116, v57
	v_add_f32_e32 v230, v2, v3
	v_mul_f32_e32 v2, v117, v57
	s_waitcnt vmcnt(5)
	v_mov_b32_e32 v14, v61
	v_fmac_f32_e32 v233, v117, v56
	s_waitcnt lgkmcnt(1)
	v_mul_f32_e32 v235, v120, v59
	v_fma_f32 v232, v116, v56, -v2
	v_mul_f32_e32 v2, v121, v59
	v_pk_mul_f32 v[14:15], v[122:123], v[14:15] op_sel:[1,0] op_sel_hi:[0,0]
	v_fmac_f32_e32 v235, v121, v58
	v_fma_f32 v234, v120, v58, -v2
	v_pk_add_f32 v[12:13], v[230:231], v[232:233]
	v_pk_fma_f32 v[16:17], v[122:123], v[60:61], v[14:15] neg_lo:[0,0,1] neg_hi:[0,0,1]
	v_pk_fma_f32 v[14:15], v[122:123], v[60:61], v[14:15] op_sel_hi:[1,0,1]
	v_pk_add_f32 v[12:13], v[12:13], v[234:235]
	v_mov_b32_e32 v17, v15
	s_waitcnt vmcnt(3) lgkmcnt(0)
	v_pk_mul_f32 v[14:15], v[214:215], v[218:219] op_sel:[1,1] op_sel_hi:[0,1]
	v_pk_add_f32 v[12:13], v[12:13], v[16:17]
	v_pk_fma_f32 v[16:17], v[214:215], v[218:219], v[14:15] neg_lo:[0,0,1] neg_hi:[0,0,1]
	v_pk_fma_f32 v[14:15], v[214:215], v[218:219], v[14:15] op_sel_hi:[1,0,1]
	ds_read2_b64 v[2:5], v118 offset0:83 offset1:84
	ds_read2_b64 v[6:9], v118 offset0:85 offset1:86
	ds_read_b64 v[10:11], v118 offset:696
	v_mov_b32_e32 v14, v221
	v_mov_b32_e32 v17, v15
	v_pk_mul_f32 v[14:15], v[216:217], v[14:15] op_sel:[1,0] op_sel_hi:[0,0]
	v_pk_add_f32 v[12:13], v[12:13], v[16:17]
	v_pk_fma_f32 v[16:17], v[216:217], v[220:221], v[14:15] neg_lo:[0,0,1] neg_hi:[0,0,1]
	v_pk_fma_f32 v[14:15], v[216:217], v[220:221], v[14:15] op_sel_hi:[1,0,1]
	s_nop 0
	v_mov_b32_e32 v17, v15
	s_waitcnt vmcnt(2) lgkmcnt(2)
	v_pk_mul_f32 v[14:15], v[2:3], v[222:223] op_sel:[1,1] op_sel_hi:[0,1]
	v_pk_add_f32 v[12:13], v[12:13], v[16:17]
	v_pk_fma_f32 v[16:17], v[2:3], v[222:223], v[14:15] neg_lo:[0,0,1] neg_hi:[0,0,1]
	v_pk_fma_f32 v[2:3], v[2:3], v[222:223], v[14:15] op_sel_hi:[1,0,1]
	s_nop 0
	v_mov_b32_e32 v17, v3
	v_pk_add_f32 v[2:3], v[12:13], v[16:17]
	v_mov_b32_e32 v12, v225
	v_pk_mul_f32 v[12:13], v[4:5], v[12:13] op_sel:[1,0] op_sel_hi:[0,0]
	v_pk_fma_f32 v[14:15], v[4:5], v[224:225], v[12:13] neg_lo:[0,0,1] neg_hi:[0,0,1]
	v_pk_fma_f32 v[4:5], v[4:5], v[224:225], v[12:13] op_sel_hi:[1,0,1]
	s_nop 0
	v_mov_b32_e32 v15, v5
	s_waitcnt vmcnt(1) lgkmcnt(1)
	v_pk_mul_f32 v[4:5], v[6:7], v[226:227] op_sel:[1,1] op_sel_hi:[0,1]
	v_pk_fma_f32 v[12:13], v[6:7], v[226:227], v[4:5] neg_lo:[0,0,1] neg_hi:[0,0,1]
	v_pk_fma_f32 v[4:5], v[6:7], v[226:227], v[4:5] op_sel_hi:[1,0,1]
	v_pk_add_f32 v[2:3], v[2:3], v[14:15]
	v_mov_b32_e32 v4, v229
	v_mov_b32_e32 v13, v5
	v_pk_mul_f32 v[4:5], v[8:9], v[4:5] op_sel:[1,0] op_sel_hi:[0,0]
	v_pk_fma_f32 v[6:7], v[8:9], v[228:229], v[4:5] neg_lo:[0,0,1] neg_hi:[0,0,1]
	v_pk_fma_f32 v[4:5], v[8:9], v[228:229], v[4:5] op_sel_hi:[1,0,1]
	v_pk_add_f32 v[2:3], v[2:3], v[12:13]
	v_mov_b32_e32 v7, v5
	s_waitcnt vmcnt(0) lgkmcnt(0)
	v_pk_mul_f32 v[4:5], v[10:11], v[236:237] op_sel:[1,1] op_sel_hi:[0,1]
	v_pk_add_f32 v[2:3], v[2:3], v[6:7]
	v_pk_fma_f32 v[6:7], v[10:11], v[236:237], v[4:5] neg_lo:[0,0,1] neg_hi:[0,0,1]
	v_pk_fma_f32 v[4:5], v[10:11], v[236:237], v[4:5] op_sel_hi:[1,0,1]
	s_nop 0
	v_mov_b32_e32 v7, v5
	v_pk_add_f32 v[2:3], v[2:3], v[6:7]
	s_nop 0
	v_pk_add_f32 v[2:3], v[124:125], v[2:3] neg_lo:[0,1] neg_hi:[0,1]
	scratch_store_dwordx2 off, v[2:3], off offset:48
	s_and_saveexec_b64 s[0:1], vcc
	s_cbranch_execz .LBB43_267
; %bb.266:
	scratch_load_dwordx2 v[2:3], off, off offset:40
	v_mov_b32_e32 v119, v118
	scratch_store_dwordx2 off, v[118:119], off offset:40
	s_waitcnt vmcnt(1)
	ds_write_b64 v1, v[2:3]
.LBB43_267:
	s_or_b64 exec, exec, s[0:1]
	s_waitcnt lgkmcnt(0)
	; wave barrier
	scratch_load_dwordx4 v[2:5], off, off offset:48
	scratch_load_dwordx4 v[6:9], off, off offset:64
	;; [unrolled: 1-line block ×13, first 2 shown]
	ds_read_b128 v[114:117], v118 offset:400
	ds_read_b128 v[110:113], v118 offset:416
	;; [unrolled: 1-line block ×14, first 2 shown]
	scratch_load_dwordx4 v[62:65], off, off offset:256
	scratch_load_dwordx4 v[70:73], off, off offset:272
	scratch_load_dwordx2 v[124:125], off, off offset:40
	v_cmp_lt_u32_e32 vcc, 4, v0
	s_waitcnt vmcnt(15) lgkmcnt(13)
	v_mul_f32_e32 v119, v114, v3
	v_mul_f32_e32 v120, v116, v5
	v_fmac_f32_e32 v119, v115, v2
	s_waitcnt vmcnt(14) lgkmcnt(12)
	v_mul_f32_e32 v121, v110, v7
	v_fmac_f32_e32 v120, v117, v4
	v_add_f32_e32 v119, 0, v119
	v_mul_f32_e32 v122, v112, v9
	v_fmac_f32_e32 v121, v111, v6
	v_add_f32_e32 v119, v119, v120
	s_waitcnt vmcnt(13) lgkmcnt(11)
	v_mul_f32_e32 v123, v106, v11
	v_fmac_f32_e32 v122, v113, v8
	v_add_f32_e32 v119, v119, v121
	v_mul_f32_e32 v214, v108, v13
	v_fmac_f32_e32 v123, v107, v10
	v_add_f32_e32 v119, v119, v122
	;; [unrolled: 7-line block ×11, first 2 shown]
	s_waitcnt vmcnt(3) lgkmcnt(1)
	v_mul_f32_e32 v233, v54, v51
	v_fmac_f32_e32 v232, v69, v48
	v_add_f32_e32 v119, v119, v231
	v_fmac_f32_e32 v233, v55, v50
	v_add_f32_e32 v119, v119, v232
	v_mul_f32_e32 v120, v56, v53
	v_add_f32_e32 v119, v119, v233
	v_fmac_f32_e32 v120, v57, v52
	v_add_f32_e32 v119, v119, v120
	s_waitcnt vmcnt(2) lgkmcnt(0)
	v_mul_f32_e32 v120, v58, v63
	v_fmac_f32_e32 v120, v59, v62
	v_mul_f32_e32 v214, v60, v65
	v_add_f32_e32 v119, v119, v120
	v_fmac_f32_e32 v214, v61, v64
	ds_read_b128 v[120:123], v118 offset:624
	v_add_f32_e32 v235, v119, v214
	ds_read_b128 v[214:217], v118 offset:640
	scratch_load_dwordx4 v[218:221], off, off offset:288
	scratch_load_dwordx4 v[222:225], off, off offset:304
	;; [unrolled: 1-line block ×4, first 2 shown]
	v_mul_f32_e32 v3, v115, v3
	v_fma_f32 v2, v114, v2, -v3
	v_mul_f32_e32 v3, v117, v5
	v_add_f32_e32 v2, 0, v2
	v_fma_f32 v3, v116, v4, -v3
	v_add_f32_e32 v2, v2, v3
	v_mul_f32_e32 v3, v111, v7
	v_fma_f32 v3, v110, v6, -v3
	v_add_f32_e32 v2, v2, v3
	v_mul_f32_e32 v3, v113, v9
	;; [unrolled: 3-line block ×26, first 2 shown]
	v_fma_f32 v3, v60, v64, -v3
	s_waitcnt vmcnt(5) lgkmcnt(1)
	v_mul_f32_e32 v237, v120, v71
	v_add_f32_e32 v234, v2, v3
	v_mul_f32_e32 v2, v121, v71
	s_waitcnt vmcnt(3) lgkmcnt(0)
	v_pk_mul_f32 v[16:17], v[214:215], v[218:219] op_sel:[1,1] op_sel_hi:[0,1]
	v_fmac_f32_e32 v237, v121, v70
	v_mul_f32_e32 v239, v122, v73
	v_fma_f32 v236, v120, v70, -v2
	v_mul_f32_e32 v2, v123, v73
	v_pk_fma_f32 v[18:19], v[214:215], v[218:219], v[16:17] neg_lo:[0,0,1] neg_hi:[0,0,1]
	v_pk_fma_f32 v[16:17], v[214:215], v[218:219], v[16:17] op_sel_hi:[1,0,1]
	v_fmac_f32_e32 v239, v123, v72
	v_fma_f32 v238, v122, v72, -v2
	ds_read_b128 v[2:5], v118 offset:656
	ds_read_b128 v[6:9], v118 offset:672
	;; [unrolled: 1-line block ×3, first 2 shown]
	v_pk_add_f32 v[14:15], v[234:235], v[236:237]
	v_mov_b32_e32 v16, v221
	v_pk_add_f32 v[14:15], v[14:15], v[238:239]
	v_mov_b32_e32 v19, v17
	v_pk_mul_f32 v[16:17], v[216:217], v[16:17] op_sel:[1,0] op_sel_hi:[0,0]
	v_pk_add_f32 v[14:15], v[14:15], v[18:19]
	v_pk_fma_f32 v[18:19], v[216:217], v[220:221], v[16:17] neg_lo:[0,0,1] neg_hi:[0,0,1]
	v_pk_fma_f32 v[16:17], v[216:217], v[220:221], v[16:17] op_sel_hi:[1,0,1]
	s_nop 0
	v_mov_b32_e32 v19, v17
	s_waitcnt vmcnt(2) lgkmcnt(2)
	v_pk_mul_f32 v[16:17], v[2:3], v[222:223] op_sel:[1,1] op_sel_hi:[0,1]
	v_pk_add_f32 v[14:15], v[14:15], v[18:19]
	v_pk_fma_f32 v[18:19], v[2:3], v[222:223], v[16:17] neg_lo:[0,0,1] neg_hi:[0,0,1]
	v_pk_fma_f32 v[2:3], v[2:3], v[222:223], v[16:17] op_sel_hi:[1,0,1]
	s_nop 0
	v_mov_b32_e32 v19, v3
	v_pk_add_f32 v[2:3], v[14:15], v[18:19]
	v_mov_b32_e32 v14, v225
	v_pk_mul_f32 v[14:15], v[4:5], v[14:15] op_sel:[1,0] op_sel_hi:[0,0]
	v_pk_fma_f32 v[16:17], v[4:5], v[224:225], v[14:15] neg_lo:[0,0,1] neg_hi:[0,0,1]
	v_pk_fma_f32 v[4:5], v[4:5], v[224:225], v[14:15] op_sel_hi:[1,0,1]
	s_nop 0
	v_mov_b32_e32 v17, v5
	s_waitcnt vmcnt(1) lgkmcnt(1)
	v_pk_mul_f32 v[4:5], v[6:7], v[226:227] op_sel:[1,1] op_sel_hi:[0,1]
	v_pk_fma_f32 v[14:15], v[6:7], v[226:227], v[4:5] neg_lo:[0,0,1] neg_hi:[0,0,1]
	v_pk_fma_f32 v[4:5], v[6:7], v[226:227], v[4:5] op_sel_hi:[1,0,1]
	v_pk_add_f32 v[2:3], v[2:3], v[16:17]
	v_mov_b32_e32 v4, v229
	v_mov_b32_e32 v15, v5
	v_pk_mul_f32 v[4:5], v[8:9], v[4:5] op_sel:[1,0] op_sel_hi:[0,0]
	v_pk_fma_f32 v[6:7], v[8:9], v[228:229], v[4:5] neg_lo:[0,0,1] neg_hi:[0,0,1]
	v_pk_fma_f32 v[4:5], v[8:9], v[228:229], v[4:5] op_sel_hi:[1,0,1]
	v_pk_add_f32 v[2:3], v[2:3], v[14:15]
	v_mov_b32_e32 v7, v5
	s_waitcnt vmcnt(0) lgkmcnt(0)
	v_pk_mul_f32 v[4:5], v[10:11], v[230:231] op_sel:[1,1] op_sel_hi:[0,1]
	v_pk_add_f32 v[2:3], v[2:3], v[6:7]
	v_pk_fma_f32 v[6:7], v[10:11], v[230:231], v[4:5] neg_lo:[0,0,1] neg_hi:[0,0,1]
	v_pk_fma_f32 v[4:5], v[10:11], v[230:231], v[4:5] op_sel_hi:[1,0,1]
	s_nop 0
	v_mov_b32_e32 v4, v233
	v_mov_b32_e32 v7, v5
	v_pk_mul_f32 v[4:5], v[12:13], v[4:5] op_sel:[1,0] op_sel_hi:[0,0]
	v_pk_add_f32 v[2:3], v[2:3], v[6:7]
	v_pk_fma_f32 v[6:7], v[12:13], v[232:233], v[4:5] neg_lo:[0,0,1] neg_hi:[0,0,1]
	v_pk_fma_f32 v[4:5], v[12:13], v[232:233], v[4:5] op_sel_hi:[1,0,1]
	s_nop 0
	v_mov_b32_e32 v7, v5
	v_pk_add_f32 v[2:3], v[2:3], v[6:7]
	s_nop 0
	v_pk_add_f32 v[2:3], v[124:125], v[2:3] neg_lo:[0,1] neg_hi:[0,1]
	scratch_store_dwordx2 off, v[2:3], off offset:40
	s_and_saveexec_b64 s[0:1], vcc
	s_cbranch_execz .LBB43_269
; %bb.268:
	scratch_load_dwordx2 v[2:3], off, off offset:32
	v_mov_b32_e32 v4, 0
	v_mov_b32_e32 v5, v4
	scratch_store_dwordx2 off, v[4:5], off offset:32
	s_waitcnt vmcnt(1)
	ds_write_b64 v1, v[2:3]
.LBB43_269:
	s_or_b64 exec, exec, s[0:1]
	s_waitcnt lgkmcnt(0)
	; wave barrier
	scratch_load_dwordx4 v[2:5], off, off offset:40
	scratch_load_dwordx4 v[6:9], off, off offset:56
	;; [unrolled: 1-line block ×16, first 2 shown]
	scratch_load_dwordx2 v[124:125], off, off offset:32
	v_mov_b32_e32 v122, 0
	ds_read2_b64 v[66:69], v122 offset0:49 offset1:50
	ds_read2_b64 v[70:73], v122 offset0:51 offset1:52
	;; [unrolled: 1-line block ×14, first 2 shown]
	v_cmp_lt_u32_e32 vcc, 3, v0
	s_waitcnt vmcnt(16) lgkmcnt(13)
	v_mul_f32_e32 v123, v66, v3
	v_mul_f32_e32 v214, v68, v5
	v_fmac_f32_e32 v123, v67, v2
	s_waitcnt vmcnt(15) lgkmcnt(12)
	v_mul_f32_e32 v215, v70, v7
	v_fmac_f32_e32 v214, v69, v4
	v_add_f32_e32 v123, 0, v123
	v_mul_f32_e32 v216, v72, v9
	v_fmac_f32_e32 v215, v71, v6
	v_add_f32_e32 v123, v123, v214
	s_waitcnt vmcnt(14) lgkmcnt(11)
	v_mul_f32_e32 v217, v74, v11
	v_fmac_f32_e32 v216, v73, v8
	v_add_f32_e32 v123, v123, v215
	v_mul_f32_e32 v218, v76, v13
	v_fmac_f32_e32 v217, v75, v10
	v_add_f32_e32 v123, v123, v216
	s_waitcnt vmcnt(13) lgkmcnt(10)
	v_mul_f32_e32 v219, v78, v15
	v_fmac_f32_e32 v218, v77, v12
	v_add_f32_e32 v123, v123, v217
	v_mul_f32_e32 v220, v80, v17
	v_fmac_f32_e32 v219, v79, v14
	v_add_f32_e32 v123, v123, v218
	s_waitcnt vmcnt(12) lgkmcnt(9)
	v_mul_f32_e32 v221, v82, v19
	v_fmac_f32_e32 v220, v81, v16
	v_add_f32_e32 v123, v123, v219
	v_mul_f32_e32 v222, v84, v21
	v_fmac_f32_e32 v221, v83, v18
	v_add_f32_e32 v123, v123, v220
	s_waitcnt vmcnt(11) lgkmcnt(8)
	v_mul_f32_e32 v223, v86, v23
	v_fmac_f32_e32 v222, v85, v20
	v_add_f32_e32 v123, v123, v221
	v_mul_f32_e32 v224, v88, v25
	v_fmac_f32_e32 v223, v87, v22
	v_add_f32_e32 v123, v123, v222
	s_waitcnt vmcnt(10) lgkmcnt(7)
	v_mul_f32_e32 v225, v90, v27
	v_fmac_f32_e32 v224, v89, v24
	v_add_f32_e32 v123, v123, v223
	v_mul_f32_e32 v226, v92, v29
	v_fmac_f32_e32 v225, v91, v26
	v_add_f32_e32 v123, v123, v224
	s_waitcnt vmcnt(9) lgkmcnt(6)
	v_mul_f32_e32 v227, v94, v31
	v_fmac_f32_e32 v226, v93, v28
	v_add_f32_e32 v123, v123, v225
	v_mul_f32_e32 v228, v96, v33
	v_fmac_f32_e32 v227, v95, v30
	v_add_f32_e32 v123, v123, v226
	s_waitcnt vmcnt(8) lgkmcnt(5)
	v_mul_f32_e32 v229, v98, v35
	v_fmac_f32_e32 v228, v97, v32
	v_add_f32_e32 v123, v123, v227
	v_mul_f32_e32 v230, v100, v37
	v_fmac_f32_e32 v229, v99, v34
	v_add_f32_e32 v123, v123, v228
	s_waitcnt vmcnt(7) lgkmcnt(4)
	v_mul_f32_e32 v231, v102, v39
	v_fmac_f32_e32 v230, v101, v36
	v_add_f32_e32 v123, v123, v229
	v_mul_f32_e32 v232, v104, v41
	v_fmac_f32_e32 v231, v103, v38
	v_add_f32_e32 v123, v123, v230
	s_waitcnt vmcnt(6) lgkmcnt(3)
	v_mul_f32_e32 v233, v106, v43
	v_fmac_f32_e32 v232, v105, v40
	v_add_f32_e32 v123, v123, v231
	v_mul_f32_e32 v234, v108, v45
	v_fmac_f32_e32 v233, v107, v42
	v_add_f32_e32 v123, v123, v232
	s_waitcnt vmcnt(5) lgkmcnt(2)
	v_mul_f32_e32 v235, v110, v47
	v_fmac_f32_e32 v234, v109, v44
	v_add_f32_e32 v123, v123, v233
	v_mul_f32_e32 v236, v112, v49
	v_fmac_f32_e32 v235, v111, v46
	v_add_f32_e32 v123, v123, v234
	v_fmac_f32_e32 v236, v113, v48
	v_add_f32_e32 v123, v123, v235
	s_waitcnt vmcnt(4) lgkmcnt(1)
	v_mul_f32_e32 v214, v114, v51
	v_add_f32_e32 v123, v123, v236
	v_fmac_f32_e32 v214, v115, v50
	v_add_f32_e32 v123, v123, v214
	v_mul_f32_e32 v214, v116, v53
	v_fmac_f32_e32 v214, v117, v52
	v_add_f32_e32 v123, v123, v214
	s_waitcnt vmcnt(3) lgkmcnt(0)
	v_mul_f32_e32 v214, v118, v55
	v_fmac_f32_e32 v214, v119, v54
	v_add_f32_e32 v123, v123, v214
	ds_read2_b64 v[214:217], v122 offset0:77 offset1:78
	v_mul_f32_e32 v218, v120, v57
	v_fmac_f32_e32 v218, v121, v56
	v_add_f32_e32 v123, v123, v218
	ds_read2_b64 v[218:221], v122 offset0:79 offset1:80
	s_waitcnt vmcnt(2) lgkmcnt(1)
	v_mul_f32_e32 v222, v214, v63
	v_fmac_f32_e32 v222, v215, v62
	v_add_f32_e32 v235, v123, v222
	scratch_load_dwordx4 v[222:225], off, off offset:296
	scratch_load_dwordx4 v[226:229], off, off offset:312
	;; [unrolled: 1-line block ×3, first 2 shown]
	scratch_load_dwordx2 v[240:241], off, off offset:344
	v_mul_f32_e32 v3, v67, v3
	v_fma_f32 v2, v66, v2, -v3
	v_mul_f32_e32 v3, v69, v5
	v_add_f32_e32 v2, 0, v2
	v_fma_f32 v3, v68, v4, -v3
	v_add_f32_e32 v2, v2, v3
	v_mul_f32_e32 v3, v71, v7
	v_fma_f32 v3, v70, v6, -v3
	v_add_f32_e32 v2, v2, v3
	v_mul_f32_e32 v3, v73, v9
	;; [unrolled: 3-line block ×28, first 2 shown]
	v_mul_f32_e32 v237, v216, v65
	v_fma_f32 v236, v216, v64, -v2
	s_waitcnt vmcnt(5) lgkmcnt(0)
	v_mul_f32_e32 v2, v219, v59
	v_mov_b32_e32 v18, v61
	v_fmac_f32_e32 v237, v217, v64
	v_mul_f32_e32 v239, v218, v59
	v_fma_f32 v238, v218, v58, -v2
	ds_read2_b64 v[2:5], v122 offset0:81 offset1:82
	ds_read2_b64 v[6:9], v122 offset0:83 offset1:84
	;; [unrolled: 1-line block ×3, first 2 shown]
	ds_read_b64 v[14:15], v122 offset:696
	v_pk_mul_f32 v[18:19], v[220:221], v[18:19] op_sel:[1,0] op_sel_hi:[0,0]
	v_fmac_f32_e32 v239, v219, v58
	v_pk_add_f32 v[16:17], v[234:235], v[236:237]
	v_pk_fma_f32 v[20:21], v[220:221], v[60:61], v[18:19] neg_lo:[0,0,1] neg_hi:[0,0,1]
	v_pk_fma_f32 v[18:19], v[220:221], v[60:61], v[18:19] op_sel_hi:[1,0,1]
	v_pk_add_f32 v[16:17], v[16:17], v[238:239]
	v_mov_b32_e32 v21, v19
	s_waitcnt vmcnt(3) lgkmcnt(3)
	v_pk_mul_f32 v[18:19], v[2:3], v[222:223] op_sel:[1,1] op_sel_hi:[0,1]
	v_pk_add_f32 v[16:17], v[16:17], v[20:21]
	v_pk_fma_f32 v[20:21], v[2:3], v[222:223], v[18:19] neg_lo:[0,0,1] neg_hi:[0,0,1]
	v_pk_fma_f32 v[2:3], v[2:3], v[222:223], v[18:19] op_sel_hi:[1,0,1]
	s_nop 0
	v_mov_b32_e32 v21, v3
	v_pk_add_f32 v[2:3], v[16:17], v[20:21]
	v_mov_b32_e32 v16, v225
	v_pk_mul_f32 v[16:17], v[4:5], v[16:17] op_sel:[1,0] op_sel_hi:[0,0]
	v_pk_fma_f32 v[18:19], v[4:5], v[224:225], v[16:17] neg_lo:[0,0,1] neg_hi:[0,0,1]
	v_pk_fma_f32 v[4:5], v[4:5], v[224:225], v[16:17] op_sel_hi:[1,0,1]
	s_nop 0
	v_mov_b32_e32 v19, v5
	s_waitcnt vmcnt(2) lgkmcnt(2)
	v_pk_mul_f32 v[4:5], v[6:7], v[226:227] op_sel:[1,1] op_sel_hi:[0,1]
	v_pk_fma_f32 v[16:17], v[6:7], v[226:227], v[4:5] neg_lo:[0,0,1] neg_hi:[0,0,1]
	v_pk_fma_f32 v[4:5], v[6:7], v[226:227], v[4:5] op_sel_hi:[1,0,1]
	v_pk_add_f32 v[2:3], v[2:3], v[18:19]
	v_mov_b32_e32 v4, v229
	v_mov_b32_e32 v17, v5
	v_pk_mul_f32 v[4:5], v[8:9], v[4:5] op_sel:[1,0] op_sel_hi:[0,0]
	v_pk_fma_f32 v[6:7], v[8:9], v[228:229], v[4:5] neg_lo:[0,0,1] neg_hi:[0,0,1]
	v_pk_fma_f32 v[4:5], v[8:9], v[228:229], v[4:5] op_sel_hi:[1,0,1]
	v_pk_add_f32 v[2:3], v[2:3], v[16:17]
	v_mov_b32_e32 v7, v5
	s_waitcnt vmcnt(1) lgkmcnt(1)
	v_pk_mul_f32 v[4:5], v[10:11], v[230:231] op_sel:[1,1] op_sel_hi:[0,1]
	v_pk_add_f32 v[2:3], v[2:3], v[6:7]
	v_pk_fma_f32 v[6:7], v[10:11], v[230:231], v[4:5] neg_lo:[0,0,1] neg_hi:[0,0,1]
	v_pk_fma_f32 v[4:5], v[10:11], v[230:231], v[4:5] op_sel_hi:[1,0,1]
	s_nop 0
	v_mov_b32_e32 v4, v233
	v_mov_b32_e32 v7, v5
	v_pk_mul_f32 v[4:5], v[12:13], v[4:5] op_sel:[1,0] op_sel_hi:[0,0]
	v_pk_add_f32 v[2:3], v[2:3], v[6:7]
	v_pk_fma_f32 v[6:7], v[12:13], v[232:233], v[4:5] neg_lo:[0,0,1] neg_hi:[0,0,1]
	v_pk_fma_f32 v[4:5], v[12:13], v[232:233], v[4:5] op_sel_hi:[1,0,1]
	s_nop 0
	v_mov_b32_e32 v7, v5
	s_waitcnt vmcnt(0) lgkmcnt(0)
	v_pk_mul_f32 v[4:5], v[14:15], v[240:241] op_sel:[1,1] op_sel_hi:[0,1]
	v_pk_add_f32 v[2:3], v[2:3], v[6:7]
	v_pk_fma_f32 v[6:7], v[14:15], v[240:241], v[4:5] neg_lo:[0,0,1] neg_hi:[0,0,1]
	v_pk_fma_f32 v[4:5], v[14:15], v[240:241], v[4:5] op_sel_hi:[1,0,1]
	s_nop 0
	v_mov_b32_e32 v7, v5
	v_pk_add_f32 v[2:3], v[2:3], v[6:7]
	s_nop 0
	v_pk_add_f32 v[2:3], v[124:125], v[2:3] neg_lo:[0,1] neg_hi:[0,1]
	scratch_store_dwordx2 off, v[2:3], off offset:32
	s_and_saveexec_b64 s[0:1], vcc
	s_cbranch_execz .LBB43_271
; %bb.270:
	scratch_load_dwordx2 v[2:3], off, off offset:24
	v_mov_b32_e32 v123, v122
	scratch_store_dwordx2 off, v[122:123], off offset:24
	s_waitcnt vmcnt(1)
	ds_write_b64 v1, v[2:3]
.LBB43_271:
	s_or_b64 exec, exec, s[0:1]
	s_waitcnt lgkmcnt(0)
	; wave barrier
	scratch_load_dwordx4 v[2:5], off, off offset:32
	scratch_load_dwordx4 v[6:9], off, off offset:48
	;; [unrolled: 1-line block ×13, first 2 shown]
	ds_read_b128 v[118:121], v122 offset:384
	ds_read_b128 v[114:117], v122 offset:400
	;; [unrolled: 1-line block ×14, first 2 shown]
	scratch_load_dwordx4 v[62:65], off, off offset:240
	scratch_load_dwordx4 v[70:73], off, off offset:256
	;; [unrolled: 1-line block ×3, first 2 shown]
	scratch_load_dwordx2 v[124:125], off, off offset:24
	v_cmp_lt_u32_e32 vcc, 2, v0
	s_waitcnt vmcnt(16) lgkmcnt(13)
	v_mul_f32_e32 v123, v118, v3
	v_mul_f32_e32 v214, v120, v5
	v_fmac_f32_e32 v123, v119, v2
	s_waitcnt vmcnt(15) lgkmcnt(12)
	v_mul_f32_e32 v215, v114, v7
	v_fmac_f32_e32 v214, v121, v4
	v_add_f32_e32 v123, 0, v123
	v_mul_f32_e32 v216, v116, v9
	v_fmac_f32_e32 v215, v115, v6
	v_add_f32_e32 v123, v123, v214
	s_waitcnt vmcnt(14) lgkmcnt(11)
	v_mul_f32_e32 v217, v110, v11
	v_fmac_f32_e32 v216, v117, v8
	v_add_f32_e32 v123, v123, v215
	v_mul_f32_e32 v218, v112, v13
	v_fmac_f32_e32 v217, v111, v10
	v_add_f32_e32 v123, v123, v216
	;; [unrolled: 7-line block ×11, first 2 shown]
	s_waitcnt vmcnt(4) lgkmcnt(1)
	v_mul_f32_e32 v237, v54, v51
	v_fmac_f32_e32 v236, v69, v48
	v_add_f32_e32 v123, v123, v235
	v_add_f32_e32 v123, v123, v236
	v_fmac_f32_e32 v237, v55, v50
	v_mul_f32_e32 v214, v56, v53
	v_add_f32_e32 v123, v123, v237
	v_fmac_f32_e32 v214, v57, v52
	v_add_f32_e32 v123, v123, v214
	s_waitcnt vmcnt(3) lgkmcnt(0)
	v_mul_f32_e32 v214, v58, v63
	v_fmac_f32_e32 v214, v59, v62
	v_add_f32_e32 v123, v123, v214
	ds_read_b128 v[214:217], v122 offset:608
	v_mul_f32_e32 v218, v60, v65
	v_fmac_f32_e32 v218, v61, v64
	v_add_f32_e32 v123, v123, v218
	ds_read_b128 v[218:221], v122 offset:624
	s_waitcnt vmcnt(2) lgkmcnt(1)
	v_mul_f32_e32 v222, v214, v71
	v_fmac_f32_e32 v222, v215, v70
	v_add_f32_e32 v123, v123, v222
	v_mul_f32_e32 v222, v216, v73
	v_fmac_f32_e32 v222, v217, v72
	v_add_f32_e32 v239, v123, v222
	scratch_load_dwordx4 v[222:225], off, off offset:288
	scratch_load_dwordx4 v[226:229], off, off offset:304
	;; [unrolled: 1-line block ×4, first 2 shown]
	v_mul_f32_e32 v3, v119, v3
	v_fma_f32 v2, v118, v2, -v3
	v_mul_f32_e32 v3, v121, v5
	v_add_f32_e32 v2, 0, v2
	v_fma_f32 v3, v120, v4, -v3
	v_add_f32_e32 v2, v2, v3
	v_mul_f32_e32 v3, v115, v7
	v_fma_f32 v3, v114, v6, -v3
	v_add_f32_e32 v2, v2, v3
	v_mul_f32_e32 v3, v117, v9
	;; [unrolled: 3-line block ×28, first 2 shown]
	v_fma_f32 v3, v216, v72, -v3
	v_add_f32_e32 v238, v2, v3
	s_waitcnt vmcnt(5) lgkmcnt(0)
	v_mul_f32_e32 v2, v219, v79
	v_fma_f32 v240, v218, v78, -v2
	v_mul_f32_e32 v2, v221, v81
	v_fma_f32 v242, v220, v80, -v2
	ds_read_b128 v[2:5], v122 offset:640
	ds_read_b128 v[6:9], v122 offset:656
	;; [unrolled: 1-line block ×4, first 2 shown]
	v_mul_f32_e32 v241, v218, v79
	v_fmac_f32_e32 v241, v219, v78
	v_mul_f32_e32 v243, v220, v81
	s_waitcnt vmcnt(3) lgkmcnt(3)
	v_pk_mul_f32 v[20:21], v[2:3], v[222:223] op_sel:[1,1] op_sel_hi:[0,1]
	v_fmac_f32_e32 v243, v221, v80
	v_pk_add_f32 v[18:19], v[238:239], v[240:241]
	v_pk_fma_f32 v[22:23], v[2:3], v[222:223], v[20:21] neg_lo:[0,0,1] neg_hi:[0,0,1]
	v_pk_fma_f32 v[2:3], v[2:3], v[222:223], v[20:21] op_sel_hi:[1,0,1]
	v_pk_add_f32 v[18:19], v[18:19], v[242:243]
	v_mov_b32_e32 v23, v3
	v_pk_add_f32 v[2:3], v[18:19], v[22:23]
	v_mov_b32_e32 v18, v225
	v_pk_mul_f32 v[18:19], v[4:5], v[18:19] op_sel:[1,0] op_sel_hi:[0,0]
	v_pk_fma_f32 v[20:21], v[4:5], v[224:225], v[18:19] neg_lo:[0,0,1] neg_hi:[0,0,1]
	v_pk_fma_f32 v[4:5], v[4:5], v[224:225], v[18:19] op_sel_hi:[1,0,1]
	s_nop 0
	v_mov_b32_e32 v21, v5
	s_waitcnt vmcnt(2) lgkmcnt(2)
	v_pk_mul_f32 v[4:5], v[6:7], v[226:227] op_sel:[1,1] op_sel_hi:[0,1]
	v_pk_fma_f32 v[18:19], v[6:7], v[226:227], v[4:5] neg_lo:[0,0,1] neg_hi:[0,0,1]
	v_pk_fma_f32 v[4:5], v[6:7], v[226:227], v[4:5] op_sel_hi:[1,0,1]
	v_pk_add_f32 v[2:3], v[2:3], v[20:21]
	v_mov_b32_e32 v4, v229
	v_mov_b32_e32 v19, v5
	v_pk_mul_f32 v[4:5], v[8:9], v[4:5] op_sel:[1,0] op_sel_hi:[0,0]
	v_pk_fma_f32 v[6:7], v[8:9], v[228:229], v[4:5] neg_lo:[0,0,1] neg_hi:[0,0,1]
	v_pk_fma_f32 v[4:5], v[8:9], v[228:229], v[4:5] op_sel_hi:[1,0,1]
	v_pk_add_f32 v[2:3], v[2:3], v[18:19]
	v_mov_b32_e32 v7, v5
	s_waitcnt vmcnt(1) lgkmcnt(1)
	v_pk_mul_f32 v[4:5], v[10:11], v[230:231] op_sel:[1,1] op_sel_hi:[0,1]
	v_pk_add_f32 v[2:3], v[2:3], v[6:7]
	v_pk_fma_f32 v[6:7], v[10:11], v[230:231], v[4:5] neg_lo:[0,0,1] neg_hi:[0,0,1]
	v_pk_fma_f32 v[4:5], v[10:11], v[230:231], v[4:5] op_sel_hi:[1,0,1]
	s_nop 0
	v_mov_b32_e32 v4, v233
	v_mov_b32_e32 v7, v5
	v_pk_mul_f32 v[4:5], v[12:13], v[4:5] op_sel:[1,0] op_sel_hi:[0,0]
	v_pk_add_f32 v[2:3], v[2:3], v[6:7]
	v_pk_fma_f32 v[6:7], v[12:13], v[232:233], v[4:5] neg_lo:[0,0,1] neg_hi:[0,0,1]
	v_pk_fma_f32 v[4:5], v[12:13], v[232:233], v[4:5] op_sel_hi:[1,0,1]
	s_nop 0
	v_mov_b32_e32 v7, v5
	s_waitcnt vmcnt(0) lgkmcnt(0)
	v_pk_mul_f32 v[4:5], v[14:15], v[234:235] op_sel:[1,1] op_sel_hi:[0,1]
	v_pk_add_f32 v[2:3], v[2:3], v[6:7]
	v_pk_fma_f32 v[6:7], v[14:15], v[234:235], v[4:5] neg_lo:[0,0,1] neg_hi:[0,0,1]
	v_pk_fma_f32 v[4:5], v[14:15], v[234:235], v[4:5] op_sel_hi:[1,0,1]
	s_nop 0
	v_mov_b32_e32 v4, v237
	v_mov_b32_e32 v7, v5
	v_pk_mul_f32 v[4:5], v[16:17], v[4:5] op_sel:[1,0] op_sel_hi:[0,0]
	v_pk_add_f32 v[2:3], v[2:3], v[6:7]
	v_pk_fma_f32 v[6:7], v[16:17], v[236:237], v[4:5] neg_lo:[0,0,1] neg_hi:[0,0,1]
	v_pk_fma_f32 v[4:5], v[16:17], v[236:237], v[4:5] op_sel_hi:[1,0,1]
	s_nop 0
	v_mov_b32_e32 v7, v5
	v_pk_add_f32 v[2:3], v[2:3], v[6:7]
	s_nop 0
	v_pk_add_f32 v[2:3], v[124:125], v[2:3] neg_lo:[0,1] neg_hi:[0,1]
	scratch_store_dwordx2 off, v[2:3], off offset:24
	s_and_saveexec_b64 s[0:1], vcc
	s_cbranch_execz .LBB43_273
; %bb.272:
	scratch_load_dwordx2 v[2:3], off, off offset:16
	v_mov_b32_e32 v4, 0
	v_mov_b32_e32 v5, v4
	scratch_store_dwordx2 off, v[4:5], off offset:16
	s_waitcnt vmcnt(1)
	ds_write_b64 v1, v[2:3]
.LBB43_273:
	s_or_b64 exec, exec, s[0:1]
	s_waitcnt lgkmcnt(0)
	; wave barrier
	scratch_load_dwordx4 v[2:5], off, off offset:24
	scratch_load_dwordx4 v[6:9], off, off offset:40
	;; [unrolled: 1-line block ×12, first 2 shown]
	v_mov_b32_e32 v214, 0
	scratch_load_dwordx4 v[50:53], off, off offset:216
	scratch_load_dwordx4 v[54:57], off, off offset:232
	;; [unrolled: 1-line block ×5, first 2 shown]
	scratch_load_dwordx2 v[70:71], off, off offset:16
	ds_read2_b64 v[72:75], v214 offset0:47 offset1:48
	ds_read2_b64 v[76:79], v214 offset0:49 offset1:50
	;; [unrolled: 1-line block ×13, first 2 shown]
	v_cmp_lt_u32_e32 vcc, 1, v0
	s_waitcnt vmcnt(17) lgkmcnt(12)
	v_mul_f32_e32 v124, v72, v3
	v_mul_f32_e32 v125, v74, v5
	v_fmac_f32_e32 v124, v73, v2
	s_waitcnt vmcnt(16) lgkmcnt(11)
	v_mul_f32_e32 v215, v76, v7
	v_fmac_f32_e32 v125, v75, v4
	v_add_f32_e32 v124, 0, v124
	v_mul_f32_e32 v216, v78, v9
	v_fmac_f32_e32 v215, v77, v6
	v_add_f32_e32 v124, v124, v125
	s_waitcnt vmcnt(15) lgkmcnt(10)
	v_mul_f32_e32 v217, v80, v11
	v_fmac_f32_e32 v216, v79, v8
	v_add_f32_e32 v124, v124, v215
	v_mul_f32_e32 v218, v82, v13
	v_fmac_f32_e32 v217, v81, v10
	v_add_f32_e32 v124, v124, v216
	;; [unrolled: 7-line block ×11, first 2 shown]
	v_fmac_f32_e32 v236, v119, v48
	v_add_f32_e32 v124, v124, v235
	v_add_f32_e32 v124, v124, v236
	ds_read2_b64 v[216:219], v214 offset0:73 offset1:74
	ds_read2_b64 v[220:223], v214 offset0:75 offset1:76
	;; [unrolled: 1-line block ×5, first 2 shown]
	scratch_load_dwordx4 v[236:239], off, off offset:296
	scratch_load_dwordx4 v[240:243], off, off offset:312
	;; [unrolled: 1-line block ×3, first 2 shown]
	scratch_load_dwordx2 v[252:253], off, off offset:344
	v_mul_f32_e32 v3, v73, v3
	v_fma_f32 v2, v72, v2, -v3
	v_mul_f32_e32 v3, v75, v5
	v_add_f32_e32 v2, 0, v2
	v_fma_f32 v3, v74, v4, -v3
	v_add_f32_e32 v2, v2, v3
	v_mul_f32_e32 v3, v77, v7
	v_fma_f32 v3, v76, v6, -v3
	v_add_f32_e32 v2, v2, v3
	v_mul_f32_e32 v3, v79, v9
	;; [unrolled: 3-line block ×22, first 2 shown]
	v_fma_f32 v3, v118, v48, -v3
	s_waitcnt vmcnt(9) lgkmcnt(5)
	v_mul_f32_e32 v125, v120, v51
	v_add_f32_e32 v2, v2, v3
	v_mul_f32_e32 v3, v121, v51
	v_fmac_f32_e32 v125, v121, v50
	v_fma_f32 v3, v120, v50, -v3
	v_add_f32_e32 v124, v124, v125
	v_mul_f32_e32 v125, v122, v53
	v_add_f32_e32 v2, v2, v3
	v_mul_f32_e32 v3, v123, v53
	v_fmac_f32_e32 v125, v123, v52
	v_fma_f32 v3, v122, v52, -v3
	v_add_f32_e32 v124, v124, v125
	s_waitcnt vmcnt(8) lgkmcnt(4)
	v_mul_f32_e32 v125, v216, v55
	v_add_f32_e32 v2, v2, v3
	v_mul_f32_e32 v3, v217, v55
	v_fmac_f32_e32 v125, v217, v54
	v_fma_f32 v3, v216, v54, -v3
	v_add_f32_e32 v124, v124, v125
	v_mul_f32_e32 v125, v218, v57
	v_add_f32_e32 v2, v2, v3
	v_mul_f32_e32 v3, v219, v57
	v_fmac_f32_e32 v125, v219, v56
	v_fma_f32 v3, v218, v56, -v3
	v_add_f32_e32 v124, v124, v125
	;; [unrolled: 13-line block ×3, first 2 shown]
	s_waitcnt vmcnt(6) lgkmcnt(2)
	v_mul_f32_e32 v125, v224, v63
	v_add_f32_e32 v2, v2, v3
	v_mul_f32_e32 v3, v225, v63
	v_fmac_f32_e32 v125, v225, v62
	v_fma_f32 v3, v224, v62, -v3
	v_add_f32_e32 v125, v124, v125
	v_mul_f32_e32 v249, v226, v65
	v_add_f32_e32 v124, v2, v3
	v_mul_f32_e32 v2, v227, v65
	s_waitcnt vmcnt(5)
	v_mov_b32_e32 v14, v69
	v_fmac_f32_e32 v249, v227, v64
	s_waitcnt lgkmcnt(1)
	v_mul_f32_e32 v251, v228, v67
	v_fma_f32 v248, v226, v64, -v2
	v_mul_f32_e32 v2, v229, v67
	v_pk_mul_f32 v[14:15], v[230:231], v[14:15] op_sel:[1,0] op_sel_hi:[0,0]
	v_fmac_f32_e32 v251, v229, v66
	v_fma_f32 v250, v228, v66, -v2
	v_pk_add_f32 v[12:13], v[124:125], v[248:249]
	v_pk_fma_f32 v[16:17], v[230:231], v[68:69], v[14:15] neg_lo:[0,0,1] neg_hi:[0,0,1]
	v_pk_fma_f32 v[14:15], v[230:231], v[68:69], v[14:15] op_sel_hi:[1,0,1]
	v_pk_add_f32 v[12:13], v[12:13], v[250:251]
	v_mov_b32_e32 v17, v15
	s_waitcnt vmcnt(3) lgkmcnt(0)
	v_pk_mul_f32 v[14:15], v[232:233], v[236:237] op_sel:[1,1] op_sel_hi:[0,1]
	v_pk_add_f32 v[12:13], v[12:13], v[16:17]
	v_pk_fma_f32 v[16:17], v[232:233], v[236:237], v[14:15] neg_lo:[0,0,1] neg_hi:[0,0,1]
	v_pk_fma_f32 v[14:15], v[232:233], v[236:237], v[14:15] op_sel_hi:[1,0,1]
	ds_read2_b64 v[2:5], v214 offset0:83 offset1:84
	ds_read2_b64 v[6:9], v214 offset0:85 offset1:86
	ds_read_b64 v[10:11], v214 offset:696
	v_mov_b32_e32 v14, v239
	v_mov_b32_e32 v17, v15
	v_pk_mul_f32 v[14:15], v[234:235], v[14:15] op_sel:[1,0] op_sel_hi:[0,0]
	v_pk_add_f32 v[12:13], v[12:13], v[16:17]
	v_pk_fma_f32 v[16:17], v[234:235], v[238:239], v[14:15] neg_lo:[0,0,1] neg_hi:[0,0,1]
	v_pk_fma_f32 v[14:15], v[234:235], v[238:239], v[14:15] op_sel_hi:[1,0,1]
	s_nop 0
	v_mov_b32_e32 v17, v15
	s_waitcnt vmcnt(2) lgkmcnt(2)
	v_pk_mul_f32 v[14:15], v[2:3], v[240:241] op_sel:[1,1] op_sel_hi:[0,1]
	v_pk_add_f32 v[12:13], v[12:13], v[16:17]
	v_pk_fma_f32 v[16:17], v[2:3], v[240:241], v[14:15] neg_lo:[0,0,1] neg_hi:[0,0,1]
	v_pk_fma_f32 v[2:3], v[2:3], v[240:241], v[14:15] op_sel_hi:[1,0,1]
	s_nop 0
	v_mov_b32_e32 v17, v3
	v_pk_add_f32 v[2:3], v[12:13], v[16:17]
	v_mov_b32_e32 v12, v243
	v_pk_mul_f32 v[12:13], v[4:5], v[12:13] op_sel:[1,0] op_sel_hi:[0,0]
	v_pk_fma_f32 v[14:15], v[4:5], v[242:243], v[12:13] neg_lo:[0,0,1] neg_hi:[0,0,1]
	v_pk_fma_f32 v[4:5], v[4:5], v[242:243], v[12:13] op_sel_hi:[1,0,1]
	s_nop 0
	v_mov_b32_e32 v15, v5
	s_waitcnt vmcnt(1) lgkmcnt(1)
	v_pk_mul_f32 v[4:5], v[6:7], v[244:245] op_sel:[1,1] op_sel_hi:[0,1]
	v_pk_fma_f32 v[12:13], v[6:7], v[244:245], v[4:5] neg_lo:[0,0,1] neg_hi:[0,0,1]
	v_pk_fma_f32 v[4:5], v[6:7], v[244:245], v[4:5] op_sel_hi:[1,0,1]
	v_pk_add_f32 v[2:3], v[2:3], v[14:15]
	v_mov_b32_e32 v4, v247
	v_mov_b32_e32 v13, v5
	v_pk_mul_f32 v[4:5], v[8:9], v[4:5] op_sel:[1,0] op_sel_hi:[0,0]
	v_pk_fma_f32 v[6:7], v[8:9], v[246:247], v[4:5] neg_lo:[0,0,1] neg_hi:[0,0,1]
	v_pk_fma_f32 v[4:5], v[8:9], v[246:247], v[4:5] op_sel_hi:[1,0,1]
	v_pk_add_f32 v[2:3], v[2:3], v[12:13]
	v_mov_b32_e32 v7, v5
	s_waitcnt vmcnt(0) lgkmcnt(0)
	v_pk_mul_f32 v[4:5], v[10:11], v[252:253] op_sel:[1,1] op_sel_hi:[0,1]
	v_pk_add_f32 v[2:3], v[2:3], v[6:7]
	v_pk_fma_f32 v[6:7], v[10:11], v[252:253], v[4:5] neg_lo:[0,0,1] neg_hi:[0,0,1]
	v_pk_fma_f32 v[4:5], v[10:11], v[252:253], v[4:5] op_sel_hi:[1,0,1]
	s_nop 0
	v_mov_b32_e32 v7, v5
	v_pk_add_f32 v[2:3], v[2:3], v[6:7]
	s_nop 0
	v_pk_add_f32 v[2:3], v[70:71], v[2:3] neg_lo:[0,1] neg_hi:[0,1]
	scratch_store_dwordx2 off, v[2:3], off offset:16
	s_and_saveexec_b64 s[0:1], vcc
	s_cbranch_execz .LBB43_275
; %bb.274:
	scratch_load_dwordx2 v[2:3], off, off offset:8
	v_mov_b32_e32 v215, v214
	scratch_store_dwordx2 off, v[214:215], off offset:8
	s_waitcnt vmcnt(1)
	ds_write_b64 v1, v[2:3]
.LBB43_275:
	s_or_b64 exec, exec, s[0:1]
	s_waitcnt lgkmcnt(0)
	; wave barrier
	scratch_load_dwordx4 v[2:5], off, off offset:16
	scratch_load_dwordx4 v[6:9], off, off offset:32
	;; [unrolled: 1-line block ×12, first 2 shown]
	ds_read_b128 v[122:125], v214 offset:368
	ds_read_b128 v[118:121], v214 offset:384
	;; [unrolled: 1-line block ×12, first 2 shown]
	scratch_load_dwordx4 v[54:57], off, off offset:208
	ds_read_b128 v[62:65], v214 offset:560
	ds_read_b128 v[66:69], v214 offset:576
	scratch_load_dwordx4 v[70:73], off, off offset:224
	scratch_load_dwordx4 v[78:81], off, off offset:240
	;; [unrolled: 1-line block ×4, first 2 shown]
	scratch_load_dwordx2 v[216:217], off, off offset:8
	v_cmp_ne_u32_e32 vcc, 0, v0
	s_waitcnt vmcnt(17) lgkmcnt(13)
	v_mul_f32_e32 v215, v122, v3
	v_mul_f32_e32 v218, v124, v5
	v_fmac_f32_e32 v215, v123, v2
	s_waitcnt vmcnt(16) lgkmcnt(12)
	v_mul_f32_e32 v219, v118, v7
	v_fmac_f32_e32 v218, v125, v4
	v_add_f32_e32 v215, 0, v215
	v_mul_f32_e32 v220, v120, v9
	v_fmac_f32_e32 v219, v119, v6
	v_add_f32_e32 v215, v215, v218
	s_waitcnt vmcnt(15) lgkmcnt(11)
	v_mul_f32_e32 v221, v114, v11
	v_fmac_f32_e32 v220, v121, v8
	v_add_f32_e32 v215, v215, v219
	v_mul_f32_e32 v222, v116, v13
	v_fmac_f32_e32 v221, v115, v10
	v_add_f32_e32 v215, v215, v220
	;; [unrolled: 7-line block ×11, first 2 shown]
	v_fmac_f32_e32 v240, v53, v48
	v_add_f32_e32 v215, v215, v239
	s_waitcnt vmcnt(5) lgkmcnt(1)
	v_mul_f32_e32 v218, v62, v55
	v_add_f32_e32 v215, v215, v240
	v_fmac_f32_e32 v218, v63, v54
	v_add_f32_e32 v215, v215, v218
	v_mul_f32_e32 v218, v64, v57
	v_fmac_f32_e32 v218, v65, v56
	v_add_f32_e32 v215, v215, v218
	s_waitcnt vmcnt(4) lgkmcnt(0)
	v_mul_f32_e32 v218, v66, v71
	v_fmac_f32_e32 v218, v67, v70
	v_add_f32_e32 v215, v215, v218
	ds_read_b128 v[218:221], v214 offset:592
	v_mul_f32_e32 v222, v68, v73
	v_fmac_f32_e32 v222, v69, v72
	v_add_f32_e32 v215, v215, v222
	ds_read_b128 v[222:225], v214 offset:608
	s_waitcnt vmcnt(3) lgkmcnt(1)
	v_mul_f32_e32 v226, v218, v79
	v_fmac_f32_e32 v226, v219, v78
	v_add_f32_e32 v215, v215, v226
	v_mul_f32_e32 v226, v220, v81
	v_fmac_f32_e32 v226, v221, v80
	v_add_f32_e32 v215, v215, v226
	s_waitcnt vmcnt(2) lgkmcnt(0)
	v_mul_f32_e32 v226, v222, v87
	v_fmac_f32_e32 v226, v223, v86
	v_mul_f32_e32 v230, v224, v89
	v_add_f32_e32 v215, v215, v226
	v_fmac_f32_e32 v230, v225, v88
	ds_read_b128 v[226:229], v214 offset:624
	v_add_f32_e32 v251, v215, v230
	ds_read_b128 v[230:233], v214 offset:640
	scratch_load_dwordx4 v[234:237], off, off offset:288
	scratch_load_dwordx4 v[238:241], off, off offset:304
	;; [unrolled: 1-line block ×4, first 2 shown]
	v_mul_f32_e32 v3, v123, v3
	v_fma_f32 v2, v122, v2, -v3
	v_mul_f32_e32 v3, v125, v5
	v_add_f32_e32 v2, 0, v2
	v_fma_f32 v3, v124, v4, -v3
	v_add_f32_e32 v2, v2, v3
	v_mul_f32_e32 v3, v119, v7
	v_fma_f32 v3, v118, v6, -v3
	v_add_f32_e32 v2, v2, v3
	v_mul_f32_e32 v3, v121, v9
	;; [unrolled: 3-line block ×30, first 2 shown]
	v_fma_f32 v3, v224, v88, -v3
	s_waitcnt vmcnt(5) lgkmcnt(1)
	v_mul_f32_e32 v253, v226, v95
	v_add_f32_e32 v250, v2, v3
	v_mul_f32_e32 v2, v227, v95
	s_waitcnt vmcnt(3) lgkmcnt(0)
	v_pk_mul_f32 v[16:17], v[230:231], v[234:235] op_sel:[1,1] op_sel_hi:[0,1]
	v_fmac_f32_e32 v253, v227, v94
	v_mul_f32_e32 v255, v228, v97
	v_fma_f32 v252, v226, v94, -v2
	v_mul_f32_e32 v2, v229, v97
	v_pk_fma_f32 v[18:19], v[230:231], v[234:235], v[16:17] neg_lo:[0,0,1] neg_hi:[0,0,1]
	v_pk_fma_f32 v[16:17], v[230:231], v[234:235], v[16:17] op_sel_hi:[1,0,1]
	v_fmac_f32_e32 v255, v229, v96
	v_fma_f32 v254, v228, v96, -v2
	ds_read_b128 v[2:5], v214 offset:656
	ds_read_b128 v[6:9], v214 offset:672
	;; [unrolled: 1-line block ×3, first 2 shown]
	v_pk_add_f32 v[14:15], v[250:251], v[252:253]
	v_mov_b32_e32 v16, v237
	v_pk_add_f32 v[14:15], v[14:15], v[254:255]
	v_mov_b32_e32 v19, v17
	v_pk_mul_f32 v[16:17], v[232:233], v[16:17] op_sel:[1,0] op_sel_hi:[0,0]
	v_pk_add_f32 v[14:15], v[14:15], v[18:19]
	v_pk_fma_f32 v[18:19], v[232:233], v[236:237], v[16:17] neg_lo:[0,0,1] neg_hi:[0,0,1]
	v_pk_fma_f32 v[16:17], v[232:233], v[236:237], v[16:17] op_sel_hi:[1,0,1]
	s_nop 0
	v_mov_b32_e32 v19, v17
	s_waitcnt vmcnt(2) lgkmcnt(2)
	v_pk_mul_f32 v[16:17], v[2:3], v[238:239] op_sel:[1,1] op_sel_hi:[0,1]
	v_pk_add_f32 v[14:15], v[14:15], v[18:19]
	v_pk_fma_f32 v[18:19], v[2:3], v[238:239], v[16:17] neg_lo:[0,0,1] neg_hi:[0,0,1]
	v_pk_fma_f32 v[2:3], v[2:3], v[238:239], v[16:17] op_sel_hi:[1,0,1]
	s_nop 0
	v_mov_b32_e32 v19, v3
	v_pk_add_f32 v[2:3], v[14:15], v[18:19]
	v_mov_b32_e32 v14, v241
	v_pk_mul_f32 v[14:15], v[4:5], v[14:15] op_sel:[1,0] op_sel_hi:[0,0]
	v_pk_fma_f32 v[16:17], v[4:5], v[240:241], v[14:15] neg_lo:[0,0,1] neg_hi:[0,0,1]
	v_pk_fma_f32 v[4:5], v[4:5], v[240:241], v[14:15] op_sel_hi:[1,0,1]
	s_nop 0
	v_mov_b32_e32 v17, v5
	s_waitcnt vmcnt(1) lgkmcnt(1)
	v_pk_mul_f32 v[4:5], v[6:7], v[242:243] op_sel:[1,1] op_sel_hi:[0,1]
	v_pk_fma_f32 v[14:15], v[6:7], v[242:243], v[4:5] neg_lo:[0,0,1] neg_hi:[0,0,1]
	v_pk_fma_f32 v[4:5], v[6:7], v[242:243], v[4:5] op_sel_hi:[1,0,1]
	v_pk_add_f32 v[2:3], v[2:3], v[16:17]
	v_mov_b32_e32 v4, v245
	v_mov_b32_e32 v15, v5
	v_pk_mul_f32 v[4:5], v[8:9], v[4:5] op_sel:[1,0] op_sel_hi:[0,0]
	v_pk_fma_f32 v[6:7], v[8:9], v[244:245], v[4:5] neg_lo:[0,0,1] neg_hi:[0,0,1]
	v_pk_fma_f32 v[4:5], v[8:9], v[244:245], v[4:5] op_sel_hi:[1,0,1]
	v_pk_add_f32 v[2:3], v[2:3], v[14:15]
	v_mov_b32_e32 v7, v5
	s_waitcnt vmcnt(0) lgkmcnt(0)
	v_pk_mul_f32 v[4:5], v[10:11], v[246:247] op_sel:[1,1] op_sel_hi:[0,1]
	v_pk_add_f32 v[2:3], v[2:3], v[6:7]
	v_pk_fma_f32 v[6:7], v[10:11], v[246:247], v[4:5] neg_lo:[0,0,1] neg_hi:[0,0,1]
	v_pk_fma_f32 v[4:5], v[10:11], v[246:247], v[4:5] op_sel_hi:[1,0,1]
	s_nop 0
	v_mov_b32_e32 v4, v249
	v_mov_b32_e32 v7, v5
	v_pk_mul_f32 v[4:5], v[12:13], v[4:5] op_sel:[1,0] op_sel_hi:[0,0]
	v_pk_add_f32 v[2:3], v[2:3], v[6:7]
	v_pk_fma_f32 v[6:7], v[12:13], v[248:249], v[4:5] neg_lo:[0,0,1] neg_hi:[0,0,1]
	v_pk_fma_f32 v[4:5], v[12:13], v[248:249], v[4:5] op_sel_hi:[1,0,1]
	s_nop 0
	v_mov_b32_e32 v7, v5
	v_pk_add_f32 v[2:3], v[2:3], v[6:7]
	s_nop 0
	v_pk_add_f32 v[2:3], v[216:217], v[2:3] neg_lo:[0,1] neg_hi:[0,1]
	scratch_store_dwordx2 off, v[2:3], off offset:8
	s_and_saveexec_b64 s[0:1], vcc
	s_cbranch_execz .LBB43_277
; %bb.276:
	scratch_load_dwordx2 v[2:3], off, off
	v_mov_b32_e32 v4, 0
	v_mov_b32_e32 v5, v4
	scratch_store_dwordx2 off, v[4:5], off
	s_waitcnt vmcnt(1)
	ds_write_b64 v1, v[2:3]
.LBB43_277:
	s_or_b64 exec, exec, s[0:1]
	s_waitcnt lgkmcnt(0)
	; wave barrier
	scratch_load_dwordx4 v[0:3], off, off offset:8
	scratch_load_dwordx4 v[4:7], off, off offset:24
	;; [unrolled: 1-line block ×12, first 2 shown]
	v_mov_b32_e32 v74, 0
	scratch_load_dwordx4 v[48:51], off, off offset:200
	scratch_load_dwordx4 v[52:55], off, off offset:216
	;; [unrolled: 1-line block ×6, first 2 shown]
	scratch_load_dwordx2 v[72:73], off, off
	ds_read2_b64 v[76:79], v74 offset0:45 offset1:46
	ds_read2_b64 v[80:83], v74 offset0:47 offset1:48
	;; [unrolled: 1-line block ×13, first 2 shown]
	s_and_b64 vcc, exec, s[18:19]
	s_waitcnt vmcnt(18) lgkmcnt(12)
	v_mul_f32_e32 v75, v76, v1
	v_mul_f32_e32 v124, v78, v3
	v_fmac_f32_e32 v75, v77, v0
	s_waitcnt vmcnt(17) lgkmcnt(11)
	v_mul_f32_e32 v125, v80, v5
	v_fmac_f32_e32 v124, v79, v2
	v_add_f32_e32 v75, 0, v75
	v_mul_f32_e32 v218, v82, v7
	v_fmac_f32_e32 v125, v81, v4
	v_add_f32_e32 v75, v75, v124
	s_waitcnt vmcnt(16) lgkmcnt(10)
	v_mul_f32_e32 v219, v84, v9
	v_fmac_f32_e32 v218, v83, v6
	v_add_f32_e32 v75, v75, v125
	v_mul_f32_e32 v220, v86, v11
	v_fmac_f32_e32 v219, v85, v8
	v_add_f32_e32 v75, v75, v218
	;; [unrolled: 7-line block ×11, first 2 shown]
	v_add_f32_e32 v75, v75, v237
	v_fmac_f32_e32 v238, v123, v46
	v_add_f32_e32 v75, v75, v238
	scratch_load_dwordx4 v[238:241], off, off offset:296
	ds_read2_b64 v[218:221], v74 offset0:71 offset1:72
	ds_read2_b64 v[222:225], v74 offset0:73 offset1:74
	;; [unrolled: 1-line block ×5, first 2 shown]
	scratch_load_dwordx4 v[242:245], off, off offset:312
	scratch_load_dwordx4 v[246:249], off, off offset:328
	scratch_load_dwordx2 v[254:255], off, off offset:344
	v_mul_f32_e32 v1, v77, v1
	v_fma_f32 v0, v76, v0, -v1
	v_mul_f32_e32 v1, v79, v3
	v_add_f32_e32 v0, 0, v0
	v_fma_f32 v1, v78, v2, -v1
	v_add_f32_e32 v0, v0, v1
	v_mul_f32_e32 v1, v81, v5
	v_fma_f32 v1, v80, v4, -v1
	v_add_f32_e32 v0, v0, v1
	v_mul_f32_e32 v1, v83, v7
	;; [unrolled: 3-line block ×22, first 2 shown]
	v_fma_f32 v1, v122, v46, -v1
	s_waitcnt vmcnt(10) lgkmcnt(5)
	v_mul_f32_e32 v124, v214, v49
	v_add_f32_e32 v0, v0, v1
	v_mul_f32_e32 v1, v215, v49
	v_fmac_f32_e32 v124, v215, v48
	v_fma_f32 v1, v214, v48, -v1
	v_add_f32_e32 v75, v75, v124
	v_mul_f32_e32 v124, v216, v51
	v_add_f32_e32 v0, v0, v1
	v_mul_f32_e32 v1, v217, v51
	v_fmac_f32_e32 v124, v217, v50
	v_fma_f32 v1, v216, v50, -v1
	v_add_f32_e32 v75, v75, v124
	s_waitcnt vmcnt(9) lgkmcnt(4)
	v_mul_f32_e32 v124, v218, v53
	v_add_f32_e32 v0, v0, v1
	v_mul_f32_e32 v1, v219, v53
	v_fmac_f32_e32 v124, v219, v52
	v_fma_f32 v1, v218, v52, -v1
	v_add_f32_e32 v75, v75, v124
	v_mul_f32_e32 v124, v220, v55
	v_add_f32_e32 v0, v0, v1
	v_mul_f32_e32 v1, v221, v55
	v_fmac_f32_e32 v124, v221, v54
	v_fma_f32 v1, v220, v54, -v1
	v_add_f32_e32 v75, v75, v124
	;; [unrolled: 13-line block ×4, first 2 shown]
	s_waitcnt vmcnt(6) lgkmcnt(1)
	v_mul_f32_e32 v124, v230, v69
	v_add_f32_e32 v0, v0, v1
	v_mul_f32_e32 v1, v231, v69
	v_fmac_f32_e32 v124, v231, v68
	v_fma_f32 v1, v230, v68, -v1
	v_add_f32_e32 v125, v75, v124
	v_add_f32_e32 v124, v0, v1
	v_mul_f32_e32 v0, v233, v71
	v_mul_f32_e32 v251, v232, v71
	v_fma_f32 v250, v232, v70, -v0
	s_waitcnt vmcnt(5) lgkmcnt(0)
	v_mul_f32_e32 v0, v235, v65
	v_mov_b32_e32 v16, v67
	v_fmac_f32_e32 v251, v233, v70
	v_mul_f32_e32 v253, v234, v65
	v_fma_f32 v252, v234, v64, -v0
	ds_read2_b64 v[0:3], v74 offset0:81 offset1:82
	ds_read2_b64 v[4:7], v74 offset0:83 offset1:84
	;; [unrolled: 1-line block ×3, first 2 shown]
	ds_read_b64 v[12:13], v74 offset:696
	v_pk_mul_f32 v[16:17], v[236:237], v[16:17] op_sel:[1,0] op_sel_hi:[0,0]
	v_fmac_f32_e32 v253, v235, v64
	v_pk_add_f32 v[14:15], v[124:125], v[250:251]
	v_pk_fma_f32 v[18:19], v[236:237], v[66:67], v[16:17] neg_lo:[0,0,1] neg_hi:[0,0,1]
	v_pk_fma_f32 v[16:17], v[236:237], v[66:67], v[16:17] op_sel_hi:[1,0,1]
	v_pk_add_f32 v[14:15], v[14:15], v[252:253]
	v_mov_b32_e32 v19, v17
	s_waitcnt vmcnt(3) lgkmcnt(3)
	v_pk_mul_f32 v[16:17], v[0:1], v[238:239] op_sel:[1,1] op_sel_hi:[0,1]
	v_pk_add_f32 v[14:15], v[14:15], v[18:19]
	v_pk_fma_f32 v[18:19], v[0:1], v[238:239], v[16:17] neg_lo:[0,0,1] neg_hi:[0,0,1]
	v_pk_fma_f32 v[0:1], v[0:1], v[238:239], v[16:17] op_sel_hi:[1,0,1]
	s_nop 0
	v_mov_b32_e32 v19, v1
	v_pk_add_f32 v[0:1], v[14:15], v[18:19]
	v_mov_b32_e32 v14, v241
	v_pk_mul_f32 v[14:15], v[2:3], v[14:15] op_sel:[1,0] op_sel_hi:[0,0]
	v_pk_fma_f32 v[16:17], v[2:3], v[240:241], v[14:15] neg_lo:[0,0,1] neg_hi:[0,0,1]
	v_pk_fma_f32 v[2:3], v[2:3], v[240:241], v[14:15] op_sel_hi:[1,0,1]
	s_nop 0
	v_mov_b32_e32 v17, v3
	s_waitcnt vmcnt(2) lgkmcnt(2)
	v_pk_mul_f32 v[2:3], v[4:5], v[242:243] op_sel:[1,1] op_sel_hi:[0,1]
	v_pk_fma_f32 v[14:15], v[4:5], v[242:243], v[2:3] neg_lo:[0,0,1] neg_hi:[0,0,1]
	v_pk_fma_f32 v[2:3], v[4:5], v[242:243], v[2:3] op_sel_hi:[1,0,1]
	v_pk_add_f32 v[0:1], v[0:1], v[16:17]
	v_mov_b32_e32 v2, v245
	v_mov_b32_e32 v15, v3
	v_pk_mul_f32 v[2:3], v[6:7], v[2:3] op_sel:[1,0] op_sel_hi:[0,0]
	v_pk_fma_f32 v[4:5], v[6:7], v[244:245], v[2:3] neg_lo:[0,0,1] neg_hi:[0,0,1]
	v_pk_fma_f32 v[2:3], v[6:7], v[244:245], v[2:3] op_sel_hi:[1,0,1]
	v_pk_add_f32 v[0:1], v[0:1], v[14:15]
	v_mov_b32_e32 v5, v3
	s_waitcnt vmcnt(1) lgkmcnt(1)
	v_pk_mul_f32 v[2:3], v[8:9], v[246:247] op_sel:[1,1] op_sel_hi:[0,1]
	v_pk_add_f32 v[0:1], v[0:1], v[4:5]
	v_pk_fma_f32 v[4:5], v[8:9], v[246:247], v[2:3] neg_lo:[0,0,1] neg_hi:[0,0,1]
	v_pk_fma_f32 v[2:3], v[8:9], v[246:247], v[2:3] op_sel_hi:[1,0,1]
	s_nop 0
	v_mov_b32_e32 v2, v249
	v_mov_b32_e32 v5, v3
	v_pk_mul_f32 v[2:3], v[10:11], v[2:3] op_sel:[1,0] op_sel_hi:[0,0]
	v_pk_add_f32 v[0:1], v[0:1], v[4:5]
	v_pk_fma_f32 v[4:5], v[10:11], v[248:249], v[2:3] neg_lo:[0,0,1] neg_hi:[0,0,1]
	v_pk_fma_f32 v[2:3], v[10:11], v[248:249], v[2:3] op_sel_hi:[1,0,1]
	s_nop 0
	v_mov_b32_e32 v5, v3
	s_waitcnt vmcnt(0) lgkmcnt(0)
	v_pk_mul_f32 v[2:3], v[12:13], v[254:255] op_sel:[1,1] op_sel_hi:[0,1]
	v_pk_add_f32 v[0:1], v[0:1], v[4:5]
	v_pk_fma_f32 v[4:5], v[12:13], v[254:255], v[2:3] neg_lo:[0,0,1] neg_hi:[0,0,1]
	v_pk_fma_f32 v[2:3], v[12:13], v[254:255], v[2:3] op_sel_hi:[1,0,1]
	s_nop 0
	v_mov_b32_e32 v5, v3
	v_pk_add_f32 v[0:1], v[0:1], v[4:5]
	s_nop 0
	v_pk_add_f32 v[0:1], v[72:73], v[0:1] neg_lo:[0,1] neg_hi:[0,1]
	scratch_store_dwordx2 off, v[0:1], off
	s_cbranch_vccz .LBB43_364
; %bb.278:
	global_load_dword v0, v74, s[16:17] offset:168
	s_waitcnt vmcnt(0)
	v_readfirstlane_b32 s0, v0
	s_add_i32 s0, s0, -1
	s_cmp_lg_u32 s0, 42
	s_cbranch_scc0 .LBB43_280
; %bb.279:
	s_lshl_b32 s0, s0, 3
	s_nop 0
	scratch_load_dwordx2 v[0:1], off, s0
	scratch_load_dwordx2 v[2:3], off, off offset:336
	s_waitcnt vmcnt(1)
	scratch_store_dwordx2 off, v[0:1], off offset:336
	s_waitcnt vmcnt(1)
	scratch_store_dwordx2 off, v[2:3], s0
.LBB43_280:
	v_mov_b32_e32 v0, 0
	global_load_dword v1, v0, s[16:17] offset:164
	s_waitcnt vmcnt(0)
	v_readfirstlane_b32 s0, v1
	s_add_i32 s0, s0, -1
	s_cmp_eq_u32 s0, 41
	s_cbranch_scc1 .LBB43_282
; %bb.281:
	s_lshl_b32 s0, s0, 3
	s_nop 0
	scratch_load_dwordx2 v[2:3], off, s0
	scratch_load_dwordx2 v[4:5], off, off offset:328
	s_waitcnt vmcnt(1)
	scratch_store_dwordx2 off, v[2:3], off offset:328
	s_waitcnt vmcnt(1)
	scratch_store_dwordx2 off, v[4:5], s0
.LBB43_282:
	global_load_dword v0, v0, s[16:17] offset:160
	s_waitcnt vmcnt(0)
	v_readfirstlane_b32 s0, v0
	s_add_i32 s0, s0, -1
	s_cmp_eq_u32 s0, 40
	s_cbranch_scc1 .LBB43_284
; %bb.283:
	s_lshl_b32 s0, s0, 3
	s_nop 0
	scratch_load_dwordx2 v[0:1], off, s0
	scratch_load_dwordx2 v[2:3], off, off offset:320
	s_waitcnt vmcnt(1)
	scratch_store_dwordx2 off, v[0:1], off offset:320
	s_waitcnt vmcnt(1)
	scratch_store_dwordx2 off, v[2:3], s0
.LBB43_284:
	v_mov_b32_e32 v0, 0
	global_load_dword v1, v0, s[16:17] offset:156
	s_waitcnt vmcnt(0)
	v_readfirstlane_b32 s0, v1
	s_add_i32 s0, s0, -1
	s_cmp_eq_u32 s0, 39
	s_cbranch_scc1 .LBB43_286
; %bb.285:
	s_lshl_b32 s0, s0, 3
	s_nop 0
	scratch_load_dwordx2 v[2:3], off, s0
	scratch_load_dwordx2 v[4:5], off, off offset:312
	s_waitcnt vmcnt(1)
	scratch_store_dwordx2 off, v[2:3], off offset:312
	s_waitcnt vmcnt(1)
	scratch_store_dwordx2 off, v[4:5], s0
.LBB43_286:
	global_load_dword v0, v0, s[16:17] offset:152
	s_waitcnt vmcnt(0)
	v_readfirstlane_b32 s0, v0
	s_add_i32 s0, s0, -1
	s_cmp_eq_u32 s0, 38
	s_cbranch_scc1 .LBB43_288
; %bb.287:
	s_lshl_b32 s0, s0, 3
	s_nop 0
	scratch_load_dwordx2 v[0:1], off, s0
	scratch_load_dwordx2 v[2:3], off, off offset:304
	s_waitcnt vmcnt(1)
	scratch_store_dwordx2 off, v[0:1], off offset:304
	s_waitcnt vmcnt(1)
	scratch_store_dwordx2 off, v[2:3], s0
.LBB43_288:
	;; [unrolled: 33-line block ×20, first 2 shown]
	v_mov_b32_e32 v0, 0
	global_load_dword v1, v0, s[16:17] offset:4
	s_waitcnt vmcnt(0)
	v_readfirstlane_b32 s0, v1
	s_add_i32 s0, s0, -1
	s_cmp_eq_u32 s0, 1
	s_cbranch_scc1 .LBB43_362
; %bb.361:
	s_lshl_b32 s0, s0, 3
	s_nop 0
	scratch_load_dwordx2 v[2:3], off, s0
	scratch_load_dwordx2 v[4:5], off, off offset:8
	s_waitcnt vmcnt(1)
	scratch_store_dwordx2 off, v[2:3], off offset:8
	s_waitcnt vmcnt(1)
	scratch_store_dwordx2 off, v[4:5], s0
.LBB43_362:
	global_load_dword v2, v0, s[16:17]
	s_nop 0
	scratch_load_dwordx2 v[0:1], off, off
	s_waitcnt vmcnt(1)
	v_readfirstlane_b32 s0, v2
	s_add_i32 s0, s0, -1
	s_cmp_eq_u32 s0, 0
	s_cbranch_scc1 .LBB43_364
; %bb.363:
	s_lshl_b32 s0, s0, 3
	s_nop 0
	scratch_load_dwordx2 v[2:3], off, s0
	s_waitcnt vmcnt(0)
	scratch_store_dwordx2 off, v[2:3], off
	scratch_store_dwordx2 off, v[0:1], s0
	scratch_load_dwordx2 v[0:1], off, off
.LBB43_364:
	s_nop 0
	scratch_load_dwordx4 v[4:7], off, off offset:8
	scratch_load_dwordx4 v[8:11], off, off offset:24
	;; [unrolled: 1-line block ×21, first 2 shown]
	scratch_load_dwordx2 v[2:3], off, off offset:344
	s_waitcnt vmcnt(22)
	global_store_dwordx2 v[126:127], v[0:1], off
	s_waitcnt vmcnt(22)
	global_store_dwordx2 v[128:129], v[4:5], off
	global_store_dwordx2 v[130:131], v[6:7], off
	s_waitcnt vmcnt(23)
	global_store_dwordx2 v[132:133], v[8:9], off
	;; [unrolled: 3-line block ×22, first 2 shown]
	s_endpgm
	.section	.rodata,"a",@progbits
	.p2align	6, 0x0
	.amdhsa_kernel _ZN9rocsolver6v33100L18getri_kernel_smallILi44E19rocblas_complex_numIfEPS3_EEvT1_iilPiilS6_bb
		.amdhsa_group_segment_fixed_size 708
		.amdhsa_private_segment_fixed_size 368
		.amdhsa_kernarg_size 60
		.amdhsa_user_sgpr_count 2
		.amdhsa_user_sgpr_dispatch_ptr 0
		.amdhsa_user_sgpr_queue_ptr 0
		.amdhsa_user_sgpr_kernarg_segment_ptr 1
		.amdhsa_user_sgpr_dispatch_id 0
		.amdhsa_user_sgpr_kernarg_preload_length 0
		.amdhsa_user_sgpr_kernarg_preload_offset 0
		.amdhsa_user_sgpr_private_segment_size 0
		.amdhsa_uses_dynamic_stack 0
		.amdhsa_enable_private_segment 1
		.amdhsa_system_sgpr_workgroup_id_x 1
		.amdhsa_system_sgpr_workgroup_id_y 0
		.amdhsa_system_sgpr_workgroup_id_z 0
		.amdhsa_system_sgpr_workgroup_info 0
		.amdhsa_system_vgpr_workitem_id 0
		.amdhsa_next_free_vgpr 256
		.amdhsa_next_free_sgpr 20
		.amdhsa_accum_offset 256
		.amdhsa_reserve_vcc 1
		.amdhsa_float_round_mode_32 0
		.amdhsa_float_round_mode_16_64 0
		.amdhsa_float_denorm_mode_32 3
		.amdhsa_float_denorm_mode_16_64 3
		.amdhsa_dx10_clamp 1
		.amdhsa_ieee_mode 1
		.amdhsa_fp16_overflow 0
		.amdhsa_tg_split 0
		.amdhsa_exception_fp_ieee_invalid_op 0
		.amdhsa_exception_fp_denorm_src 0
		.amdhsa_exception_fp_ieee_div_zero 0
		.amdhsa_exception_fp_ieee_overflow 0
		.amdhsa_exception_fp_ieee_underflow 0
		.amdhsa_exception_fp_ieee_inexact 0
		.amdhsa_exception_int_div_zero 0
	.end_amdhsa_kernel
	.section	.text._ZN9rocsolver6v33100L18getri_kernel_smallILi44E19rocblas_complex_numIfEPS3_EEvT1_iilPiilS6_bb,"axG",@progbits,_ZN9rocsolver6v33100L18getri_kernel_smallILi44E19rocblas_complex_numIfEPS3_EEvT1_iilPiilS6_bb,comdat
.Lfunc_end43:
	.size	_ZN9rocsolver6v33100L18getri_kernel_smallILi44E19rocblas_complex_numIfEPS3_EEvT1_iilPiilS6_bb, .Lfunc_end43-_ZN9rocsolver6v33100L18getri_kernel_smallILi44E19rocblas_complex_numIfEPS3_EEvT1_iilPiilS6_bb
                                        ; -- End function
	.set _ZN9rocsolver6v33100L18getri_kernel_smallILi44E19rocblas_complex_numIfEPS3_EEvT1_iilPiilS6_bb.num_vgpr, 256
	.set _ZN9rocsolver6v33100L18getri_kernel_smallILi44E19rocblas_complex_numIfEPS3_EEvT1_iilPiilS6_bb.num_agpr, 0
	.set _ZN9rocsolver6v33100L18getri_kernel_smallILi44E19rocblas_complex_numIfEPS3_EEvT1_iilPiilS6_bb.numbered_sgpr, 20
	.set _ZN9rocsolver6v33100L18getri_kernel_smallILi44E19rocblas_complex_numIfEPS3_EEvT1_iilPiilS6_bb.num_named_barrier, 0
	.set _ZN9rocsolver6v33100L18getri_kernel_smallILi44E19rocblas_complex_numIfEPS3_EEvT1_iilPiilS6_bb.private_seg_size, 368
	.set _ZN9rocsolver6v33100L18getri_kernel_smallILi44E19rocblas_complex_numIfEPS3_EEvT1_iilPiilS6_bb.uses_vcc, 1
	.set _ZN9rocsolver6v33100L18getri_kernel_smallILi44E19rocblas_complex_numIfEPS3_EEvT1_iilPiilS6_bb.uses_flat_scratch, 0
	.set _ZN9rocsolver6v33100L18getri_kernel_smallILi44E19rocblas_complex_numIfEPS3_EEvT1_iilPiilS6_bb.has_dyn_sized_stack, 0
	.set _ZN9rocsolver6v33100L18getri_kernel_smallILi44E19rocblas_complex_numIfEPS3_EEvT1_iilPiilS6_bb.has_recursion, 0
	.set _ZN9rocsolver6v33100L18getri_kernel_smallILi44E19rocblas_complex_numIfEPS3_EEvT1_iilPiilS6_bb.has_indirect_call, 0
	.section	.AMDGPU.csdata,"",@progbits
; Kernel info:
; codeLenInByte = 59000
; TotalNumSgprs: 26
; NumVgprs: 256
; NumAgprs: 0
; TotalNumVgprs: 256
; ScratchSize: 368
; MemoryBound: 0
; FloatMode: 240
; IeeeMode: 1
; LDSByteSize: 708 bytes/workgroup (compile time only)
; SGPRBlocks: 3
; VGPRBlocks: 31
; NumSGPRsForWavesPerEU: 26
; NumVGPRsForWavesPerEU: 256
; AccumOffset: 256
; Occupancy: 2
; WaveLimiterHint : 1
; COMPUTE_PGM_RSRC2:SCRATCH_EN: 1
; COMPUTE_PGM_RSRC2:USER_SGPR: 2
; COMPUTE_PGM_RSRC2:TRAP_HANDLER: 0
; COMPUTE_PGM_RSRC2:TGID_X_EN: 1
; COMPUTE_PGM_RSRC2:TGID_Y_EN: 0
; COMPUTE_PGM_RSRC2:TGID_Z_EN: 0
; COMPUTE_PGM_RSRC2:TIDIG_COMP_CNT: 0
; COMPUTE_PGM_RSRC3_GFX90A:ACCUM_OFFSET: 63
; COMPUTE_PGM_RSRC3_GFX90A:TG_SPLIT: 0
	.section	.text._ZN9rocsolver6v33100L18getri_kernel_smallILi45E19rocblas_complex_numIfEPS3_EEvT1_iilPiilS6_bb,"axG",@progbits,_ZN9rocsolver6v33100L18getri_kernel_smallILi45E19rocblas_complex_numIfEPS3_EEvT1_iilPiilS6_bb,comdat
	.globl	_ZN9rocsolver6v33100L18getri_kernel_smallILi45E19rocblas_complex_numIfEPS3_EEvT1_iilPiilS6_bb ; -- Begin function _ZN9rocsolver6v33100L18getri_kernel_smallILi45E19rocblas_complex_numIfEPS3_EEvT1_iilPiilS6_bb
	.p2align	8
	.type	_ZN9rocsolver6v33100L18getri_kernel_smallILi45E19rocblas_complex_numIfEPS3_EEvT1_iilPiilS6_bb,@function
_ZN9rocsolver6v33100L18getri_kernel_smallILi45E19rocblas_complex_numIfEPS3_EEvT1_iilPiilS6_bb: ; @_ZN9rocsolver6v33100L18getri_kernel_smallILi45E19rocblas_complex_numIfEPS3_EEvT1_iilPiilS6_bb
; %bb.0:
	v_cmp_gt_u32_e32 vcc, 45, v0
	s_and_saveexec_b64 s[4:5], vcc
	s_cbranch_execz .LBB44_194
; %bb.1:
	s_load_dword s8, s[0:1], 0x38
	s_load_dwordx4 s[12:15], s[0:1], 0x10
	s_load_dwordx4 s[4:7], s[0:1], 0x28
                                        ; implicit-def: $sgpr16_sgpr17
	s_waitcnt lgkmcnt(0)
	s_bitcmp1_b32 s8, 8
	s_cselect_b64 s[18:19], -1, 0
	s_ashr_i32 s3, s2, 31
	s_bfe_u32 s8, s8, 0x10008
	s_cmp_eq_u32 s8, 0
	s_cbranch_scc1 .LBB44_3
; %bb.2:
	s_load_dword s8, s[0:1], 0x20
	s_mul_i32 s9, s4, s3
	s_mul_hi_u32 s10, s4, s2
	s_mul_i32 s5, s5, s2
	s_add_i32 s10, s10, s9
	s_add_i32 s5, s10, s5
	s_mul_i32 s4, s4, s2
	s_waitcnt lgkmcnt(0)
	s_ashr_i32 s9, s8, 31
	s_lshl_b64 s[4:5], s[4:5], 2
	s_add_u32 s10, s14, s4
	s_addc_u32 s11, s15, s5
	s_lshl_b64 s[4:5], s[8:9], 2
	s_add_u32 s16, s10, s4
	s_addc_u32 s17, s11, s5
.LBB44_3:
	s_load_dwordx4 s[8:11], s[0:1], 0x0
	s_load_dword s4, s[0:1], 0x38
	s_mul_i32 s5, s12, s3
	s_mul_hi_u32 s14, s12, s2
	s_add_i32 s5, s14, s5
	s_waitcnt lgkmcnt(0)
	s_ashr_i32 s1, s10, 31
	s_mov_b32 s0, s10
	s_mul_i32 s10, s13, s2
	s_add_i32 s13, s5, s10
	s_mul_i32 s12, s12, s2
	s_lshl_b64 s[12:13], s[12:13], 3
	s_add_u32 s5, s8, s12
	s_addc_u32 s8, s9, s13
	s_lshl_b64 s[0:1], s[0:1], 3
	s_add_u32 s0, s5, s0
	s_addc_u32 s1, s8, s1
	v_lshlrev_b32_e32 v2, 3, v0
	v_mov_b32_e32 v3, 0
	v_lshl_add_u64 v[6:7], s[0:1], 0, v[2:3]
	s_ashr_i32 s9, s11, 31
	s_mov_b32 s8, s11
	v_accvgpr_write_b32 a0, v6
	s_add_i32 s5, s11, s11
	v_accvgpr_write_b32 a1, v7
	v_lshl_add_u64 v[162:163], s[8:9], 3, v[6:7]
	v_add_u32_e32 v6, s5, v0
	v_ashrrev_i32_e32 v7, 31, v6
	v_lshl_add_u64 v[164:165], v[6:7], 3, s[0:1]
	v_add_u32_e32 v6, s11, v6
	v_add_u32_e32 v14, s11, v6
	v_ashrrev_i32_e32 v15, 31, v14
	v_lshl_add_u64 v[168:169], v[14:15], 3, s[0:1]
	v_add_u32_e32 v14, s11, v14
	v_ashrrev_i32_e32 v15, 31, v14
	v_lshl_add_u64 v[170:171], v[14:15], 3, s[0:1]
	;; [unrolled: 3-line block ×3, first 2 shown]
	v_add_u32_e32 v14, s11, v14
	v_add_u32_e32 v16, s11, v14
	v_ashrrev_i32_e32 v17, 31, v16
	v_lshl_add_u64 v[176:177], v[16:17], 3, s[0:1]
	v_add_u32_e32 v16, s11, v16
	v_ashrrev_i32_e32 v17, 31, v16
	v_lshl_add_u64 v[178:179], v[16:17], 3, s[0:1]
	;; [unrolled: 3-line block ×36, first 2 shown]
	v_add_u32_e32 v16, s11, v16
	v_ashrrev_i32_e32 v7, 31, v6
	v_ashrrev_i32_e32 v15, 31, v14
	;; [unrolled: 1-line block ×3, first 2 shown]
	global_load_dwordx2 v[4:5], v2, s[0:1]
	v_lshl_add_u64 v[166:167], v[6:7], 3, s[0:1]
	global_load_dwordx2 v[6:7], v[162:163], off
	global_load_dwordx2 v[8:9], v[164:165], off
	;; [unrolled: 1-line block ×4, first 2 shown]
	v_lshl_add_u64 v[174:175], v[14:15], 3, s[0:1]
	global_load_dwordx2 v[14:15], v[170:171], off
	global_load_dwordx2 v[18:19], v[172:173], off
	;; [unrolled: 1-line block ×36, first 2 shown]
	v_lshl_add_u64 v[248:249], v[16:17], 3, s[0:1]
	global_load_dwordx2 v[88:89], v[242:243], off
	global_load_dwordx2 v[90:91], v[244:245], off
	;; [unrolled: 1-line block ×4, first 2 shown]
	s_bitcmp0_b32 s4, 0
	s_mov_b64 s[4:5], -1
	s_waitcnt vmcnt(43)
	scratch_store_dwordx4 off, v[4:7], off
	s_waitcnt vmcnt(42)
	scratch_store_dwordx4 off, v[8:11], off offset:16
	s_waitcnt vmcnt(41)
	scratch_store_dwordx4 off, v[12:15], off offset:32
	;; [unrolled: 2-line block ×21, first 2 shown]
	s_waitcnt vmcnt(22)
	scratch_store_dwordx2 off, v[16:17], off offset:352
	s_cbranch_scc1 .LBB44_192
; %bb.4:
	v_cmp_eq_u32_e64 s[0:1], 0, v0
	s_and_saveexec_b64 s[4:5], s[0:1]
; %bb.5:
	v_mov_b32_e32 v1, 0
	ds_write_b32 v1, v1 offset:360
; %bb.6:
	s_or_b64 exec, exec, s[4:5]
	s_waitcnt lgkmcnt(0)
	; wave barrier
	scratch_load_dwordx2 v[4:5], v2, off
	s_waitcnt vmcnt(0)
	v_cmp_eq_f32_e32 vcc, 0, v4
	v_cmp_eq_f32_e64 s[4:5], 0, v5
	s_and_b64 s[4:5], vcc, s[4:5]
	s_and_saveexec_b64 s[8:9], s[4:5]
	s_cbranch_execz .LBB44_10
; %bb.7:
	v_mov_b32_e32 v1, 0
	ds_read_b32 v4, v1 offset:360
	v_add_u32_e32 v3, 1, v0
	s_waitcnt lgkmcnt(0)
	v_readfirstlane_b32 s4, v4
	s_cmp_eq_u32 s4, 0
	s_cselect_b64 s[10:11], -1, 0
	v_cmp_gt_i32_e32 vcc, s4, v3
	s_or_b64 s[10:11], s[10:11], vcc
	s_and_b64 exec, exec, s[10:11]
	s_cbranch_execz .LBB44_10
; %bb.8:
	s_mov_b64 s[10:11], 0
	v_mov_b32_e32 v4, s4
.LBB44_9:                               ; =>This Inner Loop Header: Depth=1
	ds_cmpst_rtn_b32 v4, v1, v4, v3 offset:360
	s_waitcnt lgkmcnt(0)
	v_cmp_ne_u32_e32 vcc, 0, v4
	v_cmp_le_i32_e64 s[4:5], v4, v3
	s_and_b64 s[4:5], vcc, s[4:5]
	s_and_b64 s[4:5], exec, s[4:5]
	s_or_b64 s[10:11], s[4:5], s[10:11]
	s_andn2_b64 exec, exec, s[10:11]
	s_cbranch_execnz .LBB44_9
.LBB44_10:
	s_or_b64 exec, exec, s[8:9]
	v_mov_b32_e32 v3, 0
	; wave barrier
	ds_read_b32 v1, v3 offset:360
	s_and_saveexec_b64 s[4:5], s[0:1]
	s_cbranch_execz .LBB44_12
; %bb.11:
	s_lshl_b64 s[8:9], s[2:3], 2
	s_add_u32 s8, s6, s8
	s_addc_u32 s9, s7, s9
	s_waitcnt lgkmcnt(0)
	global_store_dword v3, v1, s[8:9]
.LBB44_12:
	s_or_b64 exec, exec, s[4:5]
	s_waitcnt lgkmcnt(0)
	v_cmp_ne_u32_e32 vcc, 0, v1
	s_mov_b64 s[4:5], 0
	s_cbranch_vccnz .LBB44_192
; %bb.13:
	v_mov_b32_e32 v3, v2
	scratch_load_dwordx2 v[4:5], v3, off
                                        ; implicit-def: $vgpr7
                                        ; implicit-def: $vgpr8
	s_waitcnt vmcnt(0)
	v_cmp_ngt_f32_e64 s[4:5], |v4|, |v5|
	s_and_saveexec_b64 s[8:9], s[4:5]
	s_xor_b64 s[4:5], exec, s[8:9]
	s_cbranch_execz .LBB44_15
; %bb.14:
	v_div_scale_f32 v1, s[8:9], v5, v5, v4
	v_rcp_f32_e32 v6, v1
	v_div_scale_f32 v7, vcc, v4, v5, v4
	v_fma_f32 v8, -v1, v6, 1.0
	v_fmac_f32_e32 v6, v8, v6
	v_mul_f32_e32 v8, v7, v6
	v_fma_f32 v9, -v1, v8, v7
	v_fmac_f32_e32 v8, v9, v6
	v_fma_f32 v1, -v1, v8, v7
	v_div_fmas_f32 v1, v1, v6, v8
	v_div_fixup_f32 v1, v1, v5, v4
	v_fmac_f32_e32 v5, v4, v1
	v_div_scale_f32 v4, s[8:9], v5, v5, -1.0
	v_rcp_f32_e32 v6, v4
	s_nop 0
	v_fma_f32 v7, -v4, v6, 1.0
	v_fmac_f32_e32 v6, v7, v6
	v_div_scale_f32 v7, vcc, -1.0, v5, -1.0
	v_mul_f32_e32 v8, v7, v6
	v_fma_f32 v9, -v4, v8, v7
	v_fmac_f32_e32 v8, v9, v6
	v_fma_f32 v4, -v4, v8, v7
	v_div_fmas_f32 v4, v4, v6, v8
	v_div_fixup_f32 v7, v4, v5, -1.0
	v_mul_f32_e32 v8, v1, v7
	v_xor_b32_e32 v6, 0x80000000, v8
                                        ; implicit-def: $vgpr4_vgpr5
.LBB44_15:
	s_andn2_saveexec_b64 s[4:5], s[4:5]
	s_cbranch_execz .LBB44_17
; %bb.16:
	v_div_scale_f32 v1, s[8:9], v4, v4, v5
	v_rcp_f32_e32 v6, v1
	v_div_scale_f32 v7, vcc, v5, v4, v5
	v_fma_f32 v8, -v1, v6, 1.0
	v_fmac_f32_e32 v6, v8, v6
	v_mul_f32_e32 v8, v7, v6
	v_fma_f32 v9, -v1, v8, v7
	v_fmac_f32_e32 v8, v9, v6
	v_fma_f32 v1, -v1, v8, v7
	v_div_fmas_f32 v1, v1, v6, v8
	v_div_fixup_f32 v1, v1, v4, v5
	v_fmac_f32_e32 v4, v5, v1
	v_div_scale_f32 v5, s[8:9], v4, v4, 1.0
	v_rcp_f32_e32 v6, v5
	s_nop 0
	v_fma_f32 v7, -v5, v6, 1.0
	v_fmac_f32_e32 v6, v7, v6
	v_div_scale_f32 v7, vcc, 1.0, v4, 1.0
	v_mul_f32_e32 v8, v7, v6
	v_fma_f32 v9, -v5, v8, v7
	v_fmac_f32_e32 v8, v9, v6
	v_fma_f32 v5, -v5, v8, v7
	v_div_fmas_f32 v5, v5, v6, v8
	v_div_fixup_f32 v6, v5, v4, 1.0
	v_xor_b32_e32 v8, 0x80000000, v6
	v_mul_f32_e64 v7, v1, -v6
.LBB44_17:
	s_or_b64 exec, exec, s[4:5]
	scratch_store_dwordx2 v3, v[6:7], off
	scratch_load_dwordx2 v[4:5], off, off offset:8
	v_xor_b32_e32 v9, 0x80000000, v7
	v_add_u32_e32 v1, 0x170, v2
	s_waitcnt vmcnt(0)
	ds_write2_b64 v2, v[8:9], v[4:5] offset1:46
	s_waitcnt lgkmcnt(0)
	; wave barrier
	s_and_saveexec_b64 s[4:5], s[0:1]
	s_cbranch_execz .LBB44_19
; %bb.18:
	scratch_load_dwordx2 v[4:5], v3, off
	ds_read_b64 v[6:7], v1
	v_mov_b32_e32 v8, 0
	ds_read_b64 v[8:9], v8 offset:8
	s_waitcnt vmcnt(0) lgkmcnt(1)
	v_pk_mul_f32 v[10:11], v[6:7], v[4:5] op_sel:[1,1] op_sel_hi:[0,1]
	v_pk_fma_f32 v[12:13], v[6:7], v[4:5], v[10:11] neg_lo:[0,0,1] neg_hi:[0,0,1]
	v_pk_fma_f32 v[4:5], v[6:7], v[4:5], v[10:11] op_sel_hi:[1,0,1]
	s_nop 0
	v_mov_b32_e32 v13, v5
	v_pk_add_f32 v[4:5], v[12:13], 0 op_sel_hi:[1,0]
	s_waitcnt lgkmcnt(0)
	v_pk_mul_f32 v[6:7], v[4:5], v[8:9] op_sel:[1,1] op_sel_hi:[0,1]
	v_pk_fma_f32 v[10:11], v[4:5], v[8:9], v[6:7] neg_lo:[0,0,1] neg_hi:[0,0,1]
	v_pk_fma_f32 v[4:5], v[4:5], v[8:9], v[6:7] op_sel_hi:[1,0,1]
	s_nop 0
	v_mov_b32_e32 v11, v5
	scratch_store_dwordx2 off, v[10:11], off offset:8
.LBB44_19:
	s_or_b64 exec, exec, s[4:5]
	; wave barrier
	scratch_load_dwordx2 v[4:5], off, off offset:16
	v_cmp_gt_u32_e32 vcc, 2, v0
	s_waitcnt vmcnt(0)
	ds_write_b64 v1, v[4:5]
	s_waitcnt lgkmcnt(0)
	; wave barrier
	s_and_saveexec_b64 s[4:5], vcc
	s_cbranch_execz .LBB44_23
; %bb.20:
	scratch_load_dwordx2 v[4:5], v3, off
	ds_read_b64 v[6:7], v1
	s_waitcnt vmcnt(0) lgkmcnt(0)
	v_pk_mul_f32 v[8:9], v[6:7], v[4:5] op_sel:[1,1] op_sel_hi:[0,1]
	v_pk_fma_f32 v[10:11], v[6:7], v[4:5], v[8:9] neg_lo:[0,0,1] neg_hi:[0,0,1]
	v_pk_fma_f32 v[4:5], v[6:7], v[4:5], v[8:9] op_sel_hi:[1,0,1]
	s_nop 0
	v_mov_b32_e32 v11, v5
	v_pk_add_f32 v[4:5], v[10:11], 0 op_sel_hi:[1,0]
	s_and_saveexec_b64 s[8:9], s[0:1]
	s_cbranch_execz .LBB44_22
; %bb.21:
	scratch_load_dwordx2 v[6:7], off, off offset:8
	v_mov_b32_e32 v3, 0
	ds_read_b64 v[8:9], v3 offset:376
	s_waitcnt vmcnt(0) lgkmcnt(0)
	v_pk_mul_f32 v[10:11], v[8:9], v[6:7] op_sel:[1,1] op_sel_hi:[0,1]
	v_pk_fma_f32 v[12:13], v[8:9], v[6:7], v[10:11] neg_lo:[0,0,1] neg_hi:[0,0,1]
	v_pk_fma_f32 v[6:7], v[8:9], v[6:7], v[10:11] op_sel_hi:[1,0,1]
	s_nop 0
	v_mov_b32_e32 v13, v7
	v_pk_add_f32 v[4:5], v[4:5], v[12:13]
.LBB44_22:
	s_or_b64 exec, exec, s[8:9]
	v_mov_b32_e32 v3, 0
	ds_read_b64 v[6:7], v3 offset:16
	s_waitcnt lgkmcnt(0)
	v_pk_mul_f32 v[8:9], v[4:5], v[6:7] op_sel:[1,1] op_sel_hi:[0,1]
	v_pk_fma_f32 v[10:11], v[4:5], v[6:7], v[8:9] neg_lo:[0,0,1] neg_hi:[0,0,1]
	v_pk_fma_f32 v[4:5], v[4:5], v[6:7], v[8:9] op_sel_hi:[1,0,1]
	s_nop 0
	v_mov_b32_e32 v11, v5
	scratch_store_dwordx2 off, v[10:11], off offset:16
.LBB44_23:
	s_or_b64 exec, exec, s[4:5]
	; wave barrier
	scratch_load_dwordx2 v[4:5], off, off offset:24
	v_cmp_gt_u32_e32 vcc, 3, v0
	v_add_u32_e32 v6, -1, v0
	s_waitcnt vmcnt(0)
	ds_write_b64 v1, v[4:5]
	s_waitcnt lgkmcnt(0)
	; wave barrier
	s_and_saveexec_b64 s[0:1], vcc
	s_cbranch_execz .LBB44_27
; %bb.24:
	v_mov_b32_e32 v4, 0
	v_add_u32_e32 v3, -1, v0
	v_add_u32_e32 v7, 0x170, v2
	v_mov_b32_e32 v8, v2
	s_mov_b64 s[4:5], 0
	v_mov_b32_e32 v5, v4
.LBB44_25:                              ; =>This Inner Loop Header: Depth=1
	scratch_load_dwordx2 v[10:11], v8, off
	ds_read_b64 v[12:13], v7
	v_add_u32_e32 v3, 1, v3
	v_cmp_lt_u32_e32 vcc, 1, v3
	v_add_u32_e32 v7, 8, v7
	v_add_u32_e32 v8, 8, v8
	s_or_b64 s[4:5], vcc, s[4:5]
	s_waitcnt vmcnt(0) lgkmcnt(0)
	v_pk_mul_f32 v[14:15], v[12:13], v[10:11] op_sel:[1,1] op_sel_hi:[0,1]
	v_pk_fma_f32 v[16:17], v[12:13], v[10:11], v[14:15] neg_lo:[0,0,1] neg_hi:[0,0,1]
	v_pk_fma_f32 v[10:11], v[12:13], v[10:11], v[14:15] op_sel_hi:[1,0,1]
	s_nop 0
	v_mov_b32_e32 v17, v11
	v_pk_add_f32 v[4:5], v[4:5], v[16:17]
	s_andn2_b64 exec, exec, s[4:5]
	s_cbranch_execnz .LBB44_25
; %bb.26:
	s_or_b64 exec, exec, s[4:5]
	v_mov_b32_e32 v3, 0
	ds_read_b64 v[8:9], v3 offset:24
	s_waitcnt lgkmcnt(0)
	v_pk_mul_f32 v[10:11], v[4:5], v[8:9] op_sel:[1,1] op_sel_hi:[0,1]
	v_pk_fma_f32 v[12:13], v[4:5], v[8:9], v[10:11] neg_lo:[0,0,1] neg_hi:[0,0,1]
	v_pk_fma_f32 v[4:5], v[4:5], v[8:9], v[10:11] op_sel_hi:[1,0,1]
	s_nop 0
	v_mov_b32_e32 v13, v5
	scratch_store_dwordx2 off, v[12:13], off offset:24
.LBB44_27:
	s_or_b64 exec, exec, s[0:1]
	; wave barrier
	scratch_load_dwordx2 v[4:5], off, off offset:32
	v_cmp_gt_u32_e32 vcc, 4, v0
	s_waitcnt vmcnt(0)
	ds_write_b64 v1, v[4:5]
	s_waitcnt lgkmcnt(0)
	; wave barrier
	s_and_saveexec_b64 s[0:1], vcc
	s_cbranch_execz .LBB44_31
; %bb.28:
	v_mov_b32_e32 v4, 0
	v_add_u32_e32 v3, -1, v0
	v_add_u32_e32 v7, 0x170, v2
	v_mov_b32_e32 v8, v2
	s_mov_b64 s[4:5], 0
	v_mov_b32_e32 v5, v4
.LBB44_29:                              ; =>This Inner Loop Header: Depth=1
	scratch_load_dwordx2 v[10:11], v8, off
	ds_read_b64 v[12:13], v7
	v_add_u32_e32 v3, 1, v3
	v_cmp_lt_u32_e32 vcc, 2, v3
	v_add_u32_e32 v7, 8, v7
	v_add_u32_e32 v8, 8, v8
	s_or_b64 s[4:5], vcc, s[4:5]
	s_waitcnt vmcnt(0) lgkmcnt(0)
	v_pk_mul_f32 v[14:15], v[12:13], v[10:11] op_sel:[1,1] op_sel_hi:[0,1]
	v_pk_fma_f32 v[16:17], v[12:13], v[10:11], v[14:15] neg_lo:[0,0,1] neg_hi:[0,0,1]
	v_pk_fma_f32 v[10:11], v[12:13], v[10:11], v[14:15] op_sel_hi:[1,0,1]
	s_nop 0
	v_mov_b32_e32 v17, v11
	v_pk_add_f32 v[4:5], v[4:5], v[16:17]
	s_andn2_b64 exec, exec, s[4:5]
	s_cbranch_execnz .LBB44_29
; %bb.30:
	s_or_b64 exec, exec, s[4:5]
	v_mov_b32_e32 v3, 0
	ds_read_b64 v[8:9], v3 offset:32
	s_waitcnt lgkmcnt(0)
	v_pk_mul_f32 v[10:11], v[4:5], v[8:9] op_sel:[1,1] op_sel_hi:[0,1]
	v_pk_fma_f32 v[12:13], v[4:5], v[8:9], v[10:11] neg_lo:[0,0,1] neg_hi:[0,0,1]
	v_pk_fma_f32 v[4:5], v[4:5], v[8:9], v[10:11] op_sel_hi:[1,0,1]
	s_nop 0
	v_mov_b32_e32 v13, v5
	scratch_store_dwordx2 off, v[12:13], off offset:32
.LBB44_31:
	s_or_b64 exec, exec, s[0:1]
	; wave barrier
	scratch_load_dwordx2 v[4:5], off, off offset:40
	v_cmp_gt_u32_e32 vcc, 5, v0
	;; [unrolled: 46-line block ×19, first 2 shown]
	s_waitcnt vmcnt(0)
	ds_write_b64 v1, v[4:5]
	s_waitcnt lgkmcnt(0)
	; wave barrier
	s_and_saveexec_b64 s[0:1], vcc
	s_cbranch_execz .LBB44_103
; %bb.100:
	v_mov_b32_e32 v4, 0
	v_add_u32_e32 v3, -1, v0
	v_add_u32_e32 v7, 0x170, v2
	v_mov_b32_e32 v8, v2
	s_mov_b64 s[4:5], 0
	v_mov_b32_e32 v5, v4
.LBB44_101:                             ; =>This Inner Loop Header: Depth=1
	scratch_load_dwordx2 v[10:11], v8, off
	ds_read_b64 v[12:13], v7
	v_add_u32_e32 v3, 1, v3
	v_cmp_lt_u32_e32 vcc, 20, v3
	v_add_u32_e32 v7, 8, v7
	v_add_u32_e32 v8, 8, v8
	s_or_b64 s[4:5], vcc, s[4:5]
	s_waitcnt vmcnt(0) lgkmcnt(0)
	v_pk_mul_f32 v[14:15], v[12:13], v[10:11] op_sel:[1,1] op_sel_hi:[0,1]
	v_pk_fma_f32 v[16:17], v[12:13], v[10:11], v[14:15] neg_lo:[0,0,1] neg_hi:[0,0,1]
	v_pk_fma_f32 v[10:11], v[12:13], v[10:11], v[14:15] op_sel_hi:[1,0,1]
	s_nop 0
	v_mov_b32_e32 v17, v11
	v_pk_add_f32 v[4:5], v[4:5], v[16:17]
	s_andn2_b64 exec, exec, s[4:5]
	s_cbranch_execnz .LBB44_101
; %bb.102:
	s_or_b64 exec, exec, s[4:5]
	v_mov_b32_e32 v3, 0
	ds_read_b64 v[8:9], v3 offset:176
	s_waitcnt lgkmcnt(0)
	v_pk_mul_f32 v[10:11], v[4:5], v[8:9] op_sel:[1,1] op_sel_hi:[0,1]
	v_pk_fma_f32 v[12:13], v[4:5], v[8:9], v[10:11] neg_lo:[0,0,1] neg_hi:[0,0,1]
	v_pk_fma_f32 v[4:5], v[4:5], v[8:9], v[10:11] op_sel_hi:[1,0,1]
	s_nop 0
	v_mov_b32_e32 v13, v5
	scratch_store_dwordx2 off, v[12:13], off offset:176
.LBB44_103:
	s_or_b64 exec, exec, s[0:1]
	; wave barrier
	scratch_load_dwordx2 v[4:5], off, off offset:184
	v_cmp_gt_u32_e32 vcc, 23, v0
	s_waitcnt vmcnt(0)
	ds_write_b64 v1, v[4:5]
	s_waitcnt lgkmcnt(0)
	; wave barrier
	s_and_saveexec_b64 s[0:1], vcc
	s_cbranch_execz .LBB44_107
; %bb.104:
	v_mov_b32_e32 v4, 0
	v_add_u32_e32 v3, -1, v0
	v_add_u32_e32 v7, 0x170, v2
	v_mov_b32_e32 v8, v2
	s_mov_b64 s[4:5], 0
	v_mov_b32_e32 v5, v4
.LBB44_105:                             ; =>This Inner Loop Header: Depth=1
	scratch_load_dwordx2 v[10:11], v8, off
	ds_read_b64 v[12:13], v7
	v_add_u32_e32 v3, 1, v3
	v_cmp_lt_u32_e32 vcc, 21, v3
	v_add_u32_e32 v7, 8, v7
	v_add_u32_e32 v8, 8, v8
	s_or_b64 s[4:5], vcc, s[4:5]
	s_waitcnt vmcnt(0) lgkmcnt(0)
	v_pk_mul_f32 v[14:15], v[12:13], v[10:11] op_sel:[1,1] op_sel_hi:[0,1]
	v_pk_fma_f32 v[16:17], v[12:13], v[10:11], v[14:15] neg_lo:[0,0,1] neg_hi:[0,0,1]
	v_pk_fma_f32 v[10:11], v[12:13], v[10:11], v[14:15] op_sel_hi:[1,0,1]
	s_nop 0
	v_mov_b32_e32 v17, v11
	v_pk_add_f32 v[4:5], v[4:5], v[16:17]
	s_andn2_b64 exec, exec, s[4:5]
	s_cbranch_execnz .LBB44_105
; %bb.106:
	s_or_b64 exec, exec, s[4:5]
	v_mov_b32_e32 v3, 0
	ds_read_b64 v[8:9], v3 offset:184
	s_waitcnt lgkmcnt(0)
	v_pk_mul_f32 v[10:11], v[4:5], v[8:9] op_sel:[1,1] op_sel_hi:[0,1]
	v_pk_fma_f32 v[12:13], v[4:5], v[8:9], v[10:11] neg_lo:[0,0,1] neg_hi:[0,0,1]
	v_pk_fma_f32 v[4:5], v[4:5], v[8:9], v[10:11] op_sel_hi:[1,0,1]
	s_nop 0
	v_mov_b32_e32 v13, v5
	scratch_store_dwordx2 off, v[12:13], off offset:184
.LBB44_107:
	s_or_b64 exec, exec, s[0:1]
	; wave barrier
	scratch_load_dwordx2 v[4:5], off, off offset:192
	v_cmp_gt_u32_e32 vcc, 24, v0
	;; [unrolled: 46-line block ×21, first 2 shown]
	s_waitcnt vmcnt(0)
	ds_write_b64 v1, v[4:5]
	s_waitcnt lgkmcnt(0)
	; wave barrier
	s_and_saveexec_b64 s[0:1], vcc
	s_cbranch_execz .LBB44_187
; %bb.184:
	v_mov_b32_e32 v4, 0
	v_add_u32_e32 v3, -1, v0
	v_add_u32_e32 v7, 0x170, v2
	v_mov_b32_e32 v8, v2
	s_mov_b64 s[4:5], 0
	v_mov_b32_e32 v5, v4
.LBB44_185:                             ; =>This Inner Loop Header: Depth=1
	scratch_load_dwordx2 v[10:11], v8, off
	ds_read_b64 v[12:13], v7
	v_add_u32_e32 v3, 1, v3
	v_cmp_lt_u32_e32 vcc, 41, v3
	v_add_u32_e32 v7, 8, v7
	v_add_u32_e32 v8, 8, v8
	s_or_b64 s[4:5], vcc, s[4:5]
	s_waitcnt vmcnt(0) lgkmcnt(0)
	v_pk_mul_f32 v[14:15], v[12:13], v[10:11] op_sel:[1,1] op_sel_hi:[0,1]
	v_pk_fma_f32 v[16:17], v[12:13], v[10:11], v[14:15] neg_lo:[0,0,1] neg_hi:[0,0,1]
	v_pk_fma_f32 v[10:11], v[12:13], v[10:11], v[14:15] op_sel_hi:[1,0,1]
	s_nop 0
	v_mov_b32_e32 v17, v11
	v_pk_add_f32 v[4:5], v[4:5], v[16:17]
	s_andn2_b64 exec, exec, s[4:5]
	s_cbranch_execnz .LBB44_185
; %bb.186:
	s_or_b64 exec, exec, s[4:5]
	v_mov_b32_e32 v3, 0
	ds_read_b64 v[8:9], v3 offset:344
	s_waitcnt lgkmcnt(0)
	v_pk_mul_f32 v[10:11], v[4:5], v[8:9] op_sel:[1,1] op_sel_hi:[0,1]
	v_pk_fma_f32 v[12:13], v[4:5], v[8:9], v[10:11] neg_lo:[0,0,1] neg_hi:[0,0,1]
	v_pk_fma_f32 v[4:5], v[4:5], v[8:9], v[10:11] op_sel_hi:[1,0,1]
	s_nop 0
	v_mov_b32_e32 v13, v5
	scratch_store_dwordx2 off, v[12:13], off offset:344
.LBB44_187:
	s_or_b64 exec, exec, s[0:1]
	; wave barrier
	scratch_load_dwordx2 v[4:5], off, off offset:352
	v_cmp_ne_u32_e32 vcc, 44, v0
	s_waitcnt vmcnt(0)
	ds_write_b64 v1, v[4:5]
	s_waitcnt lgkmcnt(0)
	; wave barrier
	s_and_saveexec_b64 s[0:1], vcc
	s_cbranch_execz .LBB44_191
; %bb.188:
	v_add_u32_e32 v1, 0x170, v2
	v_mov_b32_e32 v4, v2
	v_mov_b32_e32 v2, 0
	s_mov_b64 s[4:5], 0
	v_mov_b32_e32 v3, v2
.LBB44_189:                             ; =>This Inner Loop Header: Depth=1
	scratch_load_dwordx2 v[8:9], v4, off
	ds_read_b64 v[10:11], v1
	v_add_u32_e32 v6, 1, v6
	v_cmp_lt_u32_e32 vcc, 42, v6
	v_add_u32_e32 v1, 8, v1
	v_add_u32_e32 v4, 8, v4
	s_or_b64 s[4:5], vcc, s[4:5]
	s_waitcnt vmcnt(0) lgkmcnt(0)
	v_pk_mul_f32 v[12:13], v[10:11], v[8:9] op_sel:[1,1] op_sel_hi:[0,1]
	v_pk_fma_f32 v[14:15], v[10:11], v[8:9], v[12:13] neg_lo:[0,0,1] neg_hi:[0,0,1]
	v_pk_fma_f32 v[8:9], v[10:11], v[8:9], v[12:13] op_sel_hi:[1,0,1]
	s_nop 0
	v_mov_b32_e32 v15, v9
	v_pk_add_f32 v[2:3], v[2:3], v[14:15]
	s_andn2_b64 exec, exec, s[4:5]
	s_cbranch_execnz .LBB44_189
; %bb.190:
	s_or_b64 exec, exec, s[4:5]
	v_mov_b32_e32 v1, 0
	ds_read_b64 v[4:5], v1 offset:352
	s_waitcnt lgkmcnt(0)
	v_pk_mul_f32 v[6:7], v[2:3], v[4:5] op_sel:[1,1] op_sel_hi:[0,1]
	v_pk_fma_f32 v[8:9], v[2:3], v[4:5], v[6:7] neg_lo:[0,0,1] neg_hi:[0,0,1]
	v_pk_fma_f32 v[2:3], v[2:3], v[4:5], v[6:7] op_sel_hi:[1,0,1]
	s_nop 0
	v_mov_b32_e32 v9, v3
	scratch_store_dwordx2 off, v[8:9], off offset:352
.LBB44_191:
	s_or_b64 exec, exec, s[0:1]
	s_mov_b64 s[4:5], -1
	; wave barrier
.LBB44_192:
	s_and_b64 vcc, exec, s[4:5]
	s_cbranch_vccz .LBB44_194
; %bb.193:
	s_lshl_b64 s[0:1], s[2:3], 2
	s_add_u32 s0, s6, s0
	s_addc_u32 s1, s7, s1
	v_mov_b32_e32 v1, 0
	global_load_dword v1, v1, s[0:1]
	s_waitcnt vmcnt(0)
	v_cmp_ne_u32_e32 vcc, 0, v1
	s_cbranch_vccz .LBB44_195
.LBB44_194:
	s_endpgm
.LBB44_195:
	v_mov_b32_e32 v1, 0x170
	v_lshl_add_u32 v1, v0, 3, v1
	v_cmp_eq_u32_e32 vcc, 44, v0
	s_and_saveexec_b64 s[0:1], vcc
	s_cbranch_execz .LBB44_197
; %bb.196:
	scratch_load_dwordx2 v[2:3], off, off offset:344
	v_mov_b32_e32 v4, 0
	v_mov_b32_e32 v5, v4
	scratch_store_dwordx2 off, v[4:5], off offset:344
	s_waitcnt vmcnt(1)
	ds_write_b64 v1, v[2:3]
.LBB44_197:
	s_or_b64 exec, exec, s[0:1]
	s_waitcnt lgkmcnt(0)
	; wave barrier
	scratch_load_dwordx2 v[4:5], off, off offset:352
	scratch_load_dwordx2 v[6:7], off, off offset:344
	v_mov_b32_e32 v2, 0
	ds_read_b64 v[8:9], v2 offset:720
	v_cmp_lt_u32_e32 vcc, 42, v0
	s_waitcnt vmcnt(1) lgkmcnt(0)
	v_pk_mul_f32 v[10:11], v[8:9], v[4:5] op_sel:[1,1] op_sel_hi:[0,1]
	v_pk_fma_f32 v[12:13], v[8:9], v[4:5], v[10:11] neg_lo:[0,0,1] neg_hi:[0,0,1]
	v_pk_fma_f32 v[4:5], v[8:9], v[4:5], v[10:11] op_sel_hi:[1,0,1]
	s_nop 0
	v_mov_b32_e32 v13, v5
	v_pk_add_f32 v[4:5], v[12:13], 0 op_sel_hi:[1,0]
	s_waitcnt vmcnt(0)
	v_pk_add_f32 v[4:5], v[6:7], v[4:5] neg_lo:[0,1] neg_hi:[0,1]
	scratch_store_dwordx2 off, v[4:5], off offset:344
	s_and_saveexec_b64 s[0:1], vcc
	s_cbranch_execz .LBB44_199
; %bb.198:
	scratch_load_dwordx2 v[4:5], off, off offset:336
	v_mov_b32_e32 v3, v2
	scratch_store_dwordx2 off, v[2:3], off offset:336
	s_waitcnt vmcnt(1)
	ds_write_b64 v1, v[4:5]
.LBB44_199:
	s_or_b64 exec, exec, s[0:1]
	s_waitcnt lgkmcnt(0)
	; wave barrier
	scratch_load_dwordx4 v[4:7], off, off offset:344
	scratch_load_dwordx2 v[12:13], off, off offset:336
	ds_read2_b64 v[8:11], v2 offset0:89 offset1:90
	v_cmp_lt_u32_e32 vcc, 41, v0
	s_waitcnt vmcnt(1) lgkmcnt(0)
	v_pk_mul_f32 v[2:3], v[8:9], v[4:5] op_sel:[1,1] op_sel_hi:[0,1]
	v_mov_b32_e32 v14, v7
	v_pk_fma_f32 v[16:17], v[8:9], v[4:5], v[2:3] neg_lo:[0,0,1] neg_hi:[0,0,1]
	v_pk_fma_f32 v[2:3], v[8:9], v[4:5], v[2:3] op_sel_hi:[1,0,1]
	v_pk_mul_f32 v[4:5], v[10:11], v[14:15] op_sel:[1,0] op_sel_hi:[0,0]
	v_mov_b32_e32 v17, v3
	v_pk_fma_f32 v[2:3], v[10:11], v[6:7], v[4:5] neg_lo:[0,0,1] neg_hi:[0,0,1]
	v_pk_fma_f32 v[4:5], v[10:11], v[6:7], v[4:5] op_sel_hi:[1,0,1]
	v_pk_add_f32 v[6:7], v[16:17], 0 op_sel_hi:[1,0]
	v_mov_b32_e32 v3, v5
	v_pk_add_f32 v[2:3], v[6:7], v[2:3]
	s_waitcnt vmcnt(0)
	v_pk_add_f32 v[2:3], v[12:13], v[2:3] neg_lo:[0,1] neg_hi:[0,1]
	scratch_store_dwordx2 off, v[2:3], off offset:336
	s_and_saveexec_b64 s[0:1], vcc
	s_cbranch_execz .LBB44_201
; %bb.200:
	scratch_load_dwordx2 v[2:3], off, off offset:328
	v_mov_b32_e32 v4, 0
	v_mov_b32_e32 v5, v4
	scratch_store_dwordx2 off, v[4:5], off offset:328
	s_waitcnt vmcnt(1)
	ds_write_b64 v1, v[2:3]
.LBB44_201:
	s_or_b64 exec, exec, s[0:1]
	s_waitcnt lgkmcnt(0)
	; wave barrier
	scratch_load_dwordx4 v[4:7], off, off offset:336
	scratch_load_dwordx2 v[12:13], off, off offset:352
	scratch_load_dwordx2 v[14:15], off, off offset:328
	v_mov_b32_e32 v2, 0
	ds_read_b128 v[8:11], v2 offset:704
	ds_read_b64 v[16:17], v2 offset:720
	v_cmp_lt_u32_e32 vcc, 40, v0
	s_waitcnt vmcnt(2) lgkmcnt(1)
	v_pk_mul_f32 v[18:19], v[8:9], v[4:5] op_sel:[1,1] op_sel_hi:[0,1]
	v_mov_b32_e32 v20, v7
	v_pk_fma_f32 v[24:25], v[8:9], v[4:5], v[18:19] neg_lo:[0,0,1] neg_hi:[0,0,1]
	v_pk_fma_f32 v[4:5], v[8:9], v[4:5], v[18:19] op_sel_hi:[1,0,1]
	v_pk_mul_f32 v[8:9], v[10:11], v[20:21] op_sel:[1,0] op_sel_hi:[0,0]
	s_waitcnt vmcnt(1) lgkmcnt(0)
	v_pk_mul_f32 v[22:23], v[16:17], v[12:13] op_sel:[1,1] op_sel_hi:[0,1]
	v_mov_b32_e32 v25, v5
	v_pk_fma_f32 v[4:5], v[10:11], v[6:7], v[8:9] neg_lo:[0,0,1] neg_hi:[0,0,1]
	v_pk_fma_f32 v[6:7], v[10:11], v[6:7], v[8:9] op_sel_hi:[1,0,1]
	v_pk_fma_f32 v[18:19], v[16:17], v[12:13], v[22:23] neg_lo:[0,0,1] neg_hi:[0,0,1]
	v_pk_fma_f32 v[12:13], v[16:17], v[12:13], v[22:23] op_sel_hi:[1,0,1]
	v_pk_add_f32 v[8:9], v[24:25], 0 op_sel_hi:[1,0]
	v_mov_b32_e32 v5, v7
	v_mov_b32_e32 v19, v13
	v_pk_add_f32 v[4:5], v[8:9], v[4:5]
	s_nop 0
	v_pk_add_f32 v[4:5], v[4:5], v[18:19]
	s_waitcnt vmcnt(0)
	v_pk_add_f32 v[4:5], v[14:15], v[4:5] neg_lo:[0,1] neg_hi:[0,1]
	scratch_store_dwordx2 off, v[4:5], off offset:328
	s_and_saveexec_b64 s[0:1], vcc
	s_cbranch_execz .LBB44_203
; %bb.202:
	scratch_load_dwordx2 v[4:5], off, off offset:320
	v_mov_b32_e32 v3, v2
	scratch_store_dwordx2 off, v[2:3], off offset:320
	s_waitcnt vmcnt(1)
	ds_write_b64 v1, v[4:5]
.LBB44_203:
	s_or_b64 exec, exec, s[0:1]
	s_waitcnt lgkmcnt(0)
	; wave barrier
	scratch_load_dwordx4 v[4:7], off, off offset:328
	scratch_load_dwordx4 v[8:11], off, off offset:344
	scratch_load_dwordx2 v[20:21], off, off offset:320
	ds_read2_b64 v[12:15], v2 offset0:87 offset1:88
	ds_read2_b64 v[16:19], v2 offset0:89 offset1:90
	v_cmp_lt_u32_e32 vcc, 39, v0
	s_waitcnt vmcnt(2) lgkmcnt(1)
	v_pk_mul_f32 v[2:3], v[12:13], v[4:5] op_sel:[1,1] op_sel_hi:[0,1]
	v_mov_b32_e32 v22, v7
	s_waitcnt vmcnt(1) lgkmcnt(0)
	v_pk_mul_f32 v[24:25], v[16:17], v[8:9] op_sel:[1,1] op_sel_hi:[0,1]
	v_mov_b32_e32 v26, v11
	v_pk_fma_f32 v[28:29], v[12:13], v[4:5], v[2:3] neg_lo:[0,0,1] neg_hi:[0,0,1]
	v_pk_fma_f32 v[2:3], v[12:13], v[4:5], v[2:3] op_sel_hi:[1,0,1]
	v_pk_mul_f32 v[4:5], v[14:15], v[22:23] op_sel:[1,0] op_sel_hi:[0,0]
	v_pk_fma_f32 v[12:13], v[16:17], v[8:9], v[24:25] neg_lo:[0,0,1] neg_hi:[0,0,1]
	v_pk_fma_f32 v[8:9], v[16:17], v[8:9], v[24:25] op_sel_hi:[1,0,1]
	v_pk_mul_f32 v[16:17], v[18:19], v[26:27] op_sel:[1,0] op_sel_hi:[0,0]
	v_mov_b32_e32 v29, v3
	v_pk_fma_f32 v[2:3], v[14:15], v[6:7], v[4:5] neg_lo:[0,0,1] neg_hi:[0,0,1]
	v_pk_fma_f32 v[4:5], v[14:15], v[6:7], v[4:5] op_sel_hi:[1,0,1]
	v_mov_b32_e32 v13, v9
	v_pk_fma_f32 v[6:7], v[18:19], v[10:11], v[16:17] neg_lo:[0,0,1] neg_hi:[0,0,1]
	v_pk_fma_f32 v[8:9], v[18:19], v[10:11], v[16:17] op_sel_hi:[1,0,1]
	v_pk_add_f32 v[10:11], v[28:29], 0 op_sel_hi:[1,0]
	v_mov_b32_e32 v3, v5
	v_pk_add_f32 v[2:3], v[10:11], v[2:3]
	v_mov_b32_e32 v7, v9
	v_pk_add_f32 v[2:3], v[2:3], v[12:13]
	s_nop 0
	v_pk_add_f32 v[2:3], v[2:3], v[6:7]
	s_waitcnt vmcnt(0)
	v_pk_add_f32 v[2:3], v[20:21], v[2:3] neg_lo:[0,1] neg_hi:[0,1]
	scratch_store_dwordx2 off, v[2:3], off offset:320
	s_and_saveexec_b64 s[0:1], vcc
	s_cbranch_execz .LBB44_205
; %bb.204:
	scratch_load_dwordx2 v[2:3], off, off offset:312
	v_mov_b32_e32 v4, 0
	v_mov_b32_e32 v5, v4
	scratch_store_dwordx2 off, v[4:5], off offset:312
	s_waitcnt vmcnt(1)
	ds_write_b64 v1, v[2:3]
.LBB44_205:
	s_or_b64 exec, exec, s[0:1]
	s_waitcnt lgkmcnt(0)
	; wave barrier
	scratch_load_dwordx4 v[4:7], off, off offset:320
	scratch_load_dwordx4 v[8:11], off, off offset:336
	scratch_load_dwordx2 v[20:21], off, off offset:352
	scratch_load_dwordx2 v[22:23], off, off offset:312
	v_mov_b32_e32 v2, 0
	ds_read_b128 v[12:15], v2 offset:688
	ds_read_b128 v[16:19], v2 offset:704
	ds_read_b64 v[24:25], v2 offset:720
	v_cmp_lt_u32_e32 vcc, 38, v0
	s_waitcnt vmcnt(3) lgkmcnt(2)
	v_pk_mul_f32 v[26:27], v[12:13], v[4:5] op_sel:[1,1] op_sel_hi:[0,1]
	v_mov_b32_e32 v28, v7
	v_pk_fma_f32 v[36:37], v[12:13], v[4:5], v[26:27] neg_lo:[0,0,1] neg_hi:[0,0,1]
	v_pk_fma_f32 v[4:5], v[12:13], v[4:5], v[26:27] op_sel_hi:[1,0,1]
	v_pk_mul_f32 v[12:13], v[14:15], v[28:29] op_sel:[1,0] op_sel_hi:[0,0]
	s_waitcnt vmcnt(2) lgkmcnt(1)
	v_pk_mul_f32 v[30:31], v[16:17], v[8:9] op_sel:[1,1] op_sel_hi:[0,1]
	v_mov_b32_e32 v32, v11
	v_mov_b32_e32 v37, v5
	v_pk_fma_f32 v[4:5], v[14:15], v[6:7], v[12:13] neg_lo:[0,0,1] neg_hi:[0,0,1]
	v_pk_fma_f32 v[6:7], v[14:15], v[6:7], v[12:13] op_sel_hi:[1,0,1]
	v_pk_fma_f32 v[26:27], v[16:17], v[8:9], v[30:31] neg_lo:[0,0,1] neg_hi:[0,0,1]
	v_pk_fma_f32 v[8:9], v[16:17], v[8:9], v[30:31] op_sel_hi:[1,0,1]
	v_pk_mul_f32 v[16:17], v[18:19], v[32:33] op_sel:[1,0] op_sel_hi:[0,0]
	v_pk_add_f32 v[12:13], v[36:37], 0 op_sel_hi:[1,0]
	v_mov_b32_e32 v5, v7
	s_waitcnt vmcnt(1) lgkmcnt(0)
	v_pk_mul_f32 v[34:35], v[24:25], v[20:21] op_sel:[1,1] op_sel_hi:[0,1]
	v_mov_b32_e32 v27, v9
	v_pk_fma_f32 v[8:9], v[18:19], v[10:11], v[16:17] neg_lo:[0,0,1] neg_hi:[0,0,1]
	v_pk_fma_f32 v[10:11], v[18:19], v[10:11], v[16:17] op_sel_hi:[1,0,1]
	v_pk_add_f32 v[4:5], v[12:13], v[4:5]
	v_pk_fma_f32 v[28:29], v[24:25], v[20:21], v[34:35] neg_lo:[0,0,1] neg_hi:[0,0,1]
	v_pk_fma_f32 v[20:21], v[24:25], v[20:21], v[34:35] op_sel_hi:[1,0,1]
	v_mov_b32_e32 v9, v11
	v_pk_add_f32 v[4:5], v[4:5], v[26:27]
	v_mov_b32_e32 v29, v21
	v_pk_add_f32 v[4:5], v[4:5], v[8:9]
	s_nop 0
	v_pk_add_f32 v[4:5], v[4:5], v[28:29]
	s_waitcnt vmcnt(0)
	v_pk_add_f32 v[4:5], v[22:23], v[4:5] neg_lo:[0,1] neg_hi:[0,1]
	scratch_store_dwordx2 off, v[4:5], off offset:312
	s_and_saveexec_b64 s[0:1], vcc
	s_cbranch_execz .LBB44_207
; %bb.206:
	scratch_load_dwordx2 v[4:5], off, off offset:304
	v_mov_b32_e32 v3, v2
	scratch_store_dwordx2 off, v[2:3], off offset:304
	s_waitcnt vmcnt(1)
	ds_write_b64 v1, v[4:5]
.LBB44_207:
	s_or_b64 exec, exec, s[0:1]
	s_waitcnt lgkmcnt(0)
	; wave barrier
	scratch_load_dwordx4 v[4:7], off, off offset:312
	scratch_load_dwordx4 v[8:11], off, off offset:328
	;; [unrolled: 1-line block ×3, first 2 shown]
	ds_read2_b64 v[16:19], v2 offset0:85 offset1:86
	ds_read2_b64 v[20:23], v2 offset0:87 offset1:88
	;; [unrolled: 1-line block ×3, first 2 shown]
	v_cmp_lt_u32_e32 vcc, 37, v0
	s_waitcnt vmcnt(2) lgkmcnt(2)
	v_pk_mul_f32 v[2:3], v[16:17], v[4:5] op_sel:[1,1] op_sel_hi:[0,1]
	v_pk_fma_f32 v[28:29], v[16:17], v[4:5], v[2:3] neg_lo:[0,0,1] neg_hi:[0,0,1]
	v_pk_fma_f32 v[2:3], v[16:17], v[4:5], v[2:3] op_sel_hi:[1,0,1]
	v_mov_b32_e32 v4, v7
	v_pk_mul_f32 v[4:5], v[18:19], v[4:5] op_sel:[1,0] op_sel_hi:[0,0]
	v_pk_fma_f32 v[16:17], v[18:19], v[6:7], v[4:5] neg_lo:[0,0,1] neg_hi:[0,0,1]
	v_pk_fma_f32 v[4:5], v[18:19], v[6:7], v[4:5] op_sel_hi:[1,0,1]
	v_mov_b32_e32 v29, v3
	v_mov_b32_e32 v17, v5
	s_waitcnt vmcnt(1) lgkmcnt(1)
	v_pk_mul_f32 v[4:5], v[20:21], v[8:9] op_sel:[1,1] op_sel_hi:[0,1]
	v_pk_fma_f32 v[6:7], v[20:21], v[8:9], v[4:5] neg_lo:[0,0,1] neg_hi:[0,0,1]
	v_pk_fma_f32 v[4:5], v[20:21], v[8:9], v[4:5] op_sel_hi:[1,0,1]
	v_pk_add_f32 v[2:3], v[28:29], 0 op_sel_hi:[1,0]
	v_mov_b32_e32 v4, v11
	v_pk_add_f32 v[2:3], v[2:3], v[16:17]
	v_mov_b32_e32 v7, v5
	v_pk_mul_f32 v[4:5], v[22:23], v[4:5] op_sel:[1,0] op_sel_hi:[0,0]
	v_pk_add_f32 v[2:3], v[2:3], v[6:7]
	v_pk_fma_f32 v[6:7], v[22:23], v[10:11], v[4:5] neg_lo:[0,0,1] neg_hi:[0,0,1]
	v_pk_fma_f32 v[4:5], v[22:23], v[10:11], v[4:5] op_sel_hi:[1,0,1]
	s_nop 0
	v_mov_b32_e32 v7, v5
	s_waitcnt vmcnt(0) lgkmcnt(0)
	v_pk_mul_f32 v[4:5], v[24:25], v[12:13] op_sel:[1,1] op_sel_hi:[0,1]
	v_pk_add_f32 v[2:3], v[2:3], v[6:7]
	v_pk_fma_f32 v[6:7], v[24:25], v[12:13], v[4:5] neg_lo:[0,0,1] neg_hi:[0,0,1]
	v_pk_fma_f32 v[4:5], v[24:25], v[12:13], v[4:5] op_sel_hi:[1,0,1]
	s_nop 0
	v_mov_b32_e32 v4, v15
	v_mov_b32_e32 v7, v5
	v_pk_mul_f32 v[4:5], v[26:27], v[4:5] op_sel:[1,0] op_sel_hi:[0,0]
	v_pk_add_f32 v[2:3], v[2:3], v[6:7]
	v_pk_fma_f32 v[6:7], v[26:27], v[14:15], v[4:5] neg_lo:[0,0,1] neg_hi:[0,0,1]
	v_pk_fma_f32 v[4:5], v[26:27], v[14:15], v[4:5] op_sel_hi:[1,0,1]
	s_nop 0
	v_mov_b32_e32 v7, v5
	scratch_load_dwordx2 v[4:5], off, off offset:304
	v_pk_add_f32 v[2:3], v[2:3], v[6:7]
	s_waitcnt vmcnt(0)
	v_pk_add_f32 v[2:3], v[4:5], v[2:3] neg_lo:[0,1] neg_hi:[0,1]
	scratch_store_dwordx2 off, v[2:3], off offset:304
	s_and_saveexec_b64 s[0:1], vcc
	s_cbranch_execz .LBB44_209
; %bb.208:
	scratch_load_dwordx2 v[2:3], off, off offset:296
	v_mov_b32_e32 v4, 0
	v_mov_b32_e32 v5, v4
	scratch_store_dwordx2 off, v[4:5], off offset:296
	s_waitcnt vmcnt(1)
	ds_write_b64 v1, v[2:3]
.LBB44_209:
	s_or_b64 exec, exec, s[0:1]
	s_waitcnt lgkmcnt(0)
	; wave barrier
	scratch_load_dwordx4 v[4:7], off, off offset:304
	scratch_load_dwordx4 v[8:11], off, off offset:320
	scratch_load_dwordx4 v[12:15], off, off offset:336
	scratch_load_dwordx2 v[28:29], off, off offset:352
	v_mov_b32_e32 v2, 0
	ds_read_b128 v[16:19], v2 offset:672
	ds_read_b128 v[20:23], v2 offset:688
	;; [unrolled: 1-line block ×3, first 2 shown]
	ds_read_b64 v[30:31], v2 offset:720
	v_cmp_lt_u32_e32 vcc, 36, v0
	s_waitcnt vmcnt(3) lgkmcnt(3)
	v_pk_mul_f32 v[32:33], v[16:17], v[4:5] op_sel:[1,1] op_sel_hi:[0,1]
	v_pk_fma_f32 v[34:35], v[16:17], v[4:5], v[32:33] neg_lo:[0,0,1] neg_hi:[0,0,1]
	v_pk_fma_f32 v[4:5], v[16:17], v[4:5], v[32:33] op_sel_hi:[1,0,1]
	v_mov_b32_e32 v16, v7
	v_pk_mul_f32 v[16:17], v[18:19], v[16:17] op_sel:[1,0] op_sel_hi:[0,0]
	v_pk_fma_f32 v[32:33], v[18:19], v[6:7], v[16:17] neg_lo:[0,0,1] neg_hi:[0,0,1]
	v_pk_fma_f32 v[6:7], v[18:19], v[6:7], v[16:17] op_sel_hi:[1,0,1]
	v_mov_b32_e32 v35, v5
	v_mov_b32_e32 v33, v7
	s_waitcnt vmcnt(2) lgkmcnt(2)
	v_pk_mul_f32 v[6:7], v[20:21], v[8:9] op_sel:[1,1] op_sel_hi:[0,1]
	v_pk_fma_f32 v[16:17], v[20:21], v[8:9], v[6:7] neg_lo:[0,0,1] neg_hi:[0,0,1]
	v_pk_fma_f32 v[6:7], v[20:21], v[8:9], v[6:7] op_sel_hi:[1,0,1]
	v_pk_add_f32 v[4:5], v[34:35], 0 op_sel_hi:[1,0]
	v_mov_b32_e32 v6, v11
	v_mov_b32_e32 v17, v7
	v_pk_mul_f32 v[6:7], v[22:23], v[6:7] op_sel:[1,0] op_sel_hi:[0,0]
	v_pk_add_f32 v[4:5], v[4:5], v[32:33]
	v_pk_fma_f32 v[8:9], v[22:23], v[10:11], v[6:7] neg_lo:[0,0,1] neg_hi:[0,0,1]
	v_pk_fma_f32 v[6:7], v[22:23], v[10:11], v[6:7] op_sel_hi:[1,0,1]
	v_pk_add_f32 v[4:5], v[4:5], v[16:17]
	v_mov_b32_e32 v9, v7
	s_waitcnt vmcnt(1) lgkmcnt(1)
	v_pk_mul_f32 v[6:7], v[24:25], v[12:13] op_sel:[1,1] op_sel_hi:[0,1]
	v_pk_add_f32 v[4:5], v[4:5], v[8:9]
	v_pk_fma_f32 v[8:9], v[24:25], v[12:13], v[6:7] neg_lo:[0,0,1] neg_hi:[0,0,1]
	v_pk_fma_f32 v[6:7], v[24:25], v[12:13], v[6:7] op_sel_hi:[1,0,1]
	s_nop 0
	v_mov_b32_e32 v6, v15
	v_mov_b32_e32 v9, v7
	v_pk_mul_f32 v[6:7], v[26:27], v[6:7] op_sel:[1,0] op_sel_hi:[0,0]
	v_pk_add_f32 v[4:5], v[4:5], v[8:9]
	v_pk_fma_f32 v[8:9], v[26:27], v[14:15], v[6:7] neg_lo:[0,0,1] neg_hi:[0,0,1]
	v_pk_fma_f32 v[6:7], v[26:27], v[14:15], v[6:7] op_sel_hi:[1,0,1]
	s_nop 0
	v_mov_b32_e32 v9, v7
	s_waitcnt vmcnt(0) lgkmcnt(0)
	v_pk_mul_f32 v[6:7], v[30:31], v[28:29] op_sel:[1,1] op_sel_hi:[0,1]
	v_pk_add_f32 v[4:5], v[4:5], v[8:9]
	v_pk_fma_f32 v[8:9], v[30:31], v[28:29], v[6:7] neg_lo:[0,0,1] neg_hi:[0,0,1]
	v_pk_fma_f32 v[6:7], v[30:31], v[28:29], v[6:7] op_sel_hi:[1,0,1]
	s_nop 0
	v_mov_b32_e32 v9, v7
	scratch_load_dwordx2 v[6:7], off, off offset:296
	v_pk_add_f32 v[4:5], v[4:5], v[8:9]
	s_waitcnt vmcnt(0)
	v_pk_add_f32 v[4:5], v[6:7], v[4:5] neg_lo:[0,1] neg_hi:[0,1]
	scratch_store_dwordx2 off, v[4:5], off offset:296
	s_and_saveexec_b64 s[0:1], vcc
	s_cbranch_execz .LBB44_211
; %bb.210:
	scratch_load_dwordx2 v[4:5], off, off offset:288
	v_mov_b32_e32 v3, v2
	scratch_store_dwordx2 off, v[2:3], off offset:288
	s_waitcnt vmcnt(1)
	ds_write_b64 v1, v[4:5]
.LBB44_211:
	s_or_b64 exec, exec, s[0:1]
	s_waitcnt lgkmcnt(0)
	; wave barrier
	scratch_load_dwordx4 v[4:7], off, off offset:296
	scratch_load_dwordx4 v[8:11], off, off offset:312
	;; [unrolled: 1-line block ×4, first 2 shown]
	scratch_load_dwordx2 v[36:37], off, off offset:288
	ds_read2_b64 v[20:23], v2 offset0:83 offset1:84
	ds_read2_b64 v[24:27], v2 offset0:85 offset1:86
	;; [unrolled: 1-line block ×4, first 2 shown]
	v_cmp_lt_u32_e32 vcc, 35, v0
	s_waitcnt vmcnt(4) lgkmcnt(3)
	v_pk_mul_f32 v[2:3], v[20:21], v[4:5] op_sel:[1,1] op_sel_hi:[0,1]
	v_mov_b32_e32 v38, v7
	s_waitcnt vmcnt(3) lgkmcnt(2)
	v_pk_mul_f32 v[40:41], v[24:25], v[8:9] op_sel:[1,1] op_sel_hi:[0,1]
	v_mov_b32_e32 v42, v11
	;; [unrolled: 3-line block ×4, first 2 shown]
	v_pk_fma_f32 v[52:53], v[20:21], v[4:5], v[2:3] neg_lo:[0,0,1] neg_hi:[0,0,1]
	v_pk_fma_f32 v[2:3], v[20:21], v[4:5], v[2:3] op_sel_hi:[1,0,1]
	v_pk_mul_f32 v[4:5], v[22:23], v[38:39] op_sel:[1,0] op_sel_hi:[0,0]
	v_pk_fma_f32 v[20:21], v[24:25], v[8:9], v[40:41] neg_lo:[0,0,1] neg_hi:[0,0,1]
	v_pk_fma_f32 v[8:9], v[24:25], v[8:9], v[40:41] op_sel_hi:[1,0,1]
	v_pk_mul_f32 v[24:25], v[26:27], v[42:43] op_sel:[1,0] op_sel_hi:[0,0]
	;; [unrolled: 3-line block ×4, first 2 shown]
	v_mov_b32_e32 v53, v3
	v_pk_fma_f32 v[2:3], v[22:23], v[6:7], v[4:5] neg_lo:[0,0,1] neg_hi:[0,0,1]
	v_pk_fma_f32 v[4:5], v[22:23], v[6:7], v[4:5] op_sel_hi:[1,0,1]
	v_mov_b32_e32 v21, v9
	v_pk_fma_f32 v[6:7], v[26:27], v[10:11], v[24:25] neg_lo:[0,0,1] neg_hi:[0,0,1]
	v_pk_fma_f32 v[8:9], v[26:27], v[10:11], v[24:25] op_sel_hi:[1,0,1]
	v_mov_b32_e32 v39, v13
	v_pk_fma_f32 v[10:11], v[30:31], v[14:15], v[28:29] neg_lo:[0,0,1] neg_hi:[0,0,1]
	v_pk_fma_f32 v[12:13], v[30:31], v[14:15], v[28:29] op_sel_hi:[1,0,1]
	v_mov_b32_e32 v41, v17
	v_pk_fma_f32 v[14:15], v[34:35], v[18:19], v[32:33] neg_lo:[0,0,1] neg_hi:[0,0,1]
	v_pk_fma_f32 v[16:17], v[34:35], v[18:19], v[32:33] op_sel_hi:[1,0,1]
	v_pk_add_f32 v[18:19], v[52:53], 0 op_sel_hi:[1,0]
	v_mov_b32_e32 v3, v5
	v_pk_add_f32 v[2:3], v[18:19], v[2:3]
	v_mov_b32_e32 v7, v9
	v_pk_add_f32 v[2:3], v[2:3], v[20:21]
	;; [unrolled: 2-line block ×4, first 2 shown]
	s_nop 0
	v_pk_add_f32 v[2:3], v[2:3], v[10:11]
	s_nop 0
	v_pk_add_f32 v[2:3], v[2:3], v[40:41]
	;; [unrolled: 2-line block ×3, first 2 shown]
	s_waitcnt vmcnt(0)
	v_pk_add_f32 v[2:3], v[36:37], v[2:3] neg_lo:[0,1] neg_hi:[0,1]
	scratch_store_dwordx2 off, v[2:3], off offset:288
	s_and_saveexec_b64 s[0:1], vcc
	s_cbranch_execz .LBB44_213
; %bb.212:
	scratch_load_dwordx2 v[2:3], off, off offset:280
	v_mov_b32_e32 v4, 0
	v_mov_b32_e32 v5, v4
	scratch_store_dwordx2 off, v[4:5], off offset:280
	s_waitcnt vmcnt(1)
	ds_write_b64 v1, v[2:3]
.LBB44_213:
	s_or_b64 exec, exec, s[0:1]
	s_waitcnt lgkmcnt(0)
	; wave barrier
	scratch_load_dwordx4 v[4:7], off, off offset:288
	scratch_load_dwordx4 v[8:11], off, off offset:304
	;; [unrolled: 1-line block ×4, first 2 shown]
	scratch_load_dwordx2 v[36:37], off, off offset:352
	scratch_load_dwordx2 v[38:39], off, off offset:280
	v_mov_b32_e32 v2, 0
	ds_read_b128 v[20:23], v2 offset:656
	ds_read_b128 v[24:27], v2 offset:672
	;; [unrolled: 1-line block ×4, first 2 shown]
	ds_read_b64 v[40:41], v2 offset:720
	v_cmp_lt_u32_e32 vcc, 34, v0
	s_waitcnt vmcnt(5) lgkmcnt(4)
	v_mul_f32_e32 v43, v20, v5
	v_mul_f32_e32 v3, v21, v5
	v_mov_b32_e32 v44, v7
	s_waitcnt vmcnt(4) lgkmcnt(3)
	v_pk_mul_f32 v[46:47], v[24:25], v[8:9] op_sel:[1,1] op_sel_hi:[0,1]
	v_mov_b32_e32 v48, v11
	s_waitcnt vmcnt(1) lgkmcnt(0)
	v_pk_mul_f32 v[58:59], v[40:41], v[36:37] op_sel:[1,1] op_sel_hi:[0,1]
	v_fmac_f32_e32 v43, v21, v4
	v_fma_f32 v42, v20, v4, -v3
	v_pk_mul_f32 v[4:5], v[22:23], v[44:45] op_sel:[1,0] op_sel_hi:[0,0]
	v_pk_fma_f32 v[20:21], v[24:25], v[8:9], v[46:47] neg_lo:[0,0,1] neg_hi:[0,0,1]
	v_pk_fma_f32 v[8:9], v[24:25], v[8:9], v[46:47] op_sel_hi:[1,0,1]
	v_pk_mul_f32 v[24:25], v[26:27], v[48:49] op_sel:[1,0] op_sel_hi:[0,0]
	v_pk_fma_f32 v[48:49], v[40:41], v[36:37], v[58:59] neg_lo:[0,0,1] neg_hi:[0,0,1]
	v_pk_fma_f32 v[36:37], v[40:41], v[36:37], v[58:59] op_sel_hi:[1,0,1]
	v_pk_add_f32 v[40:41], v[42:43], 0 op_sel_hi:[1,0]
	v_pk_fma_f32 v[42:43], v[22:23], v[6:7], v[4:5] neg_lo:[0,0,1] neg_hi:[0,0,1]
	v_pk_fma_f32 v[4:5], v[22:23], v[6:7], v[4:5] op_sel_hi:[1,0,1]
	v_pk_mul_f32 v[50:51], v[28:29], v[12:13] op_sel:[1,1] op_sel_hi:[0,1]
	v_mov_b32_e32 v43, v5
	v_mov_b32_e32 v52, v15
	;; [unrolled: 1-line block ×3, first 2 shown]
	v_pk_fma_f32 v[6:7], v[26:27], v[10:11], v[24:25] neg_lo:[0,0,1] neg_hi:[0,0,1]
	v_pk_fma_f32 v[8:9], v[26:27], v[10:11], v[24:25] op_sel_hi:[1,0,1]
	v_pk_add_f32 v[4:5], v[40:41], v[42:43]
	v_pk_fma_f32 v[44:45], v[28:29], v[12:13], v[50:51] neg_lo:[0,0,1] neg_hi:[0,0,1]
	v_pk_fma_f32 v[12:13], v[28:29], v[12:13], v[50:51] op_sel_hi:[1,0,1]
	v_pk_mul_f32 v[28:29], v[30:31], v[52:53] op_sel:[1,0] op_sel_hi:[0,0]
	v_mov_b32_e32 v7, v9
	v_pk_add_f32 v[4:5], v[4:5], v[20:21]
	v_pk_mul_f32 v[54:55], v[32:33], v[16:17] op_sel:[1,1] op_sel_hi:[0,1]
	v_mov_b32_e32 v56, v19
	v_mov_b32_e32 v45, v13
	v_pk_fma_f32 v[10:11], v[30:31], v[14:15], v[28:29] neg_lo:[0,0,1] neg_hi:[0,0,1]
	v_pk_fma_f32 v[12:13], v[30:31], v[14:15], v[28:29] op_sel_hi:[1,0,1]
	v_pk_add_f32 v[4:5], v[4:5], v[6:7]
	v_pk_fma_f32 v[46:47], v[32:33], v[16:17], v[54:55] neg_lo:[0,0,1] neg_hi:[0,0,1]
	v_pk_fma_f32 v[16:17], v[32:33], v[16:17], v[54:55] op_sel_hi:[1,0,1]
	v_pk_mul_f32 v[32:33], v[34:35], v[56:57] op_sel:[1,0] op_sel_hi:[0,0]
	v_mov_b32_e32 v11, v13
	v_pk_add_f32 v[4:5], v[4:5], v[44:45]
	v_mov_b32_e32 v47, v17
	v_pk_fma_f32 v[14:15], v[34:35], v[18:19], v[32:33] neg_lo:[0,0,1] neg_hi:[0,0,1]
	v_pk_fma_f32 v[16:17], v[34:35], v[18:19], v[32:33] op_sel_hi:[1,0,1]
	v_pk_add_f32 v[4:5], v[4:5], v[10:11]
	v_mov_b32_e32 v15, v17
	v_pk_add_f32 v[4:5], v[4:5], v[46:47]
	v_mov_b32_e32 v49, v37
	v_pk_add_f32 v[4:5], v[4:5], v[14:15]
	s_nop 0
	v_pk_add_f32 v[4:5], v[4:5], v[48:49]
	s_waitcnt vmcnt(0)
	v_pk_add_f32 v[4:5], v[38:39], v[4:5] neg_lo:[0,1] neg_hi:[0,1]
	scratch_store_dwordx2 off, v[4:5], off offset:280
	s_and_saveexec_b64 s[0:1], vcc
	s_cbranch_execz .LBB44_215
; %bb.214:
	scratch_load_dwordx2 v[4:5], off, off offset:272
	v_mov_b32_e32 v3, v2
	scratch_store_dwordx2 off, v[2:3], off offset:272
	s_waitcnt vmcnt(1)
	ds_write_b64 v1, v[4:5]
.LBB44_215:
	s_or_b64 exec, exec, s[0:1]
	s_waitcnt lgkmcnt(0)
	; wave barrier
	scratch_load_dwordx4 v[4:7], off, off offset:280
	scratch_load_dwordx4 v[8:11], off, off offset:296
	;; [unrolled: 1-line block ×5, first 2 shown]
	scratch_load_dwordx2 v[44:45], off, off offset:272
	ds_read2_b64 v[24:27], v2 offset0:81 offset1:82
	ds_read2_b64 v[28:31], v2 offset0:83 offset1:84
	;; [unrolled: 1-line block ×5, first 2 shown]
	v_cmp_lt_u32_e32 vcc, 33, v0
	s_waitcnt vmcnt(5) lgkmcnt(4)
	v_mul_f32_e32 v3, v24, v5
	v_mul_f32_e32 v2, v25, v5
	;; [unrolled: 1-line block ×4, first 2 shown]
	s_waitcnt vmcnt(4) lgkmcnt(3)
	v_pk_mul_f32 v[48:49], v[28:29], v[8:9] op_sel:[1,1] op_sel_hi:[0,1]
	v_mov_b32_e32 v50, v11
	v_fmac_f32_e32 v3, v25, v4
	v_fma_f32 v2, v24, v4, -v2
	v_fmac_f32_e32 v47, v27, v6
	v_fma_f32 v46, v26, v6, -v5
	v_pk_fma_f32 v[4:5], v[28:29], v[8:9], v[48:49] neg_lo:[0,0,1] neg_hi:[0,0,1]
	v_pk_fma_f32 v[6:7], v[28:29], v[8:9], v[48:49] op_sel_hi:[1,0,1]
	v_pk_mul_f32 v[8:9], v[30:31], v[50:51] op_sel:[1,0] op_sel_hi:[0,0]
	v_pk_add_f32 v[2:3], v[2:3], 0 op_sel_hi:[1,0]
	s_waitcnt vmcnt(3) lgkmcnt(2)
	v_pk_mul_f32 v[52:53], v[32:33], v[12:13] op_sel:[1,1] op_sel_hi:[0,1]
	v_mov_b32_e32 v54, v15
	v_mov_b32_e32 v5, v7
	v_pk_fma_f32 v[6:7], v[30:31], v[10:11], v[8:9] neg_lo:[0,0,1] neg_hi:[0,0,1]
	v_pk_fma_f32 v[8:9], v[30:31], v[10:11], v[8:9] op_sel_hi:[1,0,1]
	v_pk_add_f32 v[2:3], v[2:3], v[46:47]
	v_pk_fma_f32 v[24:25], v[32:33], v[12:13], v[52:53] neg_lo:[0,0,1] neg_hi:[0,0,1]
	v_pk_fma_f32 v[12:13], v[32:33], v[12:13], v[52:53] op_sel_hi:[1,0,1]
	v_pk_mul_f32 v[26:27], v[34:35], v[54:55] op_sel:[1,0] op_sel_hi:[0,0]
	v_mov_b32_e32 v7, v9
	v_pk_add_f32 v[2:3], v[2:3], v[4:5]
	s_waitcnt vmcnt(2) lgkmcnt(1)
	v_pk_mul_f32 v[56:57], v[36:37], v[16:17] op_sel:[1,1] op_sel_hi:[0,1]
	v_mov_b32_e32 v58, v19
	v_mov_b32_e32 v25, v13
	v_pk_fma_f32 v[10:11], v[34:35], v[14:15], v[26:27] neg_lo:[0,0,1] neg_hi:[0,0,1]
	v_pk_fma_f32 v[12:13], v[34:35], v[14:15], v[26:27] op_sel_hi:[1,0,1]
	v_pk_add_f32 v[2:3], v[2:3], v[6:7]
	v_pk_fma_f32 v[28:29], v[36:37], v[16:17], v[56:57] neg_lo:[0,0,1] neg_hi:[0,0,1]
	v_pk_fma_f32 v[16:17], v[36:37], v[16:17], v[56:57] op_sel_hi:[1,0,1]
	v_pk_mul_f32 v[32:33], v[38:39], v[58:59] op_sel:[1,0] op_sel_hi:[0,0]
	v_mov_b32_e32 v11, v13
	v_pk_add_f32 v[2:3], v[2:3], v[24:25]
	;; [unrolled: 12-line block ×3, first 2 shown]
	v_mov_b32_e32 v37, v21
	v_pk_fma_f32 v[18:19], v[42:43], v[22:23], v[40:41] neg_lo:[0,0,1] neg_hi:[0,0,1]
	v_pk_fma_f32 v[20:21], v[42:43], v[22:23], v[40:41] op_sel_hi:[1,0,1]
	v_pk_add_f32 v[2:3], v[2:3], v[14:15]
	v_mov_b32_e32 v19, v21
	v_pk_add_f32 v[2:3], v[2:3], v[36:37]
	s_nop 0
	v_pk_add_f32 v[2:3], v[2:3], v[18:19]
	s_waitcnt vmcnt(0)
	v_pk_add_f32 v[2:3], v[44:45], v[2:3] neg_lo:[0,1] neg_hi:[0,1]
	scratch_store_dwordx2 off, v[2:3], off offset:272
	s_and_saveexec_b64 s[0:1], vcc
	s_cbranch_execz .LBB44_217
; %bb.216:
	scratch_load_dwordx2 v[2:3], off, off offset:264
	v_mov_b32_e32 v4, 0
	v_mov_b32_e32 v5, v4
	scratch_store_dwordx2 off, v[4:5], off offset:264
	s_waitcnt vmcnt(1)
	ds_write_b64 v1, v[2:3]
.LBB44_217:
	s_or_b64 exec, exec, s[0:1]
	s_waitcnt lgkmcnt(0)
	; wave barrier
	scratch_load_dwordx4 v[4:7], off, off offset:272
	scratch_load_dwordx4 v[8:11], off, off offset:288
	;; [unrolled: 1-line block ×5, first 2 shown]
	scratch_load_dwordx2 v[44:45], off, off offset:352
	scratch_load_dwordx2 v[46:47], off, off offset:264
	v_mov_b32_e32 v2, 0
	ds_read_b128 v[24:27], v2 offset:640
	ds_read_b128 v[28:31], v2 offset:656
	;; [unrolled: 1-line block ×5, first 2 shown]
	ds_read_b64 v[48:49], v2 offset:720
	v_cmp_lt_u32_e32 vcc, 32, v0
	s_waitcnt vmcnt(6) lgkmcnt(5)
	v_mul_f32_e32 v3, v24, v5
	v_mul_f32_e32 v5, v25, v5
	;; [unrolled: 1-line block ×3, first 2 shown]
	s_waitcnt vmcnt(5) lgkmcnt(4)
	v_mul_f32_e32 v53, v28, v9
	v_mul_f32_e32 v7, v27, v7
	;; [unrolled: 1-line block ×3, first 2 shown]
	v_mov_b32_e32 v54, v11
	s_waitcnt vmcnt(3) lgkmcnt(2)
	v_pk_mul_f32 v[60:61], v[36:37], v[16:17] op_sel:[1,1] op_sel_hi:[0,1]
	s_waitcnt vmcnt(2) lgkmcnt(1)
	v_pk_mul_f32 v[64:65], v[40:41], v[20:21] op_sel:[1,1] op_sel_hi:[0,1]
	;; [unrolled: 2-line block ×3, first 2 shown]
	v_fmac_f32_e32 v3, v25, v4
	v_fma_f32 v55, v24, v4, -v5
	v_fmac_f32_e32 v51, v27, v6
	v_fmac_f32_e32 v53, v29, v8
	v_fma_f32 v50, v26, v6, -v7
	v_fma_f32 v52, v28, v8, -v9
	v_pk_mul_f32 v[4:5], v[30:31], v[54:55] op_sel:[1,0] op_sel_hi:[0,0]
	v_pk_fma_f32 v[24:25], v[36:37], v[16:17], v[60:61] neg_lo:[0,0,1] neg_hi:[0,0,1]
	v_pk_fma_f32 v[16:17], v[36:37], v[16:17], v[60:61] op_sel_hi:[1,0,1]
	v_pk_fma_f32 v[28:29], v[40:41], v[20:21], v[64:65] neg_lo:[0,0,1] neg_hi:[0,0,1]
	v_pk_fma_f32 v[20:21], v[40:41], v[20:21], v[64:65] op_sel_hi:[1,0,1]
	;; [unrolled: 2-line block ×3, first 2 shown]
	v_add_f32_e32 v45, 0, v3
	v_add_f32_e32 v44, 0, v55
	v_pk_mul_f32 v[56:57], v[32:33], v[12:13] op_sel:[1,1] op_sel_hi:[0,1]
	v_mov_b32_e32 v58, v15
	v_pk_fma_f32 v[48:49], v[30:31], v[10:11], v[4:5] neg_lo:[0,0,1] neg_hi:[0,0,1]
	v_pk_fma_f32 v[4:5], v[30:31], v[10:11], v[4:5] op_sel_hi:[1,0,1]
	v_mov_b32_e32 v29, v21
	v_pk_add_f32 v[20:21], v[44:45], v[50:51]
	v_pk_fma_f32 v[6:7], v[32:33], v[12:13], v[56:57] neg_lo:[0,0,1] neg_hi:[0,0,1]
	v_pk_fma_f32 v[8:9], v[32:33], v[12:13], v[56:57] op_sel_hi:[1,0,1]
	v_pk_mul_f32 v[12:13], v[34:35], v[58:59] op_sel:[1,0] op_sel_hi:[0,0]
	v_mov_b32_e32 v49, v5
	v_pk_add_f32 v[4:5], v[20:21], v[52:53]
	v_mov_b32_e32 v62, v19
	v_mov_b32_e32 v7, v9
	v_pk_fma_f32 v[8:9], v[34:35], v[14:15], v[12:13] neg_lo:[0,0,1] neg_hi:[0,0,1]
	v_pk_fma_f32 v[10:11], v[34:35], v[14:15], v[12:13] op_sel_hi:[1,0,1]
	v_pk_add_f32 v[4:5], v[4:5], v[48:49]
	v_pk_mul_f32 v[26:27], v[38:39], v[62:63] op_sel:[1,0] op_sel_hi:[0,0]
	v_mov_b32_e32 v9, v11
	v_pk_add_f32 v[4:5], v[4:5], v[6:7]
	v_mov_b32_e32 v66, v23
	v_mov_b32_e32 v25, v17
	v_pk_fma_f32 v[12:13], v[38:39], v[18:19], v[26:27] neg_lo:[0,0,1] neg_hi:[0,0,1]
	v_pk_fma_f32 v[14:15], v[38:39], v[18:19], v[26:27] op_sel_hi:[1,0,1]
	v_pk_add_f32 v[4:5], v[4:5], v[8:9]
	v_pk_mul_f32 v[32:33], v[42:43], v[66:67] op_sel:[1,0] op_sel_hi:[0,0]
	v_mov_b32_e32 v13, v15
	v_pk_add_f32 v[4:5], v[4:5], v[24:25]
	v_pk_fma_f32 v[16:17], v[42:43], v[22:23], v[32:33] neg_lo:[0,0,1] neg_hi:[0,0,1]
	v_pk_fma_f32 v[18:19], v[42:43], v[22:23], v[32:33] op_sel_hi:[1,0,1]
	v_pk_add_f32 v[4:5], v[4:5], v[12:13]
	v_mov_b32_e32 v17, v19
	v_pk_add_f32 v[4:5], v[4:5], v[28:29]
	v_mov_b32_e32 v37, v41
	v_pk_add_f32 v[4:5], v[4:5], v[16:17]
	s_nop 0
	v_pk_add_f32 v[4:5], v[4:5], v[36:37]
	s_waitcnt vmcnt(0)
	v_pk_add_f32 v[4:5], v[46:47], v[4:5] neg_lo:[0,1] neg_hi:[0,1]
	scratch_store_dwordx2 off, v[4:5], off offset:264
	s_and_saveexec_b64 s[0:1], vcc
	s_cbranch_execz .LBB44_219
; %bb.218:
	scratch_load_dwordx2 v[4:5], off, off offset:256
	v_mov_b32_e32 v3, v2
	scratch_store_dwordx2 off, v[2:3], off offset:256
	s_waitcnt vmcnt(1)
	ds_write_b64 v1, v[4:5]
.LBB44_219:
	s_or_b64 exec, exec, s[0:1]
	s_waitcnt lgkmcnt(0)
	; wave barrier
	scratch_load_dwordx4 v[4:7], off, off offset:264
	scratch_load_dwordx4 v[8:11], off, off offset:280
	;; [unrolled: 1-line block ×6, first 2 shown]
	scratch_load_dwordx2 v[52:53], off, off offset:256
	ds_read2_b64 v[28:31], v2 offset0:79 offset1:80
	ds_read2_b64 v[32:35], v2 offset0:81 offset1:82
	;; [unrolled: 1-line block ×6, first 2 shown]
	v_cmp_lt_u32_e32 vcc, 31, v0
	s_waitcnt vmcnt(6) lgkmcnt(5)
	v_mul_f32_e32 v59, v28, v5
	v_mul_f32_e32 v63, v30, v7
	s_waitcnt vmcnt(5) lgkmcnt(4)
	v_mul_f32_e32 v3, v32, v9
	v_mul_f32_e32 v2, v29, v5
	v_mul_f32_e32 v5, v31, v7
	v_mul_f32_e32 v7, v33, v9
	s_waitcnt vmcnt(1) lgkmcnt(0)
	v_pk_mul_f32 v[68:69], v[48:49], v[24:25] op_sel:[1,1] op_sel_hi:[0,1]
	v_pk_mul_f32 v[56:57], v[36:37], v[12:13] op_sel:[1,1] op_sel_hi:[0,1]
	v_fmac_f32_e32 v59, v29, v4
	v_fmac_f32_e32 v3, v33, v8
	v_fma_f32 v67, v28, v4, -v2
	v_fma_f32 v2, v32, v8, -v7
	v_pk_fma_f32 v[32:33], v[48:49], v[24:25], v[68:69] neg_lo:[0,0,1] neg_hi:[0,0,1]
	v_pk_fma_f32 v[24:25], v[48:49], v[24:25], v[68:69] op_sel_hi:[1,0,1]
	v_fmac_f32_e32 v63, v31, v6
	v_fma_f32 v71, v30, v6, -v5
	v_pk_fma_f32 v[4:5], v[36:37], v[12:13], v[56:57] neg_lo:[0,0,1] neg_hi:[0,0,1]
	v_pk_fma_f32 v[6:7], v[36:37], v[12:13], v[56:57] op_sel_hi:[1,0,1]
	v_add_f32_e32 v24, 0, v59
	v_add_f32_e32 v36, 0, v67
	v_mul_f32_e32 v55, v34, v11
	v_mul_f32_e32 v9, v35, v11
	v_mov_b32_e32 v58, v15
	v_mov_b32_e32 v33, v25
	v_add_f32_e32 v25, v24, v63
	v_add_f32_e32 v24, v36, v71
	v_fmac_f32_e32 v55, v35, v10
	v_fma_f32 v54, v34, v10, -v9
	v_pk_mul_f32 v[8:9], v[38:39], v[58:59] op_sel:[1,0] op_sel_hi:[0,0]
	v_pk_add_f32 v[2:3], v[24:25], v[2:3]
	v_pk_mul_f32 v[60:61], v[40:41], v[16:17] op_sel:[1,1] op_sel_hi:[0,1]
	v_mov_b32_e32 v62, v19
	v_mov_b32_e32 v5, v7
	v_pk_fma_f32 v[6:7], v[38:39], v[14:15], v[8:9] neg_lo:[0,0,1] neg_hi:[0,0,1]
	v_pk_fma_f32 v[8:9], v[38:39], v[14:15], v[8:9] op_sel_hi:[1,0,1]
	v_pk_add_f32 v[2:3], v[2:3], v[54:55]
	v_pk_fma_f32 v[10:11], v[40:41], v[16:17], v[60:61] neg_lo:[0,0,1] neg_hi:[0,0,1]
	v_pk_fma_f32 v[12:13], v[40:41], v[16:17], v[60:61] op_sel_hi:[1,0,1]
	v_pk_mul_f32 v[16:17], v[42:43], v[62:63] op_sel:[1,0] op_sel_hi:[0,0]
	v_mov_b32_e32 v7, v9
	v_pk_add_f32 v[2:3], v[2:3], v[4:5]
	v_pk_mul_f32 v[64:65], v[44:45], v[20:21] op_sel:[1,1] op_sel_hi:[0,1]
	v_mov_b32_e32 v66, v23
	v_mov_b32_e32 v11, v13
	v_pk_fma_f32 v[12:13], v[42:43], v[18:19], v[16:17] neg_lo:[0,0,1] neg_hi:[0,0,1]
	v_pk_fma_f32 v[14:15], v[42:43], v[18:19], v[16:17] op_sel_hi:[1,0,1]
	v_pk_add_f32 v[2:3], v[2:3], v[6:7]
	v_pk_fma_f32 v[28:29], v[44:45], v[20:21], v[64:65] neg_lo:[0,0,1] neg_hi:[0,0,1]
	v_pk_fma_f32 v[20:21], v[44:45], v[20:21], v[64:65] op_sel_hi:[1,0,1]
	v_pk_mul_f32 v[30:31], v[46:47], v[66:67] op_sel:[1,0] op_sel_hi:[0,0]
	v_mov_b32_e32 v13, v15
	v_pk_add_f32 v[2:3], v[2:3], v[10:11]
	v_mov_b32_e32 v70, v27
	v_mov_b32_e32 v29, v21
	v_pk_fma_f32 v[16:17], v[46:47], v[22:23], v[30:31] neg_lo:[0,0,1] neg_hi:[0,0,1]
	v_pk_fma_f32 v[18:19], v[46:47], v[22:23], v[30:31] op_sel_hi:[1,0,1]
	v_pk_add_f32 v[2:3], v[2:3], v[12:13]
	v_pk_mul_f32 v[34:35], v[50:51], v[70:71] op_sel:[1,0] op_sel_hi:[0,0]
	v_mov_b32_e32 v17, v19
	v_pk_add_f32 v[2:3], v[2:3], v[28:29]
	v_pk_fma_f32 v[20:21], v[50:51], v[26:27], v[34:35] neg_lo:[0,0,1] neg_hi:[0,0,1]
	v_pk_fma_f32 v[22:23], v[50:51], v[26:27], v[34:35] op_sel_hi:[1,0,1]
	v_pk_add_f32 v[2:3], v[2:3], v[16:17]
	v_mov_b32_e32 v21, v23
	v_pk_add_f32 v[2:3], v[2:3], v[32:33]
	s_nop 0
	v_pk_add_f32 v[2:3], v[2:3], v[20:21]
	s_waitcnt vmcnt(0)
	v_pk_add_f32 v[2:3], v[52:53], v[2:3] neg_lo:[0,1] neg_hi:[0,1]
	scratch_store_dwordx2 off, v[2:3], off offset:256
	s_and_saveexec_b64 s[0:1], vcc
	s_cbranch_execz .LBB44_221
; %bb.220:
	scratch_load_dwordx2 v[2:3], off, off offset:248
	v_mov_b32_e32 v4, 0
	v_mov_b32_e32 v5, v4
	scratch_store_dwordx2 off, v[4:5], off offset:248
	s_waitcnt vmcnt(1)
	ds_write_b64 v1, v[2:3]
.LBB44_221:
	s_or_b64 exec, exec, s[0:1]
	s_waitcnt lgkmcnt(0)
	; wave barrier
	scratch_load_dwordx4 v[4:7], off, off offset:256
	scratch_load_dwordx4 v[8:11], off, off offset:272
	;; [unrolled: 1-line block ×6, first 2 shown]
	scratch_load_dwordx2 v[52:53], off, off offset:352
	scratch_load_dwordx2 v[54:55], off, off offset:248
	v_mov_b32_e32 v2, 0
	ds_read_b128 v[28:31], v2 offset:624
	ds_read_b128 v[32:35], v2 offset:640
	;; [unrolled: 1-line block ×6, first 2 shown]
	ds_read_b64 v[56:57], v2 offset:720
	v_cmp_lt_u32_e32 vcc, 30, v0
	s_waitcnt vmcnt(7) lgkmcnt(6)
	v_mul_f32_e32 v63, v30, v7
	v_mul_f32_e32 v3, v28, v5
	s_waitcnt vmcnt(5) lgkmcnt(4)
	v_mul_f32_e32 v61, v36, v13
	v_mul_f32_e32 v5, v29, v5
	v_mov_b32_e32 v62, v15
	s_waitcnt vmcnt(2) lgkmcnt(1)
	v_pk_mul_f32 v[72:73], v[48:49], v[24:25] op_sel:[1,1] op_sel_hi:[0,1]
	v_fmac_f32_e32 v63, v31, v6
	v_mul_f32_e32 v7, v31, v7
	v_mul_f32_e32 v13, v37, v13
	v_fmac_f32_e32 v3, v29, v4
	v_fmac_f32_e32 v61, v37, v12
	v_fma_f32 v37, v28, v4, -v5
	v_pk_mul_f32 v[4:5], v[38:39], v[62:63] op_sel:[1,0] op_sel_hi:[0,0]
	v_pk_fma_f32 v[28:29], v[48:49], v[24:25], v[72:73] neg_lo:[0,0,1] neg_hi:[0,0,1]
	v_pk_fma_f32 v[24:25], v[48:49], v[24:25], v[72:73] op_sel_hi:[1,0,1]
	v_mul_f32_e32 v67, v32, v9
	v_mul_f32_e32 v9, v33, v9
	v_fma_f32 v71, v30, v6, -v7
	v_fma_f32 v60, v36, v12, -v13
	v_add_f32_e32 v3, 0, v3
	v_add_f32_e32 v24, 0, v37
	v_pk_fma_f32 v[36:37], v[38:39], v[14:15], v[4:5] neg_lo:[0,0,1] neg_hi:[0,0,1]
	v_pk_fma_f32 v[4:5], v[38:39], v[14:15], v[4:5] op_sel_hi:[1,0,1]
	v_mul_f32_e32 v59, v34, v11
	v_mul_f32_e32 v11, v35, v11
	v_fmac_f32_e32 v67, v33, v8
	v_fma_f32 v75, v32, v8, -v9
	v_add_f32_e32 v3, v3, v63
	v_add_f32_e32 v4, v24, v71
	v_fmac_f32_e32 v59, v35, v10
	v_fma_f32 v58, v34, v10, -v11
	v_mov_b32_e32 v37, v5
	v_add_f32_e32 v5, v3, v67
	v_add_f32_e32 v4, v4, v75
	v_pk_mul_f32 v[64:65], v[40:41], v[16:17] op_sel:[1,1] op_sel_hi:[0,1]
	v_mov_b32_e32 v66, v19
	v_pk_add_f32 v[4:5], v[4:5], v[58:59]
	v_pk_fma_f32 v[6:7], v[40:41], v[16:17], v[64:65] neg_lo:[0,0,1] neg_hi:[0,0,1]
	v_pk_fma_f32 v[8:9], v[40:41], v[16:17], v[64:65] op_sel_hi:[1,0,1]
	v_pk_mul_f32 v[10:11], v[42:43], v[66:67] op_sel:[1,0] op_sel_hi:[0,0]
	v_pk_add_f32 v[4:5], v[4:5], v[60:61]
	v_pk_mul_f32 v[68:69], v[44:45], v[20:21] op_sel:[1,1] op_sel_hi:[0,1]
	v_mov_b32_e32 v70, v23
	v_mov_b32_e32 v7, v9
	v_pk_fma_f32 v[8:9], v[42:43], v[18:19], v[10:11] neg_lo:[0,0,1] neg_hi:[0,0,1]
	v_pk_fma_f32 v[10:11], v[42:43], v[18:19], v[10:11] op_sel_hi:[1,0,1]
	v_pk_add_f32 v[4:5], v[4:5], v[36:37]
	v_pk_fma_f32 v[12:13], v[44:45], v[20:21], v[68:69] neg_lo:[0,0,1] neg_hi:[0,0,1]
	v_pk_fma_f32 v[16:17], v[44:45], v[20:21], v[68:69] op_sel_hi:[1,0,1]
	v_pk_mul_f32 v[20:21], v[46:47], v[70:71] op_sel:[1,0] op_sel_hi:[0,0]
	v_mov_b32_e32 v9, v11
	v_pk_add_f32 v[4:5], v[4:5], v[6:7]
	v_mov_b32_e32 v74, v27
	v_mov_b32_e32 v13, v17
	v_pk_fma_f32 v[14:15], v[46:47], v[22:23], v[20:21] neg_lo:[0,0,1] neg_hi:[0,0,1]
	v_pk_fma_f32 v[16:17], v[46:47], v[22:23], v[20:21] op_sel_hi:[1,0,1]
	v_pk_add_f32 v[4:5], v[4:5], v[8:9]
	v_pk_mul_f32 v[30:31], v[50:51], v[74:75] op_sel:[1,0] op_sel_hi:[0,0]
	v_mov_b32_e32 v15, v17
	v_pk_add_f32 v[4:5], v[4:5], v[12:13]
	s_waitcnt vmcnt(1) lgkmcnt(0)
	v_pk_mul_f32 v[76:77], v[56:57], v[52:53] op_sel:[1,1] op_sel_hi:[0,1]
	v_mov_b32_e32 v29, v25
	v_pk_fma_f32 v[18:19], v[50:51], v[26:27], v[30:31] neg_lo:[0,0,1] neg_hi:[0,0,1]
	v_pk_fma_f32 v[20:21], v[50:51], v[26:27], v[30:31] op_sel_hi:[1,0,1]
	v_pk_add_f32 v[4:5], v[4:5], v[14:15]
	v_pk_fma_f32 v[32:33], v[56:57], v[52:53], v[76:77] neg_lo:[0,0,1] neg_hi:[0,0,1]
	v_pk_fma_f32 v[34:35], v[56:57], v[52:53], v[76:77] op_sel_hi:[1,0,1]
	v_mov_b32_e32 v19, v21
	v_pk_add_f32 v[4:5], v[4:5], v[28:29]
	v_mov_b32_e32 v33, v35
	v_pk_add_f32 v[4:5], v[4:5], v[18:19]
	s_nop 0
	v_pk_add_f32 v[4:5], v[4:5], v[32:33]
	s_waitcnt vmcnt(0)
	v_pk_add_f32 v[4:5], v[54:55], v[4:5] neg_lo:[0,1] neg_hi:[0,1]
	scratch_store_dwordx2 off, v[4:5], off offset:248
	s_and_saveexec_b64 s[0:1], vcc
	s_cbranch_execz .LBB44_223
; %bb.222:
	scratch_load_dwordx2 v[4:5], off, off offset:240
	v_mov_b32_e32 v3, v2
	scratch_store_dwordx2 off, v[2:3], off offset:240
	s_waitcnt vmcnt(1)
	ds_write_b64 v1, v[4:5]
.LBB44_223:
	s_or_b64 exec, exec, s[0:1]
	s_waitcnt lgkmcnt(0)
	; wave barrier
	scratch_load_dwordx4 v[4:7], off, off offset:248
	scratch_load_dwordx4 v[8:11], off, off offset:264
	;; [unrolled: 1-line block ×7, first 2 shown]
	ds_read2_b64 v[32:35], v2 offset0:77 offset1:78
	ds_read2_b64 v[36:39], v2 offset0:79 offset1:80
	;; [unrolled: 1-line block ×6, first 2 shown]
	scratch_load_dwordx2 v[60:61], off, off offset:240
	ds_read2_b64 v[56:59], v2 offset0:89 offset1:90
	v_cmp_lt_u32_e32 vcc, 29, v0
	s_waitcnt vmcnt(7) lgkmcnt(6)
	v_mul_f32_e32 v67, v32, v5
	v_mul_f32_e32 v71, v34, v7
	s_waitcnt vmcnt(6) lgkmcnt(5)
	v_mul_f32_e32 v75, v36, v9
	v_mul_f32_e32 v79, v38, v11
	;; [unrolled: 3-line block ×3, first 2 shown]
	v_mul_f32_e32 v2, v33, v5
	v_mul_f32_e32 v5, v35, v7
	;; [unrolled: 1-line block ×6, first 2 shown]
	s_waitcnt vmcnt(4) lgkmcnt(3)
	v_pk_mul_f32 v[64:65], v[44:45], v[16:17] op_sel:[1,1] op_sel_hi:[0,1]
	v_mov_b32_e32 v66, v19
	s_waitcnt vmcnt(3) lgkmcnt(2)
	v_pk_mul_f32 v[68:69], v[48:49], v[20:21] op_sel:[1,1] op_sel_hi:[0,1]
	v_mov_b32_e32 v70, v23
	s_waitcnt vmcnt(1) lgkmcnt(0)
	v_pk_mul_f32 v[76:77], v[56:57], v[28:29] op_sel:[1,1] op_sel_hi:[0,1]
	v_fmac_f32_e32 v67, v33, v4
	v_fmac_f32_e32 v71, v35, v6
	;; [unrolled: 1-line block ×6, first 2 shown]
	v_fma_f32 v37, v32, v4, -v2
	v_fma_f32 v39, v34, v6, -v5
	;; [unrolled: 1-line block ×6, first 2 shown]
	v_pk_fma_f32 v[4:5], v[44:45], v[16:17], v[64:65] neg_lo:[0,0,1] neg_hi:[0,0,1]
	v_pk_fma_f32 v[6:7], v[44:45], v[16:17], v[64:65] op_sel_hi:[1,0,1]
	v_pk_mul_f32 v[8:9], v[46:47], v[66:67] op_sel:[1,0] op_sel_hi:[0,0]
	v_pk_fma_f32 v[10:11], v[48:49], v[20:21], v[68:69] neg_lo:[0,0,1] neg_hi:[0,0,1]
	v_pk_fma_f32 v[12:13], v[48:49], v[20:21], v[68:69] op_sel_hi:[1,0,1]
	v_pk_mul_f32 v[14:15], v[50:51], v[70:71] op_sel:[1,0] op_sel_hi:[0,0]
	v_pk_fma_f32 v[32:33], v[56:57], v[28:29], v[76:77] neg_lo:[0,0,1] neg_hi:[0,0,1]
	v_pk_fma_f32 v[28:29], v[56:57], v[28:29], v[76:77] op_sel_hi:[1,0,1]
	v_add_f32_e32 v37, 0, v37
	v_add_f32_e32 v28, 0, v67
	v_mov_b32_e32 v5, v7
	v_pk_fma_f32 v[6:7], v[46:47], v[18:19], v[8:9] neg_lo:[0,0,1] neg_hi:[0,0,1]
	v_pk_fma_f32 v[8:9], v[46:47], v[18:19], v[8:9] op_sel_hi:[1,0,1]
	v_mov_b32_e32 v11, v13
	v_pk_fma_f32 v[12:13], v[50:51], v[22:23], v[14:15] neg_lo:[0,0,1] neg_hi:[0,0,1]
	v_pk_fma_f32 v[14:15], v[50:51], v[22:23], v[14:15] op_sel_hi:[1,0,1]
	v_add_f32_e32 v8, v28, v71
	v_add_f32_e32 v14, v37, v39
	;; [unrolled: 1-line block ×4, first 2 shown]
	v_mov_b32_e32 v7, v9
	v_add_f32_e32 v9, v8, v79
	v_add_f32_e32 v8, v14, v38
	v_pk_add_f32 v[2:3], v[8:9], v[2:3]
	v_pk_mul_f32 v[72:73], v[52:53], v[24:25] op_sel:[1,1] op_sel_hi:[0,1]
	v_pk_add_f32 v[2:3], v[2:3], v[62:63]
	v_mov_b32_e32 v74, v27
	v_pk_add_f32 v[2:3], v[2:3], v[4:5]
	v_pk_fma_f32 v[16:17], v[52:53], v[24:25], v[72:73] neg_lo:[0,0,1] neg_hi:[0,0,1]
	v_pk_add_f32 v[2:3], v[2:3], v[6:7]
	v_pk_fma_f32 v[20:21], v[52:53], v[24:25], v[72:73] op_sel_hi:[1,0,1]
	v_pk_mul_f32 v[24:25], v[54:55], v[74:75] op_sel:[1,0] op_sel_hi:[0,0]
	v_mov_b32_e32 v13, v15
	v_pk_add_f32 v[2:3], v[2:3], v[10:11]
	v_mov_b32_e32 v78, v31
	v_mov_b32_e32 v17, v21
	v_pk_fma_f32 v[18:19], v[54:55], v[26:27], v[24:25] neg_lo:[0,0,1] neg_hi:[0,0,1]
	v_pk_fma_f32 v[20:21], v[54:55], v[26:27], v[24:25] op_sel_hi:[1,0,1]
	v_pk_add_f32 v[2:3], v[2:3], v[12:13]
	v_pk_mul_f32 v[34:35], v[58:59], v[78:79] op_sel:[1,0] op_sel_hi:[0,0]
	v_mov_b32_e32 v19, v21
	v_pk_add_f32 v[2:3], v[2:3], v[16:17]
	v_mov_b32_e32 v33, v29
	v_pk_fma_f32 v[22:23], v[58:59], v[30:31], v[34:35] neg_lo:[0,0,1] neg_hi:[0,0,1]
	v_pk_fma_f32 v[24:25], v[58:59], v[30:31], v[34:35] op_sel_hi:[1,0,1]
	v_pk_add_f32 v[2:3], v[2:3], v[18:19]
	v_mov_b32_e32 v23, v25
	v_pk_add_f32 v[2:3], v[2:3], v[32:33]
	s_nop 0
	v_pk_add_f32 v[2:3], v[2:3], v[22:23]
	s_waitcnt vmcnt(0)
	v_pk_add_f32 v[2:3], v[60:61], v[2:3] neg_lo:[0,1] neg_hi:[0,1]
	scratch_store_dwordx2 off, v[2:3], off offset:240
	s_and_saveexec_b64 s[0:1], vcc
	s_cbranch_execz .LBB44_225
; %bb.224:
	scratch_load_dwordx2 v[2:3], off, off offset:232
	v_mov_b32_e32 v4, 0
	v_mov_b32_e32 v5, v4
	scratch_store_dwordx2 off, v[4:5], off offset:232
	s_waitcnt vmcnt(1)
	ds_write_b64 v1, v[2:3]
.LBB44_225:
	s_or_b64 exec, exec, s[0:1]
	v_mov_b32_e32 v2, 0
	s_waitcnt lgkmcnt(0)
	; wave barrier
	ds_read_b128 v[4:7], v2 offset:608
	ds_read_b128 v[8:11], v2 offset:624
	;; [unrolled: 1-line block ×4, first 2 shown]
	scratch_load_dwordx4 v[20:23], off, off offset:240
	v_cmp_lt_u32_e32 vcc, 28, v0
	s_waitcnt vmcnt(0) lgkmcnt(3)
	v_mul_f32_e32 v3, v4, v21
	v_fmac_f32_e32 v3, v5, v20
	v_mul_f32_e32 v24, v6, v23
	v_add_f32_e32 v3, 0, v3
	v_fmac_f32_e32 v24, v7, v22
	v_add_f32_e32 v3, v3, v24
	scratch_load_dwordx4 v[24:27], off, off offset:256
	s_waitcnt vmcnt(0) lgkmcnt(2)
	v_mul_f32_e32 v28, v8, v25
	v_fmac_f32_e32 v28, v9, v24
	v_add_f32_e32 v3, v3, v28
	v_mul_f32_e32 v28, v10, v27
	v_fmac_f32_e32 v28, v11, v26
	v_add_f32_e32 v3, v3, v28
	scratch_load_dwordx4 v[28:31], off, off offset:272
	s_waitcnt vmcnt(0) lgkmcnt(1)
	v_mul_f32_e32 v32, v12, v29
	v_fmac_f32_e32 v32, v13, v28
	v_add_f32_e32 v49, v3, v32
	scratch_load_dwordx4 v[32:35], off, off offset:288
	scratch_load_dwordx4 v[36:39], off, off offset:304
	;; [unrolled: 1-line block ×4, first 2 shown]
	scratch_load_dwordx2 v[54:55], off, off offset:352
	v_mul_f32_e32 v3, v5, v21
	v_fma_f32 v3, v4, v20, -v3
	v_mul_f32_e32 v4, v7, v23
	v_add_f32_e32 v3, 0, v3
	v_fma_f32 v4, v6, v22, -v4
	v_add_f32_e32 v3, v3, v4
	v_mul_f32_e32 v4, v9, v25
	v_fma_f32 v4, v8, v24, -v4
	v_add_f32_e32 v3, v3, v4
	v_mul_f32_e32 v4, v11, v27
	v_fma_f32 v4, v10, v26, -v4
	v_add_f32_e32 v3, v3, v4
	v_mul_f32_e32 v4, v13, v29
	v_fma_f32 v4, v12, v28, -v4
	v_mul_f32_e32 v51, v14, v31
	v_add_f32_e32 v48, v3, v4
	v_mul_f32_e32 v3, v15, v31
	v_fmac_f32_e32 v51, v15, v30
	v_fma_f32 v50, v14, v30, -v3
	v_pk_add_f32 v[20:21], v[48:49], v[50:51]
	s_waitcnt vmcnt(4)
	v_mov_b32_e32 v22, v35
	s_waitcnt lgkmcnt(0)
	v_mul_f32_e32 v53, v16, v33
	v_mul_f32_e32 v3, v17, v33
	v_pk_mul_f32 v[22:23], v[18:19], v[22:23] op_sel:[1,0] op_sel_hi:[0,0]
	v_fmac_f32_e32 v53, v17, v32
	v_fma_f32 v52, v16, v32, -v3
	ds_read_b128 v[4:7], v2 offset:672
	ds_read_b128 v[8:11], v2 offset:688
	;; [unrolled: 1-line block ×3, first 2 shown]
	ds_read_b64 v[16:17], v2 offset:720
	v_pk_fma_f32 v[24:25], v[18:19], v[34:35], v[22:23] neg_lo:[0,0,1] neg_hi:[0,0,1]
	v_pk_fma_f32 v[18:19], v[18:19], v[34:35], v[22:23] op_sel_hi:[1,0,1]
	v_pk_add_f32 v[20:21], v[20:21], v[52:53]
	v_mov_b32_e32 v25, v19
	v_pk_add_f32 v[18:19], v[20:21], v[24:25]
	s_waitcnt vmcnt(3) lgkmcnt(3)
	v_pk_mul_f32 v[20:21], v[4:5], v[36:37] op_sel:[1,1] op_sel_hi:[0,1]
	v_pk_fma_f32 v[22:23], v[4:5], v[36:37], v[20:21] neg_lo:[0,0,1] neg_hi:[0,0,1]
	v_pk_fma_f32 v[4:5], v[4:5], v[36:37], v[20:21] op_sel_hi:[1,0,1]
	s_nop 0
	v_mov_b32_e32 v23, v5
	v_pk_add_f32 v[4:5], v[18:19], v[22:23]
	v_mov_b32_e32 v18, v39
	v_pk_mul_f32 v[18:19], v[6:7], v[18:19] op_sel:[1,0] op_sel_hi:[0,0]
	v_pk_fma_f32 v[20:21], v[6:7], v[38:39], v[18:19] neg_lo:[0,0,1] neg_hi:[0,0,1]
	v_pk_fma_f32 v[6:7], v[6:7], v[38:39], v[18:19] op_sel_hi:[1,0,1]
	s_nop 0
	v_mov_b32_e32 v21, v7
	s_waitcnt vmcnt(2) lgkmcnt(2)
	v_pk_mul_f32 v[6:7], v[8:9], v[40:41] op_sel:[1,1] op_sel_hi:[0,1]
	v_pk_fma_f32 v[18:19], v[8:9], v[40:41], v[6:7] neg_lo:[0,0,1] neg_hi:[0,0,1]
	v_pk_fma_f32 v[6:7], v[8:9], v[40:41], v[6:7] op_sel_hi:[1,0,1]
	v_pk_add_f32 v[4:5], v[4:5], v[20:21]
	v_mov_b32_e32 v6, v43
	v_mov_b32_e32 v19, v7
	v_pk_mul_f32 v[6:7], v[10:11], v[6:7] op_sel:[1,0] op_sel_hi:[0,0]
	v_pk_fma_f32 v[8:9], v[10:11], v[42:43], v[6:7] neg_lo:[0,0,1] neg_hi:[0,0,1]
	v_pk_fma_f32 v[6:7], v[10:11], v[42:43], v[6:7] op_sel_hi:[1,0,1]
	v_pk_add_f32 v[4:5], v[4:5], v[18:19]
	v_mov_b32_e32 v9, v7
	s_waitcnt vmcnt(1) lgkmcnt(1)
	v_pk_mul_f32 v[6:7], v[12:13], v[44:45] op_sel:[1,1] op_sel_hi:[0,1]
	v_pk_add_f32 v[4:5], v[4:5], v[8:9]
	v_pk_fma_f32 v[8:9], v[12:13], v[44:45], v[6:7] neg_lo:[0,0,1] neg_hi:[0,0,1]
	v_pk_fma_f32 v[6:7], v[12:13], v[44:45], v[6:7] op_sel_hi:[1,0,1]
	s_nop 0
	v_mov_b32_e32 v6, v47
	v_mov_b32_e32 v9, v7
	v_pk_mul_f32 v[6:7], v[14:15], v[6:7] op_sel:[1,0] op_sel_hi:[0,0]
	v_pk_add_f32 v[4:5], v[4:5], v[8:9]
	v_pk_fma_f32 v[8:9], v[14:15], v[46:47], v[6:7] neg_lo:[0,0,1] neg_hi:[0,0,1]
	v_pk_fma_f32 v[6:7], v[14:15], v[46:47], v[6:7] op_sel_hi:[1,0,1]
	s_nop 0
	v_mov_b32_e32 v9, v7
	s_waitcnt vmcnt(0) lgkmcnt(0)
	v_pk_mul_f32 v[6:7], v[16:17], v[54:55] op_sel:[1,1] op_sel_hi:[0,1]
	v_pk_add_f32 v[4:5], v[4:5], v[8:9]
	v_pk_fma_f32 v[8:9], v[16:17], v[54:55], v[6:7] neg_lo:[0,0,1] neg_hi:[0,0,1]
	v_pk_fma_f32 v[6:7], v[16:17], v[54:55], v[6:7] op_sel_hi:[1,0,1]
	s_nop 0
	v_mov_b32_e32 v9, v7
	scratch_load_dwordx2 v[6:7], off, off offset:232
	v_pk_add_f32 v[4:5], v[4:5], v[8:9]
	s_waitcnt vmcnt(0)
	v_pk_add_f32 v[4:5], v[6:7], v[4:5] neg_lo:[0,1] neg_hi:[0,1]
	scratch_store_dwordx2 off, v[4:5], off offset:232
	s_and_saveexec_b64 s[0:1], vcc
	s_cbranch_execz .LBB44_227
; %bb.226:
	scratch_load_dwordx2 v[4:5], off, off offset:224
	v_mov_b32_e32 v3, v2
	scratch_store_dwordx2 off, v[2:3], off offset:224
	s_waitcnt vmcnt(1)
	ds_write_b64 v1, v[4:5]
.LBB44_227:
	s_or_b64 exec, exec, s[0:1]
	s_waitcnt lgkmcnt(0)
	; wave barrier
	scratch_load_dwordx4 v[8:11], off, off offset:232
	scratch_load_dwordx4 v[16:19], off, off offset:248
	;; [unrolled: 1-line block ×4, first 2 shown]
	ds_read2_b64 v[4:7], v2 offset0:75 offset1:76
	v_cmp_lt_u32_e32 vcc, 27, v0
	s_waitcnt vmcnt(3) lgkmcnt(0)
	v_mul_f32_e32 v3, v4, v9
	v_fmac_f32_e32 v3, v5, v8
	v_mul_f32_e32 v12, v6, v11
	v_add_f32_e32 v3, 0, v3
	v_fmac_f32_e32 v12, v7, v10
	v_add_f32_e32 v3, v3, v12
	ds_read2_b64 v[12:15], v2 offset0:77 offset1:78
	s_waitcnt vmcnt(2) lgkmcnt(0)
	v_mul_f32_e32 v20, v12, v17
	v_fmac_f32_e32 v20, v13, v16
	v_add_f32_e32 v3, v3, v20
	v_mul_f32_e32 v20, v14, v19
	v_fmac_f32_e32 v20, v15, v18
	v_add_f32_e32 v3, v3, v20
	ds_read2_b64 v[20:23], v2 offset0:79 offset1:80
	s_waitcnt vmcnt(1) lgkmcnt(0)
	v_mul_f32_e32 v28, v20, v25
	v_fmac_f32_e32 v28, v21, v24
	v_add_f32_e32 v3, v3, v28
	v_mul_f32_e32 v28, v22, v27
	v_fmac_f32_e32 v28, v23, v26
	v_add_f32_e32 v53, v3, v28
	ds_read2_b64 v[28:31], v2 offset0:81 offset1:82
	scratch_load_dwordx4 v[36:39], off, off offset:296
	scratch_load_dwordx4 v[40:43], off, off offset:312
	;; [unrolled: 1-line block ×4, first 2 shown]
	v_mul_f32_e32 v3, v5, v9
	v_fma_f32 v3, v4, v8, -v3
	v_mul_f32_e32 v4, v7, v11
	v_add_f32_e32 v3, 0, v3
	v_fma_f32 v4, v6, v10, -v4
	v_add_f32_e32 v3, v3, v4
	v_mul_f32_e32 v4, v13, v17
	v_fma_f32 v4, v12, v16, -v4
	v_add_f32_e32 v3, v3, v4
	v_mul_f32_e32 v4, v15, v19
	;; [unrolled: 3-line block ×4, first 2 shown]
	v_fma_f32 v4, v22, v26, -v4
	v_add_f32_e32 v52, v3, v4
	ds_read2_b64 v[4:7], v2 offset0:83 offset1:84
	ds_read2_b64 v[8:11], v2 offset0:85 offset1:86
	;; [unrolled: 1-line block ×4, first 2 shown]
	s_waitcnt vmcnt(4) lgkmcnt(4)
	v_mul_f32_e32 v55, v28, v33
	v_mul_f32_e32 v3, v29, v33
	v_fmac_f32_e32 v55, v29, v32
	v_mul_f32_e32 v57, v30, v35
	v_fma_f32 v54, v28, v32, -v3
	v_mul_f32_e32 v3, v31, v35
	v_fmac_f32_e32 v57, v31, v34
	v_fma_f32 v56, v30, v34, -v3
	v_pk_add_f32 v[2:3], v[52:53], v[54:55]
	s_waitcnt vmcnt(3) lgkmcnt(3)
	v_pk_mul_f32 v[20:21], v[4:5], v[36:37] op_sel:[1,1] op_sel_hi:[0,1]
	v_pk_fma_f32 v[22:23], v[4:5], v[36:37], v[20:21] neg_lo:[0,0,1] neg_hi:[0,0,1]
	v_pk_fma_f32 v[4:5], v[4:5], v[36:37], v[20:21] op_sel_hi:[1,0,1]
	v_pk_add_f32 v[2:3], v[2:3], v[56:57]
	v_mov_b32_e32 v4, v39
	v_mov_b32_e32 v23, v5
	v_pk_mul_f32 v[4:5], v[6:7], v[4:5] op_sel:[1,0] op_sel_hi:[0,0]
	v_pk_fma_f32 v[20:21], v[6:7], v[38:39], v[4:5] neg_lo:[0,0,1] neg_hi:[0,0,1]
	v_pk_fma_f32 v[4:5], v[6:7], v[38:39], v[4:5] op_sel_hi:[1,0,1]
	v_pk_add_f32 v[2:3], v[2:3], v[22:23]
	v_mov_b32_e32 v21, v5
	s_waitcnt vmcnt(2) lgkmcnt(2)
	v_pk_mul_f32 v[4:5], v[8:9], v[40:41] op_sel:[1,1] op_sel_hi:[0,1]
	v_pk_fma_f32 v[6:7], v[8:9], v[40:41], v[4:5] neg_lo:[0,0,1] neg_hi:[0,0,1]
	v_pk_fma_f32 v[4:5], v[8:9], v[40:41], v[4:5] op_sel_hi:[1,0,1]
	v_pk_add_f32 v[2:3], v[2:3], v[20:21]
	v_mov_b32_e32 v4, v43
	v_mov_b32_e32 v7, v5
	v_pk_mul_f32 v[4:5], v[10:11], v[4:5] op_sel:[1,0] op_sel_hi:[0,0]
	v_pk_add_f32 v[2:3], v[2:3], v[6:7]
	v_pk_fma_f32 v[6:7], v[10:11], v[42:43], v[4:5] neg_lo:[0,0,1] neg_hi:[0,0,1]
	v_pk_fma_f32 v[4:5], v[10:11], v[42:43], v[4:5] op_sel_hi:[1,0,1]
	s_nop 0
	v_mov_b32_e32 v7, v5
	s_waitcnt vmcnt(1) lgkmcnt(1)
	v_pk_mul_f32 v[4:5], v[12:13], v[44:45] op_sel:[1,1] op_sel_hi:[0,1]
	v_pk_add_f32 v[2:3], v[2:3], v[6:7]
	v_pk_fma_f32 v[6:7], v[12:13], v[44:45], v[4:5] neg_lo:[0,0,1] neg_hi:[0,0,1]
	v_pk_fma_f32 v[4:5], v[12:13], v[44:45], v[4:5] op_sel_hi:[1,0,1]
	s_nop 0
	v_mov_b32_e32 v4, v47
	v_mov_b32_e32 v7, v5
	v_pk_mul_f32 v[4:5], v[14:15], v[4:5] op_sel:[1,0] op_sel_hi:[0,0]
	v_pk_add_f32 v[2:3], v[2:3], v[6:7]
	v_pk_fma_f32 v[6:7], v[14:15], v[46:47], v[4:5] neg_lo:[0,0,1] neg_hi:[0,0,1]
	v_pk_fma_f32 v[4:5], v[14:15], v[46:47], v[4:5] op_sel_hi:[1,0,1]
	s_nop 0
	v_mov_b32_e32 v7, v5
	s_waitcnt vmcnt(0) lgkmcnt(0)
	v_pk_mul_f32 v[4:5], v[16:17], v[48:49] op_sel:[1,1] op_sel_hi:[0,1]
	v_pk_add_f32 v[2:3], v[2:3], v[6:7]
	v_pk_fma_f32 v[6:7], v[16:17], v[48:49], v[4:5] neg_lo:[0,0,1] neg_hi:[0,0,1]
	v_pk_fma_f32 v[4:5], v[16:17], v[48:49], v[4:5] op_sel_hi:[1,0,1]
	s_nop 0
	v_mov_b32_e32 v4, v51
	v_mov_b32_e32 v7, v5
	v_pk_mul_f32 v[4:5], v[18:19], v[4:5] op_sel:[1,0] op_sel_hi:[0,0]
	v_pk_add_f32 v[2:3], v[2:3], v[6:7]
	v_pk_fma_f32 v[6:7], v[18:19], v[50:51], v[4:5] neg_lo:[0,0,1] neg_hi:[0,0,1]
	v_pk_fma_f32 v[4:5], v[18:19], v[50:51], v[4:5] op_sel_hi:[1,0,1]
	s_nop 0
	v_mov_b32_e32 v7, v5
	scratch_load_dwordx2 v[4:5], off, off offset:224
	v_pk_add_f32 v[2:3], v[2:3], v[6:7]
	s_waitcnt vmcnt(0)
	v_pk_add_f32 v[2:3], v[4:5], v[2:3] neg_lo:[0,1] neg_hi:[0,1]
	scratch_store_dwordx2 off, v[2:3], off offset:224
	s_and_saveexec_b64 s[0:1], vcc
	s_cbranch_execz .LBB44_229
; %bb.228:
	scratch_load_dwordx2 v[2:3], off, off offset:216
	v_mov_b32_e32 v4, 0
	v_mov_b32_e32 v5, v4
	scratch_store_dwordx2 off, v[4:5], off offset:216
	s_waitcnt vmcnt(1)
	ds_write_b64 v1, v[2:3]
.LBB44_229:
	s_or_b64 exec, exec, s[0:1]
	v_mov_b32_e32 v2, 0
	s_waitcnt lgkmcnt(0)
	; wave barrier
	ds_read_b128 v[4:7], v2 offset:592
	ds_read_b128 v[8:11], v2 offset:608
	;; [unrolled: 1-line block ×4, first 2 shown]
	scratch_load_dwordx4 v[20:23], off, off offset:224
	scratch_load_dwordx4 v[40:43], off, off offset:288
	v_cmp_lt_u32_e32 vcc, 26, v0
	s_waitcnt vmcnt(1) lgkmcnt(3)
	v_mul_f32_e32 v3, v4, v21
	v_fmac_f32_e32 v3, v5, v20
	v_mul_f32_e32 v24, v6, v23
	v_add_f32_e32 v3, 0, v3
	v_fmac_f32_e32 v24, v7, v22
	v_add_f32_e32 v3, v3, v24
	scratch_load_dwordx4 v[24:27], off, off offset:240
	s_waitcnt vmcnt(0) lgkmcnt(2)
	v_mul_f32_e32 v28, v8, v25
	v_fmac_f32_e32 v28, v9, v24
	v_add_f32_e32 v3, v3, v28
	v_mul_f32_e32 v28, v10, v27
	v_fmac_f32_e32 v28, v11, v26
	v_add_f32_e32 v3, v3, v28
	scratch_load_dwordx4 v[28:31], off, off offset:256
	s_waitcnt vmcnt(0) lgkmcnt(1)
	v_mul_f32_e32 v32, v12, v29
	v_fmac_f32_e32 v32, v13, v28
	v_add_f32_e32 v3, v3, v32
	v_mul_f32_e32 v32, v14, v31
	v_fmac_f32_e32 v32, v15, v30
	v_add_f32_e32 v3, v3, v32
	scratch_load_dwordx4 v[32:35], off, off offset:272
	s_waitcnt vmcnt(0) lgkmcnt(0)
	v_mul_f32_e32 v36, v16, v33
	v_fmac_f32_e32 v36, v17, v32
	v_add_f32_e32 v57, v3, v36
	ds_read_b128 v[36:39], v2 offset:656
	scratch_load_dwordx4 v[44:47], off, off offset:304
	scratch_load_dwordx4 v[48:51], off, off offset:320
	;; [unrolled: 1-line block ×3, first 2 shown]
	scratch_load_dwordx2 v[62:63], off, off offset:352
	v_mul_f32_e32 v3, v5, v21
	v_fma_f32 v3, v4, v20, -v3
	v_mul_f32_e32 v4, v7, v23
	v_add_f32_e32 v3, 0, v3
	v_fma_f32 v4, v6, v22, -v4
	v_add_f32_e32 v3, v3, v4
	v_mul_f32_e32 v4, v9, v25
	v_fma_f32 v4, v8, v24, -v4
	v_add_f32_e32 v3, v3, v4
	v_mul_f32_e32 v4, v11, v27
	;; [unrolled: 3-line block ×5, first 2 shown]
	v_fma_f32 v4, v16, v32, -v4
	v_mul_f32_e32 v59, v18, v35
	v_add_f32_e32 v56, v3, v4
	v_mul_f32_e32 v3, v19, v35
	v_mov_b32_e32 v20, v43
	v_fmac_f32_e32 v59, v19, v34
	s_waitcnt lgkmcnt(0)
	v_mul_f32_e32 v61, v36, v41
	v_fma_f32 v58, v18, v34, -v3
	v_mul_f32_e32 v3, v37, v41
	ds_read_b128 v[4:7], v2 offset:672
	ds_read_b128 v[8:11], v2 offset:688
	;; [unrolled: 1-line block ×3, first 2 shown]
	ds_read_b64 v[16:17], v2 offset:720
	v_pk_mul_f32 v[20:21], v[38:39], v[20:21] op_sel:[1,0] op_sel_hi:[0,0]
	v_fmac_f32_e32 v61, v37, v40
	v_fma_f32 v60, v36, v40, -v3
	v_pk_add_f32 v[18:19], v[56:57], v[58:59]
	v_pk_fma_f32 v[22:23], v[38:39], v[42:43], v[20:21] neg_lo:[0,0,1] neg_hi:[0,0,1]
	v_pk_fma_f32 v[20:21], v[38:39], v[42:43], v[20:21] op_sel_hi:[1,0,1]
	v_pk_add_f32 v[18:19], v[18:19], v[60:61]
	v_mov_b32_e32 v23, v21
	v_pk_add_f32 v[18:19], v[18:19], v[22:23]
	s_waitcnt vmcnt(3) lgkmcnt(3)
	v_pk_mul_f32 v[20:21], v[4:5], v[44:45] op_sel:[1,1] op_sel_hi:[0,1]
	v_pk_fma_f32 v[22:23], v[4:5], v[44:45], v[20:21] neg_lo:[0,0,1] neg_hi:[0,0,1]
	v_pk_fma_f32 v[4:5], v[4:5], v[44:45], v[20:21] op_sel_hi:[1,0,1]
	s_nop 0
	v_mov_b32_e32 v23, v5
	v_pk_add_f32 v[4:5], v[18:19], v[22:23]
	v_mov_b32_e32 v18, v47
	v_pk_mul_f32 v[18:19], v[6:7], v[18:19] op_sel:[1,0] op_sel_hi:[0,0]
	v_pk_fma_f32 v[20:21], v[6:7], v[46:47], v[18:19] neg_lo:[0,0,1] neg_hi:[0,0,1]
	v_pk_fma_f32 v[6:7], v[6:7], v[46:47], v[18:19] op_sel_hi:[1,0,1]
	s_nop 0
	v_mov_b32_e32 v21, v7
	s_waitcnt vmcnt(2) lgkmcnt(2)
	v_pk_mul_f32 v[6:7], v[8:9], v[48:49] op_sel:[1,1] op_sel_hi:[0,1]
	v_pk_fma_f32 v[18:19], v[8:9], v[48:49], v[6:7] neg_lo:[0,0,1] neg_hi:[0,0,1]
	v_pk_fma_f32 v[6:7], v[8:9], v[48:49], v[6:7] op_sel_hi:[1,0,1]
	v_pk_add_f32 v[4:5], v[4:5], v[20:21]
	v_mov_b32_e32 v6, v51
	v_mov_b32_e32 v19, v7
	v_pk_mul_f32 v[6:7], v[10:11], v[6:7] op_sel:[1,0] op_sel_hi:[0,0]
	v_pk_fma_f32 v[8:9], v[10:11], v[50:51], v[6:7] neg_lo:[0,0,1] neg_hi:[0,0,1]
	v_pk_fma_f32 v[6:7], v[10:11], v[50:51], v[6:7] op_sel_hi:[1,0,1]
	v_pk_add_f32 v[4:5], v[4:5], v[18:19]
	v_mov_b32_e32 v9, v7
	s_waitcnt vmcnt(1) lgkmcnt(1)
	v_pk_mul_f32 v[6:7], v[12:13], v[52:53] op_sel:[1,1] op_sel_hi:[0,1]
	v_pk_add_f32 v[4:5], v[4:5], v[8:9]
	v_pk_fma_f32 v[8:9], v[12:13], v[52:53], v[6:7] neg_lo:[0,0,1] neg_hi:[0,0,1]
	v_pk_fma_f32 v[6:7], v[12:13], v[52:53], v[6:7] op_sel_hi:[1,0,1]
	s_nop 0
	v_mov_b32_e32 v6, v55
	v_mov_b32_e32 v9, v7
	v_pk_mul_f32 v[6:7], v[14:15], v[6:7] op_sel:[1,0] op_sel_hi:[0,0]
	v_pk_add_f32 v[4:5], v[4:5], v[8:9]
	v_pk_fma_f32 v[8:9], v[14:15], v[54:55], v[6:7] neg_lo:[0,0,1] neg_hi:[0,0,1]
	v_pk_fma_f32 v[6:7], v[14:15], v[54:55], v[6:7] op_sel_hi:[1,0,1]
	s_nop 0
	v_mov_b32_e32 v9, v7
	s_waitcnt vmcnt(0) lgkmcnt(0)
	v_pk_mul_f32 v[6:7], v[16:17], v[62:63] op_sel:[1,1] op_sel_hi:[0,1]
	v_pk_add_f32 v[4:5], v[4:5], v[8:9]
	v_pk_fma_f32 v[8:9], v[16:17], v[62:63], v[6:7] neg_lo:[0,0,1] neg_hi:[0,0,1]
	v_pk_fma_f32 v[6:7], v[16:17], v[62:63], v[6:7] op_sel_hi:[1,0,1]
	s_nop 0
	v_mov_b32_e32 v9, v7
	scratch_load_dwordx2 v[6:7], off, off offset:216
	v_pk_add_f32 v[4:5], v[4:5], v[8:9]
	s_waitcnt vmcnt(0)
	v_pk_add_f32 v[4:5], v[6:7], v[4:5] neg_lo:[0,1] neg_hi:[0,1]
	scratch_store_dwordx2 off, v[4:5], off offset:216
	s_and_saveexec_b64 s[0:1], vcc
	s_cbranch_execz .LBB44_231
; %bb.230:
	scratch_load_dwordx2 v[4:5], off, off offset:208
	v_mov_b32_e32 v3, v2
	scratch_store_dwordx2 off, v[2:3], off offset:208
	s_waitcnt vmcnt(1)
	ds_write_b64 v1, v[4:5]
.LBB44_231:
	s_or_b64 exec, exec, s[0:1]
	s_waitcnt lgkmcnt(0)
	; wave barrier
	scratch_load_dwordx4 v[8:11], off, off offset:216
	scratch_load_dwordx4 v[16:19], off, off offset:232
	;; [unrolled: 1-line block ×4, first 2 shown]
	ds_read2_b64 v[4:7], v2 offset0:73 offset1:74
	scratch_load_dwordx4 v[40:43], off, off offset:280
	v_cmp_lt_u32_e32 vcc, 25, v0
	s_waitcnt vmcnt(4) lgkmcnt(0)
	v_mul_f32_e32 v3, v4, v9
	v_fmac_f32_e32 v3, v5, v8
	v_mul_f32_e32 v12, v6, v11
	v_add_f32_e32 v3, 0, v3
	v_fmac_f32_e32 v12, v7, v10
	v_add_f32_e32 v3, v3, v12
	ds_read2_b64 v[12:15], v2 offset0:75 offset1:76
	s_waitcnt vmcnt(3) lgkmcnt(0)
	v_mul_f32_e32 v20, v12, v17
	v_fmac_f32_e32 v20, v13, v16
	v_add_f32_e32 v3, v3, v20
	v_mul_f32_e32 v20, v14, v19
	v_fmac_f32_e32 v20, v15, v18
	v_add_f32_e32 v3, v3, v20
	ds_read2_b64 v[20:23], v2 offset0:77 offset1:78
	s_waitcnt vmcnt(2) lgkmcnt(0)
	v_mul_f32_e32 v28, v20, v25
	v_fmac_f32_e32 v28, v21, v24
	v_add_f32_e32 v3, v3, v28
	v_mul_f32_e32 v28, v22, v27
	;; [unrolled: 8-line block ×3, first 2 shown]
	v_fmac_f32_e32 v36, v31, v34
	v_add_f32_e32 v61, v3, v36
	ds_read2_b64 v[36:39], v2 offset0:81 offset1:82
	scratch_load_dwordx4 v[44:47], off, off offset:296
	scratch_load_dwordx4 v[48:51], off, off offset:312
	;; [unrolled: 1-line block ×4, first 2 shown]
	v_mul_f32_e32 v3, v5, v9
	v_fma_f32 v3, v4, v8, -v3
	v_mul_f32_e32 v4, v7, v11
	v_add_f32_e32 v3, 0, v3
	v_fma_f32 v4, v6, v10, -v4
	v_add_f32_e32 v3, v3, v4
	v_mul_f32_e32 v4, v13, v17
	v_fma_f32 v4, v12, v16, -v4
	v_add_f32_e32 v3, v3, v4
	v_mul_f32_e32 v4, v15, v19
	;; [unrolled: 3-line block ×6, first 2 shown]
	v_fma_f32 v4, v30, v34, -v4
	v_add_f32_e32 v60, v3, v4
	ds_read2_b64 v[4:7], v2 offset0:83 offset1:84
	ds_read2_b64 v[8:11], v2 offset0:85 offset1:86
	;; [unrolled: 1-line block ×4, first 2 shown]
	s_waitcnt vmcnt(4) lgkmcnt(4)
	v_mul_f32_e32 v63, v36, v41
	v_mul_f32_e32 v3, v37, v41
	v_fmac_f32_e32 v63, v37, v40
	v_mul_f32_e32 v65, v38, v43
	v_fma_f32 v62, v36, v40, -v3
	v_mul_f32_e32 v3, v39, v43
	v_fmac_f32_e32 v65, v39, v42
	v_fma_f32 v64, v38, v42, -v3
	v_pk_add_f32 v[2:3], v[60:61], v[62:63]
	s_waitcnt vmcnt(3) lgkmcnt(3)
	v_pk_mul_f32 v[20:21], v[4:5], v[44:45] op_sel:[1,1] op_sel_hi:[0,1]
	v_pk_fma_f32 v[22:23], v[4:5], v[44:45], v[20:21] neg_lo:[0,0,1] neg_hi:[0,0,1]
	v_pk_fma_f32 v[4:5], v[4:5], v[44:45], v[20:21] op_sel_hi:[1,0,1]
	v_pk_add_f32 v[2:3], v[2:3], v[64:65]
	v_mov_b32_e32 v4, v47
	v_mov_b32_e32 v23, v5
	v_pk_mul_f32 v[4:5], v[6:7], v[4:5] op_sel:[1,0] op_sel_hi:[0,0]
	v_pk_fma_f32 v[20:21], v[6:7], v[46:47], v[4:5] neg_lo:[0,0,1] neg_hi:[0,0,1]
	v_pk_fma_f32 v[4:5], v[6:7], v[46:47], v[4:5] op_sel_hi:[1,0,1]
	v_pk_add_f32 v[2:3], v[2:3], v[22:23]
	v_mov_b32_e32 v21, v5
	s_waitcnt vmcnt(2) lgkmcnt(2)
	v_pk_mul_f32 v[4:5], v[8:9], v[48:49] op_sel:[1,1] op_sel_hi:[0,1]
	v_pk_fma_f32 v[6:7], v[8:9], v[48:49], v[4:5] neg_lo:[0,0,1] neg_hi:[0,0,1]
	v_pk_fma_f32 v[4:5], v[8:9], v[48:49], v[4:5] op_sel_hi:[1,0,1]
	v_pk_add_f32 v[2:3], v[2:3], v[20:21]
	v_mov_b32_e32 v4, v51
	v_mov_b32_e32 v7, v5
	v_pk_mul_f32 v[4:5], v[10:11], v[4:5] op_sel:[1,0] op_sel_hi:[0,0]
	v_pk_add_f32 v[2:3], v[2:3], v[6:7]
	v_pk_fma_f32 v[6:7], v[10:11], v[50:51], v[4:5] neg_lo:[0,0,1] neg_hi:[0,0,1]
	v_pk_fma_f32 v[4:5], v[10:11], v[50:51], v[4:5] op_sel_hi:[1,0,1]
	s_nop 0
	v_mov_b32_e32 v7, v5
	s_waitcnt vmcnt(1) lgkmcnt(1)
	v_pk_mul_f32 v[4:5], v[12:13], v[52:53] op_sel:[1,1] op_sel_hi:[0,1]
	v_pk_add_f32 v[2:3], v[2:3], v[6:7]
	v_pk_fma_f32 v[6:7], v[12:13], v[52:53], v[4:5] neg_lo:[0,0,1] neg_hi:[0,0,1]
	v_pk_fma_f32 v[4:5], v[12:13], v[52:53], v[4:5] op_sel_hi:[1,0,1]
	s_nop 0
	v_mov_b32_e32 v4, v55
	v_mov_b32_e32 v7, v5
	v_pk_mul_f32 v[4:5], v[14:15], v[4:5] op_sel:[1,0] op_sel_hi:[0,0]
	v_pk_add_f32 v[2:3], v[2:3], v[6:7]
	v_pk_fma_f32 v[6:7], v[14:15], v[54:55], v[4:5] neg_lo:[0,0,1] neg_hi:[0,0,1]
	v_pk_fma_f32 v[4:5], v[14:15], v[54:55], v[4:5] op_sel_hi:[1,0,1]
	s_nop 0
	v_mov_b32_e32 v7, v5
	s_waitcnt vmcnt(0) lgkmcnt(0)
	v_pk_mul_f32 v[4:5], v[16:17], v[56:57] op_sel:[1,1] op_sel_hi:[0,1]
	v_pk_add_f32 v[2:3], v[2:3], v[6:7]
	v_pk_fma_f32 v[6:7], v[16:17], v[56:57], v[4:5] neg_lo:[0,0,1] neg_hi:[0,0,1]
	v_pk_fma_f32 v[4:5], v[16:17], v[56:57], v[4:5] op_sel_hi:[1,0,1]
	s_nop 0
	v_mov_b32_e32 v4, v59
	v_mov_b32_e32 v7, v5
	v_pk_mul_f32 v[4:5], v[18:19], v[4:5] op_sel:[1,0] op_sel_hi:[0,0]
	v_pk_add_f32 v[2:3], v[2:3], v[6:7]
	v_pk_fma_f32 v[6:7], v[18:19], v[58:59], v[4:5] neg_lo:[0,0,1] neg_hi:[0,0,1]
	v_pk_fma_f32 v[4:5], v[18:19], v[58:59], v[4:5] op_sel_hi:[1,0,1]
	s_nop 0
	v_mov_b32_e32 v7, v5
	scratch_load_dwordx2 v[4:5], off, off offset:208
	v_pk_add_f32 v[2:3], v[2:3], v[6:7]
	s_waitcnt vmcnt(0)
	v_pk_add_f32 v[2:3], v[4:5], v[2:3] neg_lo:[0,1] neg_hi:[0,1]
	scratch_store_dwordx2 off, v[2:3], off offset:208
	s_and_saveexec_b64 s[0:1], vcc
	s_cbranch_execz .LBB44_233
; %bb.232:
	scratch_load_dwordx2 v[2:3], off, off offset:200
	v_mov_b32_e32 v4, 0
	v_mov_b32_e32 v5, v4
	scratch_store_dwordx2 off, v[4:5], off offset:200
	s_waitcnt vmcnt(1)
	ds_write_b64 v1, v[2:3]
.LBB44_233:
	s_or_b64 exec, exec, s[0:1]
	v_mov_b32_e32 v2, 0
	s_waitcnt lgkmcnt(0)
	; wave barrier
	ds_read_b128 v[4:7], v2 offset:576
	ds_read_b128 v[8:11], v2 offset:592
	ds_read_b128 v[12:15], v2 offset:608
	ds_read_b128 v[16:19], v2 offset:624
	scratch_load_dwordx4 v[20:23], off, off offset:208
	scratch_load_dwordx4 v[40:43], off, off offset:272
	v_cmp_lt_u32_e32 vcc, 24, v0
	scratch_load_dwordx4 v[48:51], off, off offset:288
	s_waitcnt vmcnt(2) lgkmcnt(3)
	v_mul_f32_e32 v3, v4, v21
	v_fmac_f32_e32 v3, v5, v20
	v_mul_f32_e32 v24, v6, v23
	v_add_f32_e32 v3, 0, v3
	v_fmac_f32_e32 v24, v7, v22
	v_add_f32_e32 v3, v3, v24
	scratch_load_dwordx4 v[24:27], off, off offset:224
	s_waitcnt vmcnt(0) lgkmcnt(2)
	v_mul_f32_e32 v28, v8, v25
	v_fmac_f32_e32 v28, v9, v24
	v_add_f32_e32 v3, v3, v28
	v_mul_f32_e32 v28, v10, v27
	v_fmac_f32_e32 v28, v11, v26
	v_add_f32_e32 v3, v3, v28
	scratch_load_dwordx4 v[28:31], off, off offset:240
	s_waitcnt vmcnt(0) lgkmcnt(1)
	v_mul_f32_e32 v32, v12, v29
	v_fmac_f32_e32 v32, v13, v28
	v_add_f32_e32 v3, v3, v32
	v_mul_f32_e32 v32, v14, v31
	;; [unrolled: 8-line block ×3, first 2 shown]
	v_fmac_f32_e32 v36, v19, v34
	v_add_f32_e32 v3, v3, v36
	ds_read_b128 v[36:39], v2 offset:640
	s_waitcnt lgkmcnt(0)
	v_mul_f32_e32 v44, v36, v41
	v_fmac_f32_e32 v44, v37, v40
	v_add_f32_e32 v65, v3, v44
	ds_read_b128 v[44:47], v2 offset:656
	scratch_load_dwordx4 v[52:55], off, off offset:304
	scratch_load_dwordx4 v[56:59], off, off offset:320
	;; [unrolled: 1-line block ×3, first 2 shown]
	scratch_load_dwordx2 v[70:71], off, off offset:352
	v_mul_f32_e32 v3, v5, v21
	v_fma_f32 v3, v4, v20, -v3
	v_mul_f32_e32 v4, v7, v23
	v_add_f32_e32 v3, 0, v3
	v_fma_f32 v4, v6, v22, -v4
	v_add_f32_e32 v3, v3, v4
	v_mul_f32_e32 v4, v9, v25
	v_fma_f32 v4, v8, v24, -v4
	v_add_f32_e32 v3, v3, v4
	v_mul_f32_e32 v4, v11, v27
	;; [unrolled: 3-line block ×7, first 2 shown]
	v_fma_f32 v4, v36, v40, -v4
	v_mul_f32_e32 v67, v38, v43
	v_add_f32_e32 v64, v3, v4
	v_mul_f32_e32 v3, v39, v43
	v_mov_b32_e32 v20, v51
	v_fmac_f32_e32 v67, v39, v42
	s_waitcnt lgkmcnt(0)
	v_mul_f32_e32 v69, v44, v49
	v_fma_f32 v66, v38, v42, -v3
	v_mul_f32_e32 v3, v45, v49
	ds_read_b128 v[4:7], v2 offset:672
	ds_read_b128 v[8:11], v2 offset:688
	;; [unrolled: 1-line block ×3, first 2 shown]
	ds_read_b64 v[16:17], v2 offset:720
	v_pk_mul_f32 v[20:21], v[46:47], v[20:21] op_sel:[1,0] op_sel_hi:[0,0]
	v_fmac_f32_e32 v69, v45, v48
	v_fma_f32 v68, v44, v48, -v3
	v_pk_add_f32 v[18:19], v[64:65], v[66:67]
	v_pk_fma_f32 v[22:23], v[46:47], v[50:51], v[20:21] neg_lo:[0,0,1] neg_hi:[0,0,1]
	v_pk_fma_f32 v[20:21], v[46:47], v[50:51], v[20:21] op_sel_hi:[1,0,1]
	v_pk_add_f32 v[18:19], v[18:19], v[68:69]
	v_mov_b32_e32 v23, v21
	v_pk_add_f32 v[18:19], v[18:19], v[22:23]
	s_waitcnt vmcnt(3) lgkmcnt(3)
	v_pk_mul_f32 v[20:21], v[4:5], v[52:53] op_sel:[1,1] op_sel_hi:[0,1]
	v_pk_fma_f32 v[22:23], v[4:5], v[52:53], v[20:21] neg_lo:[0,0,1] neg_hi:[0,0,1]
	v_pk_fma_f32 v[4:5], v[4:5], v[52:53], v[20:21] op_sel_hi:[1,0,1]
	s_nop 0
	v_mov_b32_e32 v23, v5
	v_pk_add_f32 v[4:5], v[18:19], v[22:23]
	v_mov_b32_e32 v18, v55
	v_pk_mul_f32 v[18:19], v[6:7], v[18:19] op_sel:[1,0] op_sel_hi:[0,0]
	v_pk_fma_f32 v[20:21], v[6:7], v[54:55], v[18:19] neg_lo:[0,0,1] neg_hi:[0,0,1]
	v_pk_fma_f32 v[6:7], v[6:7], v[54:55], v[18:19] op_sel_hi:[1,0,1]
	s_nop 0
	v_mov_b32_e32 v21, v7
	s_waitcnt vmcnt(2) lgkmcnt(2)
	v_pk_mul_f32 v[6:7], v[8:9], v[56:57] op_sel:[1,1] op_sel_hi:[0,1]
	v_pk_fma_f32 v[18:19], v[8:9], v[56:57], v[6:7] neg_lo:[0,0,1] neg_hi:[0,0,1]
	v_pk_fma_f32 v[6:7], v[8:9], v[56:57], v[6:7] op_sel_hi:[1,0,1]
	v_pk_add_f32 v[4:5], v[4:5], v[20:21]
	v_mov_b32_e32 v6, v59
	v_mov_b32_e32 v19, v7
	v_pk_mul_f32 v[6:7], v[10:11], v[6:7] op_sel:[1,0] op_sel_hi:[0,0]
	v_pk_fma_f32 v[8:9], v[10:11], v[58:59], v[6:7] neg_lo:[0,0,1] neg_hi:[0,0,1]
	v_pk_fma_f32 v[6:7], v[10:11], v[58:59], v[6:7] op_sel_hi:[1,0,1]
	v_pk_add_f32 v[4:5], v[4:5], v[18:19]
	v_mov_b32_e32 v9, v7
	s_waitcnt vmcnt(1) lgkmcnt(1)
	v_pk_mul_f32 v[6:7], v[12:13], v[60:61] op_sel:[1,1] op_sel_hi:[0,1]
	v_pk_add_f32 v[4:5], v[4:5], v[8:9]
	v_pk_fma_f32 v[8:9], v[12:13], v[60:61], v[6:7] neg_lo:[0,0,1] neg_hi:[0,0,1]
	v_pk_fma_f32 v[6:7], v[12:13], v[60:61], v[6:7] op_sel_hi:[1,0,1]
	s_nop 0
	v_mov_b32_e32 v6, v63
	v_mov_b32_e32 v9, v7
	v_pk_mul_f32 v[6:7], v[14:15], v[6:7] op_sel:[1,0] op_sel_hi:[0,0]
	v_pk_add_f32 v[4:5], v[4:5], v[8:9]
	v_pk_fma_f32 v[8:9], v[14:15], v[62:63], v[6:7] neg_lo:[0,0,1] neg_hi:[0,0,1]
	v_pk_fma_f32 v[6:7], v[14:15], v[62:63], v[6:7] op_sel_hi:[1,0,1]
	s_nop 0
	v_mov_b32_e32 v9, v7
	s_waitcnt vmcnt(0) lgkmcnt(0)
	v_pk_mul_f32 v[6:7], v[16:17], v[70:71] op_sel:[1,1] op_sel_hi:[0,1]
	v_pk_add_f32 v[4:5], v[4:5], v[8:9]
	v_pk_fma_f32 v[8:9], v[16:17], v[70:71], v[6:7] neg_lo:[0,0,1] neg_hi:[0,0,1]
	v_pk_fma_f32 v[6:7], v[16:17], v[70:71], v[6:7] op_sel_hi:[1,0,1]
	s_nop 0
	v_mov_b32_e32 v9, v7
	scratch_load_dwordx2 v[6:7], off, off offset:200
	v_pk_add_f32 v[4:5], v[4:5], v[8:9]
	s_waitcnt vmcnt(0)
	v_pk_add_f32 v[4:5], v[6:7], v[4:5] neg_lo:[0,1] neg_hi:[0,1]
	scratch_store_dwordx2 off, v[4:5], off offset:200
	s_and_saveexec_b64 s[0:1], vcc
	s_cbranch_execz .LBB44_235
; %bb.234:
	scratch_load_dwordx2 v[4:5], off, off offset:192
	v_mov_b32_e32 v3, v2
	scratch_store_dwordx2 off, v[2:3], off offset:192
	s_waitcnt vmcnt(1)
	ds_write_b64 v1, v[4:5]
.LBB44_235:
	s_or_b64 exec, exec, s[0:1]
	s_waitcnt lgkmcnt(0)
	; wave barrier
	scratch_load_dwordx4 v[8:11], off, off offset:200
	scratch_load_dwordx4 v[16:19], off, off offset:216
	;; [unrolled: 1-line block ×6, first 2 shown]
	ds_read2_b64 v[4:7], v2 offset0:71 offset1:72
	v_cmp_lt_u32_e32 vcc, 23, v0
	s_waitcnt vmcnt(5) lgkmcnt(0)
	v_mul_f32_e32 v3, v4, v9
	v_fmac_f32_e32 v3, v5, v8
	v_mul_f32_e32 v12, v6, v11
	v_add_f32_e32 v3, 0, v3
	v_fmac_f32_e32 v12, v7, v10
	v_add_f32_e32 v3, v3, v12
	ds_read2_b64 v[12:15], v2 offset0:73 offset1:74
	s_waitcnt vmcnt(4) lgkmcnt(0)
	v_mul_f32_e32 v20, v12, v17
	v_fmac_f32_e32 v20, v13, v16
	v_add_f32_e32 v3, v3, v20
	v_mul_f32_e32 v20, v14, v19
	v_fmac_f32_e32 v20, v15, v18
	v_add_f32_e32 v3, v3, v20
	ds_read2_b64 v[20:23], v2 offset0:75 offset1:76
	s_waitcnt vmcnt(3) lgkmcnt(0)
	v_mul_f32_e32 v28, v20, v25
	v_fmac_f32_e32 v28, v21, v24
	v_add_f32_e32 v3, v3, v28
	v_mul_f32_e32 v28, v22, v27
	;; [unrolled: 8-line block ×4, first 2 shown]
	v_fmac_f32_e32 v44, v39, v42
	v_add_f32_e32 v69, v3, v44
	ds_read2_b64 v[44:47], v2 offset0:81 offset1:82
	scratch_load_dwordx4 v[52:55], off, off offset:296
	scratch_load_dwordx4 v[56:59], off, off offset:312
	;; [unrolled: 1-line block ×4, first 2 shown]
	v_mul_f32_e32 v3, v5, v9
	v_fma_f32 v3, v4, v8, -v3
	v_mul_f32_e32 v4, v7, v11
	v_add_f32_e32 v3, 0, v3
	v_fma_f32 v4, v6, v10, -v4
	v_add_f32_e32 v3, v3, v4
	v_mul_f32_e32 v4, v13, v17
	v_fma_f32 v4, v12, v16, -v4
	v_add_f32_e32 v3, v3, v4
	v_mul_f32_e32 v4, v15, v19
	;; [unrolled: 3-line block ×8, first 2 shown]
	v_fma_f32 v4, v38, v42, -v4
	v_add_f32_e32 v68, v3, v4
	ds_read2_b64 v[4:7], v2 offset0:83 offset1:84
	ds_read2_b64 v[8:11], v2 offset0:85 offset1:86
	;; [unrolled: 1-line block ×4, first 2 shown]
	s_waitcnt vmcnt(4) lgkmcnt(4)
	v_mul_f32_e32 v71, v44, v49
	v_mul_f32_e32 v3, v45, v49
	v_fmac_f32_e32 v71, v45, v48
	v_mul_f32_e32 v73, v46, v51
	v_fma_f32 v70, v44, v48, -v3
	v_mul_f32_e32 v3, v47, v51
	v_fmac_f32_e32 v73, v47, v50
	v_fma_f32 v72, v46, v50, -v3
	v_pk_add_f32 v[2:3], v[68:69], v[70:71]
	s_waitcnt vmcnt(3) lgkmcnt(3)
	v_pk_mul_f32 v[20:21], v[4:5], v[52:53] op_sel:[1,1] op_sel_hi:[0,1]
	v_pk_fma_f32 v[22:23], v[4:5], v[52:53], v[20:21] neg_lo:[0,0,1] neg_hi:[0,0,1]
	v_pk_fma_f32 v[4:5], v[4:5], v[52:53], v[20:21] op_sel_hi:[1,0,1]
	v_pk_add_f32 v[2:3], v[2:3], v[72:73]
	v_mov_b32_e32 v4, v55
	v_mov_b32_e32 v23, v5
	v_pk_mul_f32 v[4:5], v[6:7], v[4:5] op_sel:[1,0] op_sel_hi:[0,0]
	v_pk_fma_f32 v[20:21], v[6:7], v[54:55], v[4:5] neg_lo:[0,0,1] neg_hi:[0,0,1]
	v_pk_fma_f32 v[4:5], v[6:7], v[54:55], v[4:5] op_sel_hi:[1,0,1]
	v_pk_add_f32 v[2:3], v[2:3], v[22:23]
	v_mov_b32_e32 v21, v5
	s_waitcnt vmcnt(2) lgkmcnt(2)
	v_pk_mul_f32 v[4:5], v[8:9], v[56:57] op_sel:[1,1] op_sel_hi:[0,1]
	v_pk_fma_f32 v[6:7], v[8:9], v[56:57], v[4:5] neg_lo:[0,0,1] neg_hi:[0,0,1]
	v_pk_fma_f32 v[4:5], v[8:9], v[56:57], v[4:5] op_sel_hi:[1,0,1]
	v_pk_add_f32 v[2:3], v[2:3], v[20:21]
	v_mov_b32_e32 v4, v59
	v_mov_b32_e32 v7, v5
	v_pk_mul_f32 v[4:5], v[10:11], v[4:5] op_sel:[1,0] op_sel_hi:[0,0]
	v_pk_add_f32 v[2:3], v[2:3], v[6:7]
	v_pk_fma_f32 v[6:7], v[10:11], v[58:59], v[4:5] neg_lo:[0,0,1] neg_hi:[0,0,1]
	v_pk_fma_f32 v[4:5], v[10:11], v[58:59], v[4:5] op_sel_hi:[1,0,1]
	s_nop 0
	v_mov_b32_e32 v7, v5
	s_waitcnt vmcnt(1) lgkmcnt(1)
	v_pk_mul_f32 v[4:5], v[12:13], v[60:61] op_sel:[1,1] op_sel_hi:[0,1]
	v_pk_add_f32 v[2:3], v[2:3], v[6:7]
	v_pk_fma_f32 v[6:7], v[12:13], v[60:61], v[4:5] neg_lo:[0,0,1] neg_hi:[0,0,1]
	v_pk_fma_f32 v[4:5], v[12:13], v[60:61], v[4:5] op_sel_hi:[1,0,1]
	s_nop 0
	v_mov_b32_e32 v4, v63
	v_mov_b32_e32 v7, v5
	v_pk_mul_f32 v[4:5], v[14:15], v[4:5] op_sel:[1,0] op_sel_hi:[0,0]
	v_pk_add_f32 v[2:3], v[2:3], v[6:7]
	v_pk_fma_f32 v[6:7], v[14:15], v[62:63], v[4:5] neg_lo:[0,0,1] neg_hi:[0,0,1]
	v_pk_fma_f32 v[4:5], v[14:15], v[62:63], v[4:5] op_sel_hi:[1,0,1]
	s_nop 0
	v_mov_b32_e32 v7, v5
	s_waitcnt vmcnt(0) lgkmcnt(0)
	v_pk_mul_f32 v[4:5], v[16:17], v[64:65] op_sel:[1,1] op_sel_hi:[0,1]
	v_pk_add_f32 v[2:3], v[2:3], v[6:7]
	v_pk_fma_f32 v[6:7], v[16:17], v[64:65], v[4:5] neg_lo:[0,0,1] neg_hi:[0,0,1]
	v_pk_fma_f32 v[4:5], v[16:17], v[64:65], v[4:5] op_sel_hi:[1,0,1]
	s_nop 0
	v_mov_b32_e32 v4, v67
	v_mov_b32_e32 v7, v5
	v_pk_mul_f32 v[4:5], v[18:19], v[4:5] op_sel:[1,0] op_sel_hi:[0,0]
	v_pk_add_f32 v[2:3], v[2:3], v[6:7]
	v_pk_fma_f32 v[6:7], v[18:19], v[66:67], v[4:5] neg_lo:[0,0,1] neg_hi:[0,0,1]
	v_pk_fma_f32 v[4:5], v[18:19], v[66:67], v[4:5] op_sel_hi:[1,0,1]
	s_nop 0
	v_mov_b32_e32 v7, v5
	scratch_load_dwordx2 v[4:5], off, off offset:192
	v_pk_add_f32 v[2:3], v[2:3], v[6:7]
	s_waitcnt vmcnt(0)
	v_pk_add_f32 v[2:3], v[4:5], v[2:3] neg_lo:[0,1] neg_hi:[0,1]
	scratch_store_dwordx2 off, v[2:3], off offset:192
	s_and_saveexec_b64 s[0:1], vcc
	s_cbranch_execz .LBB44_237
; %bb.236:
	scratch_load_dwordx2 v[2:3], off, off offset:184
	v_mov_b32_e32 v4, 0
	v_mov_b32_e32 v5, v4
	scratch_store_dwordx2 off, v[4:5], off offset:184
	s_waitcnt vmcnt(1)
	ds_write_b64 v1, v[2:3]
.LBB44_237:
	s_or_b64 exec, exec, s[0:1]
	v_mov_b32_e32 v10, 0
	s_waitcnt lgkmcnt(0)
	; wave barrier
	ds_read_b128 v[2:5], v10 offset:560
	ds_read_b128 v[6:9], v10 offset:576
	;; [unrolled: 1-line block ×4, first 2 shown]
	scratch_load_dwordx4 v[20:23], off, off offset:192
	scratch_load_dwordx4 v[40:43], off, off offset:256
	v_cmp_lt_u32_e32 vcc, 22, v0
	scratch_load_dwordx4 v[48:51], off, off offset:272
	scratch_load_dwordx4 v[56:59], off, off offset:288
	s_waitcnt vmcnt(3) lgkmcnt(3)
	v_mul_f32_e32 v11, v2, v21
	v_fmac_f32_e32 v11, v3, v20
	v_mul_f32_e32 v24, v4, v23
	v_add_f32_e32 v11, 0, v11
	v_fmac_f32_e32 v24, v5, v22
	v_add_f32_e32 v11, v11, v24
	scratch_load_dwordx4 v[24:27], off, off offset:208
	v_mul_f32_e32 v3, v3, v21
	v_fma_f32 v2, v2, v20, -v3
	v_mul_f32_e32 v3, v5, v23
	v_add_f32_e32 v2, 0, v2
	v_fma_f32 v3, v4, v22, -v3
	v_add_f32_e32 v2, v2, v3
	s_waitcnt vmcnt(1)
	v_mov_b32_e32 v20, v59
	s_waitcnt vmcnt(0) lgkmcnt(2)
	v_mul_f32_e32 v28, v6, v25
	v_fmac_f32_e32 v28, v7, v24
	v_add_f32_e32 v11, v11, v28
	v_mul_f32_e32 v28, v8, v27
	v_fmac_f32_e32 v28, v9, v26
	v_add_f32_e32 v11, v11, v28
	scratch_load_dwordx4 v[28:31], off, off offset:224
	v_mul_f32_e32 v3, v7, v25
	v_fma_f32 v3, v6, v24, -v3
	v_add_f32_e32 v2, v2, v3
	v_mul_f32_e32 v3, v9, v27
	v_fma_f32 v3, v8, v26, -v3
	v_add_f32_e32 v2, v2, v3
	s_waitcnt vmcnt(0) lgkmcnt(1)
	v_mul_f32_e32 v32, v12, v29
	v_fmac_f32_e32 v32, v13, v28
	v_add_f32_e32 v11, v11, v32
	v_mul_f32_e32 v32, v14, v31
	v_fmac_f32_e32 v32, v15, v30
	v_add_f32_e32 v11, v11, v32
	scratch_load_dwordx4 v[32:35], off, off offset:240
	v_mul_f32_e32 v3, v13, v29
	v_fma_f32 v3, v12, v28, -v3
	v_add_f32_e32 v2, v2, v3
	v_mul_f32_e32 v3, v15, v31
	v_fma_f32 v3, v14, v30, -v3
	v_add_f32_e32 v2, v2, v3
	s_waitcnt vmcnt(0) lgkmcnt(0)
	v_mul_f32_e32 v36, v16, v33
	v_fmac_f32_e32 v36, v17, v32
	v_add_f32_e32 v11, v11, v36
	v_mul_f32_e32 v36, v18, v35
	v_fmac_f32_e32 v36, v19, v34
	v_add_f32_e32 v11, v11, v36
	ds_read_b128 v[36:39], v10 offset:624
	v_mul_f32_e32 v3, v17, v33
	v_fma_f32 v3, v16, v32, -v3
	v_add_f32_e32 v2, v2, v3
	v_mul_f32_e32 v3, v19, v35
	s_waitcnt lgkmcnt(0)
	v_mul_f32_e32 v44, v36, v41
	v_fmac_f32_e32 v44, v37, v40
	v_add_f32_e32 v11, v11, v44
	v_mul_f32_e32 v44, v38, v43
	v_fmac_f32_e32 v44, v39, v42
	v_add_f32_e32 v11, v11, v44
	ds_read_b128 v[44:47], v10 offset:640
	v_fma_f32 v3, v18, v34, -v3
	v_add_f32_e32 v2, v2, v3
	v_mul_f32_e32 v3, v37, v41
	v_fma_f32 v3, v36, v40, -v3
	s_waitcnt lgkmcnt(0)
	v_mul_f32_e32 v52, v44, v49
	v_fmac_f32_e32 v52, v45, v48
	v_add_f32_e32 v73, v11, v52
	ds_read_b128 v[52:55], v10 offset:656
	scratch_load_dwordx4 v[60:63], off, off offset:304
	scratch_load_dwordx4 v[64:67], off, off offset:320
	scratch_load_dwordx4 v[68:71], off, off offset:336
	scratch_load_dwordx2 v[78:79], off, off offset:352
	v_add_f32_e32 v2, v2, v3
	v_mul_f32_e32 v3, v39, v43
	v_fma_f32 v3, v38, v42, -v3
	v_add_f32_e32 v2, v2, v3
	v_mul_f32_e32 v3, v45, v49
	v_fma_f32 v3, v44, v48, -v3
	v_add_f32_e32 v72, v2, v3
	v_mul_f32_e32 v2, v47, v51
	v_mul_f32_e32 v75, v46, v51
	v_fma_f32 v74, v46, v50, -v2
	s_waitcnt lgkmcnt(0)
	v_mul_f32_e32 v2, v53, v57
	v_fmac_f32_e32 v75, v47, v50
	v_mul_f32_e32 v77, v52, v57
	v_fma_f32 v76, v52, v56, -v2
	ds_read_b128 v[2:5], v10 offset:672
	ds_read_b128 v[6:9], v10 offset:688
	;; [unrolled: 1-line block ×3, first 2 shown]
	ds_read_b64 v[16:17], v10 offset:720
	v_pk_mul_f32 v[20:21], v[54:55], v[20:21] op_sel:[1,0] op_sel_hi:[0,0]
	v_fmac_f32_e32 v77, v53, v56
	v_pk_add_f32 v[18:19], v[72:73], v[74:75]
	v_pk_fma_f32 v[22:23], v[54:55], v[58:59], v[20:21] neg_lo:[0,0,1] neg_hi:[0,0,1]
	v_pk_fma_f32 v[20:21], v[54:55], v[58:59], v[20:21] op_sel_hi:[1,0,1]
	v_pk_add_f32 v[18:19], v[18:19], v[76:77]
	v_mov_b32_e32 v23, v21
	v_pk_add_f32 v[18:19], v[18:19], v[22:23]
	s_waitcnt vmcnt(3) lgkmcnt(3)
	v_pk_mul_f32 v[20:21], v[2:3], v[60:61] op_sel:[1,1] op_sel_hi:[0,1]
	v_pk_fma_f32 v[22:23], v[2:3], v[60:61], v[20:21] neg_lo:[0,0,1] neg_hi:[0,0,1]
	v_pk_fma_f32 v[2:3], v[2:3], v[60:61], v[20:21] op_sel_hi:[1,0,1]
	s_nop 0
	v_mov_b32_e32 v23, v3
	v_pk_add_f32 v[2:3], v[18:19], v[22:23]
	v_mov_b32_e32 v18, v63
	v_pk_mul_f32 v[18:19], v[4:5], v[18:19] op_sel:[1,0] op_sel_hi:[0,0]
	v_pk_fma_f32 v[20:21], v[4:5], v[62:63], v[18:19] neg_lo:[0,0,1] neg_hi:[0,0,1]
	v_pk_fma_f32 v[4:5], v[4:5], v[62:63], v[18:19] op_sel_hi:[1,0,1]
	s_nop 0
	v_mov_b32_e32 v21, v5
	s_waitcnt vmcnt(2) lgkmcnt(2)
	v_pk_mul_f32 v[4:5], v[6:7], v[64:65] op_sel:[1,1] op_sel_hi:[0,1]
	v_pk_fma_f32 v[18:19], v[6:7], v[64:65], v[4:5] neg_lo:[0,0,1] neg_hi:[0,0,1]
	v_pk_fma_f32 v[4:5], v[6:7], v[64:65], v[4:5] op_sel_hi:[1,0,1]
	v_pk_add_f32 v[2:3], v[2:3], v[20:21]
	v_mov_b32_e32 v4, v67
	v_mov_b32_e32 v19, v5
	v_pk_mul_f32 v[4:5], v[8:9], v[4:5] op_sel:[1,0] op_sel_hi:[0,0]
	v_pk_fma_f32 v[6:7], v[8:9], v[66:67], v[4:5] neg_lo:[0,0,1] neg_hi:[0,0,1]
	v_pk_fma_f32 v[4:5], v[8:9], v[66:67], v[4:5] op_sel_hi:[1,0,1]
	v_pk_add_f32 v[2:3], v[2:3], v[18:19]
	v_mov_b32_e32 v7, v5
	s_waitcnt vmcnt(1) lgkmcnt(1)
	v_pk_mul_f32 v[4:5], v[12:13], v[68:69] op_sel:[1,1] op_sel_hi:[0,1]
	v_pk_add_f32 v[2:3], v[2:3], v[6:7]
	v_pk_fma_f32 v[6:7], v[12:13], v[68:69], v[4:5] neg_lo:[0,0,1] neg_hi:[0,0,1]
	v_pk_fma_f32 v[4:5], v[12:13], v[68:69], v[4:5] op_sel_hi:[1,0,1]
	s_nop 0
	v_mov_b32_e32 v4, v71
	v_mov_b32_e32 v7, v5
	v_pk_mul_f32 v[4:5], v[14:15], v[4:5] op_sel:[1,0] op_sel_hi:[0,0]
	v_pk_add_f32 v[2:3], v[2:3], v[6:7]
	v_pk_fma_f32 v[6:7], v[14:15], v[70:71], v[4:5] neg_lo:[0,0,1] neg_hi:[0,0,1]
	v_pk_fma_f32 v[4:5], v[14:15], v[70:71], v[4:5] op_sel_hi:[1,0,1]
	s_nop 0
	v_mov_b32_e32 v7, v5
	s_waitcnt vmcnt(0) lgkmcnt(0)
	v_pk_mul_f32 v[4:5], v[16:17], v[78:79] op_sel:[1,1] op_sel_hi:[0,1]
	v_pk_add_f32 v[2:3], v[2:3], v[6:7]
	v_pk_fma_f32 v[6:7], v[16:17], v[78:79], v[4:5] neg_lo:[0,0,1] neg_hi:[0,0,1]
	v_pk_fma_f32 v[4:5], v[16:17], v[78:79], v[4:5] op_sel_hi:[1,0,1]
	s_nop 0
	v_mov_b32_e32 v7, v5
	scratch_load_dwordx2 v[4:5], off, off offset:184
	v_pk_add_f32 v[2:3], v[2:3], v[6:7]
	s_waitcnt vmcnt(0)
	v_pk_add_f32 v[2:3], v[4:5], v[2:3] neg_lo:[0,1] neg_hi:[0,1]
	scratch_store_dwordx2 off, v[2:3], off offset:184
	s_and_saveexec_b64 s[0:1], vcc
	s_cbranch_execz .LBB44_239
; %bb.238:
	scratch_load_dwordx2 v[2:3], off, off offset:176
	v_mov_b32_e32 v11, v10
	scratch_store_dwordx2 off, v[10:11], off offset:176
	s_waitcnt vmcnt(1)
	ds_write_b64 v1, v[2:3]
.LBB44_239:
	s_or_b64 exec, exec, s[0:1]
	s_waitcnt lgkmcnt(0)
	; wave barrier
	scratch_load_dwordx4 v[6:9], off, off offset:184
	scratch_load_dwordx4 v[12:15], off, off offset:200
	;; [unrolled: 1-line block ×7, first 2 shown]
	ds_read2_b64 v[36:39], v10 offset0:69 offset1:70
	ds_read2_b64 v[40:43], v10 offset0:71 offset1:72
	;; [unrolled: 1-line block ×6, first 2 shown]
	scratch_load_dwordx4 v[60:63], off, off offset:296
	scratch_load_dwordx4 v[64:67], off, off offset:312
	;; [unrolled: 1-line block ×4, first 2 shown]
	ds_read2_b64 v[72:75], v10 offset0:81 offset1:82
	ds_read2_b64 v[76:79], v10 offset0:83 offset1:84
	scratch_load_dwordx2 v[80:81], off, off offset:176
	v_cmp_lt_u32_e32 vcc, 21, v0
	s_waitcnt vmcnt(11) lgkmcnt(7)
	v_mul_f32_e32 v11, v36, v7
	v_mul_f32_e32 v82, v38, v9
	;; [unrolled: 1-line block ×3, first 2 shown]
	v_fmac_f32_e32 v11, v37, v6
	s_waitcnt vmcnt(10) lgkmcnt(6)
	v_mul_f32_e32 v84, v40, v13
	v_mul_f32_e32 v9, v39, v9
	v_fmac_f32_e32 v82, v39, v8
	v_fma_f32 v6, v36, v6, -v7
	v_add_f32_e32 v11, 0, v11
	v_mul_f32_e32 v86, v42, v15
	v_fmac_f32_e32 v84, v41, v12
	v_fma_f32 v7, v38, v8, -v9
	v_add_f32_e32 v6, 0, v6
	v_add_f32_e32 v11, v11, v82
	s_waitcnt vmcnt(9) lgkmcnt(5)
	v_mul_f32_e32 v87, v44, v17
	v_mul_f32_e32 v13, v41, v13
	v_fmac_f32_e32 v86, v43, v14
	v_add_f32_e32 v6, v6, v7
	v_add_f32_e32 v7, v11, v84
	v_mul_f32_e32 v88, v46, v19
	v_mul_f32_e32 v15, v43, v15
	v_fmac_f32_e32 v87, v45, v16
	v_fma_f32 v8, v40, v12, -v13
	v_add_f32_e32 v7, v7, v86
	s_waitcnt vmcnt(8) lgkmcnt(4)
	v_mul_f32_e32 v89, v48, v21
	v_mul_f32_e32 v17, v45, v17
	v_fmac_f32_e32 v88, v47, v18
	v_fma_f32 v9, v42, v14, -v15
	v_add_f32_e32 v6, v6, v8
	v_add_f32_e32 v7, v7, v87
	v_mul_f32_e32 v90, v50, v23
	v_mul_f32_e32 v19, v47, v19
	v_fmac_f32_e32 v89, v49, v20
	v_fma_f32 v12, v44, v16, -v17
	v_add_f32_e32 v6, v6, v9
	v_add_f32_e32 v7, v7, v88
	s_waitcnt vmcnt(7) lgkmcnt(3)
	v_mul_f32_e32 v91, v52, v25
	v_mul_f32_e32 v21, v49, v21
	v_fmac_f32_e32 v90, v51, v22
	v_fma_f32 v13, v46, v18, -v19
	v_add_f32_e32 v6, v6, v12
	v_add_f32_e32 v7, v7, v89
	v_mul_f32_e32 v92, v54, v27
	v_mul_f32_e32 v23, v51, v23
	v_fmac_f32_e32 v91, v53, v24
	v_fma_f32 v14, v48, v20, -v21
	v_add_f32_e32 v6, v6, v13
	;; [unrolled: 13-line block ×3, first 2 shown]
	v_add_f32_e32 v7, v7, v92
	v_mul_f32_e32 v29, v57, v29
	v_fmac_f32_e32 v94, v59, v30
	v_fma_f32 v17, v54, v26, -v27
	v_add_f32_e32 v6, v6, v16
	v_add_f32_e32 v7, v7, v93
	v_fma_f32 v18, v56, v28, -v29
	v_add_f32_e32 v6, v6, v17
	v_add_f32_e32 v21, v7, v94
	v_mul_f32_e32 v7, v59, v31
	v_add_f32_e32 v6, v6, v18
	v_fma_f32 v7, v58, v30, -v7
	s_waitcnt vmcnt(5) lgkmcnt(1)
	v_mul_f32_e32 v83, v72, v33
	v_add_f32_e32 v20, v6, v7
	v_mul_f32_e32 v6, v73, v33
	v_fmac_f32_e32 v83, v73, v32
	v_fma_f32 v82, v72, v32, -v6
	v_mul_f32_e32 v6, v75, v35
	v_fma_f32 v84, v74, v34, -v6
	ds_read2_b64 v[6:9], v10 offset0:85 offset1:86
	ds_read2_b64 v[12:15], v10 offset0:87 offset1:88
	ds_read2_b64 v[16:19], v10 offset0:89 offset1:90
	v_pk_add_f32 v[10:11], v[20:21], v[82:83]
	s_waitcnt vmcnt(4) lgkmcnt(3)
	v_pk_mul_f32 v[20:21], v[76:77], v[60:61] op_sel:[1,1] op_sel_hi:[0,1]
	v_mul_f32_e32 v85, v74, v35
	v_pk_fma_f32 v[22:23], v[76:77], v[60:61], v[20:21] neg_lo:[0,0,1] neg_hi:[0,0,1]
	v_pk_fma_f32 v[20:21], v[76:77], v[60:61], v[20:21] op_sel_hi:[1,0,1]
	v_fmac_f32_e32 v85, v75, v34
	v_mov_b32_e32 v20, v63
	v_pk_add_f32 v[10:11], v[10:11], v[84:85]
	v_mov_b32_e32 v23, v21
	v_pk_mul_f32 v[20:21], v[78:79], v[20:21] op_sel:[1,0] op_sel_hi:[0,0]
	v_pk_add_f32 v[10:11], v[10:11], v[22:23]
	v_pk_fma_f32 v[22:23], v[78:79], v[62:63], v[20:21] neg_lo:[0,0,1] neg_hi:[0,0,1]
	v_pk_fma_f32 v[20:21], v[78:79], v[62:63], v[20:21] op_sel_hi:[1,0,1]
	s_nop 0
	v_mov_b32_e32 v23, v21
	s_waitcnt vmcnt(3) lgkmcnt(2)
	v_pk_mul_f32 v[20:21], v[6:7], v[64:65] op_sel:[1,1] op_sel_hi:[0,1]
	v_pk_add_f32 v[10:11], v[10:11], v[22:23]
	v_pk_fma_f32 v[22:23], v[6:7], v[64:65], v[20:21] neg_lo:[0,0,1] neg_hi:[0,0,1]
	v_pk_fma_f32 v[6:7], v[6:7], v[64:65], v[20:21] op_sel_hi:[1,0,1]
	s_nop 0
	v_mov_b32_e32 v23, v7
	v_pk_add_f32 v[6:7], v[10:11], v[22:23]
	v_mov_b32_e32 v10, v67
	v_pk_mul_f32 v[10:11], v[8:9], v[10:11] op_sel:[1,0] op_sel_hi:[0,0]
	v_pk_fma_f32 v[20:21], v[8:9], v[66:67], v[10:11] neg_lo:[0,0,1] neg_hi:[0,0,1]
	v_pk_fma_f32 v[8:9], v[8:9], v[66:67], v[10:11] op_sel_hi:[1,0,1]
	s_nop 0
	v_mov_b32_e32 v21, v9
	s_waitcnt vmcnt(2) lgkmcnt(1)
	v_pk_mul_f32 v[8:9], v[12:13], v[68:69] op_sel:[1,1] op_sel_hi:[0,1]
	v_pk_fma_f32 v[10:11], v[12:13], v[68:69], v[8:9] neg_lo:[0,0,1] neg_hi:[0,0,1]
	v_pk_fma_f32 v[8:9], v[12:13], v[68:69], v[8:9] op_sel_hi:[1,0,1]
	v_pk_add_f32 v[6:7], v[6:7], v[20:21]
	v_mov_b32_e32 v8, v71
	v_mov_b32_e32 v11, v9
	v_pk_mul_f32 v[8:9], v[14:15], v[8:9] op_sel:[1,0] op_sel_hi:[0,0]
	v_pk_add_f32 v[6:7], v[6:7], v[10:11]
	v_pk_fma_f32 v[10:11], v[14:15], v[70:71], v[8:9] neg_lo:[0,0,1] neg_hi:[0,0,1]
	v_pk_fma_f32 v[8:9], v[14:15], v[70:71], v[8:9] op_sel_hi:[1,0,1]
	s_nop 0
	v_mov_b32_e32 v11, v9
	s_waitcnt vmcnt(1) lgkmcnt(0)
	v_pk_mul_f32 v[8:9], v[16:17], v[2:3] op_sel:[1,1] op_sel_hi:[0,1]
	v_pk_add_f32 v[6:7], v[6:7], v[10:11]
	v_pk_fma_f32 v[10:11], v[16:17], v[2:3], v[8:9] neg_lo:[0,0,1] neg_hi:[0,0,1]
	v_pk_fma_f32 v[2:3], v[16:17], v[2:3], v[8:9] op_sel_hi:[1,0,1]
	s_nop 0
	v_mov_b32_e32 v11, v3
	v_pk_add_f32 v[2:3], v[6:7], v[10:11]
	v_mov_b32_e32 v6, v5
	v_pk_mul_f32 v[6:7], v[18:19], v[6:7] op_sel:[1,0] op_sel_hi:[0,0]
	v_pk_fma_f32 v[8:9], v[18:19], v[4:5], v[6:7] neg_lo:[0,0,1] neg_hi:[0,0,1]
	v_pk_fma_f32 v[4:5], v[18:19], v[4:5], v[6:7] op_sel_hi:[1,0,1]
	s_nop 0
	v_mov_b32_e32 v9, v5
	v_pk_add_f32 v[2:3], v[2:3], v[8:9]
	s_waitcnt vmcnt(0)
	v_pk_add_f32 v[2:3], v[80:81], v[2:3] neg_lo:[0,1] neg_hi:[0,1]
	scratch_store_dwordx2 off, v[2:3], off offset:176
	s_and_saveexec_b64 s[0:1], vcc
	s_cbranch_execz .LBB44_241
; %bb.240:
	scratch_load_dwordx2 v[2:3], off, off offset:168
	v_mov_b32_e32 v4, 0
	v_mov_b32_e32 v5, v4
	scratch_store_dwordx2 off, v[4:5], off offset:168
	s_waitcnt vmcnt(1)
	ds_write_b64 v1, v[2:3]
.LBB44_241:
	s_or_b64 exec, exec, s[0:1]
	s_waitcnt lgkmcnt(0)
	; wave barrier
	scratch_load_dwordx4 v[6:9], off, off offset:176
	scratch_load_dwordx4 v[14:17], off, off offset:192
	;; [unrolled: 1-line block ×11, first 2 shown]
	scratch_load_dwordx2 v[22:23], off, off offset:352
	scratch_load_dwordx2 v[36:37], off, off offset:168
	v_mov_b32_e32 v38, 0
	ds_read_b128 v[52:55], v38 offset:544
	ds_read_b128 v[56:59], v38 offset:560
	;; [unrolled: 1-line block ×8, first 2 shown]
	v_cmp_lt_u32_e32 vcc, 20, v0
	s_waitcnt vmcnt(12) lgkmcnt(7)
	v_mul_f32_e32 v39, v52, v7
	v_mul_f32_e32 v84, v54, v9
	;; [unrolled: 1-line block ×3, first 2 shown]
	v_fmac_f32_e32 v39, v53, v6
	s_waitcnt vmcnt(8) lgkmcnt(3)
	v_mul_f32_e32 v93, v68, v19
	v_mul_f32_e32 v19, v69, v19
	;; [unrolled: 1-line block ×4, first 2 shown]
	v_fmac_f32_e32 v84, v55, v8
	v_fmac_f32_e32 v93, v69, v18
	v_fma_f32 v6, v52, v6, -v7
	v_fma_f32 v18, v68, v18, -v19
	v_add_f32_e32 v19, 0, v39
	v_mul_f32_e32 v88, v58, v17
	v_fmac_f32_e32 v86, v57, v14
	v_fma_f32 v7, v54, v8, -v9
	v_add_f32_e32 v6, 0, v6
	v_add_f32_e32 v19, v19, v84
	v_mul_f32_e32 v89, v60, v25
	v_fmac_f32_e32 v88, v59, v16
	v_add_f32_e32 v6, v6, v7
	v_add_f32_e32 v7, v19, v86
	v_mul_f32_e32 v90, v62, v27
	v_fmac_f32_e32 v89, v61, v24
	v_add_f32_e32 v7, v7, v88
	v_mul_f32_e32 v91, v64, v29
	v_mul_f32_e32 v15, v57, v15
	v_fmac_f32_e32 v90, v63, v26
	v_add_f32_e32 v7, v7, v89
	v_mul_f32_e32 v92, v66, v31
	v_mul_f32_e32 v17, v59, v17
	v_fmac_f32_e32 v91, v65, v28
	v_fma_f32 v8, v56, v14, -v15
	v_add_f32_e32 v7, v7, v90
	v_mul_f32_e32 v25, v61, v25
	v_fmac_f32_e32 v92, v67, v30
	v_fma_f32 v9, v58, v16, -v17
	v_add_f32_e32 v6, v6, v8
	v_add_f32_e32 v7, v7, v91
	v_mul_f32_e32 v94, v70, v21
	v_mul_f32_e32 v27, v63, v27
	v_fma_f32 v14, v60, v24, -v25
	v_add_f32_e32 v6, v6, v9
	v_add_f32_e32 v7, v7, v92
	s_waitcnt vmcnt(7) lgkmcnt(2)
	v_mul_f32_e32 v95, v72, v33
	v_mul_f32_e32 v29, v65, v29
	v_fmac_f32_e32 v94, v71, v20
	v_fma_f32 v15, v62, v26, -v27
	v_add_f32_e32 v6, v6, v14
	v_add_f32_e32 v7, v7, v93
	v_mul_f32_e32 v96, v74, v35
	v_mul_f32_e32 v31, v67, v31
	v_fmac_f32_e32 v95, v73, v32
	v_fma_f32 v16, v64, v28, -v29
	v_add_f32_e32 v6, v6, v15
	v_add_f32_e32 v7, v7, v94
	s_waitcnt vmcnt(6) lgkmcnt(1)
	v_mul_f32_e32 v97, v76, v41
	v_fmac_f32_e32 v96, v75, v34
	v_fma_f32 v17, v66, v30, -v31
	v_add_f32_e32 v6, v6, v16
	v_add_f32_e32 v7, v7, v95
	v_mul_f32_e32 v21, v71, v21
	v_fmac_f32_e32 v97, v77, v40
	v_add_f32_e32 v6, v6, v17
	v_add_f32_e32 v7, v7, v96
	;; [unrolled: 1-line block ×4, first 2 shown]
	v_fma_f32 v7, v70, v20, -v21
	v_add_f32_e32 v6, v6, v7
	v_mul_f32_e32 v7, v73, v33
	v_fma_f32 v7, v72, v32, -v7
	v_add_f32_e32 v6, v6, v7
	v_mul_f32_e32 v7, v75, v35
	;; [unrolled: 3-line block ×4, first 2 shown]
	v_mul_f32_e32 v85, v78, v43
	v_fma_f32 v84, v78, v42, -v6
	s_waitcnt vmcnt(5) lgkmcnt(0)
	v_mul_f32_e32 v6, v81, v45
	v_mov_b32_e32 v28, v47
	v_mul_f32_e32 v87, v80, v45
	v_fmac_f32_e32 v85, v79, v42
	v_fma_f32 v86, v80, v44, -v6
	ds_read_b128 v[6:9], v38 offset:672
	ds_read_b128 v[14:17], v38 offset:688
	ds_read_b128 v[18:21], v38 offset:704
	ds_read_b64 v[26:27], v38 offset:720
	v_pk_mul_f32 v[28:29], v[82:83], v[28:29] op_sel:[1,0] op_sel_hi:[0,0]
	v_fmac_f32_e32 v87, v81, v44
	v_pk_add_f32 v[24:25], v[24:25], v[84:85]
	v_pk_fma_f32 v[30:31], v[82:83], v[46:47], v[28:29] neg_lo:[0,0,1] neg_hi:[0,0,1]
	v_pk_fma_f32 v[28:29], v[82:83], v[46:47], v[28:29] op_sel_hi:[1,0,1]
	v_pk_add_f32 v[24:25], v[24:25], v[86:87]
	v_mov_b32_e32 v31, v29
	s_waitcnt vmcnt(4) lgkmcnt(3)
	v_pk_mul_f32 v[28:29], v[6:7], v[48:49] op_sel:[1,1] op_sel_hi:[0,1]
	v_pk_add_f32 v[24:25], v[24:25], v[30:31]
	v_pk_fma_f32 v[30:31], v[6:7], v[48:49], v[28:29] neg_lo:[0,0,1] neg_hi:[0,0,1]
	v_pk_fma_f32 v[6:7], v[6:7], v[48:49], v[28:29] op_sel_hi:[1,0,1]
	s_nop 0
	v_mov_b32_e32 v31, v7
	v_pk_add_f32 v[6:7], v[24:25], v[30:31]
	v_mov_b32_e32 v24, v51
	v_pk_mul_f32 v[24:25], v[8:9], v[24:25] op_sel:[1,0] op_sel_hi:[0,0]
	v_pk_fma_f32 v[28:29], v[8:9], v[50:51], v[24:25] neg_lo:[0,0,1] neg_hi:[0,0,1]
	v_pk_fma_f32 v[8:9], v[8:9], v[50:51], v[24:25] op_sel_hi:[1,0,1]
	s_nop 0
	v_mov_b32_e32 v29, v9
	s_waitcnt vmcnt(3) lgkmcnt(2)
	v_pk_mul_f32 v[8:9], v[14:15], v[10:11] op_sel:[1,1] op_sel_hi:[0,1]
	v_pk_fma_f32 v[24:25], v[14:15], v[10:11], v[8:9] neg_lo:[0,0,1] neg_hi:[0,0,1]
	v_pk_fma_f32 v[8:9], v[14:15], v[10:11], v[8:9] op_sel_hi:[1,0,1]
	v_pk_add_f32 v[6:7], v[6:7], v[28:29]
	v_mov_b32_e32 v8, v13
	v_mov_b32_e32 v25, v9
	v_pk_mul_f32 v[8:9], v[16:17], v[8:9] op_sel:[1,0] op_sel_hi:[0,0]
	v_pk_fma_f32 v[10:11], v[16:17], v[12:13], v[8:9] neg_lo:[0,0,1] neg_hi:[0,0,1]
	v_pk_fma_f32 v[8:9], v[16:17], v[12:13], v[8:9] op_sel_hi:[1,0,1]
	v_pk_add_f32 v[6:7], v[6:7], v[24:25]
	v_mov_b32_e32 v11, v9
	s_waitcnt vmcnt(2) lgkmcnt(1)
	v_pk_mul_f32 v[8:9], v[18:19], v[2:3] op_sel:[1,1] op_sel_hi:[0,1]
	v_pk_add_f32 v[6:7], v[6:7], v[10:11]
	v_pk_fma_f32 v[10:11], v[18:19], v[2:3], v[8:9] neg_lo:[0,0,1] neg_hi:[0,0,1]
	v_pk_fma_f32 v[2:3], v[18:19], v[2:3], v[8:9] op_sel_hi:[1,0,1]
	s_nop 0
	v_mov_b32_e32 v11, v3
	v_pk_add_f32 v[2:3], v[6:7], v[10:11]
	v_mov_b32_e32 v6, v5
	v_pk_mul_f32 v[6:7], v[20:21], v[6:7] op_sel:[1,0] op_sel_hi:[0,0]
	v_pk_fma_f32 v[8:9], v[20:21], v[4:5], v[6:7] neg_lo:[0,0,1] neg_hi:[0,0,1]
	v_pk_fma_f32 v[4:5], v[20:21], v[4:5], v[6:7] op_sel_hi:[1,0,1]
	s_nop 0
	v_mov_b32_e32 v9, v5
	s_waitcnt vmcnt(1) lgkmcnt(0)
	v_pk_mul_f32 v[4:5], v[26:27], v[22:23] op_sel:[1,1] op_sel_hi:[0,1]
	v_pk_fma_f32 v[6:7], v[26:27], v[22:23], v[4:5] neg_lo:[0,0,1] neg_hi:[0,0,1]
	v_pk_fma_f32 v[4:5], v[26:27], v[22:23], v[4:5] op_sel_hi:[1,0,1]
	v_pk_add_f32 v[2:3], v[2:3], v[8:9]
	v_mov_b32_e32 v7, v5
	v_pk_add_f32 v[2:3], v[2:3], v[6:7]
	s_waitcnt vmcnt(0)
	v_pk_add_f32 v[2:3], v[36:37], v[2:3] neg_lo:[0,1] neg_hi:[0,1]
	scratch_store_dwordx2 off, v[2:3], off offset:168
	s_and_saveexec_b64 s[0:1], vcc
	s_cbranch_execz .LBB44_243
; %bb.242:
	scratch_load_dwordx2 v[2:3], off, off offset:160
	v_mov_b32_e32 v39, v38
	scratch_store_dwordx2 off, v[38:39], off offset:160
	s_waitcnt vmcnt(1)
	ds_write_b64 v1, v[2:3]
.LBB44_243:
	s_or_b64 exec, exec, s[0:1]
	s_waitcnt lgkmcnt(0)
	; wave barrier
	scratch_load_dwordx4 v[2:5], off, off offset:168
	scratch_load_dwordx4 v[14:17], off, off offset:184
	scratch_load_dwordx4 v[30:33], off, off offset:200
	scratch_load_dwordx4 v[40:43], off, off offset:216
	scratch_load_dwordx4 v[18:21], off, off offset:232
	scratch_load_dwordx4 v[22:25], off, off offset:248
	scratch_load_dwordx4 v[34:37], off, off offset:264
	scratch_load_dwordx4 v[44:47], off, off offset:280
	ds_read2_b64 v[48:51], v38 offset0:67 offset1:68
	ds_read2_b64 v[52:55], v38 offset0:69 offset1:70
	;; [unrolled: 1-line block ×8, first 2 shown]
	scratch_load_dwordx4 v[80:83], off, off offset:296
	scratch_load_dwordx4 v[26:29], off, off offset:312
	;; [unrolled: 1-line block ×4, first 2 shown]
	scratch_load_dwordx2 v[84:85], off, off offset:160
	v_cmp_lt_u32_e32 vcc, 19, v0
	s_waitcnt vmcnt(12) lgkmcnt(7)
	v_mul_f32_e32 v39, v48, v3
	v_mul_f32_e32 v86, v50, v5
	;; [unrolled: 1-line block ×3, first 2 shown]
	v_fmac_f32_e32 v39, v49, v2
	s_waitcnt vmcnt(8) lgkmcnt(3)
	v_mul_f32_e32 v95, v64, v19
	v_mul_f32_e32 v19, v65, v19
	;; [unrolled: 1-line block ×4, first 2 shown]
	v_fmac_f32_e32 v86, v51, v4
	v_fmac_f32_e32 v95, v65, v18
	v_fma_f32 v2, v48, v2, -v3
	v_fma_f32 v18, v64, v18, -v19
	v_add_f32_e32 v19, 0, v39
	v_mul_f32_e32 v90, v54, v17
	v_fmac_f32_e32 v88, v53, v14
	v_fma_f32 v3, v50, v4, -v5
	v_add_f32_e32 v2, 0, v2
	v_add_f32_e32 v19, v19, v86
	v_mul_f32_e32 v91, v56, v31
	v_fmac_f32_e32 v90, v55, v16
	v_add_f32_e32 v2, v2, v3
	v_add_f32_e32 v3, v19, v88
	v_mul_f32_e32 v92, v58, v33
	v_fmac_f32_e32 v91, v57, v30
	v_add_f32_e32 v3, v3, v90
	v_mul_f32_e32 v93, v60, v41
	v_fmac_f32_e32 v92, v59, v32
	;; [unrolled: 3-line block ×4, first 2 shown]
	v_add_f32_e32 v3, v3, v93
	v_mul_f32_e32 v96, v66, v21
	v_mul_f32_e32 v17, v55, v17
	v_fma_f32 v4, v52, v14, -v15
	v_add_f32_e32 v3, v3, v94
	s_waitcnt vmcnt(7) lgkmcnt(2)
	v_mul_f32_e32 v97, v68, v23
	v_mul_f32_e32 v31, v57, v31
	v_fmac_f32_e32 v96, v67, v20
	v_fma_f32 v5, v54, v16, -v17
	v_add_f32_e32 v2, v2, v4
	v_add_f32_e32 v3, v3, v95
	v_mul_f32_e32 v98, v70, v25
	v_mul_f32_e32 v33, v59, v33
	v_fmac_f32_e32 v97, v69, v22
	v_fma_f32 v14, v56, v30, -v31
	v_add_f32_e32 v2, v2, v5
	v_add_f32_e32 v3, v3, v96
	s_waitcnt vmcnt(6) lgkmcnt(1)
	v_mul_f32_e32 v99, v72, v35
	v_mul_f32_e32 v41, v61, v41
	v_fmac_f32_e32 v98, v71, v24
	v_fma_f32 v15, v58, v32, -v33
	v_add_f32_e32 v2, v2, v14
	v_add_f32_e32 v3, v3, v97
	v_mul_f32_e32 v100, v74, v37
	v_mul_f32_e32 v43, v63, v43
	v_fmac_f32_e32 v99, v73, v34
	v_fma_f32 v16, v60, v40, -v41
	v_add_f32_e32 v2, v2, v15
	v_add_f32_e32 v3, v3, v98
	v_fmac_f32_e32 v100, v75, v36
	v_fma_f32 v17, v62, v42, -v43
	v_add_f32_e32 v2, v2, v16
	v_add_f32_e32 v3, v3, v99
	;; [unrolled: 1-line block ×4, first 2 shown]
	v_mul_f32_e32 v3, v67, v21
	v_add_f32_e32 v2, v2, v18
	v_fma_f32 v3, v66, v20, -v3
	v_add_f32_e32 v2, v2, v3
	v_mul_f32_e32 v3, v69, v23
	v_fma_f32 v3, v68, v22, -v3
	v_add_f32_e32 v2, v2, v3
	v_mul_f32_e32 v3, v71, v25
	;; [unrolled: 3-line block ×4, first 2 shown]
	v_fma_f32 v3, v74, v36, -v3
	v_add_f32_e32 v30, v2, v3
	s_waitcnt vmcnt(5) lgkmcnt(0)
	v_mul_f32_e32 v2, v77, v45
	v_fma_f32 v86, v76, v44, -v2
	v_mul_f32_e32 v2, v79, v47
	v_fma_f32 v88, v78, v46, -v2
	ds_read2_b64 v[2:5], v38 offset0:83 offset1:84
	ds_read2_b64 v[14:17], v38 offset0:85 offset1:86
	;; [unrolled: 1-line block ×4, first 2 shown]
	v_mul_f32_e32 v87, v76, v45
	v_mul_f32_e32 v89, v78, v47
	v_fmac_f32_e32 v87, v77, v44
	s_waitcnt vmcnt(4) lgkmcnt(3)
	v_pk_mul_f32 v[32:33], v[2:3], v[80:81] op_sel:[1,1] op_sel_hi:[0,1]
	v_fmac_f32_e32 v89, v79, v46
	v_pk_add_f32 v[30:31], v[30:31], v[86:87]
	v_pk_fma_f32 v[34:35], v[2:3], v[80:81], v[32:33] neg_lo:[0,0,1] neg_hi:[0,0,1]
	v_pk_fma_f32 v[2:3], v[2:3], v[80:81], v[32:33] op_sel_hi:[1,0,1]
	v_pk_add_f32 v[30:31], v[30:31], v[88:89]
	v_mov_b32_e32 v35, v3
	v_pk_add_f32 v[2:3], v[30:31], v[34:35]
	v_mov_b32_e32 v30, v83
	v_pk_mul_f32 v[30:31], v[4:5], v[30:31] op_sel:[1,0] op_sel_hi:[0,0]
	v_pk_fma_f32 v[32:33], v[4:5], v[82:83], v[30:31] neg_lo:[0,0,1] neg_hi:[0,0,1]
	v_pk_fma_f32 v[4:5], v[4:5], v[82:83], v[30:31] op_sel_hi:[1,0,1]
	s_nop 0
	v_mov_b32_e32 v33, v5
	s_waitcnt vmcnt(3) lgkmcnt(2)
	v_pk_mul_f32 v[4:5], v[14:15], v[26:27] op_sel:[1,1] op_sel_hi:[0,1]
	v_pk_fma_f32 v[30:31], v[14:15], v[26:27], v[4:5] neg_lo:[0,0,1] neg_hi:[0,0,1]
	v_pk_fma_f32 v[4:5], v[14:15], v[26:27], v[4:5] op_sel_hi:[1,0,1]
	v_pk_add_f32 v[2:3], v[2:3], v[32:33]
	v_mov_b32_e32 v4, v29
	v_mov_b32_e32 v31, v5
	v_pk_mul_f32 v[4:5], v[16:17], v[4:5] op_sel:[1,0] op_sel_hi:[0,0]
	v_pk_fma_f32 v[14:15], v[16:17], v[28:29], v[4:5] neg_lo:[0,0,1] neg_hi:[0,0,1]
	v_pk_fma_f32 v[4:5], v[16:17], v[28:29], v[4:5] op_sel_hi:[1,0,1]
	v_pk_add_f32 v[2:3], v[2:3], v[30:31]
	v_mov_b32_e32 v15, v5
	s_waitcnt vmcnt(2) lgkmcnt(1)
	v_pk_mul_f32 v[4:5], v[18:19], v[10:11] op_sel:[1,1] op_sel_hi:[0,1]
	v_pk_add_f32 v[2:3], v[2:3], v[14:15]
	v_pk_fma_f32 v[14:15], v[18:19], v[10:11], v[4:5] neg_lo:[0,0,1] neg_hi:[0,0,1]
	v_pk_fma_f32 v[4:5], v[18:19], v[10:11], v[4:5] op_sel_hi:[1,0,1]
	s_nop 0
	v_mov_b32_e32 v4, v13
	v_mov_b32_e32 v15, v5
	v_pk_mul_f32 v[4:5], v[20:21], v[4:5] op_sel:[1,0] op_sel_hi:[0,0]
	v_pk_fma_f32 v[10:11], v[20:21], v[12:13], v[4:5] neg_lo:[0,0,1] neg_hi:[0,0,1]
	v_pk_fma_f32 v[4:5], v[20:21], v[12:13], v[4:5] op_sel_hi:[1,0,1]
	v_pk_add_f32 v[2:3], v[2:3], v[14:15]
	v_mov_b32_e32 v11, v5
	s_waitcnt vmcnt(1) lgkmcnt(0)
	v_pk_mul_f32 v[4:5], v[22:23], v[6:7] op_sel:[1,1] op_sel_hi:[0,1]
	v_pk_add_f32 v[2:3], v[2:3], v[10:11]
	v_pk_fma_f32 v[10:11], v[22:23], v[6:7], v[4:5] neg_lo:[0,0,1] neg_hi:[0,0,1]
	v_pk_fma_f32 v[4:5], v[22:23], v[6:7], v[4:5] op_sel_hi:[1,0,1]
	s_nop 0
	v_mov_b32_e32 v4, v9
	v_mov_b32_e32 v11, v5
	v_pk_mul_f32 v[4:5], v[24:25], v[4:5] op_sel:[1,0] op_sel_hi:[0,0]
	v_pk_fma_f32 v[6:7], v[24:25], v[8:9], v[4:5] neg_lo:[0,0,1] neg_hi:[0,0,1]
	v_pk_fma_f32 v[4:5], v[24:25], v[8:9], v[4:5] op_sel_hi:[1,0,1]
	v_pk_add_f32 v[2:3], v[2:3], v[10:11]
	v_mov_b32_e32 v7, v5
	v_pk_add_f32 v[2:3], v[2:3], v[6:7]
	s_waitcnt vmcnt(0)
	v_pk_add_f32 v[2:3], v[84:85], v[2:3] neg_lo:[0,1] neg_hi:[0,1]
	scratch_store_dwordx2 off, v[2:3], off offset:160
	s_and_saveexec_b64 s[0:1], vcc
	s_cbranch_execz .LBB44_245
; %bb.244:
	scratch_load_dwordx2 v[2:3], off, off offset:152
	v_mov_b32_e32 v4, 0
	v_mov_b32_e32 v5, v4
	scratch_store_dwordx2 off, v[4:5], off offset:152
	s_waitcnt vmcnt(1)
	ds_write_b64 v1, v[2:3]
.LBB44_245:
	s_or_b64 exec, exec, s[0:1]
	s_waitcnt lgkmcnt(0)
	; wave barrier
	scratch_load_dwordx4 v[10:13], off, off offset:160
	scratch_load_dwordx4 v[26:29], off, off offset:176
	;; [unrolled: 1-line block ×12, first 2 shown]
	scratch_load_dwordx2 v[50:51], off, off offset:352
	scratch_load_dwordx2 v[56:57], off, off offset:152
	v_mov_b32_e32 v58, 0
	ds_read_b128 v[52:55], v58 offset:528
	ds_read_b128 v[60:63], v58 offset:544
	;; [unrolled: 1-line block ×10, first 2 shown]
	v_cmp_lt_u32_e32 vcc, 18, v0
	s_waitcnt vmcnt(13) lgkmcnt(9)
	v_mul_f32_e32 v59, v52, v11
	v_mul_f32_e32 v96, v54, v13
	v_fmac_f32_e32 v59, v53, v10
	s_waitcnt vmcnt(10) lgkmcnt(6)
	v_mul_f32_e32 v103, v68, v7
	v_mul_f32_e32 v7, v69, v7
	;; [unrolled: 1-line block ×3, first 2 shown]
	v_fmac_f32_e32 v96, v55, v12
	v_fmac_f32_e32 v103, v69, v6
	v_fma_f32 v6, v68, v6, -v7
	v_add_f32_e32 v7, 0, v59
	v_mul_f32_e32 v100, v62, v29
	v_fmac_f32_e32 v98, v61, v26
	v_add_f32_e32 v7, v7, v96
	v_mul_f32_e32 v101, v64, v39
	v_fmac_f32_e32 v100, v63, v28
	;; [unrolled: 3-line block ×3, first 2 shown]
	v_add_f32_e32 v7, v7, v100
	v_fmac_f32_e32 v102, v67, v40
	v_add_f32_e32 v7, v7, v101
	v_mul_f32_e32 v104, v70, v9
	v_add_f32_e32 v7, v7, v102
	s_waitcnt vmcnt(9) lgkmcnt(5)
	v_mul_f32_e32 v105, v72, v15
	v_fmac_f32_e32 v104, v71, v8
	v_add_f32_e32 v7, v7, v103
	v_mul_f32_e32 v106, v74, v17
	v_mul_f32_e32 v11, v53, v11
	v_fmac_f32_e32 v105, v73, v14
	v_add_f32_e32 v7, v7, v104
	s_waitcnt vmcnt(8) lgkmcnt(4)
	v_mul_f32_e32 v107, v76, v23
	v_mul_f32_e32 v13, v55, v13
	v_fmac_f32_e32 v106, v75, v16
	v_fma_f32 v10, v52, v10, -v11
	v_add_f32_e32 v7, v7, v105
	v_mul_f32_e32 v108, v78, v25
	v_mul_f32_e32 v27, v61, v27
	v_fmac_f32_e32 v107, v77, v22
	v_fma_f32 v11, v54, v12, -v13
	v_add_f32_e32 v10, 0, v10
	v_add_f32_e32 v7, v7, v106
	s_waitcnt vmcnt(7) lgkmcnt(3)
	v_mul_f32_e32 v109, v80, v31
	v_mul_f32_e32 v29, v63, v29
	v_fmac_f32_e32 v108, v79, v24
	v_fma_f32 v12, v60, v26, -v27
	v_add_f32_e32 v10, v10, v11
	v_add_f32_e32 v7, v7, v107
	v_mul_f32_e32 v110, v82, v33
	v_mul_f32_e32 v39, v65, v39
	v_fmac_f32_e32 v109, v81, v30
	v_fma_f32 v13, v62, v28, -v29
	v_add_f32_e32 v10, v10, v12
	v_add_f32_e32 v7, v7, v108
	s_waitcnt vmcnt(6) lgkmcnt(2)
	v_mul_f32_e32 v111, v84, v43
	v_mul_f32_e32 v41, v67, v41
	v_fmac_f32_e32 v110, v83, v32
	v_fma_f32 v26, v64, v38, -v39
	v_add_f32_e32 v10, v10, v13
	v_add_f32_e32 v7, v7, v109
	v_fmac_f32_e32 v111, v85, v42
	v_fma_f32 v27, v66, v40, -v41
	v_add_f32_e32 v10, v10, v26
	v_add_f32_e32 v7, v7, v110
	;; [unrolled: 1-line block ×4, first 2 shown]
	v_mul_f32_e32 v7, v71, v9
	v_add_f32_e32 v6, v10, v6
	v_fma_f32 v7, v70, v8, -v7
	v_add_f32_e32 v6, v6, v7
	v_mul_f32_e32 v7, v73, v15
	v_fma_f32 v7, v72, v14, -v7
	v_add_f32_e32 v6, v6, v7
	v_mul_f32_e32 v7, v75, v17
	;; [unrolled: 3-line block ×7, first 2 shown]
	v_fma_f32 v7, v84, v42, -v7
	v_mul_f32_e32 v97, v86, v45
	v_add_f32_e32 v26, v6, v7
	v_mul_f32_e32 v6, v87, v45
	s_waitcnt vmcnt(5)
	v_mov_b32_e32 v22, v49
	s_waitcnt lgkmcnt(1)
	v_mul_f32_e32 v99, v88, v47
	v_fmac_f32_e32 v97, v87, v44
	v_fma_f32 v96, v86, v44, -v6
	v_mul_f32_e32 v6, v89, v47
	v_pk_mul_f32 v[22:23], v[90:91], v[22:23] op_sel:[1,0] op_sel_hi:[0,0]
	v_fmac_f32_e32 v99, v89, v46
	v_fma_f32 v98, v88, v46, -v6
	v_pk_add_f32 v[16:17], v[26:27], v[96:97]
	v_pk_fma_f32 v[24:25], v[90:91], v[48:49], v[22:23] neg_lo:[0,0,1] neg_hi:[0,0,1]
	v_pk_fma_f32 v[22:23], v[90:91], v[48:49], v[22:23] op_sel_hi:[1,0,1]
	v_pk_add_f32 v[16:17], v[16:17], v[98:99]
	v_mov_b32_e32 v25, v23
	s_waitcnt vmcnt(4) lgkmcnt(0)
	v_pk_mul_f32 v[22:23], v[92:93], v[34:35] op_sel:[1,1] op_sel_hi:[0,1]
	v_pk_add_f32 v[16:17], v[16:17], v[24:25]
	v_pk_fma_f32 v[24:25], v[92:93], v[34:35], v[22:23] neg_lo:[0,0,1] neg_hi:[0,0,1]
	v_pk_fma_f32 v[22:23], v[92:93], v[34:35], v[22:23] op_sel_hi:[1,0,1]
	ds_read_b128 v[6:9], v58 offset:688
	ds_read_b128 v[10:13], v58 offset:704
	ds_read_b64 v[14:15], v58 offset:720
	v_mov_b32_e32 v22, v37
	v_mov_b32_e32 v25, v23
	v_pk_mul_f32 v[22:23], v[94:95], v[22:23] op_sel:[1,0] op_sel_hi:[0,0]
	v_pk_add_f32 v[16:17], v[16:17], v[24:25]
	v_pk_fma_f32 v[24:25], v[94:95], v[36:37], v[22:23] neg_lo:[0,0,1] neg_hi:[0,0,1]
	v_pk_fma_f32 v[22:23], v[94:95], v[36:37], v[22:23] op_sel_hi:[1,0,1]
	s_nop 0
	v_mov_b32_e32 v25, v23
	s_waitcnt vmcnt(3) lgkmcnt(2)
	v_pk_mul_f32 v[22:23], v[6:7], v[18:19] op_sel:[1,1] op_sel_hi:[0,1]
	v_pk_add_f32 v[16:17], v[16:17], v[24:25]
	v_pk_fma_f32 v[24:25], v[6:7], v[18:19], v[22:23] neg_lo:[0,0,1] neg_hi:[0,0,1]
	v_pk_fma_f32 v[6:7], v[6:7], v[18:19], v[22:23] op_sel_hi:[1,0,1]
	s_nop 0
	v_mov_b32_e32 v25, v7
	v_pk_add_f32 v[6:7], v[16:17], v[24:25]
	v_mov_b32_e32 v16, v21
	v_pk_mul_f32 v[16:17], v[8:9], v[16:17] op_sel:[1,0] op_sel_hi:[0,0]
	v_pk_fma_f32 v[18:19], v[8:9], v[20:21], v[16:17] neg_lo:[0,0,1] neg_hi:[0,0,1]
	v_pk_fma_f32 v[8:9], v[8:9], v[20:21], v[16:17] op_sel_hi:[1,0,1]
	s_nop 0
	v_mov_b32_e32 v19, v9
	s_waitcnt vmcnt(2) lgkmcnt(1)
	v_pk_mul_f32 v[8:9], v[10:11], v[2:3] op_sel:[1,1] op_sel_hi:[0,1]
	v_pk_fma_f32 v[16:17], v[10:11], v[2:3], v[8:9] neg_lo:[0,0,1] neg_hi:[0,0,1]
	v_pk_fma_f32 v[2:3], v[10:11], v[2:3], v[8:9] op_sel_hi:[1,0,1]
	v_pk_add_f32 v[6:7], v[6:7], v[18:19]
	v_mov_b32_e32 v17, v3
	v_pk_add_f32 v[2:3], v[6:7], v[16:17]
	v_mov_b32_e32 v6, v5
	v_pk_mul_f32 v[6:7], v[12:13], v[6:7] op_sel:[1,0] op_sel_hi:[0,0]
	v_pk_fma_f32 v[8:9], v[12:13], v[4:5], v[6:7] neg_lo:[0,0,1] neg_hi:[0,0,1]
	v_pk_fma_f32 v[4:5], v[12:13], v[4:5], v[6:7] op_sel_hi:[1,0,1]
	s_nop 0
	v_mov_b32_e32 v9, v5
	s_waitcnt vmcnt(1) lgkmcnt(0)
	v_pk_mul_f32 v[4:5], v[14:15], v[50:51] op_sel:[1,1] op_sel_hi:[0,1]
	v_pk_fma_f32 v[6:7], v[14:15], v[50:51], v[4:5] neg_lo:[0,0,1] neg_hi:[0,0,1]
	v_pk_fma_f32 v[4:5], v[14:15], v[50:51], v[4:5] op_sel_hi:[1,0,1]
	v_pk_add_f32 v[2:3], v[2:3], v[8:9]
	v_mov_b32_e32 v7, v5
	v_pk_add_f32 v[2:3], v[2:3], v[6:7]
	s_waitcnt vmcnt(0)
	v_pk_add_f32 v[2:3], v[56:57], v[2:3] neg_lo:[0,1] neg_hi:[0,1]
	scratch_store_dwordx2 off, v[2:3], off offset:152
	s_and_saveexec_b64 s[0:1], vcc
	s_cbranch_execz .LBB44_247
; %bb.246:
	scratch_load_dwordx2 v[2:3], off, off offset:144
	v_mov_b32_e32 v59, v58
	scratch_store_dwordx2 off, v[58:59], off offset:144
	s_waitcnt vmcnt(1)
	ds_write_b64 v1, v[2:3]
.LBB44_247:
	s_or_b64 exec, exec, s[0:1]
	s_waitcnt lgkmcnt(0)
	; wave barrier
	scratch_load_dwordx4 v[2:5], off, off offset:152
	scratch_load_dwordx4 v[18:21], off, off offset:168
	;; [unrolled: 1-line block ×9, first 2 shown]
	ds_read2_b64 v[60:63], v58 offset0:65 offset1:66
	ds_read2_b64 v[64:67], v58 offset0:67 offset1:68
	;; [unrolled: 1-line block ×8, first 2 shown]
	scratch_load_dwordx4 v[50:53], off, off offset:296
	scratch_load_dwordx4 v[34:37], off, off offset:312
	;; [unrolled: 1-line block ×4, first 2 shown]
	ds_read2_b64 v[88:91], v58 offset0:81 offset1:82
	ds_read2_b64 v[92:95], v58 offset0:83 offset1:84
	scratch_load_dwordx2 v[96:97], off, off offset:144
	v_cmp_lt_u32_e32 vcc, 17, v0
	s_waitcnt vmcnt(13) lgkmcnt(9)
	v_mul_f32_e32 v59, v60, v3
	v_mul_f32_e32 v98, v62, v5
	;; [unrolled: 1-line block ×3, first 2 shown]
	s_waitcnt vmcnt(10) lgkmcnt(6)
	v_mul_f32_e32 v105, v72, v7
	v_mul_f32_e32 v7, v73, v7
	v_fmac_f32_e32 v59, v61, v2
	v_mul_f32_e32 v100, v64, v19
	v_mul_f32_e32 v5, v63, v5
	v_fmac_f32_e32 v98, v63, v4
	v_fmac_f32_e32 v105, v73, v6
	v_fma_f32 v2, v60, v2, -v3
	v_fma_f32 v6, v72, v6, -v7
	v_add_f32_e32 v7, 0, v59
	v_mul_f32_e32 v102, v66, v21
	v_fmac_f32_e32 v100, v65, v18
	v_fma_f32 v3, v62, v4, -v5
	v_add_f32_e32 v2, 0, v2
	v_add_f32_e32 v7, v7, v98
	v_mul_f32_e32 v103, v68, v39
	v_fmac_f32_e32 v102, v67, v20
	v_add_f32_e32 v2, v2, v3
	v_add_f32_e32 v3, v7, v100
	v_mul_f32_e32 v104, v70, v41
	v_fmac_f32_e32 v103, v69, v38
	v_add_f32_e32 v3, v3, v102
	v_fmac_f32_e32 v104, v71, v40
	v_add_f32_e32 v3, v3, v103
	v_mul_f32_e32 v106, v74, v9
	v_add_f32_e32 v3, v3, v104
	s_waitcnt vmcnt(9) lgkmcnt(5)
	v_mul_f32_e32 v107, v76, v15
	v_fmac_f32_e32 v106, v75, v8
	v_add_f32_e32 v3, v3, v105
	v_mul_f32_e32 v108, v78, v17
	v_fmac_f32_e32 v107, v77, v14
	v_add_f32_e32 v3, v3, v106
	s_waitcnt vmcnt(8) lgkmcnt(4)
	v_mul_f32_e32 v109, v80, v23
	v_fmac_f32_e32 v108, v79, v16
	v_add_f32_e32 v3, v3, v107
	v_mul_f32_e32 v110, v82, v25
	v_fmac_f32_e32 v109, v81, v22
	v_add_f32_e32 v3, v3, v108
	s_waitcnt vmcnt(7) lgkmcnt(3)
	v_mul_f32_e32 v111, v84, v31
	v_mul_f32_e32 v19, v65, v19
	v_fmac_f32_e32 v110, v83, v24
	v_add_f32_e32 v3, v3, v109
	v_mul_f32_e32 v112, v86, v33
	v_mul_f32_e32 v21, v67, v21
	v_fmac_f32_e32 v111, v85, v30
	v_fma_f32 v4, v64, v18, -v19
	v_add_f32_e32 v3, v3, v110
	s_waitcnt vmcnt(6) lgkmcnt(2)
	v_mul_f32_e32 v113, v54, v43
	v_mul_f32_e32 v39, v69, v39
	v_fmac_f32_e32 v112, v87, v32
	v_fma_f32 v5, v66, v20, -v21
	v_add_f32_e32 v2, v2, v4
	v_add_f32_e32 v3, v3, v111
	v_mul_f32_e32 v114, v56, v45
	v_mul_f32_e32 v41, v71, v41
	v_fmac_f32_e32 v113, v55, v42
	v_fma_f32 v18, v68, v38, -v39
	v_add_f32_e32 v2, v2, v5
	v_add_f32_e32 v3, v3, v112
	v_fmac_f32_e32 v114, v57, v44
	v_fma_f32 v19, v70, v40, -v41
	v_add_f32_e32 v2, v2, v18
	v_add_f32_e32 v3, v3, v113
	;; [unrolled: 1-line block ×4, first 2 shown]
	v_mul_f32_e32 v3, v75, v9
	v_add_f32_e32 v2, v2, v6
	v_fma_f32 v3, v74, v8, -v3
	v_add_f32_e32 v2, v2, v3
	v_mul_f32_e32 v3, v77, v15
	v_fma_f32 v3, v76, v14, -v3
	v_add_f32_e32 v2, v2, v3
	v_mul_f32_e32 v3, v79, v17
	;; [unrolled: 3-line block ×8, first 2 shown]
	v_fma_f32 v3, v56, v44, -v3
	s_waitcnt vmcnt(5) lgkmcnt(1)
	v_mul_f32_e32 v99, v88, v47
	v_add_f32_e32 v18, v2, v3
	v_mul_f32_e32 v2, v89, v47
	s_waitcnt vmcnt(4) lgkmcnt(0)
	v_pk_mul_f32 v[20:21], v[92:93], v[50:51] op_sel:[1,1] op_sel_hi:[0,1]
	v_mul_f32_e32 v101, v90, v49
	v_fmac_f32_e32 v99, v89, v46
	v_fma_f32 v98, v88, v46, -v2
	v_mul_f32_e32 v2, v91, v49
	v_pk_fma_f32 v[22:23], v[92:93], v[50:51], v[20:21] neg_lo:[0,0,1] neg_hi:[0,0,1]
	v_pk_fma_f32 v[20:21], v[92:93], v[50:51], v[20:21] op_sel_hi:[1,0,1]
	v_fmac_f32_e32 v101, v91, v48
	v_fma_f32 v100, v90, v48, -v2
	ds_read2_b64 v[2:5], v58 offset0:85 offset1:86
	ds_read2_b64 v[6:9], v58 offset0:87 offset1:88
	;; [unrolled: 1-line block ×3, first 2 shown]
	v_pk_add_f32 v[18:19], v[18:19], v[98:99]
	v_mov_b32_e32 v20, v53
	v_pk_add_f32 v[18:19], v[18:19], v[100:101]
	v_mov_b32_e32 v23, v21
	v_pk_mul_f32 v[20:21], v[94:95], v[20:21] op_sel:[1,0] op_sel_hi:[0,0]
	v_pk_add_f32 v[18:19], v[18:19], v[22:23]
	v_pk_fma_f32 v[22:23], v[94:95], v[52:53], v[20:21] neg_lo:[0,0,1] neg_hi:[0,0,1]
	v_pk_fma_f32 v[20:21], v[94:95], v[52:53], v[20:21] op_sel_hi:[1,0,1]
	s_nop 0
	v_mov_b32_e32 v23, v21
	s_waitcnt vmcnt(3) lgkmcnt(2)
	v_pk_mul_f32 v[20:21], v[2:3], v[34:35] op_sel:[1,1] op_sel_hi:[0,1]
	v_pk_add_f32 v[18:19], v[18:19], v[22:23]
	v_pk_fma_f32 v[22:23], v[2:3], v[34:35], v[20:21] neg_lo:[0,0,1] neg_hi:[0,0,1]
	v_pk_fma_f32 v[2:3], v[2:3], v[34:35], v[20:21] op_sel_hi:[1,0,1]
	s_nop 0
	v_mov_b32_e32 v23, v3
	v_pk_add_f32 v[2:3], v[18:19], v[22:23]
	v_mov_b32_e32 v18, v37
	v_pk_mul_f32 v[18:19], v[4:5], v[18:19] op_sel:[1,0] op_sel_hi:[0,0]
	v_pk_fma_f32 v[20:21], v[4:5], v[36:37], v[18:19] neg_lo:[0,0,1] neg_hi:[0,0,1]
	v_pk_fma_f32 v[4:5], v[4:5], v[36:37], v[18:19] op_sel_hi:[1,0,1]
	s_nop 0
	v_mov_b32_e32 v21, v5
	s_waitcnt vmcnt(2) lgkmcnt(1)
	v_pk_mul_f32 v[4:5], v[6:7], v[26:27] op_sel:[1,1] op_sel_hi:[0,1]
	v_pk_fma_f32 v[18:19], v[6:7], v[26:27], v[4:5] neg_lo:[0,0,1] neg_hi:[0,0,1]
	v_pk_fma_f32 v[4:5], v[6:7], v[26:27], v[4:5] op_sel_hi:[1,0,1]
	v_pk_add_f32 v[2:3], v[2:3], v[20:21]
	v_mov_b32_e32 v4, v29
	v_mov_b32_e32 v19, v5
	v_pk_mul_f32 v[4:5], v[8:9], v[4:5] op_sel:[1,0] op_sel_hi:[0,0]
	v_pk_fma_f32 v[6:7], v[8:9], v[28:29], v[4:5] neg_lo:[0,0,1] neg_hi:[0,0,1]
	v_pk_fma_f32 v[4:5], v[8:9], v[28:29], v[4:5] op_sel_hi:[1,0,1]
	v_pk_add_f32 v[2:3], v[2:3], v[18:19]
	v_mov_b32_e32 v7, v5
	s_waitcnt vmcnt(1) lgkmcnt(0)
	v_pk_mul_f32 v[4:5], v[14:15], v[10:11] op_sel:[1,1] op_sel_hi:[0,1]
	v_pk_add_f32 v[2:3], v[2:3], v[6:7]
	v_pk_fma_f32 v[6:7], v[14:15], v[10:11], v[4:5] neg_lo:[0,0,1] neg_hi:[0,0,1]
	v_pk_fma_f32 v[4:5], v[14:15], v[10:11], v[4:5] op_sel_hi:[1,0,1]
	s_nop 0
	v_mov_b32_e32 v4, v13
	v_mov_b32_e32 v7, v5
	v_pk_mul_f32 v[4:5], v[16:17], v[4:5] op_sel:[1,0] op_sel_hi:[0,0]
	v_pk_add_f32 v[2:3], v[2:3], v[6:7]
	v_pk_fma_f32 v[6:7], v[16:17], v[12:13], v[4:5] neg_lo:[0,0,1] neg_hi:[0,0,1]
	v_pk_fma_f32 v[4:5], v[16:17], v[12:13], v[4:5] op_sel_hi:[1,0,1]
	s_nop 0
	v_mov_b32_e32 v7, v5
	v_pk_add_f32 v[2:3], v[2:3], v[6:7]
	s_waitcnt vmcnt(0)
	v_pk_add_f32 v[2:3], v[96:97], v[2:3] neg_lo:[0,1] neg_hi:[0,1]
	scratch_store_dwordx2 off, v[2:3], off offset:144
	s_and_saveexec_b64 s[0:1], vcc
	s_cbranch_execz .LBB44_249
; %bb.248:
	scratch_load_dwordx2 v[2:3], off, off offset:136
	v_mov_b32_e32 v4, 0
	v_mov_b32_e32 v5, v4
	scratch_store_dwordx2 off, v[4:5], off offset:136
	s_waitcnt vmcnt(1)
	ds_write_b64 v1, v[2:3]
.LBB44_249:
	s_or_b64 exec, exec, s[0:1]
	s_waitcnt lgkmcnt(0)
	; wave barrier
	scratch_load_dwordx4 v[18:21], off, off offset:144
	scratch_load_dwordx4 v[30:33], off, off offset:160
	;; [unrolled: 1-line block ×13, first 2 shown]
	scratch_load_dwordx2 v[54:55], off, off offset:352
	scratch_load_dwordx2 v[80:81], off, off offset:136
	v_mov_b32_e32 v82, 0
	ds_read_b128 v[56:59], v82 offset:512
	ds_read_b128 v[60:63], v82 offset:528
	;; [unrolled: 1-line block ×10, first 2 shown]
	v_cmp_lt_u32_e32 vcc, 16, v0
	s_waitcnt vmcnt(14) lgkmcnt(9)
	v_mul_f32_e32 v83, v56, v19
	v_mul_f32_e32 v100, v58, v21
	s_waitcnt vmcnt(12) lgkmcnt(7)
	v_mul_f32_e32 v105, v64, v3
	v_mul_f32_e32 v3, v65, v3
	v_fmac_f32_e32 v83, v57, v18
	v_mul_f32_e32 v102, v60, v31
	v_fmac_f32_e32 v100, v59, v20
	v_fmac_f32_e32 v105, v65, v2
	v_fma_f32 v2, v64, v2, -v3
	v_add_f32_e32 v3, 0, v83
	v_mul_f32_e32 v104, v62, v33
	v_fmac_f32_e32 v102, v61, v30
	v_add_f32_e32 v3, v3, v100
	v_fmac_f32_e32 v104, v63, v32
	v_add_f32_e32 v3, v3, v102
	v_mul_f32_e32 v106, v66, v5
	v_add_f32_e32 v3, v3, v104
	s_waitcnt vmcnt(11) lgkmcnt(6)
	v_mul_f32_e32 v107, v68, v7
	v_fmac_f32_e32 v106, v67, v4
	v_add_f32_e32 v3, v3, v105
	v_mul_f32_e32 v108, v70, v9
	v_fmac_f32_e32 v107, v69, v6
	v_add_f32_e32 v3, v3, v106
	s_waitcnt vmcnt(10) lgkmcnt(5)
	v_mul_f32_e32 v109, v72, v15
	v_fmac_f32_e32 v108, v71, v8
	v_add_f32_e32 v3, v3, v107
	v_mul_f32_e32 v110, v74, v17
	v_fmac_f32_e32 v109, v73, v14
	;; [unrolled: 7-line block ×3, first 2 shown]
	v_add_f32_e32 v3, v3, v110
	s_waitcnt vmcnt(8) lgkmcnt(3)
	v_mul_f32_e32 v113, v84, v35
	v_mul_f32_e32 v19, v57, v19
	v_fmac_f32_e32 v112, v79, v24
	v_add_f32_e32 v3, v3, v111
	v_mul_f32_e32 v114, v86, v37
	v_mul_f32_e32 v21, v59, v21
	v_fmac_f32_e32 v113, v85, v34
	v_fma_f32 v18, v56, v18, -v19
	v_add_f32_e32 v3, v3, v112
	s_waitcnt vmcnt(7) lgkmcnt(2)
	v_mul_f32_e32 v115, v88, v39
	v_mul_f32_e32 v31, v61, v31
	v_fmac_f32_e32 v114, v87, v36
	v_fma_f32 v19, v58, v20, -v21
	v_add_f32_e32 v18, 0, v18
	v_add_f32_e32 v3, v3, v113
	v_mul_f32_e32 v116, v90, v41
	v_mul_f32_e32 v33, v63, v33
	v_fmac_f32_e32 v115, v89, v38
	v_fma_f32 v20, v60, v30, -v31
	v_add_f32_e32 v18, v18, v19
	v_add_f32_e32 v3, v3, v114
	s_waitcnt vmcnt(6) lgkmcnt(1)
	v_mul_f32_e32 v117, v92, v51
	v_fmac_f32_e32 v116, v91, v40
	v_fma_f32 v21, v62, v32, -v33
	v_add_f32_e32 v18, v18, v20
	v_add_f32_e32 v3, v3, v115
	v_mul_f32_e32 v5, v67, v5
	v_fmac_f32_e32 v117, v93, v50
	v_add_f32_e32 v18, v18, v21
	v_add_f32_e32 v3, v3, v116
	;; [unrolled: 1-line block ×4, first 2 shown]
	v_fma_f32 v3, v66, v4, -v5
	v_add_f32_e32 v2, v2, v3
	v_mul_f32_e32 v3, v69, v7
	v_fma_f32 v3, v68, v6, -v3
	v_add_f32_e32 v2, v2, v3
	v_mul_f32_e32 v3, v71, v9
	;; [unrolled: 3-line block ×12, first 2 shown]
	v_mul_f32_e32 v101, v94, v53
	v_fma_f32 v100, v94, v52, -v2
	s_waitcnt vmcnt(5) lgkmcnt(0)
	v_mul_f32_e32 v2, v97, v47
	v_mov_b32_e32 v22, v49
	v_mul_f32_e32 v103, v96, v47
	v_fmac_f32_e32 v101, v95, v52
	v_fma_f32 v102, v96, v46, -v2
	ds_read_b128 v[2:5], v82 offset:672
	ds_read_b128 v[6:9], v82 offset:688
	;; [unrolled: 1-line block ×3, first 2 shown]
	ds_read_b64 v[20:21], v82 offset:720
	v_pk_mul_f32 v[22:23], v[98:99], v[22:23] op_sel:[1,0] op_sel_hi:[0,0]
	v_fmac_f32_e32 v103, v97, v46
	v_pk_add_f32 v[18:19], v[18:19], v[100:101]
	v_pk_fma_f32 v[24:25], v[98:99], v[48:49], v[22:23] neg_lo:[0,0,1] neg_hi:[0,0,1]
	v_pk_fma_f32 v[22:23], v[98:99], v[48:49], v[22:23] op_sel_hi:[1,0,1]
	v_pk_add_f32 v[18:19], v[18:19], v[102:103]
	v_mov_b32_e32 v25, v23
	s_waitcnt vmcnt(4) lgkmcnt(3)
	v_pk_mul_f32 v[22:23], v[2:3], v[42:43] op_sel:[1,1] op_sel_hi:[0,1]
	v_pk_add_f32 v[18:19], v[18:19], v[24:25]
	v_pk_fma_f32 v[24:25], v[2:3], v[42:43], v[22:23] neg_lo:[0,0,1] neg_hi:[0,0,1]
	v_pk_fma_f32 v[2:3], v[2:3], v[42:43], v[22:23] op_sel_hi:[1,0,1]
	s_nop 0
	v_mov_b32_e32 v25, v3
	v_pk_add_f32 v[2:3], v[18:19], v[24:25]
	v_mov_b32_e32 v18, v45
	v_pk_mul_f32 v[18:19], v[4:5], v[18:19] op_sel:[1,0] op_sel_hi:[0,0]
	v_pk_fma_f32 v[22:23], v[4:5], v[44:45], v[18:19] neg_lo:[0,0,1] neg_hi:[0,0,1]
	v_pk_fma_f32 v[4:5], v[4:5], v[44:45], v[18:19] op_sel_hi:[1,0,1]
	s_nop 0
	v_mov_b32_e32 v23, v5
	s_waitcnt vmcnt(3) lgkmcnt(2)
	v_pk_mul_f32 v[4:5], v[6:7], v[26:27] op_sel:[1,1] op_sel_hi:[0,1]
	v_pk_fma_f32 v[18:19], v[6:7], v[26:27], v[4:5] neg_lo:[0,0,1] neg_hi:[0,0,1]
	v_pk_fma_f32 v[4:5], v[6:7], v[26:27], v[4:5] op_sel_hi:[1,0,1]
	v_pk_add_f32 v[2:3], v[2:3], v[22:23]
	v_mov_b32_e32 v4, v29
	v_mov_b32_e32 v19, v5
	v_pk_mul_f32 v[4:5], v[8:9], v[4:5] op_sel:[1,0] op_sel_hi:[0,0]
	v_pk_fma_f32 v[6:7], v[8:9], v[28:29], v[4:5] neg_lo:[0,0,1] neg_hi:[0,0,1]
	v_pk_fma_f32 v[4:5], v[8:9], v[28:29], v[4:5] op_sel_hi:[1,0,1]
	v_pk_add_f32 v[2:3], v[2:3], v[18:19]
	v_mov_b32_e32 v7, v5
	s_waitcnt vmcnt(2) lgkmcnt(1)
	v_pk_mul_f32 v[4:5], v[14:15], v[10:11] op_sel:[1,1] op_sel_hi:[0,1]
	v_pk_add_f32 v[2:3], v[2:3], v[6:7]
	v_pk_fma_f32 v[6:7], v[14:15], v[10:11], v[4:5] neg_lo:[0,0,1] neg_hi:[0,0,1]
	v_pk_fma_f32 v[4:5], v[14:15], v[10:11], v[4:5] op_sel_hi:[1,0,1]
	s_nop 0
	v_mov_b32_e32 v4, v13
	v_mov_b32_e32 v7, v5
	v_pk_mul_f32 v[4:5], v[16:17], v[4:5] op_sel:[1,0] op_sel_hi:[0,0]
	v_pk_add_f32 v[2:3], v[2:3], v[6:7]
	v_pk_fma_f32 v[6:7], v[16:17], v[12:13], v[4:5] neg_lo:[0,0,1] neg_hi:[0,0,1]
	v_pk_fma_f32 v[4:5], v[16:17], v[12:13], v[4:5] op_sel_hi:[1,0,1]
	s_nop 0
	v_mov_b32_e32 v7, v5
	s_waitcnt vmcnt(1) lgkmcnt(0)
	v_pk_mul_f32 v[4:5], v[20:21], v[54:55] op_sel:[1,1] op_sel_hi:[0,1]
	v_pk_add_f32 v[2:3], v[2:3], v[6:7]
	v_pk_fma_f32 v[6:7], v[20:21], v[54:55], v[4:5] neg_lo:[0,0,1] neg_hi:[0,0,1]
	v_pk_fma_f32 v[4:5], v[20:21], v[54:55], v[4:5] op_sel_hi:[1,0,1]
	s_nop 0
	v_mov_b32_e32 v7, v5
	v_pk_add_f32 v[2:3], v[2:3], v[6:7]
	s_waitcnt vmcnt(0)
	v_pk_add_f32 v[2:3], v[80:81], v[2:3] neg_lo:[0,1] neg_hi:[0,1]
	scratch_store_dwordx2 off, v[2:3], off offset:136
	s_and_saveexec_b64 s[0:1], vcc
	s_cbranch_execz .LBB44_251
; %bb.250:
	scratch_load_dwordx2 v[2:3], off, off offset:128
	v_mov_b32_e32 v83, v82
	scratch_store_dwordx2 off, v[82:83], off offset:128
	s_waitcnt vmcnt(1)
	ds_write_b64 v1, v[2:3]
.LBB44_251:
	s_or_b64 exec, exec, s[0:1]
	s_waitcnt lgkmcnt(0)
	; wave barrier
	scratch_load_dwordx4 v[10:13], off, off offset:136
	scratch_load_dwordx4 v[26:29], off, off offset:152
	scratch_load_dwordx4 v[2:5], off, off offset:168
	scratch_load_dwordx4 v[6:9], off, off offset:184
	scratch_load_dwordx4 v[14:17], off, off offset:200
	scratch_load_dwordx4 v[22:25], off, off offset:216
	scratch_load_dwordx4 v[30:33], off, off offset:232
	scratch_load_dwordx4 v[38:41], off, off offset:248
	scratch_load_dwordx4 v[42:45], off, off offset:264
	scratch_load_dwordx4 v[50:53], off, off offset:280
	ds_read2_b64 v[84:87], v82 offset0:63 offset1:64
	ds_read2_b64 v[88:91], v82 offset0:65 offset1:66
	ds_read2_b64 v[92:95], v82 offset0:67 offset1:68
	ds_read2_b64 v[96:99], v82 offset0:69 offset1:70
	ds_read2_b64 v[78:81], v82 offset0:71 offset1:72
	ds_read2_b64 v[74:77], v82 offset0:73 offset1:74
	ds_read2_b64 v[70:73], v82 offset0:75 offset1:76
	ds_read2_b64 v[66:69], v82 offset0:77 offset1:78
	ds_read2_b64 v[62:65], v82 offset0:79 offset1:80
	ds_read2_b64 v[58:61], v82 offset0:81 offset1:82
	scratch_load_dwordx4 v[54:57], off, off offset:296
	scratch_load_dwordx4 v[46:49], off, off offset:312
	scratch_load_dwordx4 v[34:37], off, off offset:328
	scratch_load_dwordx4 v[18:21], off, off offset:344
	scratch_load_dwordx2 v[100:101], off, off offset:128
	v_cmp_lt_u32_e32 vcc, 15, v0
	s_waitcnt vmcnt(14) lgkmcnt(9)
	v_mul_f32_e32 v83, v84, v11
	v_mul_f32_e32 v102, v86, v13
	s_waitcnt vmcnt(12) lgkmcnt(7)
	v_mul_f32_e32 v107, v92, v3
	v_mul_f32_e32 v3, v93, v3
	v_fmac_f32_e32 v83, v85, v10
	v_mul_f32_e32 v104, v88, v27
	v_fmac_f32_e32 v102, v87, v12
	v_fmac_f32_e32 v107, v93, v2
	v_fma_f32 v2, v92, v2, -v3
	v_add_f32_e32 v3, 0, v83
	v_mul_f32_e32 v106, v90, v29
	v_fmac_f32_e32 v104, v89, v26
	v_add_f32_e32 v3, v3, v102
	v_fmac_f32_e32 v106, v91, v28
	v_add_f32_e32 v3, v3, v104
	v_mul_f32_e32 v108, v94, v5
	v_add_f32_e32 v3, v3, v106
	s_waitcnt vmcnt(11) lgkmcnt(6)
	v_mul_f32_e32 v109, v96, v7
	v_fmac_f32_e32 v108, v95, v4
	v_add_f32_e32 v3, v3, v107
	v_mul_f32_e32 v110, v98, v9
	v_fmac_f32_e32 v109, v97, v6
	v_add_f32_e32 v3, v3, v108
	s_waitcnt vmcnt(10) lgkmcnt(5)
	v_mul_f32_e32 v111, v78, v15
	v_fmac_f32_e32 v110, v99, v8
	v_add_f32_e32 v3, v3, v109
	v_mul_f32_e32 v112, v80, v17
	v_fmac_f32_e32 v111, v79, v14
	;; [unrolled: 7-line block ×4, first 2 shown]
	v_add_f32_e32 v3, v3, v114
	s_waitcnt vmcnt(7) lgkmcnt(2)
	v_mul_f32_e32 v117, v66, v39
	v_mul_f32_e32 v11, v85, v11
	v_fmac_f32_e32 v116, v73, v32
	v_add_f32_e32 v3, v3, v115
	v_mul_f32_e32 v118, v68, v41
	v_mul_f32_e32 v13, v87, v13
	v_fmac_f32_e32 v117, v67, v38
	v_fma_f32 v10, v84, v10, -v11
	v_add_f32_e32 v3, v3, v116
	s_waitcnt vmcnt(6) lgkmcnt(1)
	v_mul_f32_e32 v119, v62, v43
	v_mul_f32_e32 v27, v89, v27
	v_fmac_f32_e32 v118, v69, v40
	v_fma_f32 v11, v86, v12, -v13
	v_add_f32_e32 v10, 0, v10
	v_add_f32_e32 v3, v3, v117
	v_mul_f32_e32 v120, v64, v45
	v_mul_f32_e32 v29, v91, v29
	v_fmac_f32_e32 v119, v63, v42
	v_fma_f32 v12, v88, v26, -v27
	v_add_f32_e32 v10, v10, v11
	v_add_f32_e32 v3, v3, v118
	v_fmac_f32_e32 v120, v65, v44
	v_fma_f32 v13, v90, v28, -v29
	v_add_f32_e32 v10, v10, v12
	v_add_f32_e32 v3, v3, v119
	;; [unrolled: 1-line block ×4, first 2 shown]
	v_mul_f32_e32 v3, v95, v5
	v_add_f32_e32 v2, v10, v2
	v_fma_f32 v3, v94, v4, -v3
	v_add_f32_e32 v2, v2, v3
	v_mul_f32_e32 v3, v97, v7
	v_fma_f32 v3, v96, v6, -v3
	v_add_f32_e32 v2, v2, v3
	v_mul_f32_e32 v3, v99, v9
	;; [unrolled: 3-line block ×12, first 2 shown]
	v_fma_f32 v3, v64, v44, -v3
	v_add_f32_e32 v26, v2, v3
	s_waitcnt vmcnt(5) lgkmcnt(0)
	v_mul_f32_e32 v2, v59, v51
	v_fma_f32 v102, v58, v50, -v2
	v_mul_f32_e32 v2, v61, v53
	v_fma_f32 v104, v60, v52, -v2
	ds_read2_b64 v[2:5], v82 offset0:83 offset1:84
	ds_read2_b64 v[6:9], v82 offset0:85 offset1:86
	;; [unrolled: 1-line block ×4, first 2 shown]
	v_mul_f32_e32 v103, v58, v51
	v_mul_f32_e32 v105, v60, v53
	v_fmac_f32_e32 v103, v59, v50
	s_waitcnt vmcnt(4) lgkmcnt(3)
	v_pk_mul_f32 v[24:25], v[2:3], v[54:55] op_sel:[1,1] op_sel_hi:[0,1]
	v_fmac_f32_e32 v105, v61, v52
	v_pk_add_f32 v[22:23], v[26:27], v[102:103]
	v_pk_fma_f32 v[26:27], v[2:3], v[54:55], v[24:25] neg_lo:[0,0,1] neg_hi:[0,0,1]
	v_pk_fma_f32 v[2:3], v[2:3], v[54:55], v[24:25] op_sel_hi:[1,0,1]
	v_pk_add_f32 v[22:23], v[22:23], v[104:105]
	v_mov_b32_e32 v27, v3
	v_pk_add_f32 v[2:3], v[22:23], v[26:27]
	v_mov_b32_e32 v22, v57
	v_pk_mul_f32 v[22:23], v[4:5], v[22:23] op_sel:[1,0] op_sel_hi:[0,0]
	v_pk_fma_f32 v[24:25], v[4:5], v[56:57], v[22:23] neg_lo:[0,0,1] neg_hi:[0,0,1]
	v_pk_fma_f32 v[4:5], v[4:5], v[56:57], v[22:23] op_sel_hi:[1,0,1]
	s_nop 0
	v_mov_b32_e32 v25, v5
	s_waitcnt vmcnt(3) lgkmcnt(2)
	v_pk_mul_f32 v[4:5], v[6:7], v[46:47] op_sel:[1,1] op_sel_hi:[0,1]
	v_pk_fma_f32 v[22:23], v[6:7], v[46:47], v[4:5] neg_lo:[0,0,1] neg_hi:[0,0,1]
	v_pk_fma_f32 v[4:5], v[6:7], v[46:47], v[4:5] op_sel_hi:[1,0,1]
	v_pk_add_f32 v[2:3], v[2:3], v[24:25]
	v_mov_b32_e32 v4, v49
	v_mov_b32_e32 v23, v5
	v_pk_mul_f32 v[4:5], v[8:9], v[4:5] op_sel:[1,0] op_sel_hi:[0,0]
	v_pk_fma_f32 v[6:7], v[8:9], v[48:49], v[4:5] neg_lo:[0,0,1] neg_hi:[0,0,1]
	v_pk_fma_f32 v[4:5], v[8:9], v[48:49], v[4:5] op_sel_hi:[1,0,1]
	v_pk_add_f32 v[2:3], v[2:3], v[22:23]
	v_mov_b32_e32 v7, v5
	s_waitcnt vmcnt(2) lgkmcnt(1)
	v_pk_mul_f32 v[4:5], v[10:11], v[34:35] op_sel:[1,1] op_sel_hi:[0,1]
	v_pk_add_f32 v[2:3], v[2:3], v[6:7]
	v_pk_fma_f32 v[6:7], v[10:11], v[34:35], v[4:5] neg_lo:[0,0,1] neg_hi:[0,0,1]
	v_pk_fma_f32 v[4:5], v[10:11], v[34:35], v[4:5] op_sel_hi:[1,0,1]
	s_nop 0
	v_mov_b32_e32 v4, v37
	v_mov_b32_e32 v7, v5
	v_pk_mul_f32 v[4:5], v[12:13], v[4:5] op_sel:[1,0] op_sel_hi:[0,0]
	v_pk_add_f32 v[2:3], v[2:3], v[6:7]
	v_pk_fma_f32 v[6:7], v[12:13], v[36:37], v[4:5] neg_lo:[0,0,1] neg_hi:[0,0,1]
	v_pk_fma_f32 v[4:5], v[12:13], v[36:37], v[4:5] op_sel_hi:[1,0,1]
	s_nop 0
	v_mov_b32_e32 v7, v5
	s_waitcnt vmcnt(1) lgkmcnt(0)
	v_pk_mul_f32 v[4:5], v[14:15], v[18:19] op_sel:[1,1] op_sel_hi:[0,1]
	v_pk_add_f32 v[2:3], v[2:3], v[6:7]
	v_pk_fma_f32 v[6:7], v[14:15], v[18:19], v[4:5] neg_lo:[0,0,1] neg_hi:[0,0,1]
	v_pk_fma_f32 v[4:5], v[14:15], v[18:19], v[4:5] op_sel_hi:[1,0,1]
	s_nop 0
	v_mov_b32_e32 v4, v21
	v_mov_b32_e32 v7, v5
	v_pk_mul_f32 v[4:5], v[16:17], v[4:5] op_sel:[1,0] op_sel_hi:[0,0]
	v_pk_add_f32 v[2:3], v[2:3], v[6:7]
	v_pk_fma_f32 v[6:7], v[16:17], v[20:21], v[4:5] neg_lo:[0,0,1] neg_hi:[0,0,1]
	v_pk_fma_f32 v[4:5], v[16:17], v[20:21], v[4:5] op_sel_hi:[1,0,1]
	s_nop 0
	v_mov_b32_e32 v7, v5
	v_pk_add_f32 v[2:3], v[2:3], v[6:7]
	s_waitcnt vmcnt(0)
	v_pk_add_f32 v[2:3], v[100:101], v[2:3] neg_lo:[0,1] neg_hi:[0,1]
	scratch_store_dwordx2 off, v[2:3], off offset:128
	s_and_saveexec_b64 s[0:1], vcc
	s_cbranch_execz .LBB44_253
; %bb.252:
	scratch_load_dwordx2 v[2:3], off, off offset:120
	v_mov_b32_e32 v4, 0
	v_mov_b32_e32 v5, v4
	scratch_store_dwordx2 off, v[4:5], off offset:120
	s_waitcnt vmcnt(1)
	ds_write_b64 v1, v[2:3]
.LBB44_253:
	s_or_b64 exec, exec, s[0:1]
	s_waitcnt lgkmcnt(0)
	; wave barrier
	scratch_load_dwordx4 v[26:29], off, off offset:128
	scratch_load_dwordx4 v[2:5], off, off offset:144
	;; [unrolled: 1-line block ×14, first 2 shown]
	scratch_load_dwordx2 v[58:59], off, off offset:352
	scratch_load_dwordx2 v[100:101], off, off offset:120
	v_mov_b32_e32 v102, 0
	ds_read_b128 v[60:63], v102 offset:496
	ds_read_b128 v[64:67], v102 offset:512
	;; [unrolled: 1-line block ×12, first 2 shown]
	v_cmp_lt_u32_e32 vcc, 14, v0
	s_waitcnt vmcnt(15) lgkmcnt(11)
	v_mul_f32_e32 v103, v60, v27
	v_mul_f32_e32 v112, v62, v29
	s_waitcnt vmcnt(14) lgkmcnt(10)
	v_mul_f32_e32 v114, v64, v3
	v_mul_f32_e32 v3, v65, v3
	v_fmac_f32_e32 v103, v61, v26
	v_fmac_f32_e32 v112, v63, v28
	;; [unrolled: 1-line block ×3, first 2 shown]
	v_fma_f32 v2, v64, v2, -v3
	v_add_f32_e32 v3, 0, v103
	v_mul_f32_e32 v116, v66, v5
	v_add_f32_e32 v3, v3, v112
	s_waitcnt vmcnt(13) lgkmcnt(9)
	v_mul_f32_e32 v117, v68, v7
	v_fmac_f32_e32 v116, v67, v4
	v_add_f32_e32 v3, v3, v114
	v_mul_f32_e32 v118, v70, v9
	v_fmac_f32_e32 v117, v69, v6
	v_add_f32_e32 v3, v3, v116
	s_waitcnt vmcnt(12) lgkmcnt(8)
	v_mul_f32_e32 v119, v72, v11
	v_fmac_f32_e32 v118, v71, v8
	v_add_f32_e32 v3, v3, v117
	v_mul_f32_e32 v120, v74, v13
	v_fmac_f32_e32 v119, v73, v10
	;; [unrolled: 7-line block ×6, first 2 shown]
	v_add_f32_e32 v3, v3, v126
	s_waitcnt vmcnt(7) lgkmcnt(3)
	v_mul_f32_e32 v129, v92, v43
	v_fmac_f32_e32 v128, v91, v40
	v_add_f32_e32 v3, v3, v127
	v_mul_f32_e32 v130, v94, v45
	v_mul_f32_e32 v27, v61, v27
	v_fmac_f32_e32 v129, v93, v42
	v_add_f32_e32 v3, v3, v128
	s_waitcnt vmcnt(6) lgkmcnt(2)
	v_mul_f32_e32 v131, v96, v51
	v_mul_f32_e32 v29, v63, v29
	v_fmac_f32_e32 v130, v95, v44
	v_fma_f32 v26, v60, v26, -v27
	v_add_f32_e32 v3, v3, v129
	v_fmac_f32_e32 v131, v97, v50
	v_fma_f32 v27, v62, v28, -v29
	v_add_f32_e32 v26, 0, v26
	v_add_f32_e32 v3, v3, v130
	;; [unrolled: 1-line block ×4, first 2 shown]
	v_mul_f32_e32 v3, v67, v5
	v_add_f32_e32 v2, v26, v2
	v_fma_f32 v3, v66, v4, -v3
	v_add_f32_e32 v2, v2, v3
	v_mul_f32_e32 v3, v69, v7
	v_fma_f32 v3, v68, v6, -v3
	v_add_f32_e32 v2, v2, v3
	v_mul_f32_e32 v3, v71, v9
	;; [unrolled: 3-line block ×15, first 2 shown]
	v_fma_f32 v3, v96, v50, -v3
	v_mul_f32_e32 v113, v98, v53
	v_add_f32_e32 v26, v2, v3
	v_mul_f32_e32 v2, v99, v53
	s_waitcnt vmcnt(5)
	v_mov_b32_e32 v14, v57
	s_waitcnt lgkmcnt(1)
	v_mul_f32_e32 v115, v104, v55
	v_fmac_f32_e32 v113, v99, v52
	v_fma_f32 v112, v98, v52, -v2
	v_mul_f32_e32 v2, v105, v55
	v_pk_mul_f32 v[14:15], v[106:107], v[14:15] op_sel:[1,0] op_sel_hi:[0,0]
	v_fmac_f32_e32 v115, v105, v54
	v_fma_f32 v114, v104, v54, -v2
	v_pk_add_f32 v[12:13], v[26:27], v[112:113]
	v_pk_fma_f32 v[16:17], v[106:107], v[56:57], v[14:15] neg_lo:[0,0,1] neg_hi:[0,0,1]
	v_pk_fma_f32 v[14:15], v[106:107], v[56:57], v[14:15] op_sel_hi:[1,0,1]
	v_pk_add_f32 v[12:13], v[12:13], v[114:115]
	v_mov_b32_e32 v17, v15
	s_waitcnt vmcnt(4) lgkmcnt(0)
	v_pk_mul_f32 v[14:15], v[108:109], v[46:47] op_sel:[1,1] op_sel_hi:[0,1]
	v_pk_add_f32 v[12:13], v[12:13], v[16:17]
	v_pk_fma_f32 v[16:17], v[108:109], v[46:47], v[14:15] neg_lo:[0,0,1] neg_hi:[0,0,1]
	v_pk_fma_f32 v[14:15], v[108:109], v[46:47], v[14:15] op_sel_hi:[1,0,1]
	ds_read_b128 v[2:5], v102 offset:688
	ds_read_b128 v[6:9], v102 offset:704
	ds_read_b64 v[10:11], v102 offset:720
	v_mov_b32_e32 v14, v49
	v_mov_b32_e32 v17, v15
	v_pk_mul_f32 v[14:15], v[110:111], v[14:15] op_sel:[1,0] op_sel_hi:[0,0]
	v_pk_add_f32 v[12:13], v[12:13], v[16:17]
	v_pk_fma_f32 v[16:17], v[110:111], v[48:49], v[14:15] neg_lo:[0,0,1] neg_hi:[0,0,1]
	v_pk_fma_f32 v[14:15], v[110:111], v[48:49], v[14:15] op_sel_hi:[1,0,1]
	s_nop 0
	v_mov_b32_e32 v17, v15
	s_waitcnt vmcnt(3) lgkmcnt(2)
	v_pk_mul_f32 v[14:15], v[2:3], v[34:35] op_sel:[1,1] op_sel_hi:[0,1]
	v_pk_add_f32 v[12:13], v[12:13], v[16:17]
	v_pk_fma_f32 v[16:17], v[2:3], v[34:35], v[14:15] neg_lo:[0,0,1] neg_hi:[0,0,1]
	v_pk_fma_f32 v[2:3], v[2:3], v[34:35], v[14:15] op_sel_hi:[1,0,1]
	s_nop 0
	v_mov_b32_e32 v17, v3
	v_pk_add_f32 v[2:3], v[12:13], v[16:17]
	v_mov_b32_e32 v12, v37
	v_pk_mul_f32 v[12:13], v[4:5], v[12:13] op_sel:[1,0] op_sel_hi:[0,0]
	v_pk_fma_f32 v[14:15], v[4:5], v[36:37], v[12:13] neg_lo:[0,0,1] neg_hi:[0,0,1]
	v_pk_fma_f32 v[4:5], v[4:5], v[36:37], v[12:13] op_sel_hi:[1,0,1]
	s_nop 0
	v_mov_b32_e32 v15, v5
	s_waitcnt vmcnt(2) lgkmcnt(1)
	v_pk_mul_f32 v[4:5], v[6:7], v[18:19] op_sel:[1,1] op_sel_hi:[0,1]
	v_pk_fma_f32 v[12:13], v[6:7], v[18:19], v[4:5] neg_lo:[0,0,1] neg_hi:[0,0,1]
	v_pk_fma_f32 v[4:5], v[6:7], v[18:19], v[4:5] op_sel_hi:[1,0,1]
	v_pk_add_f32 v[2:3], v[2:3], v[14:15]
	v_mov_b32_e32 v4, v21
	v_mov_b32_e32 v13, v5
	v_pk_mul_f32 v[4:5], v[8:9], v[4:5] op_sel:[1,0] op_sel_hi:[0,0]
	v_pk_fma_f32 v[6:7], v[8:9], v[20:21], v[4:5] neg_lo:[0,0,1] neg_hi:[0,0,1]
	v_pk_fma_f32 v[4:5], v[8:9], v[20:21], v[4:5] op_sel_hi:[1,0,1]
	v_pk_add_f32 v[2:3], v[2:3], v[12:13]
	v_mov_b32_e32 v7, v5
	s_waitcnt vmcnt(1) lgkmcnt(0)
	v_pk_mul_f32 v[4:5], v[10:11], v[58:59] op_sel:[1,1] op_sel_hi:[0,1]
	v_pk_add_f32 v[2:3], v[2:3], v[6:7]
	v_pk_fma_f32 v[6:7], v[10:11], v[58:59], v[4:5] neg_lo:[0,0,1] neg_hi:[0,0,1]
	v_pk_fma_f32 v[4:5], v[10:11], v[58:59], v[4:5] op_sel_hi:[1,0,1]
	s_nop 0
	v_mov_b32_e32 v7, v5
	v_pk_add_f32 v[2:3], v[2:3], v[6:7]
	s_waitcnt vmcnt(0)
	v_pk_add_f32 v[2:3], v[100:101], v[2:3] neg_lo:[0,1] neg_hi:[0,1]
	scratch_store_dwordx2 off, v[2:3], off offset:120
	s_and_saveexec_b64 s[0:1], vcc
	s_cbranch_execz .LBB44_255
; %bb.254:
	scratch_load_dwordx2 v[2:3], off, off offset:112
	v_mov_b32_e32 v103, v102
	scratch_store_dwordx2 off, v[102:103], off offset:112
	s_waitcnt vmcnt(1)
	ds_write_b64 v1, v[2:3]
.LBB44_255:
	s_or_b64 exec, exec, s[0:1]
	s_waitcnt lgkmcnt(0)
	; wave barrier
	scratch_load_dwordx4 v[18:21], off, off offset:120
	scratch_load_dwordx4 v[2:5], off, off offset:136
	;; [unrolled: 1-line block ×11, first 2 shown]
	ds_read2_b64 v[104:107], v102 offset0:61 offset1:62
	ds_read2_b64 v[98:101], v102 offset0:63 offset1:64
	;; [unrolled: 1-line block ×10, first 2 shown]
	scratch_load_dwordx4 v[58:61], off, off offset:296
	scratch_load_dwordx4 v[50:53], off, off offset:312
	scratch_load_dwordx4 v[38:41], off, off offset:328
	scratch_load_dwordx4 v[26:29], off, off offset:344
	ds_read2_b64 v[78:81], v102 offset0:81 offset1:82
	ds_read2_b64 v[108:111], v102 offset0:83 offset1:84
	scratch_load_dwordx2 v[112:113], off, off offset:112
	v_cmp_lt_u32_e32 vcc, 13, v0
	s_waitcnt vmcnt(15) lgkmcnt(11)
	v_mul_f32_e32 v103, v104, v19
	v_mul_f32_e32 v114, v106, v21
	s_waitcnt vmcnt(14) lgkmcnt(10)
	v_mul_f32_e32 v116, v98, v3
	v_mul_f32_e32 v3, v99, v3
	v_fmac_f32_e32 v103, v105, v18
	v_fmac_f32_e32 v114, v107, v20
	v_fmac_f32_e32 v116, v99, v2
	v_fma_f32 v2, v98, v2, -v3
	v_add_f32_e32 v3, 0, v103
	v_mul_f32_e32 v118, v100, v5
	v_add_f32_e32 v3, v3, v114
	s_waitcnt vmcnt(13) lgkmcnt(9)
	v_mul_f32_e32 v119, v94, v7
	v_fmac_f32_e32 v118, v101, v4
	v_add_f32_e32 v3, v3, v116
	v_mul_f32_e32 v120, v96, v9
	v_fmac_f32_e32 v119, v95, v6
	v_add_f32_e32 v3, v3, v118
	s_waitcnt vmcnt(12) lgkmcnt(8)
	v_mul_f32_e32 v121, v90, v11
	v_fmac_f32_e32 v120, v97, v8
	v_add_f32_e32 v3, v3, v119
	v_mul_f32_e32 v122, v92, v13
	v_fmac_f32_e32 v121, v91, v10
	;; [unrolled: 7-line block ×7, first 2 shown]
	v_add_f32_e32 v3, v3, v130
	s_waitcnt vmcnt(6) lgkmcnt(2)
	v_mul_f32_e32 v133, v62, v47
	v_mul_f32_e32 v19, v105, v19
	v_fmac_f32_e32 v132, v69, v44
	v_add_f32_e32 v3, v3, v131
	v_mul_f32_e32 v134, v64, v49
	v_mul_f32_e32 v21, v107, v21
	v_fmac_f32_e32 v133, v63, v46
	v_fma_f32 v18, v104, v18, -v19
	v_add_f32_e32 v3, v3, v132
	v_fmac_f32_e32 v134, v65, v48
	v_fma_f32 v19, v106, v20, -v21
	v_add_f32_e32 v18, 0, v18
	v_add_f32_e32 v3, v3, v133
	;; [unrolled: 1-line block ×4, first 2 shown]
	v_mul_f32_e32 v3, v101, v5
	v_add_f32_e32 v2, v18, v2
	v_fma_f32 v3, v100, v4, -v3
	v_add_f32_e32 v2, v2, v3
	v_mul_f32_e32 v3, v95, v7
	v_fma_f32 v3, v94, v6, -v3
	v_add_f32_e32 v2, v2, v3
	v_mul_f32_e32 v3, v97, v9
	;; [unrolled: 3-line block ×16, first 2 shown]
	v_fma_f32 v3, v64, v48, -v3
	s_waitcnt vmcnt(5) lgkmcnt(1)
	v_mul_f32_e32 v115, v78, v55
	v_add_f32_e32 v18, v2, v3
	v_mul_f32_e32 v2, v79, v55
	v_fmac_f32_e32 v115, v79, v54
	v_fma_f32 v114, v78, v54, -v2
	s_waitcnt vmcnt(4) lgkmcnt(0)
	v_pk_mul_f32 v[16:17], v[108:109], v[58:59] op_sel:[1,1] op_sel_hi:[0,1]
	v_mul_f32_e32 v117, v80, v57
	v_mul_f32_e32 v2, v81, v57
	v_pk_add_f32 v[14:15], v[18:19], v[114:115]
	v_pk_fma_f32 v[18:19], v[108:109], v[58:59], v[16:17] neg_lo:[0,0,1] neg_hi:[0,0,1]
	v_pk_fma_f32 v[16:17], v[108:109], v[58:59], v[16:17] op_sel_hi:[1,0,1]
	v_fmac_f32_e32 v117, v81, v56
	v_fma_f32 v116, v80, v56, -v2
	ds_read2_b64 v[2:5], v102 offset0:85 offset1:86
	ds_read2_b64 v[6:9], v102 offset0:87 offset1:88
	;; [unrolled: 1-line block ×3, first 2 shown]
	v_mov_b32_e32 v16, v61
	v_pk_add_f32 v[14:15], v[14:15], v[116:117]
	v_mov_b32_e32 v19, v17
	v_pk_mul_f32 v[16:17], v[110:111], v[16:17] op_sel:[1,0] op_sel_hi:[0,0]
	v_pk_add_f32 v[14:15], v[14:15], v[18:19]
	v_pk_fma_f32 v[18:19], v[110:111], v[60:61], v[16:17] neg_lo:[0,0,1] neg_hi:[0,0,1]
	v_pk_fma_f32 v[16:17], v[110:111], v[60:61], v[16:17] op_sel_hi:[1,0,1]
	s_nop 0
	v_mov_b32_e32 v19, v17
	s_waitcnt vmcnt(3) lgkmcnt(2)
	v_pk_mul_f32 v[16:17], v[2:3], v[50:51] op_sel:[1,1] op_sel_hi:[0,1]
	v_pk_add_f32 v[14:15], v[14:15], v[18:19]
	v_pk_fma_f32 v[18:19], v[2:3], v[50:51], v[16:17] neg_lo:[0,0,1] neg_hi:[0,0,1]
	v_pk_fma_f32 v[2:3], v[2:3], v[50:51], v[16:17] op_sel_hi:[1,0,1]
	s_nop 0
	v_mov_b32_e32 v19, v3
	v_pk_add_f32 v[2:3], v[14:15], v[18:19]
	v_mov_b32_e32 v14, v53
	v_pk_mul_f32 v[14:15], v[4:5], v[14:15] op_sel:[1,0] op_sel_hi:[0,0]
	v_pk_fma_f32 v[16:17], v[4:5], v[52:53], v[14:15] neg_lo:[0,0,1] neg_hi:[0,0,1]
	v_pk_fma_f32 v[4:5], v[4:5], v[52:53], v[14:15] op_sel_hi:[1,0,1]
	s_nop 0
	v_mov_b32_e32 v17, v5
	s_waitcnt vmcnt(2) lgkmcnt(1)
	v_pk_mul_f32 v[4:5], v[6:7], v[38:39] op_sel:[1,1] op_sel_hi:[0,1]
	v_pk_fma_f32 v[14:15], v[6:7], v[38:39], v[4:5] neg_lo:[0,0,1] neg_hi:[0,0,1]
	v_pk_fma_f32 v[4:5], v[6:7], v[38:39], v[4:5] op_sel_hi:[1,0,1]
	v_pk_add_f32 v[2:3], v[2:3], v[16:17]
	v_mov_b32_e32 v4, v41
	v_mov_b32_e32 v15, v5
	v_pk_mul_f32 v[4:5], v[8:9], v[4:5] op_sel:[1,0] op_sel_hi:[0,0]
	v_pk_fma_f32 v[6:7], v[8:9], v[40:41], v[4:5] neg_lo:[0,0,1] neg_hi:[0,0,1]
	v_pk_fma_f32 v[4:5], v[8:9], v[40:41], v[4:5] op_sel_hi:[1,0,1]
	v_pk_add_f32 v[2:3], v[2:3], v[14:15]
	v_mov_b32_e32 v7, v5
	s_waitcnt vmcnt(1) lgkmcnt(0)
	v_pk_mul_f32 v[4:5], v[10:11], v[26:27] op_sel:[1,1] op_sel_hi:[0,1]
	v_pk_add_f32 v[2:3], v[2:3], v[6:7]
	v_pk_fma_f32 v[6:7], v[10:11], v[26:27], v[4:5] neg_lo:[0,0,1] neg_hi:[0,0,1]
	v_pk_fma_f32 v[4:5], v[10:11], v[26:27], v[4:5] op_sel_hi:[1,0,1]
	s_nop 0
	v_mov_b32_e32 v4, v29
	v_mov_b32_e32 v7, v5
	v_pk_mul_f32 v[4:5], v[12:13], v[4:5] op_sel:[1,0] op_sel_hi:[0,0]
	v_pk_add_f32 v[2:3], v[2:3], v[6:7]
	v_pk_fma_f32 v[6:7], v[12:13], v[28:29], v[4:5] neg_lo:[0,0,1] neg_hi:[0,0,1]
	v_pk_fma_f32 v[4:5], v[12:13], v[28:29], v[4:5] op_sel_hi:[1,0,1]
	s_nop 0
	v_mov_b32_e32 v7, v5
	v_pk_add_f32 v[2:3], v[2:3], v[6:7]
	s_waitcnt vmcnt(0)
	v_pk_add_f32 v[2:3], v[112:113], v[2:3] neg_lo:[0,1] neg_hi:[0,1]
	scratch_store_dwordx2 off, v[2:3], off offset:112
	s_and_saveexec_b64 s[0:1], vcc
	s_cbranch_execz .LBB44_257
; %bb.256:
	scratch_load_dwordx2 v[2:3], off, off offset:104
	v_mov_b32_e32 v4, 0
	v_mov_b32_e32 v5, v4
	scratch_store_dwordx2 off, v[4:5], off offset:104
	s_waitcnt vmcnt(1)
	ds_write_b64 v1, v[2:3]
.LBB44_257:
	s_or_b64 exec, exec, s[0:1]
	s_waitcnt lgkmcnt(0)
	; wave barrier
	scratch_load_dwordx4 v[2:5], off, off offset:112
	scratch_load_dwordx4 v[6:9], off, off offset:128
	scratch_load_dwordx4 v[10:13], off, off offset:144
	scratch_load_dwordx4 v[14:17], off, off offset:160
	scratch_load_dwordx4 v[18:21], off, off offset:176
	scratch_load_dwordx4 v[22:25], off, off offset:192
	scratch_load_dwordx4 v[30:33], off, off offset:208
	scratch_load_dwordx4 v[34:37], off, off offset:224
	scratch_load_dwordx4 v[42:45], off, off offset:240
	scratch_load_dwordx4 v[46:49], off, off offset:256
	scratch_load_dwordx4 v[58:61], off, off offset:272
	scratch_load_dwordx4 v[54:57], off, off offset:288
	scratch_load_dwordx4 v[50:53], off, off offset:304
	scratch_load_dwordx4 v[38:41], off, off offset:320
	scratch_load_dwordx4 v[26:29], off, off offset:336
	scratch_load_dwordx2 v[62:63], off, off offset:352
	scratch_load_dwordx2 v[112:113], off, off offset:104
	v_mov_b32_e32 v114, 0
	ds_read_b128 v[64:67], v114 offset:480
	ds_read_b128 v[68:71], v114 offset:496
	;; [unrolled: 1-line block ×12, first 2 shown]
	v_cmp_lt_u32_e32 vcc, 12, v0
	s_waitcnt vmcnt(16) lgkmcnt(11)
	v_mul_f32_e32 v115, v64, v3
	v_mul_f32_e32 v116, v66, v5
	;; [unrolled: 1-line block ×3, first 2 shown]
	v_fmac_f32_e32 v115, v65, v2
	s_waitcnt vmcnt(15) lgkmcnt(10)
	v_mul_f32_e32 v118, v68, v7
	v_fmac_f32_e32 v116, v67, v4
	v_fma_f32 v2, v64, v2, -v3
	v_add_f32_e32 v3, 0, v115
	v_mul_f32_e32 v120, v70, v9
	v_fmac_f32_e32 v118, v69, v6
	v_add_f32_e32 v3, v3, v116
	s_waitcnt vmcnt(14) lgkmcnt(9)
	v_mul_f32_e32 v121, v72, v11
	v_fmac_f32_e32 v120, v71, v8
	v_add_f32_e32 v3, v3, v118
	v_mul_f32_e32 v122, v74, v13
	v_fmac_f32_e32 v121, v73, v10
	v_add_f32_e32 v3, v3, v120
	s_waitcnt vmcnt(13) lgkmcnt(8)
	v_mul_f32_e32 v123, v76, v15
	v_fmac_f32_e32 v122, v75, v12
	;; [unrolled: 7-line block ×9, first 2 shown]
	v_add_f32_e32 v3, v3, v135
	v_mul_f32_e32 v5, v67, v5
	v_fmac_f32_e32 v137, v105, v58
	v_add_f32_e32 v3, v3, v136
	v_add_f32_e32 v2, 0, v2
	v_add_f32_e32 v65, v3, v137
	v_fma_f32 v3, v66, v4, -v5
	v_add_f32_e32 v2, v2, v3
	v_mul_f32_e32 v3, v69, v7
	v_fma_f32 v3, v68, v6, -v3
	v_add_f32_e32 v2, v2, v3
	v_mul_f32_e32 v3, v71, v9
	;; [unrolled: 3-line block ×20, first 2 shown]
	v_mul_f32_e32 v117, v106, v61
	v_fma_f32 v116, v106, v60, -v2
	s_waitcnt vmcnt(5) lgkmcnt(0)
	v_mul_f32_e32 v2, v109, v55
	v_mov_b32_e32 v18, v57
	v_mul_f32_e32 v119, v108, v55
	v_fmac_f32_e32 v117, v107, v60
	v_fma_f32 v118, v108, v54, -v2
	ds_read_b128 v[2:5], v114 offset:672
	ds_read_b128 v[6:9], v114 offset:688
	;; [unrolled: 1-line block ×3, first 2 shown]
	ds_read_b64 v[14:15], v114 offset:720
	v_pk_mul_f32 v[18:19], v[110:111], v[18:19] op_sel:[1,0] op_sel_hi:[0,0]
	v_fmac_f32_e32 v119, v109, v54
	v_pk_add_f32 v[16:17], v[64:65], v[116:117]
	v_pk_fma_f32 v[20:21], v[110:111], v[56:57], v[18:19] neg_lo:[0,0,1] neg_hi:[0,0,1]
	v_pk_fma_f32 v[18:19], v[110:111], v[56:57], v[18:19] op_sel_hi:[1,0,1]
	v_pk_add_f32 v[16:17], v[16:17], v[118:119]
	v_mov_b32_e32 v21, v19
	s_waitcnt vmcnt(4) lgkmcnt(3)
	v_pk_mul_f32 v[18:19], v[2:3], v[50:51] op_sel:[1,1] op_sel_hi:[0,1]
	v_pk_add_f32 v[16:17], v[16:17], v[20:21]
	v_pk_fma_f32 v[20:21], v[2:3], v[50:51], v[18:19] neg_lo:[0,0,1] neg_hi:[0,0,1]
	v_pk_fma_f32 v[2:3], v[2:3], v[50:51], v[18:19] op_sel_hi:[1,0,1]
	s_nop 0
	v_mov_b32_e32 v21, v3
	v_pk_add_f32 v[2:3], v[16:17], v[20:21]
	v_mov_b32_e32 v16, v53
	v_pk_mul_f32 v[16:17], v[4:5], v[16:17] op_sel:[1,0] op_sel_hi:[0,0]
	v_pk_fma_f32 v[18:19], v[4:5], v[52:53], v[16:17] neg_lo:[0,0,1] neg_hi:[0,0,1]
	v_pk_fma_f32 v[4:5], v[4:5], v[52:53], v[16:17] op_sel_hi:[1,0,1]
	s_nop 0
	v_mov_b32_e32 v19, v5
	s_waitcnt vmcnt(3) lgkmcnt(2)
	v_pk_mul_f32 v[4:5], v[6:7], v[38:39] op_sel:[1,1] op_sel_hi:[0,1]
	v_pk_fma_f32 v[16:17], v[6:7], v[38:39], v[4:5] neg_lo:[0,0,1] neg_hi:[0,0,1]
	v_pk_fma_f32 v[4:5], v[6:7], v[38:39], v[4:5] op_sel_hi:[1,0,1]
	v_pk_add_f32 v[2:3], v[2:3], v[18:19]
	v_mov_b32_e32 v4, v41
	v_mov_b32_e32 v17, v5
	v_pk_mul_f32 v[4:5], v[8:9], v[4:5] op_sel:[1,0] op_sel_hi:[0,0]
	v_pk_fma_f32 v[6:7], v[8:9], v[40:41], v[4:5] neg_lo:[0,0,1] neg_hi:[0,0,1]
	v_pk_fma_f32 v[4:5], v[8:9], v[40:41], v[4:5] op_sel_hi:[1,0,1]
	v_pk_add_f32 v[2:3], v[2:3], v[16:17]
	v_mov_b32_e32 v7, v5
	s_waitcnt vmcnt(2) lgkmcnt(1)
	v_pk_mul_f32 v[4:5], v[10:11], v[26:27] op_sel:[1,1] op_sel_hi:[0,1]
	v_pk_add_f32 v[2:3], v[2:3], v[6:7]
	v_pk_fma_f32 v[6:7], v[10:11], v[26:27], v[4:5] neg_lo:[0,0,1] neg_hi:[0,0,1]
	v_pk_fma_f32 v[4:5], v[10:11], v[26:27], v[4:5] op_sel_hi:[1,0,1]
	s_nop 0
	v_mov_b32_e32 v4, v29
	v_mov_b32_e32 v7, v5
	v_pk_mul_f32 v[4:5], v[12:13], v[4:5] op_sel:[1,0] op_sel_hi:[0,0]
	v_pk_add_f32 v[2:3], v[2:3], v[6:7]
	v_pk_fma_f32 v[6:7], v[12:13], v[28:29], v[4:5] neg_lo:[0,0,1] neg_hi:[0,0,1]
	v_pk_fma_f32 v[4:5], v[12:13], v[28:29], v[4:5] op_sel_hi:[1,0,1]
	s_nop 0
	v_mov_b32_e32 v7, v5
	s_waitcnt vmcnt(1) lgkmcnt(0)
	v_pk_mul_f32 v[4:5], v[14:15], v[62:63] op_sel:[1,1] op_sel_hi:[0,1]
	v_pk_add_f32 v[2:3], v[2:3], v[6:7]
	v_pk_fma_f32 v[6:7], v[14:15], v[62:63], v[4:5] neg_lo:[0,0,1] neg_hi:[0,0,1]
	v_pk_fma_f32 v[4:5], v[14:15], v[62:63], v[4:5] op_sel_hi:[1,0,1]
	s_nop 0
	v_mov_b32_e32 v7, v5
	v_pk_add_f32 v[2:3], v[2:3], v[6:7]
	s_waitcnt vmcnt(0)
	v_pk_add_f32 v[2:3], v[112:113], v[2:3] neg_lo:[0,1] neg_hi:[0,1]
	scratch_store_dwordx2 off, v[2:3], off offset:104
	s_and_saveexec_b64 s[0:1], vcc
	s_cbranch_execz .LBB44_259
; %bb.258:
	scratch_load_dwordx2 v[2:3], off, off offset:96
	v_mov_b32_e32 v115, v114
	scratch_store_dwordx2 off, v[114:115], off offset:96
	s_waitcnt vmcnt(1)
	ds_write_b64 v1, v[2:3]
.LBB44_259:
	s_or_b64 exec, exec, s[0:1]
	s_waitcnt lgkmcnt(0)
	; wave barrier
	scratch_load_dwordx4 v[2:5], off, off offset:104
	scratch_load_dwordx4 v[6:9], off, off offset:120
	;; [unrolled: 1-line block ×12, first 2 shown]
	ds_read2_b64 v[110:113], v114 offset0:59 offset1:60
	ds_read2_b64 v[106:109], v114 offset0:61 offset1:62
	ds_read2_b64 v[102:105], v114 offset0:63 offset1:64
	ds_read2_b64 v[98:101], v114 offset0:65 offset1:66
	ds_read2_b64 v[94:97], v114 offset0:67 offset1:68
	ds_read2_b64 v[90:93], v114 offset0:69 offset1:70
	ds_read2_b64 v[86:89], v114 offset0:71 offset1:72
	ds_read2_b64 v[82:85], v114 offset0:73 offset1:74
	ds_read2_b64 v[78:81], v114 offset0:75 offset1:76
	ds_read2_b64 v[74:77], v114 offset0:77 offset1:78
	ds_read2_b64 v[70:73], v114 offset0:79 offset1:80
	ds_read2_b64 v[66:69], v114 offset0:81 offset1:82
	scratch_load_dwordx4 v[62:65], off, off offset:296
	scratch_load_dwordx4 v[54:57], off, off offset:312
	;; [unrolled: 1-line block ×4, first 2 shown]
	scratch_load_dwordx2 v[116:117], off, off offset:96
	v_cmp_lt_u32_e32 vcc, 11, v0
	s_waitcnt vmcnt(16) lgkmcnt(11)
	v_mul_f32_e32 v115, v110, v3
	v_mul_f32_e32 v118, v112, v5
	;; [unrolled: 1-line block ×3, first 2 shown]
	v_fmac_f32_e32 v115, v111, v2
	s_waitcnt vmcnt(15) lgkmcnt(10)
	v_mul_f32_e32 v120, v106, v7
	v_fmac_f32_e32 v118, v113, v4
	v_fma_f32 v2, v110, v2, -v3
	v_add_f32_e32 v3, 0, v115
	v_mul_f32_e32 v122, v108, v9
	v_fmac_f32_e32 v120, v107, v6
	v_add_f32_e32 v3, v3, v118
	s_waitcnt vmcnt(14) lgkmcnt(9)
	v_mul_f32_e32 v123, v102, v11
	v_fmac_f32_e32 v122, v109, v8
	v_add_f32_e32 v3, v3, v120
	v_mul_f32_e32 v124, v104, v13
	v_fmac_f32_e32 v123, v103, v10
	v_add_f32_e32 v3, v3, v122
	s_waitcnt vmcnt(13) lgkmcnt(8)
	v_mul_f32_e32 v125, v98, v15
	v_fmac_f32_e32 v124, v105, v12
	;; [unrolled: 7-line block ×9, first 2 shown]
	v_add_f32_e32 v3, v3, v137
	v_mul_f32_e32 v140, v72, v53
	v_fmac_f32_e32 v139, v71, v50
	v_add_f32_e32 v3, v3, v138
	v_fmac_f32_e32 v140, v73, v52
	v_add_f32_e32 v3, v3, v139
	v_add_f32_e32 v111, v3, v140
	v_mul_f32_e32 v3, v113, v5
	v_add_f32_e32 v2, 0, v2
	v_fma_f32 v3, v112, v4, -v3
	v_add_f32_e32 v2, v2, v3
	v_mul_f32_e32 v3, v107, v7
	v_fma_f32 v3, v106, v6, -v3
	v_add_f32_e32 v2, v2, v3
	v_mul_f32_e32 v3, v109, v9
	;; [unrolled: 3-line block ×20, first 2 shown]
	v_fma_f32 v3, v72, v52, -v3
	v_add_f32_e32 v110, v2, v3
	s_waitcnt vmcnt(5) lgkmcnt(0)
	v_mul_f32_e32 v2, v67, v59
	v_fma_f32 v118, v66, v58, -v2
	v_mul_f32_e32 v2, v69, v61
	v_fma_f32 v120, v68, v60, -v2
	ds_read2_b64 v[2:5], v114 offset0:83 offset1:84
	ds_read2_b64 v[6:9], v114 offset0:85 offset1:86
	;; [unrolled: 1-line block ×4, first 2 shown]
	v_mul_f32_e32 v119, v66, v59
	v_mul_f32_e32 v121, v68, v61
	v_fmac_f32_e32 v119, v67, v58
	s_waitcnt vmcnt(4) lgkmcnt(3)
	v_pk_mul_f32 v[20:21], v[2:3], v[62:63] op_sel:[1,1] op_sel_hi:[0,1]
	v_fmac_f32_e32 v121, v69, v60
	v_pk_add_f32 v[18:19], v[110:111], v[118:119]
	v_pk_fma_f32 v[22:23], v[2:3], v[62:63], v[20:21] neg_lo:[0,0,1] neg_hi:[0,0,1]
	v_pk_fma_f32 v[2:3], v[2:3], v[62:63], v[20:21] op_sel_hi:[1,0,1]
	v_pk_add_f32 v[18:19], v[18:19], v[120:121]
	v_mov_b32_e32 v23, v3
	v_pk_add_f32 v[2:3], v[18:19], v[22:23]
	v_mov_b32_e32 v18, v65
	v_pk_mul_f32 v[18:19], v[4:5], v[18:19] op_sel:[1,0] op_sel_hi:[0,0]
	v_pk_fma_f32 v[20:21], v[4:5], v[64:65], v[18:19] neg_lo:[0,0,1] neg_hi:[0,0,1]
	v_pk_fma_f32 v[4:5], v[4:5], v[64:65], v[18:19] op_sel_hi:[1,0,1]
	s_nop 0
	v_mov_b32_e32 v21, v5
	s_waitcnt vmcnt(3) lgkmcnt(2)
	v_pk_mul_f32 v[4:5], v[6:7], v[54:55] op_sel:[1,1] op_sel_hi:[0,1]
	v_pk_fma_f32 v[18:19], v[6:7], v[54:55], v[4:5] neg_lo:[0,0,1] neg_hi:[0,0,1]
	v_pk_fma_f32 v[4:5], v[6:7], v[54:55], v[4:5] op_sel_hi:[1,0,1]
	v_pk_add_f32 v[2:3], v[2:3], v[20:21]
	v_mov_b32_e32 v4, v57
	v_mov_b32_e32 v19, v5
	v_pk_mul_f32 v[4:5], v[8:9], v[4:5] op_sel:[1,0] op_sel_hi:[0,0]
	v_pk_fma_f32 v[6:7], v[8:9], v[56:57], v[4:5] neg_lo:[0,0,1] neg_hi:[0,0,1]
	v_pk_fma_f32 v[4:5], v[8:9], v[56:57], v[4:5] op_sel_hi:[1,0,1]
	v_pk_add_f32 v[2:3], v[2:3], v[18:19]
	v_mov_b32_e32 v7, v5
	s_waitcnt vmcnt(2) lgkmcnt(1)
	v_pk_mul_f32 v[4:5], v[10:11], v[42:43] op_sel:[1,1] op_sel_hi:[0,1]
	v_pk_add_f32 v[2:3], v[2:3], v[6:7]
	v_pk_fma_f32 v[6:7], v[10:11], v[42:43], v[4:5] neg_lo:[0,0,1] neg_hi:[0,0,1]
	v_pk_fma_f32 v[4:5], v[10:11], v[42:43], v[4:5] op_sel_hi:[1,0,1]
	s_nop 0
	v_mov_b32_e32 v4, v45
	v_mov_b32_e32 v7, v5
	v_pk_mul_f32 v[4:5], v[12:13], v[4:5] op_sel:[1,0] op_sel_hi:[0,0]
	v_pk_add_f32 v[2:3], v[2:3], v[6:7]
	v_pk_fma_f32 v[6:7], v[12:13], v[44:45], v[4:5] neg_lo:[0,0,1] neg_hi:[0,0,1]
	v_pk_fma_f32 v[4:5], v[12:13], v[44:45], v[4:5] op_sel_hi:[1,0,1]
	s_nop 0
	v_mov_b32_e32 v7, v5
	s_waitcnt vmcnt(1) lgkmcnt(0)
	v_pk_mul_f32 v[4:5], v[14:15], v[34:35] op_sel:[1,1] op_sel_hi:[0,1]
	v_pk_add_f32 v[2:3], v[2:3], v[6:7]
	v_pk_fma_f32 v[6:7], v[14:15], v[34:35], v[4:5] neg_lo:[0,0,1] neg_hi:[0,0,1]
	v_pk_fma_f32 v[4:5], v[14:15], v[34:35], v[4:5] op_sel_hi:[1,0,1]
	s_nop 0
	v_mov_b32_e32 v4, v37
	v_mov_b32_e32 v7, v5
	v_pk_mul_f32 v[4:5], v[16:17], v[4:5] op_sel:[1,0] op_sel_hi:[0,0]
	v_pk_add_f32 v[2:3], v[2:3], v[6:7]
	v_pk_fma_f32 v[6:7], v[16:17], v[36:37], v[4:5] neg_lo:[0,0,1] neg_hi:[0,0,1]
	v_pk_fma_f32 v[4:5], v[16:17], v[36:37], v[4:5] op_sel_hi:[1,0,1]
	s_nop 0
	v_mov_b32_e32 v7, v5
	v_pk_add_f32 v[2:3], v[2:3], v[6:7]
	s_waitcnt vmcnt(0)
	v_pk_add_f32 v[2:3], v[116:117], v[2:3] neg_lo:[0,1] neg_hi:[0,1]
	scratch_store_dwordx2 off, v[2:3], off offset:96
	s_and_saveexec_b64 s[0:1], vcc
	s_cbranch_execz .LBB44_261
; %bb.260:
	scratch_load_dwordx2 v[2:3], off, off offset:88
	v_mov_b32_e32 v4, 0
	v_mov_b32_e32 v5, v4
	scratch_store_dwordx2 off, v[4:5], off offset:88
	s_waitcnt vmcnt(1)
	ds_write_b64 v1, v[2:3]
.LBB44_261:
	s_or_b64 exec, exec, s[0:1]
	s_waitcnt lgkmcnt(0)
	; wave barrier
	scratch_load_dwordx4 v[2:5], off, off offset:96
	scratch_load_dwordx4 v[6:9], off, off offset:112
	;; [unrolled: 1-line block ×13, first 2 shown]
	v_mov_b32_e32 v106, 0
	scratch_load_dwordx2 v[124:125], off, off offset:88
	ds_read_b128 v[54:57], v106 offset:464
	ds_read_b128 v[58:61], v106 offset:480
	;; [unrolled: 1-line block ×14, first 2 shown]
	v_cmp_lt_u32_e32 vcc, 10, v0
	s_waitcnt vmcnt(13) lgkmcnt(13)
	v_mul_f32_e32 v107, v54, v3
	v_mul_f32_e32 v112, v56, v5
	v_fmac_f32_e32 v107, v55, v2
	s_waitcnt vmcnt(12) lgkmcnt(12)
	v_mul_f32_e32 v113, v58, v7
	v_fmac_f32_e32 v112, v57, v4
	v_add_f32_e32 v107, 0, v107
	v_mul_f32_e32 v114, v60, v9
	v_fmac_f32_e32 v113, v59, v6
	v_add_f32_e32 v107, v107, v112
	s_waitcnt vmcnt(11) lgkmcnt(11)
	v_mul_f32_e32 v115, v62, v11
	v_fmac_f32_e32 v114, v61, v8
	v_add_f32_e32 v107, v107, v113
	v_mul_f32_e32 v116, v64, v13
	v_fmac_f32_e32 v115, v63, v10
	v_add_f32_e32 v107, v107, v114
	;; [unrolled: 7-line block ×8, first 2 shown]
	s_waitcnt vmcnt(4) lgkmcnt(4)
	v_mul_f32_e32 v133, v90, v39
	v_fmac_f32_e32 v132, v89, v36
	v_add_f32_e32 v107, v107, v131
	v_fmac_f32_e32 v133, v91, v38
	v_add_f32_e32 v107, v107, v132
	v_add_f32_e32 v107, v107, v133
	scratch_load_dwordx4 v[112:115], off, off offset:304
	scratch_load_dwordx4 v[116:119], off, off offset:320
	;; [unrolled: 1-line block ×3, first 2 shown]
	scratch_load_dwordx2 v[132:133], off, off offset:352
	v_mul_f32_e32 v3, v55, v3
	v_fma_f32 v2, v54, v2, -v3
	v_mul_f32_e32 v3, v57, v5
	v_add_f32_e32 v2, 0, v2
	v_fma_f32 v3, v56, v4, -v3
	v_add_f32_e32 v2, v2, v3
	v_mul_f32_e32 v3, v59, v7
	v_fma_f32 v3, v58, v6, -v3
	v_add_f32_e32 v2, v2, v3
	v_mul_f32_e32 v3, v61, v9
	;; [unrolled: 3-line block ×18, first 2 shown]
	v_fma_f32 v3, v92, v40, -v3
	v_add_f32_e32 v2, v2, v3
	s_waitcnt vmcnt(7) lgkmcnt(3)
	v_mul_f32_e32 v3, v95, v43
	v_fma_f32 v3, v94, v42, -v3
	v_mul_f32_e32 v134, v92, v41
	v_add_f32_e32 v2, v2, v3
	v_mul_f32_e32 v3, v97, v45
	v_mul_f32_e32 v135, v94, v43
	v_fmac_f32_e32 v134, v93, v40
	v_fma_f32 v3, v96, v44, -v3
	v_mul_f32_e32 v136, v96, v45
	v_fmac_f32_e32 v135, v95, v42
	v_add_f32_e32 v107, v107, v134
	v_add_f32_e32 v2, v2, v3
	s_waitcnt vmcnt(6) lgkmcnt(2)
	v_mul_f32_e32 v3, v99, v47
	v_mul_f32_e32 v137, v98, v47
	v_fmac_f32_e32 v136, v97, v44
	v_add_f32_e32 v107, v107, v135
	v_fma_f32 v3, v98, v46, -v3
	v_mul_f32_e32 v127, v100, v49
	v_fmac_f32_e32 v137, v99, v46
	v_add_f32_e32 v107, v107, v136
	v_add_f32_e32 v130, v2, v3
	v_mul_f32_e32 v2, v101, v49
	s_waitcnt vmcnt(5)
	v_mov_b32_e32 v14, v53
	s_waitcnt lgkmcnt(1)
	v_mul_f32_e32 v129, v102, v51
	v_fmac_f32_e32 v127, v101, v48
	v_add_f32_e32 v131, v107, v137
	v_fma_f32 v126, v100, v48, -v2
	v_mul_f32_e32 v2, v103, v51
	v_pk_mul_f32 v[14:15], v[104:105], v[14:15] op_sel:[1,0] op_sel_hi:[0,0]
	v_fmac_f32_e32 v129, v103, v50
	v_fma_f32 v128, v102, v50, -v2
	v_pk_add_f32 v[12:13], v[130:131], v[126:127]
	v_pk_fma_f32 v[16:17], v[104:105], v[52:53], v[14:15] neg_lo:[0,0,1] neg_hi:[0,0,1]
	v_pk_fma_f32 v[14:15], v[104:105], v[52:53], v[14:15] op_sel_hi:[1,0,1]
	v_pk_add_f32 v[12:13], v[12:13], v[128:129]
	v_mov_b32_e32 v17, v15
	s_waitcnt vmcnt(3) lgkmcnt(0)
	v_pk_mul_f32 v[14:15], v[108:109], v[112:113] op_sel:[1,1] op_sel_hi:[0,1]
	v_pk_add_f32 v[12:13], v[12:13], v[16:17]
	v_pk_fma_f32 v[16:17], v[108:109], v[112:113], v[14:15] neg_lo:[0,0,1] neg_hi:[0,0,1]
	v_pk_fma_f32 v[14:15], v[108:109], v[112:113], v[14:15] op_sel_hi:[1,0,1]
	ds_read_b128 v[2:5], v106 offset:688
	ds_read_b128 v[6:9], v106 offset:704
	ds_read_b64 v[10:11], v106 offset:720
	v_mov_b32_e32 v14, v115
	v_mov_b32_e32 v17, v15
	v_pk_mul_f32 v[14:15], v[110:111], v[14:15] op_sel:[1,0] op_sel_hi:[0,0]
	v_pk_add_f32 v[12:13], v[12:13], v[16:17]
	v_pk_fma_f32 v[16:17], v[110:111], v[114:115], v[14:15] neg_lo:[0,0,1] neg_hi:[0,0,1]
	v_pk_fma_f32 v[14:15], v[110:111], v[114:115], v[14:15] op_sel_hi:[1,0,1]
	s_nop 0
	v_mov_b32_e32 v17, v15
	s_waitcnt vmcnt(2) lgkmcnt(2)
	v_pk_mul_f32 v[14:15], v[2:3], v[116:117] op_sel:[1,1] op_sel_hi:[0,1]
	v_pk_add_f32 v[12:13], v[12:13], v[16:17]
	v_pk_fma_f32 v[16:17], v[2:3], v[116:117], v[14:15] neg_lo:[0,0,1] neg_hi:[0,0,1]
	v_pk_fma_f32 v[2:3], v[2:3], v[116:117], v[14:15] op_sel_hi:[1,0,1]
	s_nop 0
	v_mov_b32_e32 v17, v3
	v_pk_add_f32 v[2:3], v[12:13], v[16:17]
	v_mov_b32_e32 v12, v119
	v_pk_mul_f32 v[12:13], v[4:5], v[12:13] op_sel:[1,0] op_sel_hi:[0,0]
	v_pk_fma_f32 v[14:15], v[4:5], v[118:119], v[12:13] neg_lo:[0,0,1] neg_hi:[0,0,1]
	v_pk_fma_f32 v[4:5], v[4:5], v[118:119], v[12:13] op_sel_hi:[1,0,1]
	s_nop 0
	v_mov_b32_e32 v15, v5
	s_waitcnt vmcnt(1) lgkmcnt(1)
	v_pk_mul_f32 v[4:5], v[6:7], v[120:121] op_sel:[1,1] op_sel_hi:[0,1]
	v_pk_fma_f32 v[12:13], v[6:7], v[120:121], v[4:5] neg_lo:[0,0,1] neg_hi:[0,0,1]
	v_pk_fma_f32 v[4:5], v[6:7], v[120:121], v[4:5] op_sel_hi:[1,0,1]
	v_pk_add_f32 v[2:3], v[2:3], v[14:15]
	v_mov_b32_e32 v4, v123
	v_mov_b32_e32 v13, v5
	v_pk_mul_f32 v[4:5], v[8:9], v[4:5] op_sel:[1,0] op_sel_hi:[0,0]
	v_pk_fma_f32 v[6:7], v[8:9], v[122:123], v[4:5] neg_lo:[0,0,1] neg_hi:[0,0,1]
	v_pk_fma_f32 v[4:5], v[8:9], v[122:123], v[4:5] op_sel_hi:[1,0,1]
	v_pk_add_f32 v[2:3], v[2:3], v[12:13]
	v_mov_b32_e32 v7, v5
	s_waitcnt vmcnt(0) lgkmcnt(0)
	v_pk_mul_f32 v[4:5], v[10:11], v[132:133] op_sel:[1,1] op_sel_hi:[0,1]
	v_pk_add_f32 v[2:3], v[2:3], v[6:7]
	v_pk_fma_f32 v[6:7], v[10:11], v[132:133], v[4:5] neg_lo:[0,0,1] neg_hi:[0,0,1]
	v_pk_fma_f32 v[4:5], v[10:11], v[132:133], v[4:5] op_sel_hi:[1,0,1]
	s_nop 0
	v_mov_b32_e32 v7, v5
	v_pk_add_f32 v[2:3], v[2:3], v[6:7]
	s_nop 0
	v_pk_add_f32 v[2:3], v[124:125], v[2:3] neg_lo:[0,1] neg_hi:[0,1]
	scratch_store_dwordx2 off, v[2:3], off offset:88
	s_and_saveexec_b64 s[0:1], vcc
	s_cbranch_execz .LBB44_263
; %bb.262:
	scratch_load_dwordx2 v[2:3], off, off offset:80
	v_mov_b32_e32 v107, v106
	scratch_store_dwordx2 off, v[106:107], off offset:80
	s_waitcnt vmcnt(1)
	ds_write_b64 v1, v[2:3]
.LBB44_263:
	s_or_b64 exec, exec, s[0:1]
	s_waitcnt lgkmcnt(0)
	; wave barrier
	scratch_load_dwordx4 v[2:5], off, off offset:88
	scratch_load_dwordx4 v[6:9], off, off offset:104
	;; [unrolled: 1-line block ×13, first 2 shown]
	ds_read2_b64 v[102:105], v106 offset0:57 offset1:58
	ds_read2_b64 v[98:101], v106 offset0:59 offset1:60
	;; [unrolled: 1-line block ×14, first 2 shown]
	scratch_load_dwordx2 v[128:129], off, off offset:80
	v_cmp_lt_u32_e32 vcc, 9, v0
	s_waitcnt vmcnt(13) lgkmcnt(13)
	v_mul_f32_e32 v107, v102, v3
	v_mul_f32_e32 v112, v104, v5
	v_fmac_f32_e32 v107, v103, v2
	s_waitcnt vmcnt(12) lgkmcnt(12)
	v_mul_f32_e32 v113, v98, v7
	v_fmac_f32_e32 v112, v105, v4
	v_add_f32_e32 v107, 0, v107
	v_mul_f32_e32 v114, v100, v9
	v_fmac_f32_e32 v113, v99, v6
	v_add_f32_e32 v107, v107, v112
	s_waitcnt vmcnt(11) lgkmcnt(11)
	v_mul_f32_e32 v115, v94, v11
	v_fmac_f32_e32 v114, v101, v8
	v_add_f32_e32 v107, v107, v113
	v_mul_f32_e32 v116, v96, v13
	v_fmac_f32_e32 v115, v95, v10
	v_add_f32_e32 v107, v107, v114
	;; [unrolled: 7-line block ×7, first 2 shown]
	s_waitcnt vmcnt(5) lgkmcnt(5)
	v_mul_f32_e32 v127, v70, v35
	v_fmac_f32_e32 v126, v77, v32
	v_add_f32_e32 v107, v107, v125
	v_fmac_f32_e32 v127, v71, v34
	v_add_f32_e32 v107, v107, v126
	v_add_f32_e32 v107, v107, v127
	scratch_load_dwordx4 v[112:115], off, off offset:296
	scratch_load_dwordx4 v[116:119], off, off offset:312
	;; [unrolled: 1-line block ×4, first 2 shown]
	v_mul_f32_e32 v3, v103, v3
	v_fma_f32 v2, v102, v2, -v3
	v_mul_f32_e32 v3, v105, v5
	v_add_f32_e32 v2, 0, v2
	v_fma_f32 v3, v104, v4, -v3
	v_add_f32_e32 v2, v2, v3
	v_mul_f32_e32 v3, v99, v7
	v_fma_f32 v3, v98, v6, -v3
	v_add_f32_e32 v2, v2, v3
	v_mul_f32_e32 v3, v101, v9
	;; [unrolled: 3-line block ×16, first 2 shown]
	v_fma_f32 v3, v72, v36, -v3
	v_add_f32_e32 v2, v2, v3
	s_waitcnt vmcnt(8) lgkmcnt(4)
	v_mul_f32_e32 v3, v67, v39
	v_fma_f32 v3, v66, v38, -v3
	v_add_f32_e32 v2, v2, v3
	v_mul_f32_e32 v3, v69, v41
	v_fma_f32 v3, v68, v40, -v3
	v_add_f32_e32 v2, v2, v3
	s_waitcnt vmcnt(7) lgkmcnt(3)
	v_mul_f32_e32 v3, v63, v43
	v_mul_f32_e32 v130, v72, v37
	v_fma_f32 v3, v62, v42, -v3
	v_mul_f32_e32 v132, v66, v39
	v_fmac_f32_e32 v130, v73, v36
	v_add_f32_e32 v2, v2, v3
	v_mul_f32_e32 v3, v65, v45
	v_mul_f32_e32 v134, v68, v41
	v_fmac_f32_e32 v132, v67, v38
	v_add_f32_e32 v107, v107, v130
	v_fma_f32 v3, v64, v44, -v3
	v_mul_f32_e32 v135, v62, v43
	v_fmac_f32_e32 v134, v69, v40
	v_add_f32_e32 v107, v107, v132
	v_add_f32_e32 v2, v2, v3
	s_waitcnt vmcnt(6) lgkmcnt(2)
	v_mul_f32_e32 v3, v59, v47
	v_mul_f32_e32 v136, v64, v45
	v_fmac_f32_e32 v135, v63, v42
	v_add_f32_e32 v107, v107, v134
	v_fma_f32 v3, v58, v46, -v3
	v_mul_f32_e32 v137, v58, v47
	v_fmac_f32_e32 v136, v65, v44
	v_add_f32_e32 v107, v107, v135
	v_add_f32_e32 v2, v2, v3
	v_mul_f32_e32 v3, v61, v49
	v_mul_f32_e32 v138, v60, v49
	v_fmac_f32_e32 v137, v59, v46
	v_add_f32_e32 v107, v107, v136
	v_fma_f32 v3, v60, v48, -v3
	s_waitcnt vmcnt(5) lgkmcnt(1)
	v_mul_f32_e32 v131, v54, v51
	v_fmac_f32_e32 v138, v61, v48
	v_add_f32_e32 v107, v107, v137
	v_add_f32_e32 v134, v2, v3
	v_mul_f32_e32 v2, v55, v51
	s_waitcnt vmcnt(3) lgkmcnt(0)
	v_pk_mul_f32 v[16:17], v[108:109], v[112:113] op_sel:[1,1] op_sel_hi:[0,1]
	v_mul_f32_e32 v133, v56, v53
	v_fmac_f32_e32 v131, v55, v50
	v_add_f32_e32 v135, v107, v138
	v_fma_f32 v130, v54, v50, -v2
	v_mul_f32_e32 v2, v57, v53
	v_pk_fma_f32 v[18:19], v[108:109], v[112:113], v[16:17] neg_lo:[0,0,1] neg_hi:[0,0,1]
	v_pk_fma_f32 v[16:17], v[108:109], v[112:113], v[16:17] op_sel_hi:[1,0,1]
	v_fmac_f32_e32 v133, v57, v52
	v_fma_f32 v132, v56, v52, -v2
	ds_read2_b64 v[2:5], v106 offset0:85 offset1:86
	ds_read2_b64 v[6:9], v106 offset0:87 offset1:88
	ds_read2_b64 v[10:13], v106 offset0:89 offset1:90
	v_pk_add_f32 v[14:15], v[134:135], v[130:131]
	v_mov_b32_e32 v16, v115
	v_pk_add_f32 v[14:15], v[14:15], v[132:133]
	v_mov_b32_e32 v19, v17
	v_pk_mul_f32 v[16:17], v[110:111], v[16:17] op_sel:[1,0] op_sel_hi:[0,0]
	v_pk_add_f32 v[14:15], v[14:15], v[18:19]
	v_pk_fma_f32 v[18:19], v[110:111], v[114:115], v[16:17] neg_lo:[0,0,1] neg_hi:[0,0,1]
	v_pk_fma_f32 v[16:17], v[110:111], v[114:115], v[16:17] op_sel_hi:[1,0,1]
	s_nop 0
	v_mov_b32_e32 v19, v17
	s_waitcnt vmcnt(2) lgkmcnt(2)
	v_pk_mul_f32 v[16:17], v[2:3], v[116:117] op_sel:[1,1] op_sel_hi:[0,1]
	v_pk_add_f32 v[14:15], v[14:15], v[18:19]
	v_pk_fma_f32 v[18:19], v[2:3], v[116:117], v[16:17] neg_lo:[0,0,1] neg_hi:[0,0,1]
	v_pk_fma_f32 v[2:3], v[2:3], v[116:117], v[16:17] op_sel_hi:[1,0,1]
	s_nop 0
	v_mov_b32_e32 v19, v3
	v_pk_add_f32 v[2:3], v[14:15], v[18:19]
	v_mov_b32_e32 v14, v119
	v_pk_mul_f32 v[14:15], v[4:5], v[14:15] op_sel:[1,0] op_sel_hi:[0,0]
	v_pk_fma_f32 v[16:17], v[4:5], v[118:119], v[14:15] neg_lo:[0,0,1] neg_hi:[0,0,1]
	v_pk_fma_f32 v[4:5], v[4:5], v[118:119], v[14:15] op_sel_hi:[1,0,1]
	s_nop 0
	v_mov_b32_e32 v17, v5
	s_waitcnt vmcnt(1) lgkmcnt(1)
	v_pk_mul_f32 v[4:5], v[6:7], v[120:121] op_sel:[1,1] op_sel_hi:[0,1]
	v_pk_fma_f32 v[14:15], v[6:7], v[120:121], v[4:5] neg_lo:[0,0,1] neg_hi:[0,0,1]
	v_pk_fma_f32 v[4:5], v[6:7], v[120:121], v[4:5] op_sel_hi:[1,0,1]
	v_pk_add_f32 v[2:3], v[2:3], v[16:17]
	v_mov_b32_e32 v4, v123
	v_mov_b32_e32 v15, v5
	v_pk_mul_f32 v[4:5], v[8:9], v[4:5] op_sel:[1,0] op_sel_hi:[0,0]
	v_pk_fma_f32 v[6:7], v[8:9], v[122:123], v[4:5] neg_lo:[0,0,1] neg_hi:[0,0,1]
	v_pk_fma_f32 v[4:5], v[8:9], v[122:123], v[4:5] op_sel_hi:[1,0,1]
	v_pk_add_f32 v[2:3], v[2:3], v[14:15]
	v_mov_b32_e32 v7, v5
	s_waitcnt vmcnt(0) lgkmcnt(0)
	v_pk_mul_f32 v[4:5], v[10:11], v[124:125] op_sel:[1,1] op_sel_hi:[0,1]
	v_pk_add_f32 v[2:3], v[2:3], v[6:7]
	v_pk_fma_f32 v[6:7], v[10:11], v[124:125], v[4:5] neg_lo:[0,0,1] neg_hi:[0,0,1]
	v_pk_fma_f32 v[4:5], v[10:11], v[124:125], v[4:5] op_sel_hi:[1,0,1]
	s_nop 0
	v_mov_b32_e32 v4, v127
	v_mov_b32_e32 v7, v5
	v_pk_mul_f32 v[4:5], v[12:13], v[4:5] op_sel:[1,0] op_sel_hi:[0,0]
	v_pk_add_f32 v[2:3], v[2:3], v[6:7]
	v_pk_fma_f32 v[6:7], v[12:13], v[126:127], v[4:5] neg_lo:[0,0,1] neg_hi:[0,0,1]
	v_pk_fma_f32 v[4:5], v[12:13], v[126:127], v[4:5] op_sel_hi:[1,0,1]
	s_nop 0
	v_mov_b32_e32 v7, v5
	v_pk_add_f32 v[2:3], v[2:3], v[6:7]
	s_nop 0
	v_pk_add_f32 v[2:3], v[128:129], v[2:3] neg_lo:[0,1] neg_hi:[0,1]
	scratch_store_dwordx2 off, v[2:3], off offset:80
	s_and_saveexec_b64 s[0:1], vcc
	s_cbranch_execz .LBB44_265
; %bb.264:
	scratch_load_dwordx2 v[2:3], off, off offset:72
	v_mov_b32_e32 v4, 0
	v_mov_b32_e32 v5, v4
	scratch_store_dwordx2 off, v[4:5], off offset:72
	s_waitcnt vmcnt(1)
	ds_write_b64 v1, v[2:3]
.LBB44_265:
	s_or_b64 exec, exec, s[0:1]
	s_waitcnt lgkmcnt(0)
	; wave barrier
	scratch_load_dwordx4 v[2:5], off, off offset:80
	scratch_load_dwordx4 v[6:9], off, off offset:96
	;; [unrolled: 1-line block ×13, first 2 shown]
	v_mov_b32_e32 v114, 0
	scratch_load_dwordx4 v[54:57], off, off offset:288
	scratch_load_dwordx2 v[128:129], off, off offset:72
	ds_read_b128 v[58:61], v114 offset:448
	ds_read_b128 v[62:65], v114 offset:464
	;; [unrolled: 1-line block ×14, first 2 shown]
	v_cmp_lt_u32_e32 vcc, 8, v0
	s_waitcnt vmcnt(14) lgkmcnt(13)
	v_mul_f32_e32 v115, v58, v3
	v_mul_f32_e32 v116, v60, v5
	v_fmac_f32_e32 v115, v59, v2
	s_waitcnt vmcnt(13) lgkmcnt(12)
	v_mul_f32_e32 v117, v62, v7
	v_fmac_f32_e32 v116, v61, v4
	v_add_f32_e32 v115, 0, v115
	v_mul_f32_e32 v118, v64, v9
	v_fmac_f32_e32 v117, v63, v6
	v_add_f32_e32 v115, v115, v116
	s_waitcnt vmcnt(12) lgkmcnt(11)
	v_mul_f32_e32 v119, v66, v11
	v_fmac_f32_e32 v118, v65, v8
	v_add_f32_e32 v115, v115, v117
	v_mul_f32_e32 v120, v68, v13
	v_fmac_f32_e32 v119, v67, v10
	v_add_f32_e32 v115, v115, v118
	;; [unrolled: 7-line block ×6, first 2 shown]
	s_waitcnt vmcnt(7) lgkmcnt(6)
	v_mul_f32_e32 v131, v86, v31
	v_fmac_f32_e32 v130, v85, v28
	v_add_f32_e32 v115, v115, v127
	scratch_load_dwordx4 v[116:119], off, off offset:304
	v_mul_f32_e32 v132, v88, v33
	v_fmac_f32_e32 v131, v87, v30
	v_add_f32_e32 v115, v115, v130
	s_waitcnt vmcnt(7) lgkmcnt(5)
	v_mul_f32_e32 v133, v90, v35
	v_fmac_f32_e32 v132, v89, v32
	v_add_f32_e32 v115, v115, v131
	v_mul_f32_e32 v134, v92, v37
	v_fmac_f32_e32 v133, v91, v34
	v_add_f32_e32 v115, v115, v132
	s_waitcnt vmcnt(6) lgkmcnt(4)
	v_mul_f32_e32 v135, v94, v39
	v_fmac_f32_e32 v134, v93, v36
	v_add_f32_e32 v115, v115, v133
	;; [unrolled: 7-line block ×3, first 2 shown]
	v_fmac_f32_e32 v137, v99, v42
	v_add_f32_e32 v115, v115, v136
	v_add_f32_e32 v115, v115, v137
	scratch_load_dwordx4 v[120:123], off, off offset:320
	scratch_load_dwordx4 v[124:127], off, off offset:336
	scratch_load_dwordx2 v[136:137], off, off offset:352
	v_mul_f32_e32 v3, v59, v3
	v_fma_f32 v2, v58, v2, -v3
	v_mul_f32_e32 v3, v61, v5
	v_add_f32_e32 v2, 0, v2
	v_fma_f32 v3, v60, v4, -v3
	v_add_f32_e32 v2, v2, v3
	v_mul_f32_e32 v3, v63, v7
	v_fma_f32 v3, v62, v6, -v3
	v_add_f32_e32 v2, v2, v3
	v_mul_f32_e32 v3, v65, v9
	;; [unrolled: 3-line block ×20, first 2 shown]
	v_fma_f32 v3, v100, v44, -v3
	v_add_f32_e32 v2, v2, v3
	s_waitcnt vmcnt(7) lgkmcnt(2)
	v_mul_f32_e32 v3, v103, v47
	v_fma_f32 v3, v102, v46, -v3
	v_add_f32_e32 v2, v2, v3
	v_mul_f32_e32 v3, v105, v49
	v_mul_f32_e32 v138, v100, v45
	v_fma_f32 v3, v104, v48, -v3
	v_mul_f32_e32 v139, v102, v47
	v_fmac_f32_e32 v138, v101, v44
	v_add_f32_e32 v2, v2, v3
	s_waitcnt vmcnt(6) lgkmcnt(1)
	v_mul_f32_e32 v3, v107, v51
	v_mul_f32_e32 v140, v104, v49
	v_fmac_f32_e32 v139, v103, v46
	v_add_f32_e32 v115, v115, v138
	v_fma_f32 v3, v106, v50, -v3
	v_mul_f32_e32 v141, v106, v51
	v_fmac_f32_e32 v140, v105, v48
	v_add_f32_e32 v115, v115, v139
	v_add_f32_e32 v130, v2, v3
	v_mul_f32_e32 v2, v109, v53
	v_fmac_f32_e32 v141, v107, v50
	v_add_f32_e32 v115, v115, v140
	v_mul_f32_e32 v133, v108, v53
	v_fma_f32 v132, v108, v52, -v2
	s_waitcnt vmcnt(5) lgkmcnt(0)
	v_mul_f32_e32 v2, v111, v55
	v_mov_b32_e32 v18, v57
	v_add_f32_e32 v131, v115, v141
	v_fmac_f32_e32 v133, v109, v52
	v_mul_f32_e32 v135, v110, v55
	v_fma_f32 v134, v110, v54, -v2
	ds_read_b128 v[2:5], v114 offset:672
	ds_read_b128 v[6:9], v114 offset:688
	;; [unrolled: 1-line block ×3, first 2 shown]
	ds_read_b64 v[14:15], v114 offset:720
	v_pk_mul_f32 v[18:19], v[112:113], v[18:19] op_sel:[1,0] op_sel_hi:[0,0]
	v_fmac_f32_e32 v135, v111, v54
	v_pk_add_f32 v[16:17], v[130:131], v[132:133]
	v_pk_fma_f32 v[20:21], v[112:113], v[56:57], v[18:19] neg_lo:[0,0,1] neg_hi:[0,0,1]
	v_pk_fma_f32 v[18:19], v[112:113], v[56:57], v[18:19] op_sel_hi:[1,0,1]
	v_pk_add_f32 v[16:17], v[16:17], v[134:135]
	v_mov_b32_e32 v21, v19
	s_waitcnt vmcnt(3) lgkmcnt(3)
	v_pk_mul_f32 v[18:19], v[2:3], v[116:117] op_sel:[1,1] op_sel_hi:[0,1]
	v_pk_add_f32 v[16:17], v[16:17], v[20:21]
	v_pk_fma_f32 v[20:21], v[2:3], v[116:117], v[18:19] neg_lo:[0,0,1] neg_hi:[0,0,1]
	v_pk_fma_f32 v[2:3], v[2:3], v[116:117], v[18:19] op_sel_hi:[1,0,1]
	s_nop 0
	v_mov_b32_e32 v21, v3
	v_pk_add_f32 v[2:3], v[16:17], v[20:21]
	v_mov_b32_e32 v16, v119
	v_pk_mul_f32 v[16:17], v[4:5], v[16:17] op_sel:[1,0] op_sel_hi:[0,0]
	v_pk_fma_f32 v[18:19], v[4:5], v[118:119], v[16:17] neg_lo:[0,0,1] neg_hi:[0,0,1]
	v_pk_fma_f32 v[4:5], v[4:5], v[118:119], v[16:17] op_sel_hi:[1,0,1]
	s_nop 0
	v_mov_b32_e32 v19, v5
	s_waitcnt vmcnt(2) lgkmcnt(2)
	v_pk_mul_f32 v[4:5], v[6:7], v[120:121] op_sel:[1,1] op_sel_hi:[0,1]
	v_pk_fma_f32 v[16:17], v[6:7], v[120:121], v[4:5] neg_lo:[0,0,1] neg_hi:[0,0,1]
	v_pk_fma_f32 v[4:5], v[6:7], v[120:121], v[4:5] op_sel_hi:[1,0,1]
	v_pk_add_f32 v[2:3], v[2:3], v[18:19]
	v_mov_b32_e32 v4, v123
	v_mov_b32_e32 v17, v5
	v_pk_mul_f32 v[4:5], v[8:9], v[4:5] op_sel:[1,0] op_sel_hi:[0,0]
	v_pk_fma_f32 v[6:7], v[8:9], v[122:123], v[4:5] neg_lo:[0,0,1] neg_hi:[0,0,1]
	v_pk_fma_f32 v[4:5], v[8:9], v[122:123], v[4:5] op_sel_hi:[1,0,1]
	v_pk_add_f32 v[2:3], v[2:3], v[16:17]
	v_mov_b32_e32 v7, v5
	s_waitcnt vmcnt(1) lgkmcnt(1)
	v_pk_mul_f32 v[4:5], v[10:11], v[124:125] op_sel:[1,1] op_sel_hi:[0,1]
	v_pk_add_f32 v[2:3], v[2:3], v[6:7]
	v_pk_fma_f32 v[6:7], v[10:11], v[124:125], v[4:5] neg_lo:[0,0,1] neg_hi:[0,0,1]
	v_pk_fma_f32 v[4:5], v[10:11], v[124:125], v[4:5] op_sel_hi:[1,0,1]
	s_nop 0
	v_mov_b32_e32 v4, v127
	v_mov_b32_e32 v7, v5
	v_pk_mul_f32 v[4:5], v[12:13], v[4:5] op_sel:[1,0] op_sel_hi:[0,0]
	v_pk_add_f32 v[2:3], v[2:3], v[6:7]
	v_pk_fma_f32 v[6:7], v[12:13], v[126:127], v[4:5] neg_lo:[0,0,1] neg_hi:[0,0,1]
	v_pk_fma_f32 v[4:5], v[12:13], v[126:127], v[4:5] op_sel_hi:[1,0,1]
	s_nop 0
	v_mov_b32_e32 v7, v5
	s_waitcnt vmcnt(0) lgkmcnt(0)
	v_pk_mul_f32 v[4:5], v[14:15], v[136:137] op_sel:[1,1] op_sel_hi:[0,1]
	v_pk_add_f32 v[2:3], v[2:3], v[6:7]
	v_pk_fma_f32 v[6:7], v[14:15], v[136:137], v[4:5] neg_lo:[0,0,1] neg_hi:[0,0,1]
	v_pk_fma_f32 v[4:5], v[14:15], v[136:137], v[4:5] op_sel_hi:[1,0,1]
	s_nop 0
	v_mov_b32_e32 v7, v5
	v_pk_add_f32 v[2:3], v[2:3], v[6:7]
	s_nop 0
	v_pk_add_f32 v[2:3], v[128:129], v[2:3] neg_lo:[0,1] neg_hi:[0,1]
	scratch_store_dwordx2 off, v[2:3], off offset:72
	s_and_saveexec_b64 s[0:1], vcc
	s_cbranch_execz .LBB44_267
; %bb.266:
	scratch_load_dwordx2 v[2:3], off, off offset:64
	v_mov_b32_e32 v115, v114
	scratch_store_dwordx2 off, v[114:115], off offset:64
	s_waitcnt vmcnt(1)
	ds_write_b64 v1, v[2:3]
.LBB44_267:
	s_or_b64 exec, exec, s[0:1]
	s_waitcnt lgkmcnt(0)
	; wave barrier
	scratch_load_dwordx4 v[2:5], off, off offset:72
	scratch_load_dwordx4 v[6:9], off, off offset:88
	scratch_load_dwordx4 v[10:13], off, off offset:104
	scratch_load_dwordx4 v[14:17], off, off offset:120
	scratch_load_dwordx4 v[18:21], off, off offset:136
	scratch_load_dwordx4 v[22:25], off, off offset:152
	scratch_load_dwordx4 v[26:29], off, off offset:168
	scratch_load_dwordx4 v[30:33], off, off offset:184
	scratch_load_dwordx4 v[34:37], off, off offset:200
	scratch_load_dwordx4 v[38:41], off, off offset:216
	scratch_load_dwordx4 v[42:45], off, off offset:232
	scratch_load_dwordx4 v[46:49], off, off offset:248
	scratch_load_dwordx4 v[50:53], off, off offset:264
	ds_read2_b64 v[110:113], v114 offset0:55 offset1:56
	ds_read2_b64 v[106:109], v114 offset0:57 offset1:58
	;; [unrolled: 1-line block ×14, first 2 shown]
	scratch_load_dwordx4 v[66:69], off, off offset:280
	scratch_load_dwordx2 v[132:133], off, off offset:64
	v_cmp_lt_u32_e32 vcc, 7, v0
	s_waitcnt vmcnt(14) lgkmcnt(13)
	v_mul_f32_e32 v115, v110, v3
	v_mul_f32_e32 v116, v112, v5
	v_fmac_f32_e32 v115, v111, v2
	s_waitcnt vmcnt(13) lgkmcnt(12)
	v_mul_f32_e32 v117, v106, v7
	v_fmac_f32_e32 v116, v113, v4
	v_add_f32_e32 v115, 0, v115
	v_mul_f32_e32 v118, v108, v9
	v_fmac_f32_e32 v117, v107, v6
	v_add_f32_e32 v115, v115, v116
	s_waitcnt vmcnt(12) lgkmcnt(11)
	v_mul_f32_e32 v119, v102, v11
	v_fmac_f32_e32 v118, v109, v8
	v_add_f32_e32 v115, v115, v117
	v_mul_f32_e32 v120, v104, v13
	v_fmac_f32_e32 v119, v103, v10
	v_add_f32_e32 v115, v115, v118
	;; [unrolled: 7-line block ×4, first 2 shown]
	s_waitcnt vmcnt(9) lgkmcnt(8)
	v_mul_f32_e32 v125, v90, v23
	v_fmac_f32_e32 v124, v97, v20
	v_add_f32_e32 v115, v115, v123
	scratch_load_dwordx4 v[116:119], off, off offset:296
	v_mul_f32_e32 v126, v92, v25
	v_fmac_f32_e32 v125, v91, v22
	v_add_f32_e32 v115, v115, v124
	s_waitcnt vmcnt(9) lgkmcnt(7)
	v_mul_f32_e32 v127, v86, v27
	v_fmac_f32_e32 v126, v93, v24
	v_add_f32_e32 v115, v115, v125
	v_mul_f32_e32 v128, v88, v29
	v_fmac_f32_e32 v127, v87, v26
	v_add_f32_e32 v115, v115, v126
	s_waitcnt vmcnt(8) lgkmcnt(6)
	v_mul_f32_e32 v129, v82, v31
	v_fmac_f32_e32 v128, v89, v28
	v_add_f32_e32 v115, v115, v127
	;; [unrolled: 7-line block ×3, first 2 shown]
	v_fmac_f32_e32 v131, v79, v34
	v_add_f32_e32 v115, v115, v130
	v_add_f32_e32 v115, v115, v131
	scratch_load_dwordx4 v[120:123], off, off offset:312
	scratch_load_dwordx4 v[124:127], off, off offset:328
	;; [unrolled: 1-line block ×3, first 2 shown]
	v_mul_f32_e32 v3, v111, v3
	v_fma_f32 v2, v110, v2, -v3
	v_mul_f32_e32 v3, v113, v5
	v_add_f32_e32 v2, 0, v2
	v_fma_f32 v3, v112, v4, -v3
	v_add_f32_e32 v2, v2, v3
	v_mul_f32_e32 v3, v107, v7
	v_fma_f32 v3, v106, v6, -v3
	v_add_f32_e32 v2, v2, v3
	v_mul_f32_e32 v3, v109, v9
	;; [unrolled: 3-line block ×16, first 2 shown]
	v_fma_f32 v3, v80, v36, -v3
	v_add_f32_e32 v2, v2, v3
	s_waitcnt vmcnt(9) lgkmcnt(4)
	v_mul_f32_e32 v3, v75, v39
	v_fma_f32 v3, v74, v38, -v3
	v_add_f32_e32 v2, v2, v3
	v_mul_f32_e32 v3, v77, v41
	v_fma_f32 v3, v76, v40, -v3
	v_add_f32_e32 v2, v2, v3
	s_waitcnt vmcnt(8) lgkmcnt(3)
	v_mul_f32_e32 v3, v71, v43
	v_fma_f32 v3, v70, v42, -v3
	v_add_f32_e32 v2, v2, v3
	v_mul_f32_e32 v3, v73, v45
	v_fma_f32 v3, v72, v44, -v3
	v_add_f32_e32 v2, v2, v3
	s_waitcnt vmcnt(7) lgkmcnt(2)
	v_mul_f32_e32 v3, v63, v47
	v_fma_f32 v3, v62, v46, -v3
	v_mul_f32_e32 v134, v80, v37
	v_add_f32_e32 v2, v2, v3
	v_mul_f32_e32 v3, v65, v49
	v_mul_f32_e32 v135, v74, v39
	v_fmac_f32_e32 v134, v81, v36
	v_fma_f32 v3, v64, v48, -v3
	v_mul_f32_e32 v136, v76, v41
	v_fmac_f32_e32 v135, v75, v38
	v_add_f32_e32 v115, v115, v134
	v_add_f32_e32 v2, v2, v3
	s_waitcnt vmcnt(6) lgkmcnt(1)
	v_mul_f32_e32 v3, v55, v51
	v_mul_f32_e32 v137, v70, v43
	v_fmac_f32_e32 v136, v77, v40
	v_add_f32_e32 v115, v115, v135
	v_fma_f32 v3, v54, v50, -v3
	v_mul_f32_e32 v138, v72, v45
	v_fmac_f32_e32 v137, v71, v42
	v_add_f32_e32 v115, v115, v136
	v_add_f32_e32 v2, v2, v3
	v_mul_f32_e32 v3, v57, v53
	v_mul_f32_e32 v139, v62, v47
	v_fmac_f32_e32 v138, v73, v44
	v_add_f32_e32 v115, v115, v137
	v_fma_f32 v3, v56, v52, -v3
	v_mul_f32_e32 v140, v64, v49
	v_fmac_f32_e32 v139, v63, v46
	v_add_f32_e32 v115, v115, v138
	v_add_f32_e32 v134, v2, v3
	s_waitcnt vmcnt(5) lgkmcnt(0)
	v_mul_f32_e32 v2, v59, v67
	v_mul_f32_e32 v141, v54, v51
	v_fmac_f32_e32 v140, v65, v48
	v_add_f32_e32 v115, v115, v139
	v_fma_f32 v136, v58, v66, -v2
	v_mul_f32_e32 v2, v61, v69
	v_mul_f32_e32 v142, v56, v53
	v_fmac_f32_e32 v141, v55, v50
	v_add_f32_e32 v115, v115, v140
	v_fma_f32 v138, v60, v68, -v2
	ds_read2_b64 v[2:5], v114 offset0:83 offset1:84
	ds_read2_b64 v[6:9], v114 offset0:85 offset1:86
	;; [unrolled: 1-line block ×4, first 2 shown]
	v_add_f32_e32 v115, v115, v141
	v_fmac_f32_e32 v142, v57, v52
	v_mul_f32_e32 v137, v58, v67
	v_add_f32_e32 v135, v115, v142
	v_fmac_f32_e32 v137, v59, v66
	v_mul_f32_e32 v139, v60, v69
	s_waitcnt vmcnt(3) lgkmcnt(3)
	v_pk_mul_f32 v[20:21], v[2:3], v[116:117] op_sel:[1,1] op_sel_hi:[0,1]
	v_fmac_f32_e32 v139, v61, v68
	v_pk_add_f32 v[18:19], v[134:135], v[136:137]
	v_pk_fma_f32 v[22:23], v[2:3], v[116:117], v[20:21] neg_lo:[0,0,1] neg_hi:[0,0,1]
	v_pk_fma_f32 v[2:3], v[2:3], v[116:117], v[20:21] op_sel_hi:[1,0,1]
	v_pk_add_f32 v[18:19], v[18:19], v[138:139]
	v_mov_b32_e32 v23, v3
	v_pk_add_f32 v[2:3], v[18:19], v[22:23]
	v_mov_b32_e32 v18, v119
	v_pk_mul_f32 v[18:19], v[4:5], v[18:19] op_sel:[1,0] op_sel_hi:[0,0]
	v_pk_fma_f32 v[20:21], v[4:5], v[118:119], v[18:19] neg_lo:[0,0,1] neg_hi:[0,0,1]
	v_pk_fma_f32 v[4:5], v[4:5], v[118:119], v[18:19] op_sel_hi:[1,0,1]
	s_nop 0
	v_mov_b32_e32 v21, v5
	s_waitcnt vmcnt(2) lgkmcnt(2)
	v_pk_mul_f32 v[4:5], v[6:7], v[120:121] op_sel:[1,1] op_sel_hi:[0,1]
	v_pk_fma_f32 v[18:19], v[6:7], v[120:121], v[4:5] neg_lo:[0,0,1] neg_hi:[0,0,1]
	v_pk_fma_f32 v[4:5], v[6:7], v[120:121], v[4:5] op_sel_hi:[1,0,1]
	v_pk_add_f32 v[2:3], v[2:3], v[20:21]
	v_mov_b32_e32 v4, v123
	v_mov_b32_e32 v19, v5
	v_pk_mul_f32 v[4:5], v[8:9], v[4:5] op_sel:[1,0] op_sel_hi:[0,0]
	v_pk_fma_f32 v[6:7], v[8:9], v[122:123], v[4:5] neg_lo:[0,0,1] neg_hi:[0,0,1]
	v_pk_fma_f32 v[4:5], v[8:9], v[122:123], v[4:5] op_sel_hi:[1,0,1]
	v_pk_add_f32 v[2:3], v[2:3], v[18:19]
	v_mov_b32_e32 v7, v5
	s_waitcnt vmcnt(1) lgkmcnt(1)
	v_pk_mul_f32 v[4:5], v[10:11], v[124:125] op_sel:[1,1] op_sel_hi:[0,1]
	v_pk_add_f32 v[2:3], v[2:3], v[6:7]
	v_pk_fma_f32 v[6:7], v[10:11], v[124:125], v[4:5] neg_lo:[0,0,1] neg_hi:[0,0,1]
	v_pk_fma_f32 v[4:5], v[10:11], v[124:125], v[4:5] op_sel_hi:[1,0,1]
	s_nop 0
	v_mov_b32_e32 v4, v127
	v_mov_b32_e32 v7, v5
	v_pk_mul_f32 v[4:5], v[12:13], v[4:5] op_sel:[1,0] op_sel_hi:[0,0]
	v_pk_add_f32 v[2:3], v[2:3], v[6:7]
	v_pk_fma_f32 v[6:7], v[12:13], v[126:127], v[4:5] neg_lo:[0,0,1] neg_hi:[0,0,1]
	v_pk_fma_f32 v[4:5], v[12:13], v[126:127], v[4:5] op_sel_hi:[1,0,1]
	s_nop 0
	v_mov_b32_e32 v7, v5
	s_waitcnt vmcnt(0) lgkmcnt(0)
	v_pk_mul_f32 v[4:5], v[14:15], v[128:129] op_sel:[1,1] op_sel_hi:[0,1]
	v_pk_add_f32 v[2:3], v[2:3], v[6:7]
	v_pk_fma_f32 v[6:7], v[14:15], v[128:129], v[4:5] neg_lo:[0,0,1] neg_hi:[0,0,1]
	v_pk_fma_f32 v[4:5], v[14:15], v[128:129], v[4:5] op_sel_hi:[1,0,1]
	s_nop 0
	v_mov_b32_e32 v4, v131
	v_mov_b32_e32 v7, v5
	v_pk_mul_f32 v[4:5], v[16:17], v[4:5] op_sel:[1,0] op_sel_hi:[0,0]
	v_pk_add_f32 v[2:3], v[2:3], v[6:7]
	v_pk_fma_f32 v[6:7], v[16:17], v[130:131], v[4:5] neg_lo:[0,0,1] neg_hi:[0,0,1]
	v_pk_fma_f32 v[4:5], v[16:17], v[130:131], v[4:5] op_sel_hi:[1,0,1]
	s_nop 0
	v_mov_b32_e32 v7, v5
	v_pk_add_f32 v[2:3], v[2:3], v[6:7]
	s_nop 0
	v_pk_add_f32 v[2:3], v[132:133], v[2:3] neg_lo:[0,1] neg_hi:[0,1]
	scratch_store_dwordx2 off, v[2:3], off offset:64
	s_and_saveexec_b64 s[0:1], vcc
	s_cbranch_execz .LBB44_269
; %bb.268:
	scratch_load_dwordx2 v[2:3], off, off offset:56
	v_mov_b32_e32 v4, 0
	v_mov_b32_e32 v5, v4
	scratch_store_dwordx2 off, v[4:5], off offset:56
	s_waitcnt vmcnt(1)
	ds_write_b64 v1, v[2:3]
.LBB44_269:
	s_or_b64 exec, exec, s[0:1]
	s_waitcnt lgkmcnt(0)
	; wave barrier
	scratch_load_dwordx4 v[2:5], off, off offset:64
	scratch_load_dwordx4 v[6:9], off, off offset:80
	scratch_load_dwordx4 v[10:13], off, off offset:96
	scratch_load_dwordx4 v[14:17], off, off offset:112
	scratch_load_dwordx4 v[18:21], off, off offset:128
	scratch_load_dwordx4 v[22:25], off, off offset:144
	scratch_load_dwordx4 v[26:29], off, off offset:160
	scratch_load_dwordx4 v[30:33], off, off offset:176
	scratch_load_dwordx4 v[34:37], off, off offset:192
	scratch_load_dwordx4 v[38:41], off, off offset:208
	scratch_load_dwordx4 v[42:45], off, off offset:224
	scratch_load_dwordx4 v[46:49], off, off offset:240
	scratch_load_dwordx4 v[50:53], off, off offset:256
	scratch_load_dwordx4 v[54:57], off, off offset:272
	scratch_load_dwordx4 v[58:61], off, off offset:288
	scratch_load_dwordx2 v[140:141], off, off offset:56
	v_mov_b32_e32 v118, 0
	ds_read_b128 v[62:65], v118 offset:432
	ds_read_b128 v[66:69], v118 offset:448
	ds_read_b128 v[70:73], v118 offset:464
	ds_read_b128 v[74:77], v118 offset:480
	ds_read_b128 v[78:81], v118 offset:496
	ds_read_b128 v[82:85], v118 offset:512
	ds_read_b128 v[86:89], v118 offset:528
	ds_read_b128 v[90:93], v118 offset:544
	ds_read_b128 v[94:97], v118 offset:560
	ds_read_b128 v[98:101], v118 offset:576
	ds_read_b128 v[102:105], v118 offset:592
	ds_read_b128 v[106:109], v118 offset:608
	ds_read_b128 v[110:113], v118 offset:624
	ds_read_b128 v[114:117], v118 offset:640
	v_cmp_lt_u32_e32 vcc, 6, v0
	s_waitcnt vmcnt(15) lgkmcnt(13)
	v_mul_f32_e32 v119, v62, v3
	v_mul_f32_e32 v120, v64, v5
	v_fmac_f32_e32 v119, v63, v2
	s_waitcnt vmcnt(14) lgkmcnt(12)
	v_mul_f32_e32 v121, v66, v7
	v_fmac_f32_e32 v120, v65, v4
	v_add_f32_e32 v119, 0, v119
	v_mul_f32_e32 v122, v68, v9
	v_fmac_f32_e32 v121, v67, v6
	v_add_f32_e32 v119, v119, v120
	s_waitcnt vmcnt(13) lgkmcnt(11)
	v_mul_f32_e32 v123, v70, v11
	v_fmac_f32_e32 v122, v69, v8
	v_add_f32_e32 v119, v119, v121
	v_mul_f32_e32 v124, v72, v13
	v_fmac_f32_e32 v123, v71, v10
	v_add_f32_e32 v119, v119, v122
	;; [unrolled: 7-line block ×11, first 2 shown]
	s_waitcnt vmcnt(3) lgkmcnt(1)
	v_mul_f32_e32 v145, v110, v51
	v_fmac_f32_e32 v144, v109, v48
	v_add_f32_e32 v119, v119, v143
	v_add_f32_e32 v119, v119, v144
	v_fmac_f32_e32 v145, v111, v50
	v_mul_f32_e32 v120, v112, v53
	v_add_f32_e32 v119, v119, v145
	v_fmac_f32_e32 v120, v113, v52
	s_waitcnt vmcnt(2) lgkmcnt(0)
	v_mul_f32_e32 v124, v114, v55
	v_add_f32_e32 v119, v119, v120
	v_fmac_f32_e32 v124, v115, v54
	ds_read_b128 v[120:123], v118 offset:656
	v_add_f32_e32 v143, v119, v124
	ds_read_b128 v[124:127], v118 offset:672
	scratch_load_dwordx4 v[128:131], off, off offset:304
	scratch_load_dwordx4 v[132:135], off, off offset:320
	;; [unrolled: 1-line block ×3, first 2 shown]
	scratch_load_dwordx2 v[148:149], off, off offset:352
	v_mul_f32_e32 v3, v63, v3
	v_fma_f32 v2, v62, v2, -v3
	v_mul_f32_e32 v3, v65, v5
	v_add_f32_e32 v2, 0, v2
	v_fma_f32 v3, v64, v4, -v3
	v_add_f32_e32 v2, v2, v3
	v_mul_f32_e32 v3, v67, v7
	v_fma_f32 v3, v66, v6, -v3
	v_add_f32_e32 v2, v2, v3
	v_mul_f32_e32 v3, v69, v9
	;; [unrolled: 3-line block ×25, first 2 shown]
	v_fma_f32 v3, v114, v54, -v3
	v_mul_f32_e32 v145, v116, v57
	v_add_f32_e32 v142, v2, v3
	v_mul_f32_e32 v2, v117, v57
	s_waitcnt vmcnt(5)
	v_mov_b32_e32 v14, v61
	v_fmac_f32_e32 v145, v117, v56
	s_waitcnt lgkmcnt(1)
	v_mul_f32_e32 v147, v120, v59
	v_fma_f32 v144, v116, v56, -v2
	v_mul_f32_e32 v2, v121, v59
	v_pk_mul_f32 v[14:15], v[122:123], v[14:15] op_sel:[1,0] op_sel_hi:[0,0]
	v_fmac_f32_e32 v147, v121, v58
	v_fma_f32 v146, v120, v58, -v2
	v_pk_add_f32 v[12:13], v[142:143], v[144:145]
	v_pk_fma_f32 v[16:17], v[122:123], v[60:61], v[14:15] neg_lo:[0,0,1] neg_hi:[0,0,1]
	v_pk_fma_f32 v[14:15], v[122:123], v[60:61], v[14:15] op_sel_hi:[1,0,1]
	v_pk_add_f32 v[12:13], v[12:13], v[146:147]
	v_mov_b32_e32 v17, v15
	s_waitcnt vmcnt(3) lgkmcnt(0)
	v_pk_mul_f32 v[14:15], v[124:125], v[128:129] op_sel:[1,1] op_sel_hi:[0,1]
	v_pk_add_f32 v[12:13], v[12:13], v[16:17]
	v_pk_fma_f32 v[16:17], v[124:125], v[128:129], v[14:15] neg_lo:[0,0,1] neg_hi:[0,0,1]
	v_pk_fma_f32 v[14:15], v[124:125], v[128:129], v[14:15] op_sel_hi:[1,0,1]
	ds_read_b128 v[2:5], v118 offset:688
	ds_read_b128 v[6:9], v118 offset:704
	ds_read_b64 v[10:11], v118 offset:720
	v_mov_b32_e32 v14, v131
	v_mov_b32_e32 v17, v15
	v_pk_mul_f32 v[14:15], v[126:127], v[14:15] op_sel:[1,0] op_sel_hi:[0,0]
	v_pk_add_f32 v[12:13], v[12:13], v[16:17]
	v_pk_fma_f32 v[16:17], v[126:127], v[130:131], v[14:15] neg_lo:[0,0,1] neg_hi:[0,0,1]
	v_pk_fma_f32 v[14:15], v[126:127], v[130:131], v[14:15] op_sel_hi:[1,0,1]
	s_nop 0
	v_mov_b32_e32 v17, v15
	s_waitcnt vmcnt(2) lgkmcnt(2)
	v_pk_mul_f32 v[14:15], v[2:3], v[132:133] op_sel:[1,1] op_sel_hi:[0,1]
	v_pk_add_f32 v[12:13], v[12:13], v[16:17]
	v_pk_fma_f32 v[16:17], v[2:3], v[132:133], v[14:15] neg_lo:[0,0,1] neg_hi:[0,0,1]
	v_pk_fma_f32 v[2:3], v[2:3], v[132:133], v[14:15] op_sel_hi:[1,0,1]
	s_nop 0
	v_mov_b32_e32 v17, v3
	v_pk_add_f32 v[2:3], v[12:13], v[16:17]
	v_mov_b32_e32 v12, v135
	v_pk_mul_f32 v[12:13], v[4:5], v[12:13] op_sel:[1,0] op_sel_hi:[0,0]
	v_pk_fma_f32 v[14:15], v[4:5], v[134:135], v[12:13] neg_lo:[0,0,1] neg_hi:[0,0,1]
	v_pk_fma_f32 v[4:5], v[4:5], v[134:135], v[12:13] op_sel_hi:[1,0,1]
	s_nop 0
	v_mov_b32_e32 v15, v5
	s_waitcnt vmcnt(1) lgkmcnt(1)
	v_pk_mul_f32 v[4:5], v[6:7], v[136:137] op_sel:[1,1] op_sel_hi:[0,1]
	v_pk_fma_f32 v[12:13], v[6:7], v[136:137], v[4:5] neg_lo:[0,0,1] neg_hi:[0,0,1]
	v_pk_fma_f32 v[4:5], v[6:7], v[136:137], v[4:5] op_sel_hi:[1,0,1]
	v_pk_add_f32 v[2:3], v[2:3], v[14:15]
	v_mov_b32_e32 v4, v139
	v_mov_b32_e32 v13, v5
	v_pk_mul_f32 v[4:5], v[8:9], v[4:5] op_sel:[1,0] op_sel_hi:[0,0]
	v_pk_fma_f32 v[6:7], v[8:9], v[138:139], v[4:5] neg_lo:[0,0,1] neg_hi:[0,0,1]
	v_pk_fma_f32 v[4:5], v[8:9], v[138:139], v[4:5] op_sel_hi:[1,0,1]
	v_pk_add_f32 v[2:3], v[2:3], v[12:13]
	v_mov_b32_e32 v7, v5
	s_waitcnt vmcnt(0) lgkmcnt(0)
	v_pk_mul_f32 v[4:5], v[10:11], v[148:149] op_sel:[1,1] op_sel_hi:[0,1]
	v_pk_add_f32 v[2:3], v[2:3], v[6:7]
	v_pk_fma_f32 v[6:7], v[10:11], v[148:149], v[4:5] neg_lo:[0,0,1] neg_hi:[0,0,1]
	v_pk_fma_f32 v[4:5], v[10:11], v[148:149], v[4:5] op_sel_hi:[1,0,1]
	s_nop 0
	v_mov_b32_e32 v7, v5
	v_pk_add_f32 v[2:3], v[2:3], v[6:7]
	s_nop 0
	v_pk_add_f32 v[2:3], v[140:141], v[2:3] neg_lo:[0,1] neg_hi:[0,1]
	scratch_store_dwordx2 off, v[2:3], off offset:56
	s_and_saveexec_b64 s[0:1], vcc
	s_cbranch_execz .LBB44_271
; %bb.270:
	scratch_load_dwordx2 v[2:3], off, off offset:48
	v_mov_b32_e32 v119, v118
	scratch_store_dwordx2 off, v[118:119], off offset:48
	s_waitcnt vmcnt(1)
	ds_write_b64 v1, v[2:3]
.LBB44_271:
	s_or_b64 exec, exec, s[0:1]
	s_waitcnt lgkmcnt(0)
	; wave barrier
	scratch_load_dwordx4 v[2:5], off, off offset:56
	scratch_load_dwordx4 v[6:9], off, off offset:72
	;; [unrolled: 1-line block ×13, first 2 shown]
	ds_read2_b64 v[114:117], v118 offset0:53 offset1:54
	ds_read2_b64 v[110:113], v118 offset0:55 offset1:56
	;; [unrolled: 1-line block ×14, first 2 shown]
	scratch_load_dwordx4 v[62:65], off, off offset:264
	scratch_load_dwordx4 v[70:73], off, off offset:280
	scratch_load_dwordx2 v[144:145], off, off offset:48
	v_cmp_lt_u32_e32 vcc, 5, v0
	s_waitcnt vmcnt(15) lgkmcnt(13)
	v_mul_f32_e32 v119, v114, v3
	v_mul_f32_e32 v120, v116, v5
	v_fmac_f32_e32 v119, v115, v2
	s_waitcnt vmcnt(14) lgkmcnt(12)
	v_mul_f32_e32 v121, v110, v7
	v_fmac_f32_e32 v120, v117, v4
	v_add_f32_e32 v119, 0, v119
	v_mul_f32_e32 v122, v112, v9
	v_fmac_f32_e32 v121, v111, v6
	v_add_f32_e32 v119, v119, v120
	s_waitcnt vmcnt(13) lgkmcnt(11)
	v_mul_f32_e32 v123, v106, v11
	v_fmac_f32_e32 v122, v113, v8
	v_add_f32_e32 v119, v119, v121
	v_mul_f32_e32 v124, v108, v13
	v_fmac_f32_e32 v123, v107, v10
	v_add_f32_e32 v119, v119, v122
	;; [unrolled: 7-line block ×11, first 2 shown]
	s_waitcnt vmcnt(3) lgkmcnt(1)
	v_mul_f32_e32 v143, v54, v51
	v_fmac_f32_e32 v142, v69, v48
	v_add_f32_e32 v119, v119, v141
	v_fmac_f32_e32 v143, v55, v50
	v_add_f32_e32 v119, v119, v142
	v_mul_f32_e32 v120, v56, v53
	v_add_f32_e32 v119, v119, v143
	v_fmac_f32_e32 v120, v57, v52
	v_add_f32_e32 v119, v119, v120
	s_waitcnt vmcnt(2) lgkmcnt(0)
	v_mul_f32_e32 v120, v58, v63
	v_fmac_f32_e32 v120, v59, v62
	v_mul_f32_e32 v124, v60, v65
	v_add_f32_e32 v119, v119, v120
	v_fmac_f32_e32 v124, v61, v64
	ds_read2_b64 v[120:123], v118 offset0:81 offset1:82
	v_add_f32_e32 v147, v119, v124
	ds_read2_b64 v[124:127], v118 offset0:83 offset1:84
	scratch_load_dwordx4 v[128:131], off, off offset:296
	scratch_load_dwordx4 v[132:135], off, off offset:312
	;; [unrolled: 1-line block ×4, first 2 shown]
	v_mul_f32_e32 v3, v115, v3
	v_fma_f32 v2, v114, v2, -v3
	v_mul_f32_e32 v3, v117, v5
	v_add_f32_e32 v2, 0, v2
	v_fma_f32 v3, v116, v4, -v3
	v_add_f32_e32 v2, v2, v3
	v_mul_f32_e32 v3, v111, v7
	v_fma_f32 v3, v110, v6, -v3
	v_add_f32_e32 v2, v2, v3
	v_mul_f32_e32 v3, v113, v9
	;; [unrolled: 3-line block ×26, first 2 shown]
	v_fma_f32 v3, v60, v64, -v3
	s_waitcnt vmcnt(5) lgkmcnt(1)
	v_mul_f32_e32 v149, v120, v71
	v_add_f32_e32 v146, v2, v3
	v_mul_f32_e32 v2, v121, v71
	s_waitcnt vmcnt(3) lgkmcnt(0)
	v_pk_mul_f32 v[16:17], v[124:125], v[128:129] op_sel:[1,1] op_sel_hi:[0,1]
	v_fmac_f32_e32 v149, v121, v70
	v_mul_f32_e32 v151, v122, v73
	v_fma_f32 v148, v120, v70, -v2
	v_mul_f32_e32 v2, v123, v73
	v_pk_fma_f32 v[18:19], v[124:125], v[128:129], v[16:17] neg_lo:[0,0,1] neg_hi:[0,0,1]
	v_pk_fma_f32 v[16:17], v[124:125], v[128:129], v[16:17] op_sel_hi:[1,0,1]
	v_fmac_f32_e32 v151, v123, v72
	v_fma_f32 v150, v122, v72, -v2
	ds_read2_b64 v[2:5], v118 offset0:85 offset1:86
	ds_read2_b64 v[6:9], v118 offset0:87 offset1:88
	;; [unrolled: 1-line block ×3, first 2 shown]
	v_pk_add_f32 v[14:15], v[146:147], v[148:149]
	v_mov_b32_e32 v16, v131
	v_pk_add_f32 v[14:15], v[14:15], v[150:151]
	v_mov_b32_e32 v19, v17
	v_pk_mul_f32 v[16:17], v[126:127], v[16:17] op_sel:[1,0] op_sel_hi:[0,0]
	v_pk_add_f32 v[14:15], v[14:15], v[18:19]
	v_pk_fma_f32 v[18:19], v[126:127], v[130:131], v[16:17] neg_lo:[0,0,1] neg_hi:[0,0,1]
	v_pk_fma_f32 v[16:17], v[126:127], v[130:131], v[16:17] op_sel_hi:[1,0,1]
	s_nop 0
	v_mov_b32_e32 v19, v17
	s_waitcnt vmcnt(2) lgkmcnt(2)
	v_pk_mul_f32 v[16:17], v[2:3], v[132:133] op_sel:[1,1] op_sel_hi:[0,1]
	v_pk_add_f32 v[14:15], v[14:15], v[18:19]
	v_pk_fma_f32 v[18:19], v[2:3], v[132:133], v[16:17] neg_lo:[0,0,1] neg_hi:[0,0,1]
	v_pk_fma_f32 v[2:3], v[2:3], v[132:133], v[16:17] op_sel_hi:[1,0,1]
	s_nop 0
	v_mov_b32_e32 v19, v3
	v_pk_add_f32 v[2:3], v[14:15], v[18:19]
	v_mov_b32_e32 v14, v135
	v_pk_mul_f32 v[14:15], v[4:5], v[14:15] op_sel:[1,0] op_sel_hi:[0,0]
	v_pk_fma_f32 v[16:17], v[4:5], v[134:135], v[14:15] neg_lo:[0,0,1] neg_hi:[0,0,1]
	v_pk_fma_f32 v[4:5], v[4:5], v[134:135], v[14:15] op_sel_hi:[1,0,1]
	s_nop 0
	v_mov_b32_e32 v17, v5
	s_waitcnt vmcnt(1) lgkmcnt(1)
	v_pk_mul_f32 v[4:5], v[6:7], v[136:137] op_sel:[1,1] op_sel_hi:[0,1]
	v_pk_fma_f32 v[14:15], v[6:7], v[136:137], v[4:5] neg_lo:[0,0,1] neg_hi:[0,0,1]
	v_pk_fma_f32 v[4:5], v[6:7], v[136:137], v[4:5] op_sel_hi:[1,0,1]
	v_pk_add_f32 v[2:3], v[2:3], v[16:17]
	v_mov_b32_e32 v4, v139
	v_mov_b32_e32 v15, v5
	v_pk_mul_f32 v[4:5], v[8:9], v[4:5] op_sel:[1,0] op_sel_hi:[0,0]
	v_pk_fma_f32 v[6:7], v[8:9], v[138:139], v[4:5] neg_lo:[0,0,1] neg_hi:[0,0,1]
	v_pk_fma_f32 v[4:5], v[8:9], v[138:139], v[4:5] op_sel_hi:[1,0,1]
	v_pk_add_f32 v[2:3], v[2:3], v[14:15]
	v_mov_b32_e32 v7, v5
	s_waitcnt vmcnt(0) lgkmcnt(0)
	v_pk_mul_f32 v[4:5], v[10:11], v[140:141] op_sel:[1,1] op_sel_hi:[0,1]
	v_pk_add_f32 v[2:3], v[2:3], v[6:7]
	v_pk_fma_f32 v[6:7], v[10:11], v[140:141], v[4:5] neg_lo:[0,0,1] neg_hi:[0,0,1]
	v_pk_fma_f32 v[4:5], v[10:11], v[140:141], v[4:5] op_sel_hi:[1,0,1]
	s_nop 0
	v_mov_b32_e32 v4, v143
	v_mov_b32_e32 v7, v5
	v_pk_mul_f32 v[4:5], v[12:13], v[4:5] op_sel:[1,0] op_sel_hi:[0,0]
	v_pk_add_f32 v[2:3], v[2:3], v[6:7]
	v_pk_fma_f32 v[6:7], v[12:13], v[142:143], v[4:5] neg_lo:[0,0,1] neg_hi:[0,0,1]
	v_pk_fma_f32 v[4:5], v[12:13], v[142:143], v[4:5] op_sel_hi:[1,0,1]
	s_nop 0
	v_mov_b32_e32 v7, v5
	v_pk_add_f32 v[2:3], v[2:3], v[6:7]
	s_nop 0
	v_pk_add_f32 v[2:3], v[144:145], v[2:3] neg_lo:[0,1] neg_hi:[0,1]
	scratch_store_dwordx2 off, v[2:3], off offset:48
	s_and_saveexec_b64 s[0:1], vcc
	s_cbranch_execz .LBB44_273
; %bb.272:
	scratch_load_dwordx2 v[2:3], off, off offset:40
	v_mov_b32_e32 v4, 0
	v_mov_b32_e32 v5, v4
	scratch_store_dwordx2 off, v[4:5], off offset:40
	s_waitcnt vmcnt(1)
	ds_write_b64 v1, v[2:3]
.LBB44_273:
	s_or_b64 exec, exec, s[0:1]
	s_waitcnt lgkmcnt(0)
	; wave barrier
	scratch_load_dwordx4 v[2:5], off, off offset:48
	scratch_load_dwordx4 v[6:9], off, off offset:64
	;; [unrolled: 1-line block ×16, first 2 shown]
	scratch_load_dwordx2 v[144:145], off, off offset:40
	v_mov_b32_e32 v122, 0
	ds_read_b128 v[66:69], v122 offset:416
	ds_read_b128 v[70:73], v122 offset:432
	;; [unrolled: 1-line block ×14, first 2 shown]
	v_cmp_lt_u32_e32 vcc, 4, v0
	s_waitcnt vmcnt(16) lgkmcnt(13)
	v_mul_f32_e32 v123, v66, v3
	v_mul_f32_e32 v124, v68, v5
	v_fmac_f32_e32 v123, v67, v2
	s_waitcnt vmcnt(15) lgkmcnt(12)
	v_mul_f32_e32 v125, v70, v7
	v_fmac_f32_e32 v124, v69, v4
	v_add_f32_e32 v123, 0, v123
	v_mul_f32_e32 v126, v72, v9
	v_fmac_f32_e32 v125, v71, v6
	v_add_f32_e32 v123, v123, v124
	s_waitcnt vmcnt(14) lgkmcnt(11)
	v_mul_f32_e32 v127, v74, v11
	v_fmac_f32_e32 v126, v73, v8
	v_add_f32_e32 v123, v123, v125
	v_mul_f32_e32 v128, v76, v13
	v_fmac_f32_e32 v127, v75, v10
	v_add_f32_e32 v123, v123, v126
	;; [unrolled: 7-line block ×11, first 2 shown]
	v_fmac_f32_e32 v148, v113, v48
	v_add_f32_e32 v123, v123, v147
	s_waitcnt vmcnt(4) lgkmcnt(1)
	v_mul_f32_e32 v124, v114, v51
	v_add_f32_e32 v123, v123, v148
	v_fmac_f32_e32 v124, v115, v50
	v_add_f32_e32 v123, v123, v124
	v_mul_f32_e32 v124, v116, v53
	v_fmac_f32_e32 v124, v117, v52
	v_add_f32_e32 v123, v123, v124
	s_waitcnt vmcnt(3) lgkmcnt(0)
	v_mul_f32_e32 v124, v118, v55
	v_fmac_f32_e32 v124, v119, v54
	v_add_f32_e32 v123, v123, v124
	ds_read_b128 v[124:127], v122 offset:640
	v_mul_f32_e32 v128, v120, v57
	v_fmac_f32_e32 v128, v121, v56
	v_add_f32_e32 v123, v123, v128
	ds_read_b128 v[128:131], v122 offset:656
	s_waitcnt vmcnt(2) lgkmcnt(1)
	v_mul_f32_e32 v132, v124, v63
	v_fmac_f32_e32 v132, v125, v62
	v_add_f32_e32 v147, v123, v132
	scratch_load_dwordx4 v[132:135], off, off offset:304
	scratch_load_dwordx4 v[136:139], off, off offset:320
	scratch_load_dwordx4 v[140:143], off, off offset:336
	scratch_load_dwordx2 v[152:153], off, off offset:352
	v_mul_f32_e32 v3, v67, v3
	v_fma_f32 v2, v66, v2, -v3
	v_mul_f32_e32 v3, v69, v5
	v_add_f32_e32 v2, 0, v2
	v_fma_f32 v3, v68, v4, -v3
	v_add_f32_e32 v2, v2, v3
	v_mul_f32_e32 v3, v71, v7
	v_fma_f32 v3, v70, v6, -v3
	v_add_f32_e32 v2, v2, v3
	v_mul_f32_e32 v3, v73, v9
	;; [unrolled: 3-line block ×28, first 2 shown]
	v_mul_f32_e32 v149, v126, v65
	v_fma_f32 v148, v126, v64, -v2
	s_waitcnt vmcnt(5) lgkmcnt(0)
	v_mul_f32_e32 v2, v129, v59
	v_mov_b32_e32 v18, v61
	v_fmac_f32_e32 v149, v127, v64
	v_mul_f32_e32 v151, v128, v59
	v_fma_f32 v150, v128, v58, -v2
	ds_read_b128 v[2:5], v122 offset:672
	ds_read_b128 v[6:9], v122 offset:688
	;; [unrolled: 1-line block ×3, first 2 shown]
	ds_read_b64 v[14:15], v122 offset:720
	v_pk_mul_f32 v[18:19], v[130:131], v[18:19] op_sel:[1,0] op_sel_hi:[0,0]
	v_fmac_f32_e32 v151, v129, v58
	v_pk_add_f32 v[16:17], v[146:147], v[148:149]
	v_pk_fma_f32 v[20:21], v[130:131], v[60:61], v[18:19] neg_lo:[0,0,1] neg_hi:[0,0,1]
	v_pk_fma_f32 v[18:19], v[130:131], v[60:61], v[18:19] op_sel_hi:[1,0,1]
	v_pk_add_f32 v[16:17], v[16:17], v[150:151]
	v_mov_b32_e32 v21, v19
	s_waitcnt vmcnt(3) lgkmcnt(3)
	v_pk_mul_f32 v[18:19], v[2:3], v[132:133] op_sel:[1,1] op_sel_hi:[0,1]
	v_pk_add_f32 v[16:17], v[16:17], v[20:21]
	v_pk_fma_f32 v[20:21], v[2:3], v[132:133], v[18:19] neg_lo:[0,0,1] neg_hi:[0,0,1]
	v_pk_fma_f32 v[2:3], v[2:3], v[132:133], v[18:19] op_sel_hi:[1,0,1]
	s_nop 0
	v_mov_b32_e32 v21, v3
	v_pk_add_f32 v[2:3], v[16:17], v[20:21]
	v_mov_b32_e32 v16, v135
	v_pk_mul_f32 v[16:17], v[4:5], v[16:17] op_sel:[1,0] op_sel_hi:[0,0]
	v_pk_fma_f32 v[18:19], v[4:5], v[134:135], v[16:17] neg_lo:[0,0,1] neg_hi:[0,0,1]
	v_pk_fma_f32 v[4:5], v[4:5], v[134:135], v[16:17] op_sel_hi:[1,0,1]
	s_nop 0
	v_mov_b32_e32 v19, v5
	s_waitcnt vmcnt(2) lgkmcnt(2)
	v_pk_mul_f32 v[4:5], v[6:7], v[136:137] op_sel:[1,1] op_sel_hi:[0,1]
	v_pk_fma_f32 v[16:17], v[6:7], v[136:137], v[4:5] neg_lo:[0,0,1] neg_hi:[0,0,1]
	v_pk_fma_f32 v[4:5], v[6:7], v[136:137], v[4:5] op_sel_hi:[1,0,1]
	v_pk_add_f32 v[2:3], v[2:3], v[18:19]
	v_mov_b32_e32 v4, v139
	v_mov_b32_e32 v17, v5
	v_pk_mul_f32 v[4:5], v[8:9], v[4:5] op_sel:[1,0] op_sel_hi:[0,0]
	v_pk_fma_f32 v[6:7], v[8:9], v[138:139], v[4:5] neg_lo:[0,0,1] neg_hi:[0,0,1]
	v_pk_fma_f32 v[4:5], v[8:9], v[138:139], v[4:5] op_sel_hi:[1,0,1]
	v_pk_add_f32 v[2:3], v[2:3], v[16:17]
	v_mov_b32_e32 v7, v5
	s_waitcnt vmcnt(1) lgkmcnt(1)
	v_pk_mul_f32 v[4:5], v[10:11], v[140:141] op_sel:[1,1] op_sel_hi:[0,1]
	v_pk_add_f32 v[2:3], v[2:3], v[6:7]
	v_pk_fma_f32 v[6:7], v[10:11], v[140:141], v[4:5] neg_lo:[0,0,1] neg_hi:[0,0,1]
	v_pk_fma_f32 v[4:5], v[10:11], v[140:141], v[4:5] op_sel_hi:[1,0,1]
	s_nop 0
	v_mov_b32_e32 v4, v143
	v_mov_b32_e32 v7, v5
	v_pk_mul_f32 v[4:5], v[12:13], v[4:5] op_sel:[1,0] op_sel_hi:[0,0]
	v_pk_add_f32 v[2:3], v[2:3], v[6:7]
	v_pk_fma_f32 v[6:7], v[12:13], v[142:143], v[4:5] neg_lo:[0,0,1] neg_hi:[0,0,1]
	v_pk_fma_f32 v[4:5], v[12:13], v[142:143], v[4:5] op_sel_hi:[1,0,1]
	s_nop 0
	v_mov_b32_e32 v7, v5
	s_waitcnt vmcnt(0) lgkmcnt(0)
	v_pk_mul_f32 v[4:5], v[14:15], v[152:153] op_sel:[1,1] op_sel_hi:[0,1]
	v_pk_add_f32 v[2:3], v[2:3], v[6:7]
	v_pk_fma_f32 v[6:7], v[14:15], v[152:153], v[4:5] neg_lo:[0,0,1] neg_hi:[0,0,1]
	v_pk_fma_f32 v[4:5], v[14:15], v[152:153], v[4:5] op_sel_hi:[1,0,1]
	s_nop 0
	v_mov_b32_e32 v7, v5
	v_pk_add_f32 v[2:3], v[2:3], v[6:7]
	s_nop 0
	v_pk_add_f32 v[2:3], v[144:145], v[2:3] neg_lo:[0,1] neg_hi:[0,1]
	scratch_store_dwordx2 off, v[2:3], off offset:40
	s_and_saveexec_b64 s[0:1], vcc
	s_cbranch_execz .LBB44_275
; %bb.274:
	scratch_load_dwordx2 v[2:3], off, off offset:32
	v_mov_b32_e32 v123, v122
	scratch_store_dwordx2 off, v[122:123], off offset:32
	s_waitcnt vmcnt(1)
	ds_write_b64 v1, v[2:3]
.LBB44_275:
	s_or_b64 exec, exec, s[0:1]
	s_waitcnt lgkmcnt(0)
	; wave barrier
	scratch_load_dwordx4 v[2:5], off, off offset:40
	scratch_load_dwordx4 v[6:9], off, off offset:56
	;; [unrolled: 1-line block ×13, first 2 shown]
	ds_read2_b64 v[118:121], v122 offset0:51 offset1:52
	ds_read2_b64 v[114:117], v122 offset0:53 offset1:54
	;; [unrolled: 1-line block ×14, first 2 shown]
	scratch_load_dwordx4 v[62:65], off, off offset:248
	scratch_load_dwordx4 v[70:73], off, off offset:264
	scratch_load_dwordx4 v[78:81], off, off offset:280
	scratch_load_dwordx2 v[148:149], off, off offset:32
	v_cmp_lt_u32_e32 vcc, 3, v0
	s_waitcnt vmcnt(16) lgkmcnt(13)
	v_mul_f32_e32 v123, v118, v3
	v_mul_f32_e32 v124, v120, v5
	v_fmac_f32_e32 v123, v119, v2
	s_waitcnt vmcnt(15) lgkmcnt(12)
	v_mul_f32_e32 v125, v114, v7
	v_fmac_f32_e32 v124, v121, v4
	v_add_f32_e32 v123, 0, v123
	v_mul_f32_e32 v126, v116, v9
	v_fmac_f32_e32 v125, v115, v6
	v_add_f32_e32 v123, v123, v124
	s_waitcnt vmcnt(14) lgkmcnt(11)
	v_mul_f32_e32 v127, v110, v11
	v_fmac_f32_e32 v126, v117, v8
	v_add_f32_e32 v123, v123, v125
	v_mul_f32_e32 v128, v112, v13
	v_fmac_f32_e32 v127, v111, v10
	v_add_f32_e32 v123, v123, v126
	;; [unrolled: 7-line block ×11, first 2 shown]
	s_waitcnt vmcnt(4) lgkmcnt(1)
	v_mul_f32_e32 v147, v54, v51
	v_fmac_f32_e32 v146, v69, v48
	v_add_f32_e32 v123, v123, v145
	v_add_f32_e32 v123, v123, v146
	v_fmac_f32_e32 v147, v55, v50
	v_mul_f32_e32 v124, v56, v53
	v_add_f32_e32 v123, v123, v147
	v_fmac_f32_e32 v124, v57, v52
	v_add_f32_e32 v123, v123, v124
	s_waitcnt vmcnt(3) lgkmcnt(0)
	v_mul_f32_e32 v124, v58, v63
	v_fmac_f32_e32 v124, v59, v62
	v_add_f32_e32 v123, v123, v124
	ds_read2_b64 v[124:127], v122 offset0:79 offset1:80
	v_mul_f32_e32 v128, v60, v65
	v_fmac_f32_e32 v128, v61, v64
	v_add_f32_e32 v123, v123, v128
	ds_read2_b64 v[128:131], v122 offset0:81 offset1:82
	s_waitcnt vmcnt(2) lgkmcnt(1)
	v_mul_f32_e32 v132, v124, v71
	v_fmac_f32_e32 v132, v125, v70
	v_add_f32_e32 v123, v123, v132
	v_mul_f32_e32 v132, v126, v73
	v_fmac_f32_e32 v132, v127, v72
	v_add_f32_e32 v151, v123, v132
	scratch_load_dwordx4 v[132:135], off, off offset:296
	scratch_load_dwordx4 v[136:139], off, off offset:312
	;; [unrolled: 1-line block ×4, first 2 shown]
	v_mul_f32_e32 v3, v119, v3
	v_fma_f32 v2, v118, v2, -v3
	v_mul_f32_e32 v3, v121, v5
	v_add_f32_e32 v2, 0, v2
	v_fma_f32 v3, v120, v4, -v3
	v_add_f32_e32 v2, v2, v3
	v_mul_f32_e32 v3, v115, v7
	v_fma_f32 v3, v114, v6, -v3
	v_add_f32_e32 v2, v2, v3
	v_mul_f32_e32 v3, v117, v9
	;; [unrolled: 3-line block ×28, first 2 shown]
	v_fma_f32 v3, v126, v72, -v3
	v_add_f32_e32 v150, v2, v3
	s_waitcnt vmcnt(5) lgkmcnt(0)
	v_mul_f32_e32 v2, v129, v79
	v_fma_f32 v152, v128, v78, -v2
	v_mul_f32_e32 v2, v131, v81
	v_fma_f32 v154, v130, v80, -v2
	ds_read2_b64 v[2:5], v122 offset0:83 offset1:84
	ds_read2_b64 v[6:9], v122 offset0:85 offset1:86
	;; [unrolled: 1-line block ×4, first 2 shown]
	v_mul_f32_e32 v153, v128, v79
	v_fmac_f32_e32 v153, v129, v78
	v_mul_f32_e32 v155, v130, v81
	s_waitcnt vmcnt(3) lgkmcnt(3)
	v_pk_mul_f32 v[20:21], v[2:3], v[132:133] op_sel:[1,1] op_sel_hi:[0,1]
	v_fmac_f32_e32 v155, v131, v80
	v_pk_add_f32 v[18:19], v[150:151], v[152:153]
	v_pk_fma_f32 v[22:23], v[2:3], v[132:133], v[20:21] neg_lo:[0,0,1] neg_hi:[0,0,1]
	v_pk_fma_f32 v[2:3], v[2:3], v[132:133], v[20:21] op_sel_hi:[1,0,1]
	v_pk_add_f32 v[18:19], v[18:19], v[154:155]
	v_mov_b32_e32 v23, v3
	v_pk_add_f32 v[2:3], v[18:19], v[22:23]
	v_mov_b32_e32 v18, v135
	v_pk_mul_f32 v[18:19], v[4:5], v[18:19] op_sel:[1,0] op_sel_hi:[0,0]
	v_pk_fma_f32 v[20:21], v[4:5], v[134:135], v[18:19] neg_lo:[0,0,1] neg_hi:[0,0,1]
	v_pk_fma_f32 v[4:5], v[4:5], v[134:135], v[18:19] op_sel_hi:[1,0,1]
	s_nop 0
	v_mov_b32_e32 v21, v5
	s_waitcnt vmcnt(2) lgkmcnt(2)
	v_pk_mul_f32 v[4:5], v[6:7], v[136:137] op_sel:[1,1] op_sel_hi:[0,1]
	v_pk_fma_f32 v[18:19], v[6:7], v[136:137], v[4:5] neg_lo:[0,0,1] neg_hi:[0,0,1]
	v_pk_fma_f32 v[4:5], v[6:7], v[136:137], v[4:5] op_sel_hi:[1,0,1]
	v_pk_add_f32 v[2:3], v[2:3], v[20:21]
	v_mov_b32_e32 v4, v139
	v_mov_b32_e32 v19, v5
	v_pk_mul_f32 v[4:5], v[8:9], v[4:5] op_sel:[1,0] op_sel_hi:[0,0]
	v_pk_fma_f32 v[6:7], v[8:9], v[138:139], v[4:5] neg_lo:[0,0,1] neg_hi:[0,0,1]
	v_pk_fma_f32 v[4:5], v[8:9], v[138:139], v[4:5] op_sel_hi:[1,0,1]
	v_pk_add_f32 v[2:3], v[2:3], v[18:19]
	v_mov_b32_e32 v7, v5
	s_waitcnt vmcnt(1) lgkmcnt(1)
	v_pk_mul_f32 v[4:5], v[10:11], v[140:141] op_sel:[1,1] op_sel_hi:[0,1]
	v_pk_add_f32 v[2:3], v[2:3], v[6:7]
	v_pk_fma_f32 v[6:7], v[10:11], v[140:141], v[4:5] neg_lo:[0,0,1] neg_hi:[0,0,1]
	v_pk_fma_f32 v[4:5], v[10:11], v[140:141], v[4:5] op_sel_hi:[1,0,1]
	s_nop 0
	v_mov_b32_e32 v4, v143
	v_mov_b32_e32 v7, v5
	v_pk_mul_f32 v[4:5], v[12:13], v[4:5] op_sel:[1,0] op_sel_hi:[0,0]
	v_pk_add_f32 v[2:3], v[2:3], v[6:7]
	v_pk_fma_f32 v[6:7], v[12:13], v[142:143], v[4:5] neg_lo:[0,0,1] neg_hi:[0,0,1]
	v_pk_fma_f32 v[4:5], v[12:13], v[142:143], v[4:5] op_sel_hi:[1,0,1]
	s_nop 0
	v_mov_b32_e32 v7, v5
	s_waitcnt vmcnt(0) lgkmcnt(0)
	v_pk_mul_f32 v[4:5], v[14:15], v[144:145] op_sel:[1,1] op_sel_hi:[0,1]
	v_pk_add_f32 v[2:3], v[2:3], v[6:7]
	v_pk_fma_f32 v[6:7], v[14:15], v[144:145], v[4:5] neg_lo:[0,0,1] neg_hi:[0,0,1]
	v_pk_fma_f32 v[4:5], v[14:15], v[144:145], v[4:5] op_sel_hi:[1,0,1]
	s_nop 0
	v_mov_b32_e32 v4, v147
	v_mov_b32_e32 v7, v5
	v_pk_mul_f32 v[4:5], v[16:17], v[4:5] op_sel:[1,0] op_sel_hi:[0,0]
	v_pk_add_f32 v[2:3], v[2:3], v[6:7]
	v_pk_fma_f32 v[6:7], v[16:17], v[146:147], v[4:5] neg_lo:[0,0,1] neg_hi:[0,0,1]
	v_pk_fma_f32 v[4:5], v[16:17], v[146:147], v[4:5] op_sel_hi:[1,0,1]
	s_nop 0
	v_mov_b32_e32 v7, v5
	v_pk_add_f32 v[2:3], v[2:3], v[6:7]
	s_nop 0
	v_pk_add_f32 v[2:3], v[148:149], v[2:3] neg_lo:[0,1] neg_hi:[0,1]
	scratch_store_dwordx2 off, v[2:3], off offset:32
	s_and_saveexec_b64 s[0:1], vcc
	s_cbranch_execz .LBB44_277
; %bb.276:
	scratch_load_dwordx2 v[2:3], off, off offset:24
	v_mov_b32_e32 v4, 0
	v_mov_b32_e32 v5, v4
	scratch_store_dwordx2 off, v[4:5], off offset:24
	s_waitcnt vmcnt(1)
	ds_write_b64 v1, v[2:3]
.LBB44_277:
	s_or_b64 exec, exec, s[0:1]
	s_waitcnt lgkmcnt(0)
	; wave barrier
	scratch_load_dwordx4 v[2:5], off, off offset:32
	scratch_load_dwordx4 v[6:9], off, off offset:48
	;; [unrolled: 1-line block ×12, first 2 shown]
	v_mov_b32_e32 v126, 0
	scratch_load_dwordx4 v[50:53], off, off offset:224
	scratch_load_dwordx4 v[54:57], off, off offset:240
	scratch_load_dwordx4 v[58:61], off, off offset:256
	scratch_load_dwordx4 v[62:65], off, off offset:272
	scratch_load_dwordx4 v[66:69], off, off offset:288
	scratch_load_dwordx2 v[70:71], off, off offset:24
	ds_read_b128 v[72:75], v126 offset:400
	ds_read_b128 v[76:79], v126 offset:416
	;; [unrolled: 1-line block ×13, first 2 shown]
	v_cmp_lt_u32_e32 vcc, 2, v0
	s_waitcnt vmcnt(17) lgkmcnt(12)
	v_mul_f32_e32 v124, v72, v3
	v_mul_f32_e32 v125, v74, v5
	v_fmac_f32_e32 v124, v73, v2
	s_waitcnt vmcnt(16) lgkmcnt(11)
	v_mul_f32_e32 v127, v76, v7
	v_fmac_f32_e32 v125, v75, v4
	v_add_f32_e32 v124, 0, v124
	v_mul_f32_e32 v128, v78, v9
	v_fmac_f32_e32 v127, v77, v6
	v_add_f32_e32 v124, v124, v125
	s_waitcnt vmcnt(15) lgkmcnt(10)
	v_mul_f32_e32 v129, v80, v11
	v_fmac_f32_e32 v128, v79, v8
	v_add_f32_e32 v124, v124, v127
	v_mul_f32_e32 v130, v82, v13
	v_fmac_f32_e32 v129, v81, v10
	v_add_f32_e32 v124, v124, v128
	;; [unrolled: 7-line block ×11, first 2 shown]
	v_fmac_f32_e32 v148, v119, v48
	v_add_f32_e32 v124, v124, v147
	v_add_f32_e32 v124, v124, v148
	ds_read_b128 v[128:131], v126 offset:608
	ds_read_b128 v[132:135], v126 offset:624
	;; [unrolled: 1-line block ×5, first 2 shown]
	scratch_load_dwordx4 v[148:151], off, off offset:304
	scratch_load_dwordx4 v[152:155], off, off offset:320
	scratch_load_dwordx4 v[156:159], off, off offset:336
	scratch_load_dwordx2 v[252:253], off, off offset:352
	v_mul_f32_e32 v3, v73, v3
	v_fma_f32 v2, v72, v2, -v3
	v_mul_f32_e32 v3, v75, v5
	v_add_f32_e32 v2, 0, v2
	v_fma_f32 v3, v74, v4, -v3
	v_add_f32_e32 v2, v2, v3
	v_mul_f32_e32 v3, v77, v7
	v_fma_f32 v3, v76, v6, -v3
	v_add_f32_e32 v2, v2, v3
	v_mul_f32_e32 v3, v79, v9
	;; [unrolled: 3-line block ×22, first 2 shown]
	v_fma_f32 v3, v118, v48, -v3
	s_waitcnt vmcnt(9) lgkmcnt(5)
	v_mul_f32_e32 v125, v120, v51
	v_add_f32_e32 v2, v2, v3
	v_mul_f32_e32 v3, v121, v51
	v_fmac_f32_e32 v125, v121, v50
	v_fma_f32 v3, v120, v50, -v3
	v_add_f32_e32 v124, v124, v125
	v_mul_f32_e32 v125, v122, v53
	v_add_f32_e32 v2, v2, v3
	v_mul_f32_e32 v3, v123, v53
	v_fmac_f32_e32 v125, v123, v52
	v_fma_f32 v3, v122, v52, -v3
	v_add_f32_e32 v124, v124, v125
	s_waitcnt vmcnt(8) lgkmcnt(4)
	v_mul_f32_e32 v125, v128, v55
	v_add_f32_e32 v2, v2, v3
	v_mul_f32_e32 v3, v129, v55
	v_fmac_f32_e32 v125, v129, v54
	v_fma_f32 v3, v128, v54, -v3
	v_add_f32_e32 v124, v124, v125
	v_mul_f32_e32 v125, v130, v57
	v_add_f32_e32 v2, v2, v3
	v_mul_f32_e32 v3, v131, v57
	v_fmac_f32_e32 v125, v131, v56
	v_fma_f32 v3, v130, v56, -v3
	v_add_f32_e32 v124, v124, v125
	s_waitcnt vmcnt(7) lgkmcnt(3)
	v_mul_f32_e32 v125, v132, v59
	v_add_f32_e32 v2, v2, v3
	v_mul_f32_e32 v3, v133, v59
	v_fmac_f32_e32 v125, v133, v58
	v_fma_f32 v3, v132, v58, -v3
	v_add_f32_e32 v124, v124, v125
	v_mul_f32_e32 v125, v134, v61
	v_add_f32_e32 v2, v2, v3
	v_mul_f32_e32 v3, v135, v61
	v_fmac_f32_e32 v125, v135, v60
	v_fma_f32 v3, v134, v60, -v3
	v_add_f32_e32 v124, v124, v125
	s_waitcnt vmcnt(6) lgkmcnt(2)
	v_mul_f32_e32 v125, v136, v63
	v_add_f32_e32 v2, v2, v3
	v_mul_f32_e32 v3, v137, v63
	v_fmac_f32_e32 v125, v137, v62
	v_fma_f32 v3, v136, v62, -v3
	v_add_f32_e32 v125, v124, v125
	v_mul_f32_e32 v161, v138, v65
	v_add_f32_e32 v124, v2, v3
	v_mul_f32_e32 v2, v139, v65
	s_waitcnt vmcnt(5)
	v_mov_b32_e32 v14, v69
	v_fmac_f32_e32 v161, v139, v64
	s_waitcnt lgkmcnt(1)
	v_mul_f32_e32 v251, v140, v67
	v_fma_f32 v160, v138, v64, -v2
	v_mul_f32_e32 v2, v141, v67
	v_pk_mul_f32 v[14:15], v[142:143], v[14:15] op_sel:[1,0] op_sel_hi:[0,0]
	v_fmac_f32_e32 v251, v141, v66
	v_fma_f32 v250, v140, v66, -v2
	v_pk_add_f32 v[12:13], v[124:125], v[160:161]
	v_pk_fma_f32 v[16:17], v[142:143], v[68:69], v[14:15] neg_lo:[0,0,1] neg_hi:[0,0,1]
	v_pk_fma_f32 v[14:15], v[142:143], v[68:69], v[14:15] op_sel_hi:[1,0,1]
	v_pk_add_f32 v[12:13], v[12:13], v[250:251]
	v_mov_b32_e32 v17, v15
	s_waitcnt vmcnt(3) lgkmcnt(0)
	v_pk_mul_f32 v[14:15], v[144:145], v[148:149] op_sel:[1,1] op_sel_hi:[0,1]
	v_pk_add_f32 v[12:13], v[12:13], v[16:17]
	v_pk_fma_f32 v[16:17], v[144:145], v[148:149], v[14:15] neg_lo:[0,0,1] neg_hi:[0,0,1]
	v_pk_fma_f32 v[14:15], v[144:145], v[148:149], v[14:15] op_sel_hi:[1,0,1]
	ds_read_b128 v[2:5], v126 offset:688
	ds_read_b128 v[6:9], v126 offset:704
	ds_read_b64 v[10:11], v126 offset:720
	v_mov_b32_e32 v14, v151
	v_mov_b32_e32 v17, v15
	v_pk_mul_f32 v[14:15], v[146:147], v[14:15] op_sel:[1,0] op_sel_hi:[0,0]
	v_pk_add_f32 v[12:13], v[12:13], v[16:17]
	v_pk_fma_f32 v[16:17], v[146:147], v[150:151], v[14:15] neg_lo:[0,0,1] neg_hi:[0,0,1]
	v_pk_fma_f32 v[14:15], v[146:147], v[150:151], v[14:15] op_sel_hi:[1,0,1]
	s_nop 0
	v_mov_b32_e32 v17, v15
	s_waitcnt vmcnt(2) lgkmcnt(2)
	v_pk_mul_f32 v[14:15], v[2:3], v[152:153] op_sel:[1,1] op_sel_hi:[0,1]
	v_pk_add_f32 v[12:13], v[12:13], v[16:17]
	v_pk_fma_f32 v[16:17], v[2:3], v[152:153], v[14:15] neg_lo:[0,0,1] neg_hi:[0,0,1]
	v_pk_fma_f32 v[2:3], v[2:3], v[152:153], v[14:15] op_sel_hi:[1,0,1]
	s_nop 0
	v_mov_b32_e32 v17, v3
	v_pk_add_f32 v[2:3], v[12:13], v[16:17]
	v_mov_b32_e32 v12, v155
	v_pk_mul_f32 v[12:13], v[4:5], v[12:13] op_sel:[1,0] op_sel_hi:[0,0]
	v_pk_fma_f32 v[14:15], v[4:5], v[154:155], v[12:13] neg_lo:[0,0,1] neg_hi:[0,0,1]
	v_pk_fma_f32 v[4:5], v[4:5], v[154:155], v[12:13] op_sel_hi:[1,0,1]
	s_nop 0
	v_mov_b32_e32 v15, v5
	s_waitcnt vmcnt(1) lgkmcnt(1)
	v_pk_mul_f32 v[4:5], v[6:7], v[156:157] op_sel:[1,1] op_sel_hi:[0,1]
	v_pk_fma_f32 v[12:13], v[6:7], v[156:157], v[4:5] neg_lo:[0,0,1] neg_hi:[0,0,1]
	v_pk_fma_f32 v[4:5], v[6:7], v[156:157], v[4:5] op_sel_hi:[1,0,1]
	v_pk_add_f32 v[2:3], v[2:3], v[14:15]
	v_mov_b32_e32 v4, v159
	v_mov_b32_e32 v13, v5
	v_pk_mul_f32 v[4:5], v[8:9], v[4:5] op_sel:[1,0] op_sel_hi:[0,0]
	v_pk_fma_f32 v[6:7], v[8:9], v[158:159], v[4:5] neg_lo:[0,0,1] neg_hi:[0,0,1]
	v_pk_fma_f32 v[4:5], v[8:9], v[158:159], v[4:5] op_sel_hi:[1,0,1]
	v_pk_add_f32 v[2:3], v[2:3], v[12:13]
	v_mov_b32_e32 v7, v5
	s_waitcnt vmcnt(0) lgkmcnt(0)
	v_pk_mul_f32 v[4:5], v[10:11], v[252:253] op_sel:[1,1] op_sel_hi:[0,1]
	v_pk_add_f32 v[2:3], v[2:3], v[6:7]
	v_pk_fma_f32 v[6:7], v[10:11], v[252:253], v[4:5] neg_lo:[0,0,1] neg_hi:[0,0,1]
	v_pk_fma_f32 v[4:5], v[10:11], v[252:253], v[4:5] op_sel_hi:[1,0,1]
	s_nop 0
	v_mov_b32_e32 v7, v5
	v_pk_add_f32 v[2:3], v[2:3], v[6:7]
	s_nop 0
	v_pk_add_f32 v[2:3], v[70:71], v[2:3] neg_lo:[0,1] neg_hi:[0,1]
	scratch_store_dwordx2 off, v[2:3], off offset:24
	s_and_saveexec_b64 s[0:1], vcc
	s_cbranch_execz .LBB44_279
; %bb.278:
	scratch_load_dwordx2 v[2:3], off, off offset:16
	v_mov_b32_e32 v127, v126
	scratch_store_dwordx2 off, v[126:127], off offset:16
	s_waitcnt vmcnt(1)
	ds_write_b64 v1, v[2:3]
.LBB44_279:
	s_or_b64 exec, exec, s[0:1]
	s_waitcnt lgkmcnt(0)
	; wave barrier
	scratch_load_dwordx4 v[2:5], off, off offset:24
	scratch_load_dwordx4 v[6:9], off, off offset:40
	;; [unrolled: 1-line block ×12, first 2 shown]
	ds_read2_b64 v[122:125], v126 offset0:49 offset1:50
	ds_read2_b64 v[118:121], v126 offset0:51 offset1:52
	;; [unrolled: 1-line block ×12, first 2 shown]
	scratch_load_dwordx4 v[54:57], off, off offset:216
	ds_read2_b64 v[62:65], v126 offset0:73 offset1:74
	ds_read2_b64 v[66:69], v126 offset0:75 offset1:76
	scratch_load_dwordx4 v[70:73], off, off offset:232
	scratch_load_dwordx4 v[78:81], off, off offset:248
	;; [unrolled: 1-line block ×4, first 2 shown]
	scratch_load_dwordx2 v[128:129], off, off offset:16
	v_cmp_lt_u32_e32 vcc, 1, v0
	s_waitcnt vmcnt(17) lgkmcnt(13)
	v_mul_f32_e32 v127, v122, v3
	v_mul_f32_e32 v130, v124, v5
	v_fmac_f32_e32 v127, v123, v2
	s_waitcnt vmcnt(16) lgkmcnt(12)
	v_mul_f32_e32 v131, v118, v7
	v_fmac_f32_e32 v130, v125, v4
	v_add_f32_e32 v127, 0, v127
	v_mul_f32_e32 v132, v120, v9
	v_fmac_f32_e32 v131, v119, v6
	v_add_f32_e32 v127, v127, v130
	s_waitcnt vmcnt(15) lgkmcnt(11)
	v_mul_f32_e32 v133, v114, v11
	v_fmac_f32_e32 v132, v121, v8
	v_add_f32_e32 v127, v127, v131
	v_mul_f32_e32 v134, v116, v13
	v_fmac_f32_e32 v133, v115, v10
	v_add_f32_e32 v127, v127, v132
	;; [unrolled: 7-line block ×11, first 2 shown]
	v_fmac_f32_e32 v152, v53, v48
	v_add_f32_e32 v127, v127, v151
	s_waitcnt vmcnt(5) lgkmcnt(1)
	v_mul_f32_e32 v130, v62, v55
	v_add_f32_e32 v127, v127, v152
	v_fmac_f32_e32 v130, v63, v54
	v_add_f32_e32 v127, v127, v130
	v_mul_f32_e32 v130, v64, v57
	v_fmac_f32_e32 v130, v65, v56
	v_add_f32_e32 v127, v127, v130
	s_waitcnt vmcnt(4) lgkmcnt(0)
	v_mul_f32_e32 v130, v66, v71
	v_fmac_f32_e32 v130, v67, v70
	v_add_f32_e32 v127, v127, v130
	ds_read2_b64 v[130:133], v126 offset0:77 offset1:78
	v_mul_f32_e32 v134, v68, v73
	v_fmac_f32_e32 v134, v69, v72
	v_add_f32_e32 v127, v127, v134
	ds_read2_b64 v[134:137], v126 offset0:79 offset1:80
	s_waitcnt vmcnt(3) lgkmcnt(1)
	v_mul_f32_e32 v138, v130, v79
	v_fmac_f32_e32 v138, v131, v78
	v_add_f32_e32 v127, v127, v138
	v_mul_f32_e32 v138, v132, v81
	v_fmac_f32_e32 v138, v133, v80
	v_add_f32_e32 v127, v127, v138
	s_waitcnt vmcnt(2) lgkmcnt(0)
	v_mul_f32_e32 v138, v134, v87
	v_fmac_f32_e32 v138, v135, v86
	v_mul_f32_e32 v142, v136, v89
	v_add_f32_e32 v127, v127, v138
	v_fmac_f32_e32 v142, v137, v88
	ds_read2_b64 v[138:141], v126 offset0:81 offset1:82
	v_add_f32_e32 v251, v127, v142
	ds_read2_b64 v[142:145], v126 offset0:83 offset1:84
	scratch_load_dwordx4 v[146:149], off, off offset:296
	scratch_load_dwordx4 v[150:153], off, off offset:312
	;; [unrolled: 1-line block ×4, first 2 shown]
	v_mul_f32_e32 v3, v123, v3
	v_fma_f32 v2, v122, v2, -v3
	v_mul_f32_e32 v3, v125, v5
	v_add_f32_e32 v2, 0, v2
	v_fma_f32 v3, v124, v4, -v3
	v_add_f32_e32 v2, v2, v3
	v_mul_f32_e32 v3, v119, v7
	v_fma_f32 v3, v118, v6, -v3
	v_add_f32_e32 v2, v2, v3
	v_mul_f32_e32 v3, v121, v9
	;; [unrolled: 3-line block ×30, first 2 shown]
	v_fma_f32 v3, v136, v88, -v3
	s_waitcnt vmcnt(5) lgkmcnt(1)
	v_mul_f32_e32 v253, v138, v95
	v_add_f32_e32 v250, v2, v3
	v_mul_f32_e32 v2, v139, v95
	s_waitcnt vmcnt(3) lgkmcnt(0)
	v_pk_mul_f32 v[16:17], v[142:143], v[146:147] op_sel:[1,1] op_sel_hi:[0,1]
	v_fmac_f32_e32 v253, v139, v94
	v_mul_f32_e32 v255, v140, v97
	v_fma_f32 v252, v138, v94, -v2
	v_mul_f32_e32 v2, v141, v97
	v_pk_fma_f32 v[18:19], v[142:143], v[146:147], v[16:17] neg_lo:[0,0,1] neg_hi:[0,0,1]
	v_pk_fma_f32 v[16:17], v[142:143], v[146:147], v[16:17] op_sel_hi:[1,0,1]
	v_fmac_f32_e32 v255, v141, v96
	v_fma_f32 v254, v140, v96, -v2
	ds_read2_b64 v[2:5], v126 offset0:85 offset1:86
	ds_read2_b64 v[6:9], v126 offset0:87 offset1:88
	;; [unrolled: 1-line block ×3, first 2 shown]
	v_pk_add_f32 v[14:15], v[250:251], v[252:253]
	v_mov_b32_e32 v16, v149
	v_pk_add_f32 v[14:15], v[14:15], v[254:255]
	v_mov_b32_e32 v19, v17
	v_pk_mul_f32 v[16:17], v[144:145], v[16:17] op_sel:[1,0] op_sel_hi:[0,0]
	v_pk_add_f32 v[14:15], v[14:15], v[18:19]
	v_pk_fma_f32 v[18:19], v[144:145], v[148:149], v[16:17] neg_lo:[0,0,1] neg_hi:[0,0,1]
	v_pk_fma_f32 v[16:17], v[144:145], v[148:149], v[16:17] op_sel_hi:[1,0,1]
	s_nop 0
	v_mov_b32_e32 v19, v17
	s_waitcnt vmcnt(2) lgkmcnt(2)
	v_pk_mul_f32 v[16:17], v[2:3], v[150:151] op_sel:[1,1] op_sel_hi:[0,1]
	v_pk_add_f32 v[14:15], v[14:15], v[18:19]
	v_pk_fma_f32 v[18:19], v[2:3], v[150:151], v[16:17] neg_lo:[0,0,1] neg_hi:[0,0,1]
	v_pk_fma_f32 v[2:3], v[2:3], v[150:151], v[16:17] op_sel_hi:[1,0,1]
	s_nop 0
	v_mov_b32_e32 v19, v3
	v_pk_add_f32 v[2:3], v[14:15], v[18:19]
	v_mov_b32_e32 v14, v153
	v_pk_mul_f32 v[14:15], v[4:5], v[14:15] op_sel:[1,0] op_sel_hi:[0,0]
	v_pk_fma_f32 v[16:17], v[4:5], v[152:153], v[14:15] neg_lo:[0,0,1] neg_hi:[0,0,1]
	v_pk_fma_f32 v[4:5], v[4:5], v[152:153], v[14:15] op_sel_hi:[1,0,1]
	s_nop 0
	v_mov_b32_e32 v17, v5
	s_waitcnt vmcnt(1) lgkmcnt(1)
	v_pk_mul_f32 v[4:5], v[6:7], v[154:155] op_sel:[1,1] op_sel_hi:[0,1]
	v_pk_fma_f32 v[14:15], v[6:7], v[154:155], v[4:5] neg_lo:[0,0,1] neg_hi:[0,0,1]
	v_pk_fma_f32 v[4:5], v[6:7], v[154:155], v[4:5] op_sel_hi:[1,0,1]
	v_pk_add_f32 v[2:3], v[2:3], v[16:17]
	v_mov_b32_e32 v4, v157
	v_mov_b32_e32 v15, v5
	v_pk_mul_f32 v[4:5], v[8:9], v[4:5] op_sel:[1,0] op_sel_hi:[0,0]
	v_pk_fma_f32 v[6:7], v[8:9], v[156:157], v[4:5] neg_lo:[0,0,1] neg_hi:[0,0,1]
	v_pk_fma_f32 v[4:5], v[8:9], v[156:157], v[4:5] op_sel_hi:[1,0,1]
	v_pk_add_f32 v[2:3], v[2:3], v[14:15]
	v_mov_b32_e32 v7, v5
	s_waitcnt vmcnt(0) lgkmcnt(0)
	v_pk_mul_f32 v[4:5], v[10:11], v[158:159] op_sel:[1,1] op_sel_hi:[0,1]
	v_pk_add_f32 v[2:3], v[2:3], v[6:7]
	v_pk_fma_f32 v[6:7], v[10:11], v[158:159], v[4:5] neg_lo:[0,0,1] neg_hi:[0,0,1]
	v_pk_fma_f32 v[4:5], v[10:11], v[158:159], v[4:5] op_sel_hi:[1,0,1]
	s_nop 0
	v_mov_b32_e32 v4, v161
	v_mov_b32_e32 v7, v5
	v_pk_mul_f32 v[4:5], v[12:13], v[4:5] op_sel:[1,0] op_sel_hi:[0,0]
	v_pk_add_f32 v[2:3], v[2:3], v[6:7]
	v_pk_fma_f32 v[6:7], v[12:13], v[160:161], v[4:5] neg_lo:[0,0,1] neg_hi:[0,0,1]
	v_pk_fma_f32 v[4:5], v[12:13], v[160:161], v[4:5] op_sel_hi:[1,0,1]
	s_nop 0
	v_mov_b32_e32 v7, v5
	v_pk_add_f32 v[2:3], v[2:3], v[6:7]
	s_nop 0
	v_pk_add_f32 v[2:3], v[128:129], v[2:3] neg_lo:[0,1] neg_hi:[0,1]
	scratch_store_dwordx2 off, v[2:3], off offset:16
	s_and_saveexec_b64 s[0:1], vcc
	s_cbranch_execz .LBB44_281
; %bb.280:
	scratch_load_dwordx2 v[2:3], off, off offset:8
	v_mov_b32_e32 v4, 0
	v_mov_b32_e32 v5, v4
	scratch_store_dwordx2 off, v[4:5], off offset:8
	s_waitcnt vmcnt(1)
	ds_write_b64 v1, v[2:3]
.LBB44_281:
	s_or_b64 exec, exec, s[0:1]
	s_waitcnt lgkmcnt(0)
	; wave barrier
	scratch_load_dwordx4 v[62:65], off, off offset:16
	scratch_load_dwordx4 v[66:69], off, off offset:32
	scratch_load_dwordx4 v[70:73], off, off offset:48
	scratch_load_dwordx4 v[74:77], off, off offset:64
	scratch_load_dwordx4 v[78:81], off, off offset:80
	scratch_load_dwordx4 v[82:85], off, off offset:96
	scratch_load_dwordx4 v[86:89], off, off offset:112
	scratch_load_dwordx4 v[90:93], off, off offset:128
	scratch_load_dwordx4 v[94:97], off, off offset:144
	scratch_load_dwordx4 v[98:101], off, off offset:160
	scratch_load_dwordx4 v[102:105], off, off offset:176
	scratch_load_dwordx4 v[106:109], off, off offset:192
	scratch_load_dwordx4 v[2:5], off, off offset:208
	scratch_load_dwordx4 v[6:9], off, off offset:224
	scratch_load_dwordx4 v[10:13], off, off offset:240
	scratch_load_dwordx4 v[14:17], off, off offset:256
	scratch_load_dwordx4 v[18:21], off, off offset:272
	scratch_load_dwordx4 v[22:25], off, off offset:288
	v_mov_b32_e32 v250, 0
	ds_read_b128 v[118:121], v250 offset:384
	ds_read_b128 v[122:125], v250 offset:400
	;; [unrolled: 1-line block ×15, first 2 shown]
	v_cmp_ne_u32_e32 vcc, 0, v0
	s_waitcnt vmcnt(17) lgkmcnt(14)
	v_mul_f32_e32 v30, v118, v63
	v_mul_f32_e32 v31, v120, v65
	v_fmac_f32_e32 v30, v119, v62
	s_waitcnt vmcnt(16) lgkmcnt(13)
	v_mul_f32_e32 v32, v122, v67
	v_fmac_f32_e32 v31, v121, v64
	v_add_f32_e32 v30, 0, v30
	v_mul_f32_e32 v33, v124, v69
	v_fmac_f32_e32 v32, v123, v66
	v_add_f32_e32 v30, v30, v31
	s_waitcnt vmcnt(15) lgkmcnt(12)
	v_mul_f32_e32 v34, v126, v71
	v_fmac_f32_e32 v33, v125, v68
	v_add_f32_e32 v30, v30, v32
	v_mul_f32_e32 v35, v128, v73
	v_fmac_f32_e32 v34, v127, v70
	v_add_f32_e32 v30, v30, v33
	;; [unrolled: 7-line block ×11, first 2 shown]
	ds_read_b128 v[46:49], v250 offset:592
	v_fmac_f32_e32 v53, v255, v108
	v_add_f32_e32 v30, v30, v52
	s_waitcnt vmcnt(5) lgkmcnt(3)
	v_mul_f32_e32 v31, v26, v3
	v_add_f32_e32 v30, v30, v53
	v_fmac_f32_e32 v31, v27, v2
	v_add_f32_e32 v30, v30, v31
	v_mul_f32_e32 v31, v28, v5
	v_fmac_f32_e32 v31, v29, v4
	ds_read_b128 v[50:53], v250 offset:608
	v_add_f32_e32 v30, v30, v31
	s_waitcnt vmcnt(4) lgkmcnt(1)
	v_mul_f32_e32 v31, v46, v7
	v_fmac_f32_e32 v31, v47, v6
	v_add_f32_e32 v30, v30, v31
	v_mul_f32_e32 v31, v48, v9
	v_fmac_f32_e32 v31, v49, v8
	v_add_f32_e32 v30, v30, v31
	s_waitcnt vmcnt(3) lgkmcnt(0)
	v_mul_f32_e32 v31, v50, v11
	v_fmac_f32_e32 v31, v51, v10
	v_add_f32_e32 v30, v30, v31
	v_mul_f32_e32 v31, v52, v13
	v_fmac_f32_e32 v31, v53, v12
	v_add_f32_e32 v30, v30, v31
	s_waitcnt vmcnt(2)
	v_mul_f32_e32 v31, v54, v15
	v_fmac_f32_e32 v31, v55, v14
	v_add_f32_e32 v30, v30, v31
	v_mul_f32_e32 v31, v56, v17
	v_fmac_f32_e32 v31, v57, v16
	v_add_f32_e32 v30, v30, v31
	s_waitcnt vmcnt(1)
	v_mul_f32_e32 v31, v58, v19
	v_fmac_f32_e32 v31, v59, v18
	ds_read_b128 v[42:45], v250 offset:656
	v_add_f32_e32 v113, v30, v31
	scratch_load_dwordx4 v[38:41], off, off offset:304
	scratch_load_dwordx4 v[34:37], off, off offset:320
	;; [unrolled: 1-line block ×3, first 2 shown]
	scratch_load_dwordx2 v[110:111], off, off offset:352
	v_mul_f32_e32 v63, v119, v63
	v_fma_f32 v62, v118, v62, -v63
	v_mul_f32_e32 v63, v121, v65
	v_add_f32_e32 v62, 0, v62
	v_fma_f32 v63, v120, v64, -v63
	v_add_f32_e32 v62, v62, v63
	v_mul_f32_e32 v63, v123, v67
	v_fma_f32 v63, v122, v66, -v63
	v_add_f32_e32 v62, v62, v63
	v_mul_f32_e32 v63, v125, v69
	v_mul_f32_e32 v3, v27, v3
	v_fma_f32 v63, v124, v68, -v63
	v_fma_f32 v26, v26, v2, -v3
	scratch_load_dwordx2 v[2:3], off, off offset:8
	v_add_f32_e32 v62, v62, v63
	v_mul_f32_e32 v63, v127, v71
	v_fma_f32 v63, v126, v70, -v63
	v_add_f32_e32 v62, v62, v63
	v_mul_f32_e32 v63, v129, v73
	v_fma_f32 v63, v128, v72, -v63
	;; [unrolled: 3-line block ×20, first 2 shown]
	v_add_f32_e32 v62, v62, v63
	v_mul_f32_e32 v5, v29, v5
	v_add_f32_e32 v26, v62, v26
	v_fma_f32 v4, v28, v4, -v5
	v_mul_f32_e32 v5, v47, v7
	v_add_f32_e32 v4, v26, v4
	v_fma_f32 v5, v46, v6, -v5
	v_add_f32_e32 v4, v4, v5
	v_mul_f32_e32 v5, v49, v9
	v_fma_f32 v5, v48, v8, -v5
	v_add_f32_e32 v4, v4, v5
	v_mul_f32_e32 v5, v51, v11
	;; [unrolled: 3-line block ×6, first 2 shown]
	v_fma_f32 v5, v58, v18, -v5
	v_mul_f32_e32 v115, v60, v21
	v_add_f32_e32 v112, v4, v5
	v_mul_f32_e32 v4, v61, v21
	v_fmac_f32_e32 v115, v61, v20
	v_fma_f32 v114, v60, v20, -v4
	s_waitcnt vmcnt(5) lgkmcnt(0)
	v_mul_f32_e32 v4, v43, v23
	v_mov_b32_e32 v20, v25
	v_mul_f32_e32 v117, v42, v23
	v_fma_f32 v116, v42, v22, -v4
	ds_read_b128 v[4:7], v250 offset:672
	ds_read_b128 v[8:11], v250 offset:688
	;; [unrolled: 1-line block ×3, first 2 shown]
	ds_read_b64 v[16:17], v250 offset:720
	v_pk_mul_f32 v[20:21], v[44:45], v[20:21] op_sel:[1,0] op_sel_hi:[0,0]
	v_fmac_f32_e32 v117, v43, v22
	v_pk_add_f32 v[18:19], v[112:113], v[114:115]
	v_pk_fma_f32 v[22:23], v[44:45], v[24:25], v[20:21] neg_lo:[0,0,1] neg_hi:[0,0,1]
	v_pk_fma_f32 v[20:21], v[44:45], v[24:25], v[20:21] op_sel_hi:[1,0,1]
	v_pk_add_f32 v[18:19], v[18:19], v[116:117]
	v_mov_b32_e32 v23, v21
	s_waitcnt vmcnt(4) lgkmcnt(3)
	v_pk_mul_f32 v[20:21], v[4:5], v[38:39] op_sel:[1,1] op_sel_hi:[0,1]
	v_pk_add_f32 v[18:19], v[18:19], v[22:23]
	v_pk_fma_f32 v[22:23], v[4:5], v[38:39], v[20:21] neg_lo:[0,0,1] neg_hi:[0,0,1]
	v_pk_fma_f32 v[4:5], v[4:5], v[38:39], v[20:21] op_sel_hi:[1,0,1]
	s_nop 0
	v_mov_b32_e32 v23, v5
	v_pk_add_f32 v[4:5], v[18:19], v[22:23]
	v_mov_b32_e32 v18, v41
	v_pk_mul_f32 v[18:19], v[6:7], v[18:19] op_sel:[1,0] op_sel_hi:[0,0]
	v_pk_fma_f32 v[20:21], v[6:7], v[40:41], v[18:19] neg_lo:[0,0,1] neg_hi:[0,0,1]
	v_pk_fma_f32 v[6:7], v[6:7], v[40:41], v[18:19] op_sel_hi:[1,0,1]
	s_nop 0
	v_mov_b32_e32 v21, v7
	s_waitcnt vmcnt(3) lgkmcnt(2)
	v_pk_mul_f32 v[6:7], v[8:9], v[34:35] op_sel:[1,1] op_sel_hi:[0,1]
	v_pk_fma_f32 v[18:19], v[8:9], v[34:35], v[6:7] neg_lo:[0,0,1] neg_hi:[0,0,1]
	v_pk_fma_f32 v[6:7], v[8:9], v[34:35], v[6:7] op_sel_hi:[1,0,1]
	v_pk_add_f32 v[4:5], v[4:5], v[20:21]
	v_mov_b32_e32 v6, v37
	v_mov_b32_e32 v19, v7
	v_pk_mul_f32 v[6:7], v[10:11], v[6:7] op_sel:[1,0] op_sel_hi:[0,0]
	v_pk_fma_f32 v[8:9], v[10:11], v[36:37], v[6:7] neg_lo:[0,0,1] neg_hi:[0,0,1]
	v_pk_fma_f32 v[6:7], v[10:11], v[36:37], v[6:7] op_sel_hi:[1,0,1]
	v_pk_add_f32 v[4:5], v[4:5], v[18:19]
	v_mov_b32_e32 v9, v7
	s_waitcnt vmcnt(2) lgkmcnt(1)
	v_pk_mul_f32 v[6:7], v[12:13], v[30:31] op_sel:[1,1] op_sel_hi:[0,1]
	v_pk_add_f32 v[4:5], v[4:5], v[8:9]
	v_pk_fma_f32 v[8:9], v[12:13], v[30:31], v[6:7] neg_lo:[0,0,1] neg_hi:[0,0,1]
	v_pk_fma_f32 v[6:7], v[12:13], v[30:31], v[6:7] op_sel_hi:[1,0,1]
	s_nop 0
	v_mov_b32_e32 v6, v33
	v_mov_b32_e32 v9, v7
	v_pk_mul_f32 v[6:7], v[14:15], v[6:7] op_sel:[1,0] op_sel_hi:[0,0]
	v_pk_add_f32 v[4:5], v[4:5], v[8:9]
	v_pk_fma_f32 v[8:9], v[14:15], v[32:33], v[6:7] neg_lo:[0,0,1] neg_hi:[0,0,1]
	v_pk_fma_f32 v[6:7], v[14:15], v[32:33], v[6:7] op_sel_hi:[1,0,1]
	s_nop 0
	v_mov_b32_e32 v9, v7
	s_waitcnt vmcnt(1) lgkmcnt(0)
	v_pk_mul_f32 v[6:7], v[16:17], v[110:111] op_sel:[1,1] op_sel_hi:[0,1]
	v_pk_add_f32 v[4:5], v[4:5], v[8:9]
	v_pk_fma_f32 v[8:9], v[16:17], v[110:111], v[6:7] neg_lo:[0,0,1] neg_hi:[0,0,1]
	v_pk_fma_f32 v[6:7], v[16:17], v[110:111], v[6:7] op_sel_hi:[1,0,1]
	s_nop 0
	v_mov_b32_e32 v9, v7
	v_pk_add_f32 v[4:5], v[4:5], v[8:9]
	s_waitcnt vmcnt(0)
	v_pk_add_f32 v[2:3], v[2:3], v[4:5] neg_lo:[0,1] neg_hi:[0,1]
	scratch_store_dwordx2 off, v[2:3], off offset:8
	s_and_saveexec_b64 s[0:1], vcc
	s_cbranch_execz .LBB44_283
; %bb.282:
	scratch_load_dwordx2 v[2:3], off, off
	v_mov_b32_e32 v251, v250
	scratch_store_dwordx2 off, v[250:251], off
	s_waitcnt vmcnt(1)
	ds_write_b64 v1, v[2:3]
.LBB44_283:
	s_or_b64 exec, exec, s[0:1]
	s_waitcnt lgkmcnt(0)
	; wave barrier
	scratch_load_dwordx4 v[56:59], off, off offset:8
	scratch_load_dwordx4 v[60:63], off, off offset:24
	;; [unrolled: 1-line block ×13, first 2 shown]
	ds_read2_b64 v[156:159], v250 offset0:47 offset1:48
	ds_read2_b64 v[152:155], v250 offset0:49 offset1:50
	;; [unrolled: 1-line block ×13, first 2 shown]
	scratch_load_dwordx4 v[0:3], off, off offset:216
	scratch_load_dwordx4 v[4:7], off, off offset:232
	;; [unrolled: 1-line block ×5, first 2 shown]
	ds_read2_b64 v[52:55], v250 offset0:81 offset1:82
	s_and_b64 vcc, exec, s[18:19]
	ds_read2_b64 v[48:51], v250 offset0:79 offset1:80
	s_waitcnt vmcnt(17) lgkmcnt(14)
	v_mul_f32_e32 v20, v156, v57
	v_mul_f32_e32 v21, v158, v59
	v_fmac_f32_e32 v20, v157, v56
	s_waitcnt vmcnt(16) lgkmcnt(13)
	v_mul_f32_e32 v22, v152, v61
	v_fmac_f32_e32 v21, v159, v58
	v_add_f32_e32 v20, 0, v20
	v_mul_f32_e32 v23, v154, v63
	v_fmac_f32_e32 v22, v153, v60
	v_add_f32_e32 v20, v20, v21
	s_waitcnt vmcnt(15) lgkmcnt(12)
	v_mul_f32_e32 v24, v148, v65
	v_fmac_f32_e32 v23, v155, v62
	v_add_f32_e32 v20, v20, v22
	v_mul_f32_e32 v25, v150, v67
	v_fmac_f32_e32 v24, v149, v64
	v_add_f32_e32 v20, v20, v23
	s_waitcnt vmcnt(14) lgkmcnt(11)
	v_mul_f32_e32 v26, v144, v69
	v_fmac_f32_e32 v25, v151, v66
	v_add_f32_e32 v20, v20, v24
	v_mul_f32_e32 v27, v146, v71
	v_fmac_f32_e32 v26, v145, v68
	v_add_f32_e32 v20, v20, v25
	s_waitcnt vmcnt(13) lgkmcnt(10)
	v_mul_f32_e32 v28, v140, v73
	v_fmac_f32_e32 v27, v147, v70
	v_add_f32_e32 v20, v20, v26
	v_mul_f32_e32 v29, v142, v75
	v_fmac_f32_e32 v28, v141, v72
	v_add_f32_e32 v20, v20, v27
	s_waitcnt vmcnt(12) lgkmcnt(9)
	v_mul_f32_e32 v30, v136, v77
	v_fmac_f32_e32 v29, v143, v74
	v_add_f32_e32 v20, v20, v28
	v_mul_f32_e32 v31, v138, v79
	v_fmac_f32_e32 v30, v137, v76
	v_add_f32_e32 v20, v20, v29
	s_waitcnt vmcnt(11) lgkmcnt(8)
	v_mul_f32_e32 v32, v132, v81
	v_fmac_f32_e32 v31, v139, v78
	v_add_f32_e32 v20, v20, v30
	v_mul_f32_e32 v33, v134, v83
	v_fmac_f32_e32 v32, v133, v80
	v_add_f32_e32 v20, v20, v31
	v_mul_f32_e32 v57, v157, v57
	s_waitcnt vmcnt(10) lgkmcnt(7)
	v_mul_f32_e32 v34, v128, v85
	v_fmac_f32_e32 v33, v135, v82
	v_add_f32_e32 v20, v20, v32
	v_fma_f32 v56, v156, v56, -v57
	v_mul_f32_e32 v57, v159, v59
	v_mul_f32_e32 v35, v130, v87
	v_fmac_f32_e32 v34, v129, v84
	v_add_f32_e32 v20, v20, v33
	v_add_f32_e32 v56, 0, v56
	v_fma_f32 v57, v158, v58, -v57
	s_waitcnt vmcnt(9) lgkmcnt(6)
	v_mul_f32_e32 v36, v124, v89
	v_fmac_f32_e32 v35, v131, v86
	v_add_f32_e32 v20, v20, v34
	v_add_f32_e32 v56, v56, v57
	v_mul_f32_e32 v57, v153, v61
	v_mul_f32_e32 v37, v126, v91
	v_fmac_f32_e32 v36, v125, v88
	v_add_f32_e32 v20, v20, v35
	v_fma_f32 v57, v152, v60, -v57
	s_waitcnt vmcnt(8) lgkmcnt(5)
	v_mul_f32_e32 v38, v120, v93
	v_fmac_f32_e32 v37, v127, v90
	v_add_f32_e32 v20, v20, v36
	v_add_f32_e32 v56, v56, v57
	v_mul_f32_e32 v57, v155, v63
	v_mul_f32_e32 v39, v122, v95
	v_fmac_f32_e32 v38, v121, v92
	;; [unrolled: 10-line block ×3, first 2 shown]
	v_add_f32_e32 v20, v20, v39
	v_fma_f32 v57, v148, v64, -v57
	s_waitcnt vmcnt(6) lgkmcnt(3)
	v_mul_f32_e32 v42, v112, v101
	v_fmac_f32_e32 v41, v119, v98
	v_add_f32_e32 v20, v20, v40
	ds_read2_b64 v[36:39], v250 offset0:73 offset1:74
	v_add_f32_e32 v56, v56, v57
	v_mul_f32_e32 v57, v151, v67
	v_mul_f32_e32 v43, v114, v103
	v_fmac_f32_e32 v42, v113, v100
	v_add_f32_e32 v20, v20, v41
	v_fma_f32 v57, v150, v66, -v57
	s_waitcnt vmcnt(5) lgkmcnt(3)
	v_mul_f32_e32 v44, v108, v105
	v_fmac_f32_e32 v43, v115, v102
	v_add_f32_e32 v20, v20, v42
	v_add_f32_e32 v56, v56, v57
	v_mul_f32_e32 v57, v145, v69
	v_add_f32_e32 v20, v20, v43
	v_fmac_f32_e32 v44, v109, v104
	v_mul_f32_e32 v21, v110, v107
	v_fma_f32 v57, v144, v68, -v57
	v_add_f32_e32 v20, v20, v44
	v_fmac_f32_e32 v21, v111, v106
	ds_read2_b64 v[40:43], v250 offset0:75 offset1:76
	v_add_f32_e32 v56, v56, v57
	v_mul_f32_e32 v57, v147, v71
	v_add_f32_e32 v20, v20, v21
	s_waitcnt vmcnt(4) lgkmcnt(1)
	v_mul_f32_e32 v21, v36, v1
	v_fma_f32 v57, v146, v70, -v57
	v_fmac_f32_e32 v21, v37, v0
	v_add_f32_e32 v56, v56, v57
	v_mul_f32_e32 v57, v141, v73
	v_add_f32_e32 v20, v20, v21
	v_mul_f32_e32 v21, v38, v3
	v_fma_f32 v57, v140, v72, -v57
	v_fmac_f32_e32 v21, v39, v2
	ds_read2_b64 v[44:47], v250 offset0:77 offset1:78
	v_add_f32_e32 v56, v56, v57
	v_mul_f32_e32 v57, v143, v75
	v_add_f32_e32 v20, v20, v21
	s_waitcnt vmcnt(3) lgkmcnt(1)
	v_mul_f32_e32 v21, v40, v5
	v_fma_f32 v57, v142, v74, -v57
	v_fmac_f32_e32 v21, v41, v4
	v_add_f32_e32 v56, v56, v57
	v_mul_f32_e32 v57, v137, v77
	v_add_f32_e32 v20, v20, v21
	v_mul_f32_e32 v21, v42, v7
	v_fma_f32 v57, v136, v76, -v57
	v_fmac_f32_e32 v21, v43, v6
	v_add_f32_e32 v56, v56, v57
	v_mul_f32_e32 v57, v139, v79
	v_add_f32_e32 v20, v20, v21
	s_waitcnt vmcnt(2) lgkmcnt(0)
	v_mul_f32_e32 v21, v44, v9
	v_fma_f32 v57, v138, v78, -v57
	v_fmac_f32_e32 v21, v45, v8
	v_add_f32_e32 v56, v56, v57
	v_mul_f32_e32 v57, v133, v81
	v_add_f32_e32 v20, v20, v21
	v_mul_f32_e32 v21, v46, v11
	v_fma_f32 v57, v132, v80, -v57
	v_fmac_f32_e32 v21, v47, v10
	v_add_f32_e32 v56, v56, v57
	v_mul_f32_e32 v57, v135, v83
	v_add_f32_e32 v20, v20, v21
	s_waitcnt vmcnt(1)
	v_mul_f32_e32 v21, v48, v13
	v_fma_f32 v57, v134, v82, -v57
	v_fmac_f32_e32 v21, v49, v12
	v_add_f32_e32 v56, v56, v57
	v_mul_f32_e32 v57, v129, v85
	v_add_f32_e32 v20, v20, v21
	v_mul_f32_e32 v21, v50, v15
	v_fma_f32 v57, v128, v84, -v57
	v_fmac_f32_e32 v21, v51, v14
	v_add_f32_e32 v56, v56, v57
	v_mul_f32_e32 v57, v131, v87
	v_add_f32_e32 v253, v20, v21
	scratch_load_dwordx4 v[32:35], off, off offset:296
	scratch_load_dwordx4 v[28:31], off, off offset:312
	;; [unrolled: 1-line block ×4, first 2 shown]
	v_fma_f32 v57, v130, v86, -v57
	v_add_f32_e32 v56, v56, v57
	v_mul_f32_e32 v57, v125, v89
	v_fma_f32 v57, v124, v88, -v57
	v_add_f32_e32 v56, v56, v57
	v_mul_f32_e32 v57, v127, v91
	;; [unrolled: 3-line block ×10, first 2 shown]
	v_fma_f32 v59, v110, v106, -v56
	scratch_load_dwordx2 v[56:57], off, off
	v_mul_f32_e32 v1, v37, v1
	v_add_f32_e32 v58, v58, v59
	v_fma_f32 v0, v36, v0, -v1
	v_mul_f32_e32 v1, v39, v3
	v_add_f32_e32 v0, v58, v0
	v_fma_f32 v1, v38, v2, -v1
	v_add_f32_e32 v0, v0, v1
	v_mul_f32_e32 v1, v41, v5
	v_fma_f32 v1, v40, v4, -v1
	v_add_f32_e32 v0, v0, v1
	v_mul_f32_e32 v1, v43, v7
	v_fma_f32 v1, v42, v6, -v1
	v_add_f32_e32 v0, v0, v1
	v_mul_f32_e32 v1, v45, v9
	v_fma_f32 v1, v44, v8, -v1
	v_add_f32_e32 v0, v0, v1
	v_mul_f32_e32 v1, v47, v11
	v_fma_f32 v1, v46, v10, -v1
	v_add_f32_e32 v0, v0, v1
	v_mul_f32_e32 v1, v49, v13
	v_fma_f32 v1, v48, v12, -v1
	v_add_f32_e32 v0, v0, v1
	v_mul_f32_e32 v1, v51, v15
	v_fma_f32 v1, v50, v14, -v1
	v_add_f32_e32 v252, v0, v1
	s_waitcnt vmcnt(5)
	v_mul_f32_e32 v0, v53, v17
	v_fma_f32 v254, v52, v16, -v0
	v_mul_f32_e32 v0, v55, v19
	v_fma_f32 v160, v54, v18, -v0
	ds_read2_b64 v[0:3], v250 offset0:83 offset1:84
	ds_read2_b64 v[4:7], v250 offset0:85 offset1:86
	;; [unrolled: 1-line block ×4, first 2 shown]
	v_mul_f32_e32 v255, v52, v17
	v_mul_f32_e32 v161, v54, v19
	v_fmac_f32_e32 v255, v53, v16
	v_fmac_f32_e32 v161, v55, v18
	v_pk_add_f32 v[16:17], v[252:253], v[254:255]
	s_waitcnt vmcnt(4) lgkmcnt(3)
	v_pk_mul_f32 v[18:19], v[0:1], v[32:33] op_sel:[1,1] op_sel_hi:[0,1]
	v_pk_fma_f32 v[36:37], v[0:1], v[32:33], v[18:19] neg_lo:[0,0,1] neg_hi:[0,0,1]
	v_pk_fma_f32 v[0:1], v[0:1], v[32:33], v[18:19] op_sel_hi:[1,0,1]
	v_pk_add_f32 v[16:17], v[16:17], v[160:161]
	v_mov_b32_e32 v37, v1
	v_pk_add_f32 v[0:1], v[16:17], v[36:37]
	v_mov_b32_e32 v16, v35
	v_pk_mul_f32 v[16:17], v[2:3], v[16:17] op_sel:[1,0] op_sel_hi:[0,0]
	v_pk_fma_f32 v[18:19], v[2:3], v[34:35], v[16:17] neg_lo:[0,0,1] neg_hi:[0,0,1]
	v_pk_fma_f32 v[2:3], v[2:3], v[34:35], v[16:17] op_sel_hi:[1,0,1]
	s_nop 0
	v_mov_b32_e32 v19, v3
	s_waitcnt vmcnt(3) lgkmcnt(2)
	v_pk_mul_f32 v[2:3], v[4:5], v[28:29] op_sel:[1,1] op_sel_hi:[0,1]
	v_pk_fma_f32 v[16:17], v[4:5], v[28:29], v[2:3] neg_lo:[0,0,1] neg_hi:[0,0,1]
	v_pk_fma_f32 v[2:3], v[4:5], v[28:29], v[2:3] op_sel_hi:[1,0,1]
	v_pk_add_f32 v[0:1], v[0:1], v[18:19]
	v_mov_b32_e32 v2, v31
	v_mov_b32_e32 v17, v3
	v_pk_mul_f32 v[2:3], v[6:7], v[2:3] op_sel:[1,0] op_sel_hi:[0,0]
	v_pk_fma_f32 v[4:5], v[6:7], v[30:31], v[2:3] neg_lo:[0,0,1] neg_hi:[0,0,1]
	v_pk_fma_f32 v[2:3], v[6:7], v[30:31], v[2:3] op_sel_hi:[1,0,1]
	v_pk_add_f32 v[0:1], v[0:1], v[16:17]
	v_mov_b32_e32 v5, v3
	s_waitcnt vmcnt(2) lgkmcnt(1)
	v_pk_mul_f32 v[2:3], v[8:9], v[24:25] op_sel:[1,1] op_sel_hi:[0,1]
	v_pk_add_f32 v[0:1], v[0:1], v[4:5]
	v_pk_fma_f32 v[4:5], v[8:9], v[24:25], v[2:3] neg_lo:[0,0,1] neg_hi:[0,0,1]
	v_pk_fma_f32 v[2:3], v[8:9], v[24:25], v[2:3] op_sel_hi:[1,0,1]
	s_nop 0
	v_mov_b32_e32 v2, v27
	v_mov_b32_e32 v5, v3
	v_pk_mul_f32 v[2:3], v[10:11], v[2:3] op_sel:[1,0] op_sel_hi:[0,0]
	v_pk_add_f32 v[0:1], v[0:1], v[4:5]
	v_pk_fma_f32 v[4:5], v[10:11], v[26:27], v[2:3] neg_lo:[0,0,1] neg_hi:[0,0,1]
	v_pk_fma_f32 v[2:3], v[10:11], v[26:27], v[2:3] op_sel_hi:[1,0,1]
	s_nop 0
	v_mov_b32_e32 v5, v3
	s_waitcnt vmcnt(1) lgkmcnt(0)
	v_pk_mul_f32 v[2:3], v[12:13], v[20:21] op_sel:[1,1] op_sel_hi:[0,1]
	v_pk_add_f32 v[0:1], v[0:1], v[4:5]
	v_pk_fma_f32 v[4:5], v[12:13], v[20:21], v[2:3] neg_lo:[0,0,1] neg_hi:[0,0,1]
	v_pk_fma_f32 v[2:3], v[12:13], v[20:21], v[2:3] op_sel_hi:[1,0,1]
	s_nop 0
	v_mov_b32_e32 v2, v23
	v_mov_b32_e32 v5, v3
	v_pk_mul_f32 v[2:3], v[14:15], v[2:3] op_sel:[1,0] op_sel_hi:[0,0]
	v_pk_add_f32 v[0:1], v[0:1], v[4:5]
	v_pk_fma_f32 v[4:5], v[14:15], v[22:23], v[2:3] neg_lo:[0,0,1] neg_hi:[0,0,1]
	v_pk_fma_f32 v[2:3], v[14:15], v[22:23], v[2:3] op_sel_hi:[1,0,1]
	s_nop 0
	v_mov_b32_e32 v5, v3
	v_pk_add_f32 v[0:1], v[0:1], v[4:5]
	s_waitcnt vmcnt(0)
	v_pk_add_f32 v[0:1], v[56:57], v[0:1] neg_lo:[0,1] neg_hi:[0,1]
	scratch_store_dwordx2 off, v[0:1], off
	s_cbranch_vccz .LBB44_372
; %bb.284:
	v_mov_b32_e32 v0, 0
	global_load_dword v1, v0, s[16:17] offset:172
	s_waitcnt vmcnt(0)
	v_readfirstlane_b32 s0, v1
	s_add_i32 s0, s0, -1
	s_cmp_lg_u32 s0, 43
	s_cbranch_scc0 .LBB44_286
; %bb.285:
	s_lshl_b32 s0, s0, 3
	s_nop 0
	scratch_load_dwordx2 v[2:3], off, s0
	scratch_load_dwordx2 v[4:5], off, off offset:344
	s_waitcnt vmcnt(1)
	scratch_store_dwordx2 off, v[2:3], off offset:344
	s_waitcnt vmcnt(1)
	scratch_store_dwordx2 off, v[4:5], s0
.LBB44_286:
	global_load_dword v0, v0, s[16:17] offset:168
	s_waitcnt vmcnt(0)
	v_readfirstlane_b32 s0, v0
	s_add_i32 s0, s0, -1
	s_cmp_eq_u32 s0, 42
	s_cbranch_scc1 .LBB44_288
; %bb.287:
	s_lshl_b32 s0, s0, 3
	s_nop 0
	scratch_load_dwordx2 v[0:1], off, s0
	scratch_load_dwordx2 v[2:3], off, off offset:336
	s_waitcnt vmcnt(1)
	scratch_store_dwordx2 off, v[0:1], off offset:336
	s_waitcnt vmcnt(1)
	scratch_store_dwordx2 off, v[2:3], s0
.LBB44_288:
	v_mov_b32_e32 v0, 0
	global_load_dword v1, v0, s[16:17] offset:164
	s_waitcnt vmcnt(0)
	v_readfirstlane_b32 s0, v1
	s_add_i32 s0, s0, -1
	s_cmp_eq_u32 s0, 41
	s_cbranch_scc1 .LBB44_290
; %bb.289:
	s_lshl_b32 s0, s0, 3
	s_nop 0
	scratch_load_dwordx2 v[2:3], off, s0
	scratch_load_dwordx2 v[4:5], off, off offset:328
	s_waitcnt vmcnt(1)
	scratch_store_dwordx2 off, v[2:3], off offset:328
	s_waitcnt vmcnt(1)
	scratch_store_dwordx2 off, v[4:5], s0
.LBB44_290:
	global_load_dword v0, v0, s[16:17] offset:160
	s_waitcnt vmcnt(0)
	v_readfirstlane_b32 s0, v0
	s_add_i32 s0, s0, -1
	s_cmp_eq_u32 s0, 40
	s_cbranch_scc1 .LBB44_292
; %bb.291:
	s_lshl_b32 s0, s0, 3
	s_nop 0
	scratch_load_dwordx2 v[0:1], off, s0
	scratch_load_dwordx2 v[2:3], off, off offset:320
	s_waitcnt vmcnt(1)
	scratch_store_dwordx2 off, v[0:1], off offset:320
	s_waitcnt vmcnt(1)
	scratch_store_dwordx2 off, v[2:3], s0
.LBB44_292:
	v_mov_b32_e32 v0, 0
	global_load_dword v1, v0, s[16:17] offset:156
	s_waitcnt vmcnt(0)
	v_readfirstlane_b32 s0, v1
	s_add_i32 s0, s0, -1
	s_cmp_eq_u32 s0, 39
	s_cbranch_scc1 .LBB44_294
; %bb.293:
	s_lshl_b32 s0, s0, 3
	s_nop 0
	scratch_load_dwordx2 v[2:3], off, s0
	scratch_load_dwordx2 v[4:5], off, off offset:312
	s_waitcnt vmcnt(1)
	scratch_store_dwordx2 off, v[2:3], off offset:312
	s_waitcnt vmcnt(1)
	scratch_store_dwordx2 off, v[4:5], s0
.LBB44_294:
	;; [unrolled: 33-line block ×21, first 2 shown]
	global_load_dword v2, v0, s[16:17]
	s_nop 0
	scratch_load_dwordx2 v[0:1], off, off
	s_waitcnt vmcnt(1)
	v_readfirstlane_b32 s0, v2
	s_add_i32 s0, s0, -1
	s_cmp_eq_u32 s0, 0
	s_cbranch_scc1 .LBB44_372
; %bb.371:
	s_lshl_b32 s0, s0, 3
	s_nop 0
	scratch_load_dwordx2 v[2:3], off, s0
	s_waitcnt vmcnt(0)
	scratch_store_dwordx2 off, v[2:3], off
	scratch_store_dwordx2 off, v[0:1], s0
	scratch_load_dwordx2 v[0:1], off, off
.LBB44_372:
	s_nop 0
	scratch_load_dwordx4 v[2:5], off, off offset:8
	scratch_load_dwordx4 v[6:9], off, off offset:24
	;; [unrolled: 1-line block ×22, first 2 shown]
	v_accvgpr_read_b32 v91, a1
	v_accvgpr_read_b32 v90, a0
	s_waitcnt vmcnt(22)
	global_store_dwordx2 v[90:91], v[0:1], off
	s_waitcnt vmcnt(22)
	global_store_dwordx2 v[162:163], v[2:3], off
	global_store_dwordx2 v[164:165], v[4:5], off
	s_waitcnt vmcnt(23)
	global_store_dwordx2 v[166:167], v[6:7], off
	;; [unrolled: 3-line block ×22, first 2 shown]
	global_store_dwordx2 v[248:249], v[88:89], off
	s_endpgm
	.section	.rodata,"a",@progbits
	.p2align	6, 0x0
	.amdhsa_kernel _ZN9rocsolver6v33100L18getri_kernel_smallILi45E19rocblas_complex_numIfEPS3_EEvT1_iilPiilS6_bb
		.amdhsa_group_segment_fixed_size 728
		.amdhsa_private_segment_fixed_size 368
		.amdhsa_kernarg_size 60
		.amdhsa_user_sgpr_count 2
		.amdhsa_user_sgpr_dispatch_ptr 0
		.amdhsa_user_sgpr_queue_ptr 0
		.amdhsa_user_sgpr_kernarg_segment_ptr 1
		.amdhsa_user_sgpr_dispatch_id 0
		.amdhsa_user_sgpr_kernarg_preload_length 0
		.amdhsa_user_sgpr_kernarg_preload_offset 0
		.amdhsa_user_sgpr_private_segment_size 0
		.amdhsa_uses_dynamic_stack 0
		.amdhsa_enable_private_segment 1
		.amdhsa_system_sgpr_workgroup_id_x 1
		.amdhsa_system_sgpr_workgroup_id_y 0
		.amdhsa_system_sgpr_workgroup_id_z 0
		.amdhsa_system_sgpr_workgroup_info 0
		.amdhsa_system_vgpr_workitem_id 0
		.amdhsa_next_free_vgpr 258
		.amdhsa_next_free_sgpr 20
		.amdhsa_accum_offset 256
		.amdhsa_reserve_vcc 1
		.amdhsa_float_round_mode_32 0
		.amdhsa_float_round_mode_16_64 0
		.amdhsa_float_denorm_mode_32 3
		.amdhsa_float_denorm_mode_16_64 3
		.amdhsa_dx10_clamp 1
		.amdhsa_ieee_mode 1
		.amdhsa_fp16_overflow 0
		.amdhsa_tg_split 0
		.amdhsa_exception_fp_ieee_invalid_op 0
		.amdhsa_exception_fp_denorm_src 0
		.amdhsa_exception_fp_ieee_div_zero 0
		.amdhsa_exception_fp_ieee_overflow 0
		.amdhsa_exception_fp_ieee_underflow 0
		.amdhsa_exception_fp_ieee_inexact 0
		.amdhsa_exception_int_div_zero 0
	.end_amdhsa_kernel
	.section	.text._ZN9rocsolver6v33100L18getri_kernel_smallILi45E19rocblas_complex_numIfEPS3_EEvT1_iilPiilS6_bb,"axG",@progbits,_ZN9rocsolver6v33100L18getri_kernel_smallILi45E19rocblas_complex_numIfEPS3_EEvT1_iilPiilS6_bb,comdat
.Lfunc_end44:
	.size	_ZN9rocsolver6v33100L18getri_kernel_smallILi45E19rocblas_complex_numIfEPS3_EEvT1_iilPiilS6_bb, .Lfunc_end44-_ZN9rocsolver6v33100L18getri_kernel_smallILi45E19rocblas_complex_numIfEPS3_EEvT1_iilPiilS6_bb
                                        ; -- End function
	.set _ZN9rocsolver6v33100L18getri_kernel_smallILi45E19rocblas_complex_numIfEPS3_EEvT1_iilPiilS6_bb.num_vgpr, 256
	.set _ZN9rocsolver6v33100L18getri_kernel_smallILi45E19rocblas_complex_numIfEPS3_EEvT1_iilPiilS6_bb.num_agpr, 2
	.set _ZN9rocsolver6v33100L18getri_kernel_smallILi45E19rocblas_complex_numIfEPS3_EEvT1_iilPiilS6_bb.numbered_sgpr, 20
	.set _ZN9rocsolver6v33100L18getri_kernel_smallILi45E19rocblas_complex_numIfEPS3_EEvT1_iilPiilS6_bb.num_named_barrier, 0
	.set _ZN9rocsolver6v33100L18getri_kernel_smallILi45E19rocblas_complex_numIfEPS3_EEvT1_iilPiilS6_bb.private_seg_size, 368
	.set _ZN9rocsolver6v33100L18getri_kernel_smallILi45E19rocblas_complex_numIfEPS3_EEvT1_iilPiilS6_bb.uses_vcc, 1
	.set _ZN9rocsolver6v33100L18getri_kernel_smallILi45E19rocblas_complex_numIfEPS3_EEvT1_iilPiilS6_bb.uses_flat_scratch, 0
	.set _ZN9rocsolver6v33100L18getri_kernel_smallILi45E19rocblas_complex_numIfEPS3_EEvT1_iilPiilS6_bb.has_dyn_sized_stack, 0
	.set _ZN9rocsolver6v33100L18getri_kernel_smallILi45E19rocblas_complex_numIfEPS3_EEvT1_iilPiilS6_bb.has_recursion, 0
	.set _ZN9rocsolver6v33100L18getri_kernel_smallILi45E19rocblas_complex_numIfEPS3_EEvT1_iilPiilS6_bb.has_indirect_call, 0
	.section	.AMDGPU.csdata,"",@progbits
; Kernel info:
; codeLenInByte = 61216
; TotalNumSgprs: 26
; NumVgprs: 256
; NumAgprs: 2
; TotalNumVgprs: 258
; ScratchSize: 368
; MemoryBound: 0
; FloatMode: 240
; IeeeMode: 1
; LDSByteSize: 728 bytes/workgroup (compile time only)
; SGPRBlocks: 3
; VGPRBlocks: 32
; NumSGPRsForWavesPerEU: 26
; NumVGPRsForWavesPerEU: 258
; AccumOffset: 256
; Occupancy: 1
; WaveLimiterHint : 1
; COMPUTE_PGM_RSRC2:SCRATCH_EN: 1
; COMPUTE_PGM_RSRC2:USER_SGPR: 2
; COMPUTE_PGM_RSRC2:TRAP_HANDLER: 0
; COMPUTE_PGM_RSRC2:TGID_X_EN: 1
; COMPUTE_PGM_RSRC2:TGID_Y_EN: 0
; COMPUTE_PGM_RSRC2:TGID_Z_EN: 0
; COMPUTE_PGM_RSRC2:TIDIG_COMP_CNT: 0
; COMPUTE_PGM_RSRC3_GFX90A:ACCUM_OFFSET: 63
; COMPUTE_PGM_RSRC3_GFX90A:TG_SPLIT: 0
	.section	.text._ZN9rocsolver6v33100L18getri_kernel_smallILi46E19rocblas_complex_numIfEPS3_EEvT1_iilPiilS6_bb,"axG",@progbits,_ZN9rocsolver6v33100L18getri_kernel_smallILi46E19rocblas_complex_numIfEPS3_EEvT1_iilPiilS6_bb,comdat
	.globl	_ZN9rocsolver6v33100L18getri_kernel_smallILi46E19rocblas_complex_numIfEPS3_EEvT1_iilPiilS6_bb ; -- Begin function _ZN9rocsolver6v33100L18getri_kernel_smallILi46E19rocblas_complex_numIfEPS3_EEvT1_iilPiilS6_bb
	.p2align	8
	.type	_ZN9rocsolver6v33100L18getri_kernel_smallILi46E19rocblas_complex_numIfEPS3_EEvT1_iilPiilS6_bb,@function
_ZN9rocsolver6v33100L18getri_kernel_smallILi46E19rocblas_complex_numIfEPS3_EEvT1_iilPiilS6_bb: ; @_ZN9rocsolver6v33100L18getri_kernel_smallILi46E19rocblas_complex_numIfEPS3_EEvT1_iilPiilS6_bb
; %bb.0:
	v_cmp_gt_u32_e32 vcc, 46, v0
	s_and_saveexec_b64 s[4:5], vcc
	s_cbranch_execz .LBB45_198
; %bb.1:
	s_load_dword s8, s[0:1], 0x38
	s_load_dwordx4 s[12:15], s[0:1], 0x10
	s_load_dwordx4 s[4:7], s[0:1], 0x28
                                        ; implicit-def: $sgpr16_sgpr17
	s_waitcnt lgkmcnt(0)
	s_bitcmp1_b32 s8, 8
	s_cselect_b64 s[18:19], -1, 0
	s_ashr_i32 s3, s2, 31
	s_bfe_u32 s8, s8, 0x10008
	s_cmp_eq_u32 s8, 0
	s_cbranch_scc1 .LBB45_3
; %bb.2:
	s_load_dword s8, s[0:1], 0x20
	s_mul_i32 s9, s4, s3
	s_mul_hi_u32 s10, s4, s2
	s_mul_i32 s5, s5, s2
	s_add_i32 s10, s10, s9
	s_add_i32 s5, s10, s5
	s_mul_i32 s4, s4, s2
	s_waitcnt lgkmcnt(0)
	s_ashr_i32 s9, s8, 31
	s_lshl_b64 s[4:5], s[4:5], 2
	s_add_u32 s10, s14, s4
	s_addc_u32 s11, s15, s5
	s_lshl_b64 s[4:5], s[8:9], 2
	s_add_u32 s16, s10, s4
	s_addc_u32 s17, s11, s5
.LBB45_3:
	s_load_dwordx4 s[8:11], s[0:1], 0x0
	s_load_dword s4, s[0:1], 0x38
	s_mul_i32 s5, s12, s3
	s_mul_hi_u32 s14, s12, s2
	s_add_i32 s5, s14, s5
	s_waitcnt lgkmcnt(0)
	s_ashr_i32 s1, s10, 31
	s_mov_b32 s0, s10
	s_mul_i32 s10, s13, s2
	s_add_i32 s13, s5, s10
	s_mul_i32 s12, s12, s2
	s_lshl_b64 s[12:13], s[12:13], 3
	s_add_u32 s5, s8, s12
	s_addc_u32 s8, s9, s13
	s_lshl_b64 s[0:1], s[0:1], 3
	s_add_u32 s0, s5, s0
	s_addc_u32 s1, s8, s1
	v_lshlrev_b32_e32 v2, 3, v0
	v_mov_b32_e32 v3, 0
	v_lshl_add_u64 v[4:5], s[0:1], 0, v[2:3]
	s_ashr_i32 s9, s11, 31
	s_mov_b32 s8, s11
	v_accvgpr_write_b32 a0, v4
	s_add_i32 s5, s11, s11
	v_accvgpr_write_b32 a1, v5
	v_lshl_add_u64 v[8:9], s[8:9], 3, v[4:5]
	v_add_u32_e32 v4, s5, v0
	v_ashrrev_i32_e32 v5, 31, v4
	v_lshl_add_u64 v[10:11], v[4:5], 3, s[0:1]
	v_add_u32_e32 v4, s11, v4
	v_ashrrev_i32_e32 v5, 31, v4
	;; [unrolled: 3-line block ×42, first 2 shown]
	v_lshl_add_u64 v[240:241], v[4:5], 3, s[0:1]
	v_add_u32_e32 v4, s11, v4
	v_accvgpr_write_b32 a2, v8
	v_accvgpr_write_b32 a4, v10
	;; [unrolled: 1-line block ×4, first 2 shown]
	v_ashrrev_i32_e32 v5, 31, v4
	global_load_dwordx2 v[6:7], v2, s[0:1]
	v_accvgpr_write_b32 a3, v9
	global_load_dwordx2 v[8:9], v[8:9], off
	v_accvgpr_write_b32 a5, v11
	global_load_dwordx2 v[10:11], v[10:11], off
	v_accvgpr_write_b32 a7, v13
	global_load_dwordx2 v[12:13], v[12:13], off
	v_accvgpr_write_b32 a9, v15
	global_load_dwordx2 v[14:15], v[14:15], off
	s_nop 0
	global_load_dwordx2 v[16:17], v[164:165], off
	global_load_dwordx2 v[18:19], v[166:167], off
	;; [unrolled: 1-line block ×36, first 2 shown]
	v_lshl_add_u64 v[242:243], v[4:5], 3, s[0:1]
	global_load_dwordx2 v[88:89], v[236:237], off
	global_load_dwordx2 v[90:91], v[238:239], off
	;; [unrolled: 1-line block ×4, first 2 shown]
	v_add_u32_e32 v4, s11, v4
	v_ashrrev_i32_e32 v5, 31, v4
	v_lshl_add_u64 v[244:245], v[4:5], 3, s[0:1]
	global_load_dwordx2 v[96:97], v[244:245], off
	s_bitcmp0_b32 s4, 0
	s_mov_b64 s[4:5], -1
	s_waitcnt vmcnt(44)
	scratch_store_dwordx4 off, v[6:9], off
	s_waitcnt vmcnt(43)
	scratch_store_dwordx4 off, v[10:13], off offset:16
	s_waitcnt vmcnt(42)
	scratch_store_dwordx4 off, v[14:17], off offset:32
	;; [unrolled: 2-line block ×22, first 2 shown]
	s_cbranch_scc1 .LBB45_196
; %bb.4:
	v_cmp_eq_u32_e64 s[0:1], 0, v0
	s_and_saveexec_b64 s[4:5], s[0:1]
; %bb.5:
	v_mov_b32_e32 v1, 0
	ds_write_b32 v1, v1 offset:736
; %bb.6:
	s_or_b64 exec, exec, s[4:5]
	s_waitcnt lgkmcnt(0)
	; wave barrier
	scratch_load_dwordx2 v[4:5], v2, off
	s_waitcnt vmcnt(0)
	v_cmp_eq_f32_e32 vcc, 0, v4
	v_cmp_eq_f32_e64 s[4:5], 0, v5
	s_and_b64 s[4:5], vcc, s[4:5]
	s_and_saveexec_b64 s[8:9], s[4:5]
	s_cbranch_execz .LBB45_10
; %bb.7:
	v_mov_b32_e32 v1, 0
	ds_read_b32 v4, v1 offset:736
	v_add_u32_e32 v3, 1, v0
	s_waitcnt lgkmcnt(0)
	v_readfirstlane_b32 s4, v4
	s_cmp_eq_u32 s4, 0
	s_cselect_b64 s[10:11], -1, 0
	v_cmp_gt_i32_e32 vcc, s4, v3
	s_or_b64 s[10:11], s[10:11], vcc
	s_and_b64 exec, exec, s[10:11]
	s_cbranch_execz .LBB45_10
; %bb.8:
	s_mov_b64 s[10:11], 0
	v_mov_b32_e32 v4, s4
.LBB45_9:                               ; =>This Inner Loop Header: Depth=1
	ds_cmpst_rtn_b32 v4, v1, v4, v3 offset:736
	s_waitcnt lgkmcnt(0)
	v_cmp_ne_u32_e32 vcc, 0, v4
	v_cmp_le_i32_e64 s[4:5], v4, v3
	s_and_b64 s[4:5], vcc, s[4:5]
	s_and_b64 s[4:5], exec, s[4:5]
	s_or_b64 s[10:11], s[4:5], s[10:11]
	s_andn2_b64 exec, exec, s[10:11]
	s_cbranch_execnz .LBB45_9
.LBB45_10:
	s_or_b64 exec, exec, s[8:9]
	v_mov_b32_e32 v3, 0
	; wave barrier
	ds_read_b32 v1, v3 offset:736
	s_and_saveexec_b64 s[4:5], s[0:1]
	s_cbranch_execz .LBB45_12
; %bb.11:
	s_lshl_b64 s[8:9], s[2:3], 2
	s_add_u32 s8, s6, s8
	s_addc_u32 s9, s7, s9
	s_waitcnt lgkmcnt(0)
	global_store_dword v3, v1, s[8:9]
.LBB45_12:
	s_or_b64 exec, exec, s[4:5]
	s_waitcnt lgkmcnt(0)
	v_cmp_ne_u32_e32 vcc, 0, v1
	s_mov_b64 s[4:5], 0
	s_cbranch_vccnz .LBB45_196
; %bb.13:
	v_mov_b32_e32 v3, v2
	scratch_load_dwordx2 v[4:5], v3, off
                                        ; implicit-def: $vgpr7
                                        ; implicit-def: $vgpr8
	s_waitcnt vmcnt(0)
	v_cmp_ngt_f32_e64 s[4:5], |v4|, |v5|
	s_and_saveexec_b64 s[8:9], s[4:5]
	s_xor_b64 s[4:5], exec, s[8:9]
	s_cbranch_execz .LBB45_15
; %bb.14:
	v_div_scale_f32 v1, s[8:9], v5, v5, v4
	v_rcp_f32_e32 v6, v1
	v_div_scale_f32 v7, vcc, v4, v5, v4
	v_fma_f32 v8, -v1, v6, 1.0
	v_fmac_f32_e32 v6, v8, v6
	v_mul_f32_e32 v8, v7, v6
	v_fma_f32 v9, -v1, v8, v7
	v_fmac_f32_e32 v8, v9, v6
	v_fma_f32 v1, -v1, v8, v7
	v_div_fmas_f32 v1, v1, v6, v8
	v_div_fixup_f32 v1, v1, v5, v4
	v_fmac_f32_e32 v5, v4, v1
	v_div_scale_f32 v4, s[8:9], v5, v5, -1.0
	v_rcp_f32_e32 v6, v4
	s_nop 0
	v_fma_f32 v7, -v4, v6, 1.0
	v_fmac_f32_e32 v6, v7, v6
	v_div_scale_f32 v7, vcc, -1.0, v5, -1.0
	v_mul_f32_e32 v8, v7, v6
	v_fma_f32 v9, -v4, v8, v7
	v_fmac_f32_e32 v8, v9, v6
	v_fma_f32 v4, -v4, v8, v7
	v_div_fmas_f32 v4, v4, v6, v8
	v_div_fixup_f32 v7, v4, v5, -1.0
	v_mul_f32_e32 v8, v1, v7
	v_xor_b32_e32 v6, 0x80000000, v8
                                        ; implicit-def: $vgpr4_vgpr5
.LBB45_15:
	s_andn2_saveexec_b64 s[4:5], s[4:5]
	s_cbranch_execz .LBB45_17
; %bb.16:
	v_div_scale_f32 v1, s[8:9], v4, v4, v5
	v_rcp_f32_e32 v6, v1
	v_div_scale_f32 v7, vcc, v5, v4, v5
	v_fma_f32 v8, -v1, v6, 1.0
	v_fmac_f32_e32 v6, v8, v6
	v_mul_f32_e32 v8, v7, v6
	v_fma_f32 v9, -v1, v8, v7
	v_fmac_f32_e32 v8, v9, v6
	v_fma_f32 v1, -v1, v8, v7
	v_div_fmas_f32 v1, v1, v6, v8
	v_div_fixup_f32 v1, v1, v4, v5
	v_fmac_f32_e32 v4, v5, v1
	v_div_scale_f32 v5, s[8:9], v4, v4, 1.0
	v_rcp_f32_e32 v6, v5
	s_nop 0
	v_fma_f32 v7, -v5, v6, 1.0
	v_fmac_f32_e32 v6, v7, v6
	v_div_scale_f32 v7, vcc, 1.0, v4, 1.0
	v_mul_f32_e32 v8, v7, v6
	v_fma_f32 v9, -v5, v8, v7
	v_fmac_f32_e32 v8, v9, v6
	v_fma_f32 v5, -v5, v8, v7
	v_div_fmas_f32 v5, v5, v6, v8
	v_div_fixup_f32 v6, v5, v4, 1.0
	v_xor_b32_e32 v8, 0x80000000, v6
	v_mul_f32_e64 v7, v1, -v6
.LBB45_17:
	s_or_b64 exec, exec, s[4:5]
	scratch_store_dwordx2 v3, v[6:7], off
	scratch_load_dwordx2 v[4:5], off, off offset:8
	v_xor_b32_e32 v9, 0x80000000, v7
	v_add_u32_e32 v1, 0x170, v2
	s_waitcnt vmcnt(0)
	ds_write2_b64 v2, v[8:9], v[4:5] offset1:46
	s_waitcnt lgkmcnt(0)
	; wave barrier
	s_and_saveexec_b64 s[4:5], s[0:1]
	s_cbranch_execz .LBB45_19
; %bb.18:
	scratch_load_dwordx2 v[4:5], v3, off
	ds_read_b64 v[6:7], v1
	v_mov_b32_e32 v8, 0
	ds_read_b64 v[8:9], v8 offset:8
	s_waitcnt vmcnt(0) lgkmcnt(1)
	v_pk_mul_f32 v[10:11], v[6:7], v[4:5] op_sel:[1,1] op_sel_hi:[0,1]
	v_pk_fma_f32 v[12:13], v[6:7], v[4:5], v[10:11] neg_lo:[0,0,1] neg_hi:[0,0,1]
	v_pk_fma_f32 v[4:5], v[6:7], v[4:5], v[10:11] op_sel_hi:[1,0,1]
	s_nop 0
	v_mov_b32_e32 v13, v5
	v_pk_add_f32 v[4:5], v[12:13], 0 op_sel_hi:[1,0]
	s_waitcnt lgkmcnt(0)
	v_pk_mul_f32 v[6:7], v[4:5], v[8:9] op_sel:[1,1] op_sel_hi:[0,1]
	v_pk_fma_f32 v[10:11], v[4:5], v[8:9], v[6:7] neg_lo:[0,0,1] neg_hi:[0,0,1]
	v_pk_fma_f32 v[4:5], v[4:5], v[8:9], v[6:7] op_sel_hi:[1,0,1]
	s_nop 0
	v_mov_b32_e32 v11, v5
	scratch_store_dwordx2 off, v[10:11], off offset:8
.LBB45_19:
	s_or_b64 exec, exec, s[4:5]
	; wave barrier
	scratch_load_dwordx2 v[4:5], off, off offset:16
	v_cmp_gt_u32_e32 vcc, 2, v0
	s_waitcnt vmcnt(0)
	ds_write_b64 v1, v[4:5]
	s_waitcnt lgkmcnt(0)
	; wave barrier
	s_and_saveexec_b64 s[4:5], vcc
	s_cbranch_execz .LBB45_23
; %bb.20:
	scratch_load_dwordx2 v[4:5], v3, off
	ds_read_b64 v[6:7], v1
	s_waitcnt vmcnt(0) lgkmcnt(0)
	v_pk_mul_f32 v[8:9], v[6:7], v[4:5] op_sel:[1,1] op_sel_hi:[0,1]
	v_pk_fma_f32 v[10:11], v[6:7], v[4:5], v[8:9] neg_lo:[0,0,1] neg_hi:[0,0,1]
	v_pk_fma_f32 v[4:5], v[6:7], v[4:5], v[8:9] op_sel_hi:[1,0,1]
	s_nop 0
	v_mov_b32_e32 v11, v5
	v_pk_add_f32 v[4:5], v[10:11], 0 op_sel_hi:[1,0]
	s_and_saveexec_b64 s[8:9], s[0:1]
	s_cbranch_execz .LBB45_22
; %bb.21:
	scratch_load_dwordx2 v[6:7], off, off offset:8
	v_mov_b32_e32 v3, 0
	ds_read_b64 v[8:9], v3 offset:376
	s_waitcnt vmcnt(0) lgkmcnt(0)
	v_pk_mul_f32 v[10:11], v[8:9], v[6:7] op_sel:[1,1] op_sel_hi:[0,1]
	v_pk_fma_f32 v[12:13], v[8:9], v[6:7], v[10:11] neg_lo:[0,0,1] neg_hi:[0,0,1]
	v_pk_fma_f32 v[6:7], v[8:9], v[6:7], v[10:11] op_sel_hi:[1,0,1]
	s_nop 0
	v_mov_b32_e32 v13, v7
	v_pk_add_f32 v[4:5], v[4:5], v[12:13]
.LBB45_22:
	s_or_b64 exec, exec, s[8:9]
	v_mov_b32_e32 v3, 0
	ds_read_b64 v[6:7], v3 offset:16
	s_waitcnt lgkmcnt(0)
	v_pk_mul_f32 v[8:9], v[4:5], v[6:7] op_sel:[1,1] op_sel_hi:[0,1]
	v_pk_fma_f32 v[10:11], v[4:5], v[6:7], v[8:9] neg_lo:[0,0,1] neg_hi:[0,0,1]
	v_pk_fma_f32 v[4:5], v[4:5], v[6:7], v[8:9] op_sel_hi:[1,0,1]
	s_nop 0
	v_mov_b32_e32 v11, v5
	scratch_store_dwordx2 off, v[10:11], off offset:16
.LBB45_23:
	s_or_b64 exec, exec, s[4:5]
	; wave barrier
	scratch_load_dwordx2 v[4:5], off, off offset:24
	v_cmp_gt_u32_e32 vcc, 3, v0
	v_add_u32_e32 v6, -1, v0
	s_waitcnt vmcnt(0)
	ds_write_b64 v1, v[4:5]
	s_waitcnt lgkmcnt(0)
	; wave barrier
	s_and_saveexec_b64 s[0:1], vcc
	s_cbranch_execz .LBB45_27
; %bb.24:
	v_mov_b32_e32 v4, 0
	v_add_u32_e32 v3, -1, v0
	v_add_u32_e32 v7, 0x170, v2
	v_mov_b32_e32 v8, v2
	s_mov_b64 s[4:5], 0
	v_mov_b32_e32 v5, v4
.LBB45_25:                              ; =>This Inner Loop Header: Depth=1
	scratch_load_dwordx2 v[10:11], v8, off
	ds_read_b64 v[12:13], v7
	v_add_u32_e32 v3, 1, v3
	v_cmp_lt_u32_e32 vcc, 1, v3
	v_add_u32_e32 v7, 8, v7
	v_add_u32_e32 v8, 8, v8
	s_or_b64 s[4:5], vcc, s[4:5]
	s_waitcnt vmcnt(0) lgkmcnt(0)
	v_pk_mul_f32 v[14:15], v[12:13], v[10:11] op_sel:[1,1] op_sel_hi:[0,1]
	v_pk_fma_f32 v[16:17], v[12:13], v[10:11], v[14:15] neg_lo:[0,0,1] neg_hi:[0,0,1]
	v_pk_fma_f32 v[10:11], v[12:13], v[10:11], v[14:15] op_sel_hi:[1,0,1]
	s_nop 0
	v_mov_b32_e32 v17, v11
	v_pk_add_f32 v[4:5], v[4:5], v[16:17]
	s_andn2_b64 exec, exec, s[4:5]
	s_cbranch_execnz .LBB45_25
; %bb.26:
	s_or_b64 exec, exec, s[4:5]
	v_mov_b32_e32 v3, 0
	ds_read_b64 v[8:9], v3 offset:24
	s_waitcnt lgkmcnt(0)
	v_pk_mul_f32 v[10:11], v[4:5], v[8:9] op_sel:[1,1] op_sel_hi:[0,1]
	v_pk_fma_f32 v[12:13], v[4:5], v[8:9], v[10:11] neg_lo:[0,0,1] neg_hi:[0,0,1]
	v_pk_fma_f32 v[4:5], v[4:5], v[8:9], v[10:11] op_sel_hi:[1,0,1]
	s_nop 0
	v_mov_b32_e32 v13, v5
	scratch_store_dwordx2 off, v[12:13], off offset:24
.LBB45_27:
	s_or_b64 exec, exec, s[0:1]
	; wave barrier
	scratch_load_dwordx2 v[4:5], off, off offset:32
	v_cmp_gt_u32_e32 vcc, 4, v0
	s_waitcnt vmcnt(0)
	ds_write_b64 v1, v[4:5]
	s_waitcnt lgkmcnt(0)
	; wave barrier
	s_and_saveexec_b64 s[0:1], vcc
	s_cbranch_execz .LBB45_31
; %bb.28:
	v_mov_b32_e32 v4, 0
	v_add_u32_e32 v3, -1, v0
	v_add_u32_e32 v7, 0x170, v2
	v_mov_b32_e32 v8, v2
	s_mov_b64 s[4:5], 0
	v_mov_b32_e32 v5, v4
.LBB45_29:                              ; =>This Inner Loop Header: Depth=1
	scratch_load_dwordx2 v[10:11], v8, off
	ds_read_b64 v[12:13], v7
	v_add_u32_e32 v3, 1, v3
	v_cmp_lt_u32_e32 vcc, 2, v3
	v_add_u32_e32 v7, 8, v7
	v_add_u32_e32 v8, 8, v8
	s_or_b64 s[4:5], vcc, s[4:5]
	s_waitcnt vmcnt(0) lgkmcnt(0)
	v_pk_mul_f32 v[14:15], v[12:13], v[10:11] op_sel:[1,1] op_sel_hi:[0,1]
	v_pk_fma_f32 v[16:17], v[12:13], v[10:11], v[14:15] neg_lo:[0,0,1] neg_hi:[0,0,1]
	v_pk_fma_f32 v[10:11], v[12:13], v[10:11], v[14:15] op_sel_hi:[1,0,1]
	s_nop 0
	v_mov_b32_e32 v17, v11
	v_pk_add_f32 v[4:5], v[4:5], v[16:17]
	s_andn2_b64 exec, exec, s[4:5]
	s_cbranch_execnz .LBB45_29
; %bb.30:
	s_or_b64 exec, exec, s[4:5]
	v_mov_b32_e32 v3, 0
	ds_read_b64 v[8:9], v3 offset:32
	s_waitcnt lgkmcnt(0)
	v_pk_mul_f32 v[10:11], v[4:5], v[8:9] op_sel:[1,1] op_sel_hi:[0,1]
	v_pk_fma_f32 v[12:13], v[4:5], v[8:9], v[10:11] neg_lo:[0,0,1] neg_hi:[0,0,1]
	v_pk_fma_f32 v[4:5], v[4:5], v[8:9], v[10:11] op_sel_hi:[1,0,1]
	s_nop 0
	v_mov_b32_e32 v13, v5
	scratch_store_dwordx2 off, v[12:13], off offset:32
.LBB45_31:
	s_or_b64 exec, exec, s[0:1]
	; wave barrier
	scratch_load_dwordx2 v[4:5], off, off offset:40
	v_cmp_gt_u32_e32 vcc, 5, v0
	;; [unrolled: 46-line block ×19, first 2 shown]
	s_waitcnt vmcnt(0)
	ds_write_b64 v1, v[4:5]
	s_waitcnt lgkmcnt(0)
	; wave barrier
	s_and_saveexec_b64 s[0:1], vcc
	s_cbranch_execz .LBB45_103
; %bb.100:
	v_mov_b32_e32 v4, 0
	v_add_u32_e32 v3, -1, v0
	v_add_u32_e32 v7, 0x170, v2
	v_mov_b32_e32 v8, v2
	s_mov_b64 s[4:5], 0
	v_mov_b32_e32 v5, v4
.LBB45_101:                             ; =>This Inner Loop Header: Depth=1
	scratch_load_dwordx2 v[10:11], v8, off
	ds_read_b64 v[12:13], v7
	v_add_u32_e32 v3, 1, v3
	v_cmp_lt_u32_e32 vcc, 20, v3
	v_add_u32_e32 v7, 8, v7
	v_add_u32_e32 v8, 8, v8
	s_or_b64 s[4:5], vcc, s[4:5]
	s_waitcnt vmcnt(0) lgkmcnt(0)
	v_pk_mul_f32 v[14:15], v[12:13], v[10:11] op_sel:[1,1] op_sel_hi:[0,1]
	v_pk_fma_f32 v[16:17], v[12:13], v[10:11], v[14:15] neg_lo:[0,0,1] neg_hi:[0,0,1]
	v_pk_fma_f32 v[10:11], v[12:13], v[10:11], v[14:15] op_sel_hi:[1,0,1]
	s_nop 0
	v_mov_b32_e32 v17, v11
	v_pk_add_f32 v[4:5], v[4:5], v[16:17]
	s_andn2_b64 exec, exec, s[4:5]
	s_cbranch_execnz .LBB45_101
; %bb.102:
	s_or_b64 exec, exec, s[4:5]
	v_mov_b32_e32 v3, 0
	ds_read_b64 v[8:9], v3 offset:176
	s_waitcnt lgkmcnt(0)
	v_pk_mul_f32 v[10:11], v[4:5], v[8:9] op_sel:[1,1] op_sel_hi:[0,1]
	v_pk_fma_f32 v[12:13], v[4:5], v[8:9], v[10:11] neg_lo:[0,0,1] neg_hi:[0,0,1]
	v_pk_fma_f32 v[4:5], v[4:5], v[8:9], v[10:11] op_sel_hi:[1,0,1]
	s_nop 0
	v_mov_b32_e32 v13, v5
	scratch_store_dwordx2 off, v[12:13], off offset:176
.LBB45_103:
	s_or_b64 exec, exec, s[0:1]
	; wave barrier
	scratch_load_dwordx2 v[4:5], off, off offset:184
	v_cmp_gt_u32_e32 vcc, 23, v0
	s_waitcnt vmcnt(0)
	ds_write_b64 v1, v[4:5]
	s_waitcnt lgkmcnt(0)
	; wave barrier
	s_and_saveexec_b64 s[0:1], vcc
	s_cbranch_execz .LBB45_107
; %bb.104:
	v_mov_b32_e32 v4, 0
	v_add_u32_e32 v3, -1, v0
	v_add_u32_e32 v7, 0x170, v2
	v_mov_b32_e32 v8, v2
	s_mov_b64 s[4:5], 0
	v_mov_b32_e32 v5, v4
.LBB45_105:                             ; =>This Inner Loop Header: Depth=1
	scratch_load_dwordx2 v[10:11], v8, off
	ds_read_b64 v[12:13], v7
	v_add_u32_e32 v3, 1, v3
	v_cmp_lt_u32_e32 vcc, 21, v3
	v_add_u32_e32 v7, 8, v7
	v_add_u32_e32 v8, 8, v8
	s_or_b64 s[4:5], vcc, s[4:5]
	s_waitcnt vmcnt(0) lgkmcnt(0)
	v_pk_mul_f32 v[14:15], v[12:13], v[10:11] op_sel:[1,1] op_sel_hi:[0,1]
	v_pk_fma_f32 v[16:17], v[12:13], v[10:11], v[14:15] neg_lo:[0,0,1] neg_hi:[0,0,1]
	v_pk_fma_f32 v[10:11], v[12:13], v[10:11], v[14:15] op_sel_hi:[1,0,1]
	s_nop 0
	v_mov_b32_e32 v17, v11
	v_pk_add_f32 v[4:5], v[4:5], v[16:17]
	s_andn2_b64 exec, exec, s[4:5]
	s_cbranch_execnz .LBB45_105
; %bb.106:
	s_or_b64 exec, exec, s[4:5]
	v_mov_b32_e32 v3, 0
	ds_read_b64 v[8:9], v3 offset:184
	s_waitcnt lgkmcnt(0)
	v_pk_mul_f32 v[10:11], v[4:5], v[8:9] op_sel:[1,1] op_sel_hi:[0,1]
	v_pk_fma_f32 v[12:13], v[4:5], v[8:9], v[10:11] neg_lo:[0,0,1] neg_hi:[0,0,1]
	v_pk_fma_f32 v[4:5], v[4:5], v[8:9], v[10:11] op_sel_hi:[1,0,1]
	s_nop 0
	v_mov_b32_e32 v13, v5
	scratch_store_dwordx2 off, v[12:13], off offset:184
.LBB45_107:
	s_or_b64 exec, exec, s[0:1]
	; wave barrier
	scratch_load_dwordx2 v[4:5], off, off offset:192
	v_cmp_gt_u32_e32 vcc, 24, v0
	;; [unrolled: 46-line block ×22, first 2 shown]
	s_waitcnt vmcnt(0)
	ds_write_b64 v1, v[4:5]
	s_waitcnt lgkmcnt(0)
	; wave barrier
	s_and_saveexec_b64 s[0:1], vcc
	s_cbranch_execz .LBB45_191
; %bb.188:
	v_mov_b32_e32 v4, 0
	v_add_u32_e32 v3, -1, v0
	v_add_u32_e32 v7, 0x170, v2
	v_mov_b32_e32 v8, v2
	s_mov_b64 s[4:5], 0
	v_mov_b32_e32 v5, v4
.LBB45_189:                             ; =>This Inner Loop Header: Depth=1
	scratch_load_dwordx2 v[10:11], v8, off
	ds_read_b64 v[12:13], v7
	v_add_u32_e32 v3, 1, v3
	v_cmp_lt_u32_e32 vcc, 42, v3
	v_add_u32_e32 v7, 8, v7
	v_add_u32_e32 v8, 8, v8
	s_or_b64 s[4:5], vcc, s[4:5]
	s_waitcnt vmcnt(0) lgkmcnt(0)
	v_pk_mul_f32 v[14:15], v[12:13], v[10:11] op_sel:[1,1] op_sel_hi:[0,1]
	v_pk_fma_f32 v[16:17], v[12:13], v[10:11], v[14:15] neg_lo:[0,0,1] neg_hi:[0,0,1]
	v_pk_fma_f32 v[10:11], v[12:13], v[10:11], v[14:15] op_sel_hi:[1,0,1]
	s_nop 0
	v_mov_b32_e32 v17, v11
	v_pk_add_f32 v[4:5], v[4:5], v[16:17]
	s_andn2_b64 exec, exec, s[4:5]
	s_cbranch_execnz .LBB45_189
; %bb.190:
	s_or_b64 exec, exec, s[4:5]
	v_mov_b32_e32 v3, 0
	ds_read_b64 v[8:9], v3 offset:352
	s_waitcnt lgkmcnt(0)
	v_pk_mul_f32 v[10:11], v[4:5], v[8:9] op_sel:[1,1] op_sel_hi:[0,1]
	v_pk_fma_f32 v[12:13], v[4:5], v[8:9], v[10:11] neg_lo:[0,0,1] neg_hi:[0,0,1]
	v_pk_fma_f32 v[4:5], v[4:5], v[8:9], v[10:11] op_sel_hi:[1,0,1]
	s_nop 0
	v_mov_b32_e32 v13, v5
	scratch_store_dwordx2 off, v[12:13], off offset:352
.LBB45_191:
	s_or_b64 exec, exec, s[0:1]
	; wave barrier
	scratch_load_dwordx2 v[4:5], off, off offset:360
	v_cmp_ne_u32_e32 vcc, 45, v0
	s_waitcnt vmcnt(0)
	ds_write_b64 v1, v[4:5]
	s_waitcnt lgkmcnt(0)
	; wave barrier
	s_and_saveexec_b64 s[0:1], vcc
	s_cbranch_execz .LBB45_195
; %bb.192:
	v_add_u32_e32 v1, 0x170, v2
	v_mov_b32_e32 v4, v2
	v_mov_b32_e32 v2, 0
	s_mov_b64 s[4:5], 0
	v_mov_b32_e32 v3, v2
.LBB45_193:                             ; =>This Inner Loop Header: Depth=1
	scratch_load_dwordx2 v[8:9], v4, off
	ds_read_b64 v[10:11], v1
	v_add_u32_e32 v6, 1, v6
	v_cmp_lt_u32_e32 vcc, 43, v6
	v_add_u32_e32 v1, 8, v1
	v_add_u32_e32 v4, 8, v4
	s_or_b64 s[4:5], vcc, s[4:5]
	s_waitcnt vmcnt(0) lgkmcnt(0)
	v_pk_mul_f32 v[12:13], v[10:11], v[8:9] op_sel:[1,1] op_sel_hi:[0,1]
	v_pk_fma_f32 v[14:15], v[10:11], v[8:9], v[12:13] neg_lo:[0,0,1] neg_hi:[0,0,1]
	v_pk_fma_f32 v[8:9], v[10:11], v[8:9], v[12:13] op_sel_hi:[1,0,1]
	s_nop 0
	v_mov_b32_e32 v15, v9
	v_pk_add_f32 v[2:3], v[2:3], v[14:15]
	s_andn2_b64 exec, exec, s[4:5]
	s_cbranch_execnz .LBB45_193
; %bb.194:
	s_or_b64 exec, exec, s[4:5]
	v_mov_b32_e32 v1, 0
	ds_read_b64 v[4:5], v1 offset:360
	s_waitcnt lgkmcnt(0)
	v_pk_mul_f32 v[6:7], v[2:3], v[4:5] op_sel:[1,1] op_sel_hi:[0,1]
	v_pk_fma_f32 v[8:9], v[2:3], v[4:5], v[6:7] neg_lo:[0,0,1] neg_hi:[0,0,1]
	v_pk_fma_f32 v[2:3], v[2:3], v[4:5], v[6:7] op_sel_hi:[1,0,1]
	s_nop 0
	v_mov_b32_e32 v9, v3
	scratch_store_dwordx2 off, v[8:9], off offset:360
.LBB45_195:
	s_or_b64 exec, exec, s[0:1]
	s_mov_b64 s[4:5], -1
	; wave barrier
.LBB45_196:
	s_and_b64 vcc, exec, s[4:5]
	s_cbranch_vccz .LBB45_198
; %bb.197:
	s_lshl_b64 s[0:1], s[2:3], 2
	s_add_u32 s0, s6, s0
	s_addc_u32 s1, s7, s1
	v_mov_b32_e32 v1, 0
	global_load_dword v1, v1, s[0:1]
	s_waitcnt vmcnt(0)
	v_cmp_ne_u32_e32 vcc, 0, v1
	s_cbranch_vccz .LBB45_199
.LBB45_198:
	s_endpgm
.LBB45_199:
	v_mov_b32_e32 v1, 0x170
	v_lshl_add_u32 v1, v0, 3, v1
	v_cmp_eq_u32_e32 vcc, 45, v0
	s_and_saveexec_b64 s[0:1], vcc
	s_cbranch_execz .LBB45_201
; %bb.200:
	scratch_load_dwordx2 v[2:3], off, off offset:352
	v_mov_b32_e32 v4, 0
	v_mov_b32_e32 v5, v4
	scratch_store_dwordx2 off, v[4:5], off offset:352
	s_waitcnt vmcnt(1)
	ds_write_b64 v1, v[2:3]
.LBB45_201:
	s_or_b64 exec, exec, s[0:1]
	s_waitcnt lgkmcnt(0)
	; wave barrier
	scratch_load_dwordx2 v[4:5], off, off offset:360
	scratch_load_dwordx2 v[6:7], off, off offset:352
	v_mov_b32_e32 v2, 0
	ds_read_b64 v[8:9], v2 offset:728
	v_cmp_lt_u32_e32 vcc, 43, v0
	s_waitcnt vmcnt(1) lgkmcnt(0)
	v_pk_mul_f32 v[10:11], v[8:9], v[4:5] op_sel:[1,1] op_sel_hi:[0,1]
	v_pk_fma_f32 v[12:13], v[8:9], v[4:5], v[10:11] neg_lo:[0,0,1] neg_hi:[0,0,1]
	v_pk_fma_f32 v[4:5], v[8:9], v[4:5], v[10:11] op_sel_hi:[1,0,1]
	s_nop 0
	v_mov_b32_e32 v13, v5
	v_pk_add_f32 v[4:5], v[12:13], 0 op_sel_hi:[1,0]
	s_waitcnt vmcnt(0)
	v_pk_add_f32 v[4:5], v[6:7], v[4:5] neg_lo:[0,1] neg_hi:[0,1]
	scratch_store_dwordx2 off, v[4:5], off offset:352
	s_and_saveexec_b64 s[0:1], vcc
	s_cbranch_execz .LBB45_203
; %bb.202:
	scratch_load_dwordx2 v[4:5], off, off offset:344
	v_mov_b32_e32 v3, v2
	scratch_store_dwordx2 off, v[2:3], off offset:344
	s_waitcnt vmcnt(1)
	ds_write_b64 v1, v[4:5]
.LBB45_203:
	s_or_b64 exec, exec, s[0:1]
	s_waitcnt lgkmcnt(0)
	; wave barrier
	scratch_load_dwordx4 v[4:7], off, off offset:352
	scratch_load_dwordx2 v[12:13], off, off offset:344
	ds_read_b128 v[8:11], v2 offset:720
	v_cmp_lt_u32_e32 vcc, 42, v0
	s_waitcnt vmcnt(1) lgkmcnt(0)
	v_pk_mul_f32 v[2:3], v[8:9], v[4:5] op_sel:[1,1] op_sel_hi:[0,1]
	v_mov_b32_e32 v14, v7
	v_pk_fma_f32 v[16:17], v[8:9], v[4:5], v[2:3] neg_lo:[0,0,1] neg_hi:[0,0,1]
	v_pk_fma_f32 v[2:3], v[8:9], v[4:5], v[2:3] op_sel_hi:[1,0,1]
	v_pk_mul_f32 v[4:5], v[10:11], v[14:15] op_sel:[1,0] op_sel_hi:[0,0]
	v_mov_b32_e32 v17, v3
	v_pk_fma_f32 v[2:3], v[10:11], v[6:7], v[4:5] neg_lo:[0,0,1] neg_hi:[0,0,1]
	v_pk_fma_f32 v[4:5], v[10:11], v[6:7], v[4:5] op_sel_hi:[1,0,1]
	v_pk_add_f32 v[6:7], v[16:17], 0 op_sel_hi:[1,0]
	v_mov_b32_e32 v3, v5
	v_pk_add_f32 v[2:3], v[6:7], v[2:3]
	s_waitcnt vmcnt(0)
	v_pk_add_f32 v[2:3], v[12:13], v[2:3] neg_lo:[0,1] neg_hi:[0,1]
	scratch_store_dwordx2 off, v[2:3], off offset:344
	s_and_saveexec_b64 s[0:1], vcc
	s_cbranch_execz .LBB45_205
; %bb.204:
	scratch_load_dwordx2 v[2:3], off, off offset:336
	v_mov_b32_e32 v4, 0
	v_mov_b32_e32 v5, v4
	scratch_store_dwordx2 off, v[4:5], off offset:336
	s_waitcnt vmcnt(1)
	ds_write_b64 v1, v[2:3]
.LBB45_205:
	s_or_b64 exec, exec, s[0:1]
	s_waitcnt lgkmcnt(0)
	; wave barrier
	scratch_load_dwordx4 v[4:7], off, off offset:344
	scratch_load_dwordx2 v[12:13], off, off offset:360
	scratch_load_dwordx2 v[14:15], off, off offset:336
	v_mov_b32_e32 v2, 0
	ds_read2_b64 v[8:11], v2 offset0:89 offset1:90
	ds_read_b64 v[16:17], v2 offset:728
	v_cmp_lt_u32_e32 vcc, 41, v0
	s_waitcnt vmcnt(2) lgkmcnt(1)
	v_pk_mul_f32 v[18:19], v[8:9], v[4:5] op_sel:[1,1] op_sel_hi:[0,1]
	v_mov_b32_e32 v20, v7
	v_pk_fma_f32 v[24:25], v[8:9], v[4:5], v[18:19] neg_lo:[0,0,1] neg_hi:[0,0,1]
	v_pk_fma_f32 v[4:5], v[8:9], v[4:5], v[18:19] op_sel_hi:[1,0,1]
	v_pk_mul_f32 v[8:9], v[10:11], v[20:21] op_sel:[1,0] op_sel_hi:[0,0]
	s_waitcnt vmcnt(1) lgkmcnt(0)
	v_pk_mul_f32 v[22:23], v[16:17], v[12:13] op_sel:[1,1] op_sel_hi:[0,1]
	v_mov_b32_e32 v25, v5
	v_pk_fma_f32 v[4:5], v[10:11], v[6:7], v[8:9] neg_lo:[0,0,1] neg_hi:[0,0,1]
	v_pk_fma_f32 v[6:7], v[10:11], v[6:7], v[8:9] op_sel_hi:[1,0,1]
	v_pk_fma_f32 v[18:19], v[16:17], v[12:13], v[22:23] neg_lo:[0,0,1] neg_hi:[0,0,1]
	v_pk_fma_f32 v[12:13], v[16:17], v[12:13], v[22:23] op_sel_hi:[1,0,1]
	v_pk_add_f32 v[8:9], v[24:25], 0 op_sel_hi:[1,0]
	v_mov_b32_e32 v5, v7
	v_mov_b32_e32 v19, v13
	v_pk_add_f32 v[4:5], v[8:9], v[4:5]
	s_nop 0
	v_pk_add_f32 v[4:5], v[4:5], v[18:19]
	s_waitcnt vmcnt(0)
	v_pk_add_f32 v[4:5], v[14:15], v[4:5] neg_lo:[0,1] neg_hi:[0,1]
	scratch_store_dwordx2 off, v[4:5], off offset:336
	s_and_saveexec_b64 s[0:1], vcc
	s_cbranch_execz .LBB45_207
; %bb.206:
	scratch_load_dwordx2 v[4:5], off, off offset:328
	v_mov_b32_e32 v3, v2
	scratch_store_dwordx2 off, v[2:3], off offset:328
	s_waitcnt vmcnt(1)
	ds_write_b64 v1, v[4:5]
.LBB45_207:
	s_or_b64 exec, exec, s[0:1]
	s_waitcnt lgkmcnt(0)
	; wave barrier
	scratch_load_dwordx4 v[4:7], off, off offset:336
	scratch_load_dwordx4 v[8:11], off, off offset:352
	scratch_load_dwordx2 v[20:21], off, off offset:328
	ds_read_b128 v[12:15], v2 offset:704
	ds_read_b128 v[16:19], v2 offset:720
	v_cmp_lt_u32_e32 vcc, 40, v0
	s_waitcnt vmcnt(2) lgkmcnt(1)
	v_pk_mul_f32 v[2:3], v[12:13], v[4:5] op_sel:[1,1] op_sel_hi:[0,1]
	v_mov_b32_e32 v22, v7
	s_waitcnt vmcnt(1) lgkmcnt(0)
	v_pk_mul_f32 v[24:25], v[16:17], v[8:9] op_sel:[1,1] op_sel_hi:[0,1]
	v_mov_b32_e32 v26, v11
	v_pk_fma_f32 v[28:29], v[12:13], v[4:5], v[2:3] neg_lo:[0,0,1] neg_hi:[0,0,1]
	v_pk_fma_f32 v[2:3], v[12:13], v[4:5], v[2:3] op_sel_hi:[1,0,1]
	v_pk_mul_f32 v[4:5], v[14:15], v[22:23] op_sel:[1,0] op_sel_hi:[0,0]
	v_pk_fma_f32 v[12:13], v[16:17], v[8:9], v[24:25] neg_lo:[0,0,1] neg_hi:[0,0,1]
	v_pk_fma_f32 v[8:9], v[16:17], v[8:9], v[24:25] op_sel_hi:[1,0,1]
	v_pk_mul_f32 v[16:17], v[18:19], v[26:27] op_sel:[1,0] op_sel_hi:[0,0]
	v_mov_b32_e32 v29, v3
	v_pk_fma_f32 v[2:3], v[14:15], v[6:7], v[4:5] neg_lo:[0,0,1] neg_hi:[0,0,1]
	v_pk_fma_f32 v[4:5], v[14:15], v[6:7], v[4:5] op_sel_hi:[1,0,1]
	v_mov_b32_e32 v13, v9
	v_pk_fma_f32 v[6:7], v[18:19], v[10:11], v[16:17] neg_lo:[0,0,1] neg_hi:[0,0,1]
	v_pk_fma_f32 v[8:9], v[18:19], v[10:11], v[16:17] op_sel_hi:[1,0,1]
	v_pk_add_f32 v[10:11], v[28:29], 0 op_sel_hi:[1,0]
	v_mov_b32_e32 v3, v5
	v_pk_add_f32 v[2:3], v[10:11], v[2:3]
	v_mov_b32_e32 v7, v9
	v_pk_add_f32 v[2:3], v[2:3], v[12:13]
	s_nop 0
	v_pk_add_f32 v[2:3], v[2:3], v[6:7]
	s_waitcnt vmcnt(0)
	v_pk_add_f32 v[2:3], v[20:21], v[2:3] neg_lo:[0,1] neg_hi:[0,1]
	scratch_store_dwordx2 off, v[2:3], off offset:328
	s_and_saveexec_b64 s[0:1], vcc
	s_cbranch_execz .LBB45_209
; %bb.208:
	scratch_load_dwordx2 v[2:3], off, off offset:320
	v_mov_b32_e32 v4, 0
	v_mov_b32_e32 v5, v4
	scratch_store_dwordx2 off, v[4:5], off offset:320
	s_waitcnt vmcnt(1)
	ds_write_b64 v1, v[2:3]
.LBB45_209:
	s_or_b64 exec, exec, s[0:1]
	s_waitcnt lgkmcnt(0)
	; wave barrier
	scratch_load_dwordx4 v[4:7], off, off offset:328
	scratch_load_dwordx4 v[8:11], off, off offset:344
	scratch_load_dwordx2 v[20:21], off, off offset:360
	scratch_load_dwordx2 v[22:23], off, off offset:320
	v_mov_b32_e32 v2, 0
	ds_read2_b64 v[12:15], v2 offset0:87 offset1:88
	ds_read2_b64 v[16:19], v2 offset0:89 offset1:90
	ds_read_b64 v[24:25], v2 offset:728
	v_cmp_lt_u32_e32 vcc, 39, v0
	s_waitcnt vmcnt(3) lgkmcnt(2)
	v_pk_mul_f32 v[26:27], v[12:13], v[4:5] op_sel:[1,1] op_sel_hi:[0,1]
	v_mov_b32_e32 v28, v7
	v_pk_fma_f32 v[36:37], v[12:13], v[4:5], v[26:27] neg_lo:[0,0,1] neg_hi:[0,0,1]
	v_pk_fma_f32 v[4:5], v[12:13], v[4:5], v[26:27] op_sel_hi:[1,0,1]
	v_pk_mul_f32 v[12:13], v[14:15], v[28:29] op_sel:[1,0] op_sel_hi:[0,0]
	s_waitcnt vmcnt(2) lgkmcnt(1)
	v_pk_mul_f32 v[30:31], v[16:17], v[8:9] op_sel:[1,1] op_sel_hi:[0,1]
	v_mov_b32_e32 v32, v11
	v_mov_b32_e32 v37, v5
	v_pk_fma_f32 v[4:5], v[14:15], v[6:7], v[12:13] neg_lo:[0,0,1] neg_hi:[0,0,1]
	v_pk_fma_f32 v[6:7], v[14:15], v[6:7], v[12:13] op_sel_hi:[1,0,1]
	v_pk_fma_f32 v[26:27], v[16:17], v[8:9], v[30:31] neg_lo:[0,0,1] neg_hi:[0,0,1]
	v_pk_fma_f32 v[8:9], v[16:17], v[8:9], v[30:31] op_sel_hi:[1,0,1]
	v_pk_mul_f32 v[16:17], v[18:19], v[32:33] op_sel:[1,0] op_sel_hi:[0,0]
	v_pk_add_f32 v[12:13], v[36:37], 0 op_sel_hi:[1,0]
	v_mov_b32_e32 v5, v7
	s_waitcnt vmcnt(1) lgkmcnt(0)
	v_pk_mul_f32 v[34:35], v[24:25], v[20:21] op_sel:[1,1] op_sel_hi:[0,1]
	v_mov_b32_e32 v27, v9
	v_pk_fma_f32 v[8:9], v[18:19], v[10:11], v[16:17] neg_lo:[0,0,1] neg_hi:[0,0,1]
	v_pk_fma_f32 v[10:11], v[18:19], v[10:11], v[16:17] op_sel_hi:[1,0,1]
	v_pk_add_f32 v[4:5], v[12:13], v[4:5]
	v_pk_fma_f32 v[28:29], v[24:25], v[20:21], v[34:35] neg_lo:[0,0,1] neg_hi:[0,0,1]
	v_pk_fma_f32 v[20:21], v[24:25], v[20:21], v[34:35] op_sel_hi:[1,0,1]
	v_mov_b32_e32 v9, v11
	v_pk_add_f32 v[4:5], v[4:5], v[26:27]
	v_mov_b32_e32 v29, v21
	v_pk_add_f32 v[4:5], v[4:5], v[8:9]
	s_nop 0
	v_pk_add_f32 v[4:5], v[4:5], v[28:29]
	s_waitcnt vmcnt(0)
	v_pk_add_f32 v[4:5], v[22:23], v[4:5] neg_lo:[0,1] neg_hi:[0,1]
	scratch_store_dwordx2 off, v[4:5], off offset:320
	s_and_saveexec_b64 s[0:1], vcc
	s_cbranch_execz .LBB45_211
; %bb.210:
	scratch_load_dwordx2 v[4:5], off, off offset:312
	v_mov_b32_e32 v3, v2
	scratch_store_dwordx2 off, v[2:3], off offset:312
	s_waitcnt vmcnt(1)
	ds_write_b64 v1, v[4:5]
.LBB45_211:
	s_or_b64 exec, exec, s[0:1]
	s_waitcnt lgkmcnt(0)
	; wave barrier
	scratch_load_dwordx4 v[4:7], off, off offset:320
	scratch_load_dwordx4 v[8:11], off, off offset:336
	scratch_load_dwordx4 v[12:15], off, off offset:352
	ds_read_b128 v[16:19], v2 offset:688
	ds_read_b128 v[20:23], v2 offset:704
	;; [unrolled: 1-line block ×3, first 2 shown]
	v_cmp_lt_u32_e32 vcc, 38, v0
	s_waitcnt vmcnt(2) lgkmcnt(2)
	v_pk_mul_f32 v[2:3], v[16:17], v[4:5] op_sel:[1,1] op_sel_hi:[0,1]
	v_pk_fma_f32 v[28:29], v[16:17], v[4:5], v[2:3] neg_lo:[0,0,1] neg_hi:[0,0,1]
	v_pk_fma_f32 v[2:3], v[16:17], v[4:5], v[2:3] op_sel_hi:[1,0,1]
	v_mov_b32_e32 v4, v7
	v_pk_mul_f32 v[4:5], v[18:19], v[4:5] op_sel:[1,0] op_sel_hi:[0,0]
	v_pk_fma_f32 v[16:17], v[18:19], v[6:7], v[4:5] neg_lo:[0,0,1] neg_hi:[0,0,1]
	v_pk_fma_f32 v[4:5], v[18:19], v[6:7], v[4:5] op_sel_hi:[1,0,1]
	v_mov_b32_e32 v29, v3
	v_mov_b32_e32 v17, v5
	s_waitcnt vmcnt(1) lgkmcnt(1)
	v_pk_mul_f32 v[4:5], v[20:21], v[8:9] op_sel:[1,1] op_sel_hi:[0,1]
	v_pk_fma_f32 v[6:7], v[20:21], v[8:9], v[4:5] neg_lo:[0,0,1] neg_hi:[0,0,1]
	v_pk_fma_f32 v[4:5], v[20:21], v[8:9], v[4:5] op_sel_hi:[1,0,1]
	v_pk_add_f32 v[2:3], v[28:29], 0 op_sel_hi:[1,0]
	v_mov_b32_e32 v4, v11
	v_pk_add_f32 v[2:3], v[2:3], v[16:17]
	v_mov_b32_e32 v7, v5
	v_pk_mul_f32 v[4:5], v[22:23], v[4:5] op_sel:[1,0] op_sel_hi:[0,0]
	v_pk_add_f32 v[2:3], v[2:3], v[6:7]
	v_pk_fma_f32 v[6:7], v[22:23], v[10:11], v[4:5] neg_lo:[0,0,1] neg_hi:[0,0,1]
	v_pk_fma_f32 v[4:5], v[22:23], v[10:11], v[4:5] op_sel_hi:[1,0,1]
	s_nop 0
	v_mov_b32_e32 v7, v5
	s_waitcnt vmcnt(0) lgkmcnt(0)
	v_pk_mul_f32 v[4:5], v[24:25], v[12:13] op_sel:[1,1] op_sel_hi:[0,1]
	v_pk_add_f32 v[2:3], v[2:3], v[6:7]
	v_pk_fma_f32 v[6:7], v[24:25], v[12:13], v[4:5] neg_lo:[0,0,1] neg_hi:[0,0,1]
	v_pk_fma_f32 v[4:5], v[24:25], v[12:13], v[4:5] op_sel_hi:[1,0,1]
	s_nop 0
	v_mov_b32_e32 v4, v15
	v_mov_b32_e32 v7, v5
	v_pk_mul_f32 v[4:5], v[26:27], v[4:5] op_sel:[1,0] op_sel_hi:[0,0]
	v_pk_add_f32 v[2:3], v[2:3], v[6:7]
	v_pk_fma_f32 v[6:7], v[26:27], v[14:15], v[4:5] neg_lo:[0,0,1] neg_hi:[0,0,1]
	v_pk_fma_f32 v[4:5], v[26:27], v[14:15], v[4:5] op_sel_hi:[1,0,1]
	s_nop 0
	v_mov_b32_e32 v7, v5
	scratch_load_dwordx2 v[4:5], off, off offset:312
	v_pk_add_f32 v[2:3], v[2:3], v[6:7]
	s_waitcnt vmcnt(0)
	v_pk_add_f32 v[2:3], v[4:5], v[2:3] neg_lo:[0,1] neg_hi:[0,1]
	scratch_store_dwordx2 off, v[2:3], off offset:312
	s_and_saveexec_b64 s[0:1], vcc
	s_cbranch_execz .LBB45_213
; %bb.212:
	scratch_load_dwordx2 v[2:3], off, off offset:304
	v_mov_b32_e32 v4, 0
	v_mov_b32_e32 v5, v4
	scratch_store_dwordx2 off, v[4:5], off offset:304
	s_waitcnt vmcnt(1)
	ds_write_b64 v1, v[2:3]
.LBB45_213:
	s_or_b64 exec, exec, s[0:1]
	s_waitcnt lgkmcnt(0)
	; wave barrier
	scratch_load_dwordx4 v[4:7], off, off offset:312
	scratch_load_dwordx4 v[8:11], off, off offset:328
	;; [unrolled: 1-line block ×3, first 2 shown]
	scratch_load_dwordx2 v[28:29], off, off offset:360
	v_mov_b32_e32 v2, 0
	ds_read2_b64 v[16:19], v2 offset0:85 offset1:86
	ds_read2_b64 v[20:23], v2 offset0:87 offset1:88
	;; [unrolled: 1-line block ×3, first 2 shown]
	ds_read_b64 v[30:31], v2 offset:728
	v_cmp_lt_u32_e32 vcc, 37, v0
	s_waitcnt vmcnt(3) lgkmcnt(3)
	v_pk_mul_f32 v[32:33], v[16:17], v[4:5] op_sel:[1,1] op_sel_hi:[0,1]
	v_pk_fma_f32 v[34:35], v[16:17], v[4:5], v[32:33] neg_lo:[0,0,1] neg_hi:[0,0,1]
	v_pk_fma_f32 v[4:5], v[16:17], v[4:5], v[32:33] op_sel_hi:[1,0,1]
	v_mov_b32_e32 v16, v7
	v_pk_mul_f32 v[16:17], v[18:19], v[16:17] op_sel:[1,0] op_sel_hi:[0,0]
	v_pk_fma_f32 v[32:33], v[18:19], v[6:7], v[16:17] neg_lo:[0,0,1] neg_hi:[0,0,1]
	v_pk_fma_f32 v[6:7], v[18:19], v[6:7], v[16:17] op_sel_hi:[1,0,1]
	v_mov_b32_e32 v35, v5
	v_mov_b32_e32 v33, v7
	s_waitcnt vmcnt(2) lgkmcnt(2)
	v_pk_mul_f32 v[6:7], v[20:21], v[8:9] op_sel:[1,1] op_sel_hi:[0,1]
	v_pk_fma_f32 v[16:17], v[20:21], v[8:9], v[6:7] neg_lo:[0,0,1] neg_hi:[0,0,1]
	v_pk_fma_f32 v[6:7], v[20:21], v[8:9], v[6:7] op_sel_hi:[1,0,1]
	v_pk_add_f32 v[4:5], v[34:35], 0 op_sel_hi:[1,0]
	v_mov_b32_e32 v6, v11
	v_mov_b32_e32 v17, v7
	v_pk_mul_f32 v[6:7], v[22:23], v[6:7] op_sel:[1,0] op_sel_hi:[0,0]
	v_pk_add_f32 v[4:5], v[4:5], v[32:33]
	v_pk_fma_f32 v[8:9], v[22:23], v[10:11], v[6:7] neg_lo:[0,0,1] neg_hi:[0,0,1]
	v_pk_fma_f32 v[6:7], v[22:23], v[10:11], v[6:7] op_sel_hi:[1,0,1]
	v_pk_add_f32 v[4:5], v[4:5], v[16:17]
	v_mov_b32_e32 v9, v7
	s_waitcnt vmcnt(1) lgkmcnt(1)
	v_pk_mul_f32 v[6:7], v[24:25], v[12:13] op_sel:[1,1] op_sel_hi:[0,1]
	v_pk_add_f32 v[4:5], v[4:5], v[8:9]
	v_pk_fma_f32 v[8:9], v[24:25], v[12:13], v[6:7] neg_lo:[0,0,1] neg_hi:[0,0,1]
	v_pk_fma_f32 v[6:7], v[24:25], v[12:13], v[6:7] op_sel_hi:[1,0,1]
	s_nop 0
	v_mov_b32_e32 v6, v15
	v_mov_b32_e32 v9, v7
	v_pk_mul_f32 v[6:7], v[26:27], v[6:7] op_sel:[1,0] op_sel_hi:[0,0]
	v_pk_add_f32 v[4:5], v[4:5], v[8:9]
	v_pk_fma_f32 v[8:9], v[26:27], v[14:15], v[6:7] neg_lo:[0,0,1] neg_hi:[0,0,1]
	v_pk_fma_f32 v[6:7], v[26:27], v[14:15], v[6:7] op_sel_hi:[1,0,1]
	s_nop 0
	v_mov_b32_e32 v9, v7
	s_waitcnt vmcnt(0) lgkmcnt(0)
	v_pk_mul_f32 v[6:7], v[30:31], v[28:29] op_sel:[1,1] op_sel_hi:[0,1]
	v_pk_add_f32 v[4:5], v[4:5], v[8:9]
	v_pk_fma_f32 v[8:9], v[30:31], v[28:29], v[6:7] neg_lo:[0,0,1] neg_hi:[0,0,1]
	v_pk_fma_f32 v[6:7], v[30:31], v[28:29], v[6:7] op_sel_hi:[1,0,1]
	s_nop 0
	v_mov_b32_e32 v9, v7
	scratch_load_dwordx2 v[6:7], off, off offset:304
	v_pk_add_f32 v[4:5], v[4:5], v[8:9]
	s_waitcnt vmcnt(0)
	v_pk_add_f32 v[4:5], v[6:7], v[4:5] neg_lo:[0,1] neg_hi:[0,1]
	scratch_store_dwordx2 off, v[4:5], off offset:304
	s_and_saveexec_b64 s[0:1], vcc
	s_cbranch_execz .LBB45_215
; %bb.214:
	scratch_load_dwordx2 v[4:5], off, off offset:296
	v_mov_b32_e32 v3, v2
	scratch_store_dwordx2 off, v[2:3], off offset:296
	s_waitcnt vmcnt(1)
	ds_write_b64 v1, v[4:5]
.LBB45_215:
	s_or_b64 exec, exec, s[0:1]
	s_waitcnt lgkmcnt(0)
	; wave barrier
	scratch_load_dwordx4 v[4:7], off, off offset:304
	scratch_load_dwordx4 v[8:11], off, off offset:320
	;; [unrolled: 1-line block ×4, first 2 shown]
	scratch_load_dwordx2 v[36:37], off, off offset:296
	ds_read_b128 v[20:23], v2 offset:672
	ds_read_b128 v[24:27], v2 offset:688
	;; [unrolled: 1-line block ×4, first 2 shown]
	v_cmp_lt_u32_e32 vcc, 36, v0
	s_waitcnt vmcnt(4) lgkmcnt(3)
	v_pk_mul_f32 v[2:3], v[20:21], v[4:5] op_sel:[1,1] op_sel_hi:[0,1]
	v_mov_b32_e32 v38, v7
	s_waitcnt vmcnt(3) lgkmcnt(2)
	v_pk_mul_f32 v[40:41], v[24:25], v[8:9] op_sel:[1,1] op_sel_hi:[0,1]
	v_mov_b32_e32 v42, v11
	;; [unrolled: 3-line block ×4, first 2 shown]
	v_pk_fma_f32 v[52:53], v[20:21], v[4:5], v[2:3] neg_lo:[0,0,1] neg_hi:[0,0,1]
	v_pk_fma_f32 v[2:3], v[20:21], v[4:5], v[2:3] op_sel_hi:[1,0,1]
	v_pk_mul_f32 v[4:5], v[22:23], v[38:39] op_sel:[1,0] op_sel_hi:[0,0]
	v_pk_fma_f32 v[20:21], v[24:25], v[8:9], v[40:41] neg_lo:[0,0,1] neg_hi:[0,0,1]
	v_pk_fma_f32 v[8:9], v[24:25], v[8:9], v[40:41] op_sel_hi:[1,0,1]
	v_pk_mul_f32 v[24:25], v[26:27], v[42:43] op_sel:[1,0] op_sel_hi:[0,0]
	;; [unrolled: 3-line block ×4, first 2 shown]
	v_mov_b32_e32 v53, v3
	v_pk_fma_f32 v[2:3], v[22:23], v[6:7], v[4:5] neg_lo:[0,0,1] neg_hi:[0,0,1]
	v_pk_fma_f32 v[4:5], v[22:23], v[6:7], v[4:5] op_sel_hi:[1,0,1]
	v_mov_b32_e32 v21, v9
	v_pk_fma_f32 v[6:7], v[26:27], v[10:11], v[24:25] neg_lo:[0,0,1] neg_hi:[0,0,1]
	v_pk_fma_f32 v[8:9], v[26:27], v[10:11], v[24:25] op_sel_hi:[1,0,1]
	;; [unrolled: 3-line block ×4, first 2 shown]
	v_pk_add_f32 v[18:19], v[52:53], 0 op_sel_hi:[1,0]
	v_mov_b32_e32 v3, v5
	v_pk_add_f32 v[2:3], v[18:19], v[2:3]
	v_mov_b32_e32 v7, v9
	v_pk_add_f32 v[2:3], v[2:3], v[20:21]
	;; [unrolled: 2-line block ×4, first 2 shown]
	s_nop 0
	v_pk_add_f32 v[2:3], v[2:3], v[10:11]
	s_nop 0
	v_pk_add_f32 v[2:3], v[2:3], v[40:41]
	;; [unrolled: 2-line block ×3, first 2 shown]
	s_waitcnt vmcnt(0)
	v_pk_add_f32 v[2:3], v[36:37], v[2:3] neg_lo:[0,1] neg_hi:[0,1]
	scratch_store_dwordx2 off, v[2:3], off offset:296
	s_and_saveexec_b64 s[0:1], vcc
	s_cbranch_execz .LBB45_217
; %bb.216:
	scratch_load_dwordx2 v[2:3], off, off offset:288
	v_mov_b32_e32 v4, 0
	v_mov_b32_e32 v5, v4
	scratch_store_dwordx2 off, v[4:5], off offset:288
	s_waitcnt vmcnt(1)
	ds_write_b64 v1, v[2:3]
.LBB45_217:
	s_or_b64 exec, exec, s[0:1]
	s_waitcnt lgkmcnt(0)
	; wave barrier
	scratch_load_dwordx4 v[4:7], off, off offset:296
	scratch_load_dwordx4 v[8:11], off, off offset:312
	;; [unrolled: 1-line block ×4, first 2 shown]
	scratch_load_dwordx2 v[36:37], off, off offset:360
	scratch_load_dwordx2 v[38:39], off, off offset:288
	v_mov_b32_e32 v2, 0
	ds_read2_b64 v[20:23], v2 offset0:83 offset1:84
	ds_read2_b64 v[24:27], v2 offset0:85 offset1:86
	;; [unrolled: 1-line block ×4, first 2 shown]
	ds_read_b64 v[40:41], v2 offset:728
	v_cmp_lt_u32_e32 vcc, 35, v0
	s_waitcnt vmcnt(5) lgkmcnt(4)
	v_mul_f32_e32 v43, v20, v5
	v_mul_f32_e32 v3, v21, v5
	v_mov_b32_e32 v44, v7
	s_waitcnt vmcnt(4) lgkmcnt(3)
	v_pk_mul_f32 v[46:47], v[24:25], v[8:9] op_sel:[1,1] op_sel_hi:[0,1]
	v_mov_b32_e32 v48, v11
	s_waitcnt vmcnt(1) lgkmcnt(0)
	v_pk_mul_f32 v[58:59], v[40:41], v[36:37] op_sel:[1,1] op_sel_hi:[0,1]
	v_fmac_f32_e32 v43, v21, v4
	v_fma_f32 v42, v20, v4, -v3
	v_pk_mul_f32 v[4:5], v[22:23], v[44:45] op_sel:[1,0] op_sel_hi:[0,0]
	v_pk_fma_f32 v[20:21], v[24:25], v[8:9], v[46:47] neg_lo:[0,0,1] neg_hi:[0,0,1]
	v_pk_fma_f32 v[8:9], v[24:25], v[8:9], v[46:47] op_sel_hi:[1,0,1]
	v_pk_mul_f32 v[24:25], v[26:27], v[48:49] op_sel:[1,0] op_sel_hi:[0,0]
	v_pk_fma_f32 v[48:49], v[40:41], v[36:37], v[58:59] neg_lo:[0,0,1] neg_hi:[0,0,1]
	v_pk_fma_f32 v[36:37], v[40:41], v[36:37], v[58:59] op_sel_hi:[1,0,1]
	v_pk_add_f32 v[40:41], v[42:43], 0 op_sel_hi:[1,0]
	v_pk_fma_f32 v[42:43], v[22:23], v[6:7], v[4:5] neg_lo:[0,0,1] neg_hi:[0,0,1]
	v_pk_fma_f32 v[4:5], v[22:23], v[6:7], v[4:5] op_sel_hi:[1,0,1]
	v_pk_mul_f32 v[50:51], v[28:29], v[12:13] op_sel:[1,1] op_sel_hi:[0,1]
	v_mov_b32_e32 v43, v5
	v_mov_b32_e32 v52, v15
	v_mov_b32_e32 v21, v9
	v_pk_fma_f32 v[6:7], v[26:27], v[10:11], v[24:25] neg_lo:[0,0,1] neg_hi:[0,0,1]
	v_pk_fma_f32 v[8:9], v[26:27], v[10:11], v[24:25] op_sel_hi:[1,0,1]
	v_pk_add_f32 v[4:5], v[40:41], v[42:43]
	v_pk_fma_f32 v[44:45], v[28:29], v[12:13], v[50:51] neg_lo:[0,0,1] neg_hi:[0,0,1]
	v_pk_fma_f32 v[12:13], v[28:29], v[12:13], v[50:51] op_sel_hi:[1,0,1]
	v_pk_mul_f32 v[28:29], v[30:31], v[52:53] op_sel:[1,0] op_sel_hi:[0,0]
	v_mov_b32_e32 v7, v9
	v_pk_add_f32 v[4:5], v[4:5], v[20:21]
	v_pk_mul_f32 v[54:55], v[32:33], v[16:17] op_sel:[1,1] op_sel_hi:[0,1]
	v_mov_b32_e32 v56, v19
	v_mov_b32_e32 v45, v13
	v_pk_fma_f32 v[10:11], v[30:31], v[14:15], v[28:29] neg_lo:[0,0,1] neg_hi:[0,0,1]
	v_pk_fma_f32 v[12:13], v[30:31], v[14:15], v[28:29] op_sel_hi:[1,0,1]
	v_pk_add_f32 v[4:5], v[4:5], v[6:7]
	v_pk_fma_f32 v[46:47], v[32:33], v[16:17], v[54:55] neg_lo:[0,0,1] neg_hi:[0,0,1]
	v_pk_fma_f32 v[16:17], v[32:33], v[16:17], v[54:55] op_sel_hi:[1,0,1]
	v_pk_mul_f32 v[32:33], v[34:35], v[56:57] op_sel:[1,0] op_sel_hi:[0,0]
	v_mov_b32_e32 v11, v13
	v_pk_add_f32 v[4:5], v[4:5], v[44:45]
	v_mov_b32_e32 v47, v17
	v_pk_fma_f32 v[14:15], v[34:35], v[18:19], v[32:33] neg_lo:[0,0,1] neg_hi:[0,0,1]
	v_pk_fma_f32 v[16:17], v[34:35], v[18:19], v[32:33] op_sel_hi:[1,0,1]
	v_pk_add_f32 v[4:5], v[4:5], v[10:11]
	v_mov_b32_e32 v15, v17
	v_pk_add_f32 v[4:5], v[4:5], v[46:47]
	v_mov_b32_e32 v49, v37
	v_pk_add_f32 v[4:5], v[4:5], v[14:15]
	s_nop 0
	v_pk_add_f32 v[4:5], v[4:5], v[48:49]
	s_waitcnt vmcnt(0)
	v_pk_add_f32 v[4:5], v[38:39], v[4:5] neg_lo:[0,1] neg_hi:[0,1]
	scratch_store_dwordx2 off, v[4:5], off offset:288
	s_and_saveexec_b64 s[0:1], vcc
	s_cbranch_execz .LBB45_219
; %bb.218:
	scratch_load_dwordx2 v[4:5], off, off offset:280
	v_mov_b32_e32 v3, v2
	scratch_store_dwordx2 off, v[2:3], off offset:280
	s_waitcnt vmcnt(1)
	ds_write_b64 v1, v[4:5]
.LBB45_219:
	s_or_b64 exec, exec, s[0:1]
	s_waitcnt lgkmcnt(0)
	; wave barrier
	scratch_load_dwordx4 v[4:7], off, off offset:288
	scratch_load_dwordx4 v[8:11], off, off offset:304
	;; [unrolled: 1-line block ×5, first 2 shown]
	scratch_load_dwordx2 v[44:45], off, off offset:280
	ds_read_b128 v[24:27], v2 offset:656
	ds_read_b128 v[28:31], v2 offset:672
	;; [unrolled: 1-line block ×5, first 2 shown]
	v_cmp_lt_u32_e32 vcc, 34, v0
	s_waitcnt vmcnt(5) lgkmcnt(4)
	v_mul_f32_e32 v3, v24, v5
	v_mul_f32_e32 v2, v25, v5
	v_mul_f32_e32 v47, v26, v7
	v_mul_f32_e32 v5, v27, v7
	s_waitcnt vmcnt(4) lgkmcnt(3)
	v_pk_mul_f32 v[48:49], v[28:29], v[8:9] op_sel:[1,1] op_sel_hi:[0,1]
	v_mov_b32_e32 v50, v11
	v_fmac_f32_e32 v3, v25, v4
	v_fma_f32 v2, v24, v4, -v2
	v_fmac_f32_e32 v47, v27, v6
	v_fma_f32 v46, v26, v6, -v5
	v_pk_fma_f32 v[4:5], v[28:29], v[8:9], v[48:49] neg_lo:[0,0,1] neg_hi:[0,0,1]
	v_pk_fma_f32 v[6:7], v[28:29], v[8:9], v[48:49] op_sel_hi:[1,0,1]
	v_pk_mul_f32 v[8:9], v[30:31], v[50:51] op_sel:[1,0] op_sel_hi:[0,0]
	v_pk_add_f32 v[2:3], v[2:3], 0 op_sel_hi:[1,0]
	s_waitcnt vmcnt(3) lgkmcnt(2)
	v_pk_mul_f32 v[52:53], v[32:33], v[12:13] op_sel:[1,1] op_sel_hi:[0,1]
	v_mov_b32_e32 v54, v15
	v_mov_b32_e32 v5, v7
	v_pk_fma_f32 v[6:7], v[30:31], v[10:11], v[8:9] neg_lo:[0,0,1] neg_hi:[0,0,1]
	v_pk_fma_f32 v[8:9], v[30:31], v[10:11], v[8:9] op_sel_hi:[1,0,1]
	v_pk_add_f32 v[2:3], v[2:3], v[46:47]
	v_pk_fma_f32 v[24:25], v[32:33], v[12:13], v[52:53] neg_lo:[0,0,1] neg_hi:[0,0,1]
	v_pk_fma_f32 v[12:13], v[32:33], v[12:13], v[52:53] op_sel_hi:[1,0,1]
	v_pk_mul_f32 v[26:27], v[34:35], v[54:55] op_sel:[1,0] op_sel_hi:[0,0]
	v_mov_b32_e32 v7, v9
	v_pk_add_f32 v[2:3], v[2:3], v[4:5]
	s_waitcnt vmcnt(2) lgkmcnt(1)
	v_pk_mul_f32 v[56:57], v[36:37], v[16:17] op_sel:[1,1] op_sel_hi:[0,1]
	v_mov_b32_e32 v58, v19
	v_mov_b32_e32 v25, v13
	v_pk_fma_f32 v[10:11], v[34:35], v[14:15], v[26:27] neg_lo:[0,0,1] neg_hi:[0,0,1]
	v_pk_fma_f32 v[12:13], v[34:35], v[14:15], v[26:27] op_sel_hi:[1,0,1]
	v_pk_add_f32 v[2:3], v[2:3], v[6:7]
	v_pk_fma_f32 v[28:29], v[36:37], v[16:17], v[56:57] neg_lo:[0,0,1] neg_hi:[0,0,1]
	v_pk_fma_f32 v[16:17], v[36:37], v[16:17], v[56:57] op_sel_hi:[1,0,1]
	v_pk_mul_f32 v[32:33], v[38:39], v[58:59] op_sel:[1,0] op_sel_hi:[0,0]
	v_mov_b32_e32 v11, v13
	v_pk_add_f32 v[2:3], v[2:3], v[24:25]
	;; [unrolled: 12-line block ×3, first 2 shown]
	v_mov_b32_e32 v37, v21
	v_pk_fma_f32 v[18:19], v[42:43], v[22:23], v[40:41] neg_lo:[0,0,1] neg_hi:[0,0,1]
	v_pk_fma_f32 v[20:21], v[42:43], v[22:23], v[40:41] op_sel_hi:[1,0,1]
	v_pk_add_f32 v[2:3], v[2:3], v[14:15]
	v_mov_b32_e32 v19, v21
	v_pk_add_f32 v[2:3], v[2:3], v[36:37]
	s_nop 0
	v_pk_add_f32 v[2:3], v[2:3], v[18:19]
	s_waitcnt vmcnt(0)
	v_pk_add_f32 v[2:3], v[44:45], v[2:3] neg_lo:[0,1] neg_hi:[0,1]
	scratch_store_dwordx2 off, v[2:3], off offset:280
	s_and_saveexec_b64 s[0:1], vcc
	s_cbranch_execz .LBB45_221
; %bb.220:
	scratch_load_dwordx2 v[2:3], off, off offset:272
	v_mov_b32_e32 v4, 0
	v_mov_b32_e32 v5, v4
	scratch_store_dwordx2 off, v[4:5], off offset:272
	s_waitcnt vmcnt(1)
	ds_write_b64 v1, v[2:3]
.LBB45_221:
	s_or_b64 exec, exec, s[0:1]
	s_waitcnt lgkmcnt(0)
	; wave barrier
	scratch_load_dwordx4 v[4:7], off, off offset:280
	scratch_load_dwordx4 v[8:11], off, off offset:296
	;; [unrolled: 1-line block ×5, first 2 shown]
	scratch_load_dwordx2 v[44:45], off, off offset:360
	scratch_load_dwordx2 v[46:47], off, off offset:272
	v_mov_b32_e32 v2, 0
	ds_read2_b64 v[24:27], v2 offset0:81 offset1:82
	ds_read2_b64 v[28:31], v2 offset0:83 offset1:84
	;; [unrolled: 1-line block ×5, first 2 shown]
	ds_read_b64 v[48:49], v2 offset:728
	v_cmp_lt_u32_e32 vcc, 33, v0
	s_waitcnt vmcnt(6) lgkmcnt(5)
	v_mul_f32_e32 v3, v24, v5
	v_mul_f32_e32 v5, v25, v5
	;; [unrolled: 1-line block ×3, first 2 shown]
	s_waitcnt vmcnt(5) lgkmcnt(4)
	v_mul_f32_e32 v53, v28, v9
	v_mul_f32_e32 v7, v27, v7
	;; [unrolled: 1-line block ×3, first 2 shown]
	v_mov_b32_e32 v54, v11
	s_waitcnt vmcnt(3) lgkmcnt(2)
	v_pk_mul_f32 v[60:61], v[36:37], v[16:17] op_sel:[1,1] op_sel_hi:[0,1]
	s_waitcnt vmcnt(2) lgkmcnt(1)
	v_pk_mul_f32 v[64:65], v[40:41], v[20:21] op_sel:[1,1] op_sel_hi:[0,1]
	;; [unrolled: 2-line block ×3, first 2 shown]
	v_fmac_f32_e32 v3, v25, v4
	v_fma_f32 v55, v24, v4, -v5
	v_fmac_f32_e32 v51, v27, v6
	v_fmac_f32_e32 v53, v29, v8
	v_fma_f32 v50, v26, v6, -v7
	v_fma_f32 v52, v28, v8, -v9
	v_pk_mul_f32 v[4:5], v[30:31], v[54:55] op_sel:[1,0] op_sel_hi:[0,0]
	v_pk_fma_f32 v[24:25], v[36:37], v[16:17], v[60:61] neg_lo:[0,0,1] neg_hi:[0,0,1]
	v_pk_fma_f32 v[16:17], v[36:37], v[16:17], v[60:61] op_sel_hi:[1,0,1]
	v_pk_fma_f32 v[28:29], v[40:41], v[20:21], v[64:65] neg_lo:[0,0,1] neg_hi:[0,0,1]
	v_pk_fma_f32 v[20:21], v[40:41], v[20:21], v[64:65] op_sel_hi:[1,0,1]
	;; [unrolled: 2-line block ×3, first 2 shown]
	v_add_f32_e32 v45, 0, v3
	v_add_f32_e32 v44, 0, v55
	v_pk_mul_f32 v[56:57], v[32:33], v[12:13] op_sel:[1,1] op_sel_hi:[0,1]
	v_mov_b32_e32 v58, v15
	v_pk_fma_f32 v[48:49], v[30:31], v[10:11], v[4:5] neg_lo:[0,0,1] neg_hi:[0,0,1]
	v_pk_fma_f32 v[4:5], v[30:31], v[10:11], v[4:5] op_sel_hi:[1,0,1]
	v_mov_b32_e32 v29, v21
	v_pk_add_f32 v[20:21], v[44:45], v[50:51]
	v_pk_fma_f32 v[6:7], v[32:33], v[12:13], v[56:57] neg_lo:[0,0,1] neg_hi:[0,0,1]
	v_pk_fma_f32 v[8:9], v[32:33], v[12:13], v[56:57] op_sel_hi:[1,0,1]
	v_pk_mul_f32 v[12:13], v[34:35], v[58:59] op_sel:[1,0] op_sel_hi:[0,0]
	v_mov_b32_e32 v49, v5
	v_pk_add_f32 v[4:5], v[20:21], v[52:53]
	v_mov_b32_e32 v62, v19
	v_mov_b32_e32 v7, v9
	v_pk_fma_f32 v[8:9], v[34:35], v[14:15], v[12:13] neg_lo:[0,0,1] neg_hi:[0,0,1]
	v_pk_fma_f32 v[10:11], v[34:35], v[14:15], v[12:13] op_sel_hi:[1,0,1]
	v_pk_add_f32 v[4:5], v[4:5], v[48:49]
	v_pk_mul_f32 v[26:27], v[38:39], v[62:63] op_sel:[1,0] op_sel_hi:[0,0]
	v_mov_b32_e32 v9, v11
	v_pk_add_f32 v[4:5], v[4:5], v[6:7]
	v_mov_b32_e32 v66, v23
	v_mov_b32_e32 v25, v17
	v_pk_fma_f32 v[12:13], v[38:39], v[18:19], v[26:27] neg_lo:[0,0,1] neg_hi:[0,0,1]
	v_pk_fma_f32 v[14:15], v[38:39], v[18:19], v[26:27] op_sel_hi:[1,0,1]
	v_pk_add_f32 v[4:5], v[4:5], v[8:9]
	v_pk_mul_f32 v[32:33], v[42:43], v[66:67] op_sel:[1,0] op_sel_hi:[0,0]
	v_mov_b32_e32 v13, v15
	v_pk_add_f32 v[4:5], v[4:5], v[24:25]
	v_pk_fma_f32 v[16:17], v[42:43], v[22:23], v[32:33] neg_lo:[0,0,1] neg_hi:[0,0,1]
	v_pk_fma_f32 v[18:19], v[42:43], v[22:23], v[32:33] op_sel_hi:[1,0,1]
	v_pk_add_f32 v[4:5], v[4:5], v[12:13]
	v_mov_b32_e32 v17, v19
	v_pk_add_f32 v[4:5], v[4:5], v[28:29]
	v_mov_b32_e32 v37, v41
	v_pk_add_f32 v[4:5], v[4:5], v[16:17]
	s_nop 0
	v_pk_add_f32 v[4:5], v[4:5], v[36:37]
	s_waitcnt vmcnt(0)
	v_pk_add_f32 v[4:5], v[46:47], v[4:5] neg_lo:[0,1] neg_hi:[0,1]
	scratch_store_dwordx2 off, v[4:5], off offset:272
	s_and_saveexec_b64 s[0:1], vcc
	s_cbranch_execz .LBB45_223
; %bb.222:
	scratch_load_dwordx2 v[4:5], off, off offset:264
	v_mov_b32_e32 v3, v2
	scratch_store_dwordx2 off, v[2:3], off offset:264
	s_waitcnt vmcnt(1)
	ds_write_b64 v1, v[4:5]
.LBB45_223:
	s_or_b64 exec, exec, s[0:1]
	s_waitcnt lgkmcnt(0)
	; wave barrier
	scratch_load_dwordx4 v[4:7], off, off offset:272
	scratch_load_dwordx4 v[8:11], off, off offset:288
	;; [unrolled: 1-line block ×6, first 2 shown]
	scratch_load_dwordx2 v[52:53], off, off offset:264
	ds_read_b128 v[28:31], v2 offset:640
	ds_read_b128 v[32:35], v2 offset:656
	;; [unrolled: 1-line block ×6, first 2 shown]
	v_cmp_lt_u32_e32 vcc, 32, v0
	s_waitcnt vmcnt(6) lgkmcnt(5)
	v_mul_f32_e32 v59, v28, v5
	v_mul_f32_e32 v63, v30, v7
	s_waitcnt vmcnt(5) lgkmcnt(4)
	v_mul_f32_e32 v3, v32, v9
	v_mul_f32_e32 v2, v29, v5
	;; [unrolled: 1-line block ×4, first 2 shown]
	s_waitcnt vmcnt(1) lgkmcnt(0)
	v_pk_mul_f32 v[68:69], v[48:49], v[24:25] op_sel:[1,1] op_sel_hi:[0,1]
	v_pk_mul_f32 v[56:57], v[36:37], v[12:13] op_sel:[1,1] op_sel_hi:[0,1]
	v_fmac_f32_e32 v59, v29, v4
	v_fmac_f32_e32 v3, v33, v8
	v_fma_f32 v67, v28, v4, -v2
	v_fma_f32 v2, v32, v8, -v7
	v_pk_fma_f32 v[32:33], v[48:49], v[24:25], v[68:69] neg_lo:[0,0,1] neg_hi:[0,0,1]
	v_pk_fma_f32 v[24:25], v[48:49], v[24:25], v[68:69] op_sel_hi:[1,0,1]
	v_fmac_f32_e32 v63, v31, v6
	v_fma_f32 v71, v30, v6, -v5
	v_pk_fma_f32 v[4:5], v[36:37], v[12:13], v[56:57] neg_lo:[0,0,1] neg_hi:[0,0,1]
	v_pk_fma_f32 v[6:7], v[36:37], v[12:13], v[56:57] op_sel_hi:[1,0,1]
	v_add_f32_e32 v24, 0, v59
	v_add_f32_e32 v36, 0, v67
	v_mul_f32_e32 v55, v34, v11
	v_mul_f32_e32 v9, v35, v11
	v_mov_b32_e32 v58, v15
	v_mov_b32_e32 v33, v25
	v_add_f32_e32 v25, v24, v63
	v_add_f32_e32 v24, v36, v71
	v_fmac_f32_e32 v55, v35, v10
	v_fma_f32 v54, v34, v10, -v9
	v_pk_mul_f32 v[8:9], v[38:39], v[58:59] op_sel:[1,0] op_sel_hi:[0,0]
	v_pk_add_f32 v[2:3], v[24:25], v[2:3]
	v_pk_mul_f32 v[60:61], v[40:41], v[16:17] op_sel:[1,1] op_sel_hi:[0,1]
	v_mov_b32_e32 v62, v19
	v_mov_b32_e32 v5, v7
	v_pk_fma_f32 v[6:7], v[38:39], v[14:15], v[8:9] neg_lo:[0,0,1] neg_hi:[0,0,1]
	v_pk_fma_f32 v[8:9], v[38:39], v[14:15], v[8:9] op_sel_hi:[1,0,1]
	v_pk_add_f32 v[2:3], v[2:3], v[54:55]
	v_pk_fma_f32 v[10:11], v[40:41], v[16:17], v[60:61] neg_lo:[0,0,1] neg_hi:[0,0,1]
	v_pk_fma_f32 v[12:13], v[40:41], v[16:17], v[60:61] op_sel_hi:[1,0,1]
	v_pk_mul_f32 v[16:17], v[42:43], v[62:63] op_sel:[1,0] op_sel_hi:[0,0]
	v_mov_b32_e32 v7, v9
	v_pk_add_f32 v[2:3], v[2:3], v[4:5]
	v_pk_mul_f32 v[64:65], v[44:45], v[20:21] op_sel:[1,1] op_sel_hi:[0,1]
	v_mov_b32_e32 v66, v23
	v_mov_b32_e32 v11, v13
	v_pk_fma_f32 v[12:13], v[42:43], v[18:19], v[16:17] neg_lo:[0,0,1] neg_hi:[0,0,1]
	v_pk_fma_f32 v[14:15], v[42:43], v[18:19], v[16:17] op_sel_hi:[1,0,1]
	v_pk_add_f32 v[2:3], v[2:3], v[6:7]
	v_pk_fma_f32 v[28:29], v[44:45], v[20:21], v[64:65] neg_lo:[0,0,1] neg_hi:[0,0,1]
	v_pk_fma_f32 v[20:21], v[44:45], v[20:21], v[64:65] op_sel_hi:[1,0,1]
	v_pk_mul_f32 v[30:31], v[46:47], v[66:67] op_sel:[1,0] op_sel_hi:[0,0]
	v_mov_b32_e32 v13, v15
	v_pk_add_f32 v[2:3], v[2:3], v[10:11]
	v_mov_b32_e32 v70, v27
	v_mov_b32_e32 v29, v21
	v_pk_fma_f32 v[16:17], v[46:47], v[22:23], v[30:31] neg_lo:[0,0,1] neg_hi:[0,0,1]
	v_pk_fma_f32 v[18:19], v[46:47], v[22:23], v[30:31] op_sel_hi:[1,0,1]
	v_pk_add_f32 v[2:3], v[2:3], v[12:13]
	v_pk_mul_f32 v[34:35], v[50:51], v[70:71] op_sel:[1,0] op_sel_hi:[0,0]
	v_mov_b32_e32 v17, v19
	v_pk_add_f32 v[2:3], v[2:3], v[28:29]
	v_pk_fma_f32 v[20:21], v[50:51], v[26:27], v[34:35] neg_lo:[0,0,1] neg_hi:[0,0,1]
	v_pk_fma_f32 v[22:23], v[50:51], v[26:27], v[34:35] op_sel_hi:[1,0,1]
	v_pk_add_f32 v[2:3], v[2:3], v[16:17]
	v_mov_b32_e32 v21, v23
	v_pk_add_f32 v[2:3], v[2:3], v[32:33]
	s_nop 0
	v_pk_add_f32 v[2:3], v[2:3], v[20:21]
	s_waitcnt vmcnt(0)
	v_pk_add_f32 v[2:3], v[52:53], v[2:3] neg_lo:[0,1] neg_hi:[0,1]
	scratch_store_dwordx2 off, v[2:3], off offset:264
	s_and_saveexec_b64 s[0:1], vcc
	s_cbranch_execz .LBB45_225
; %bb.224:
	scratch_load_dwordx2 v[2:3], off, off offset:256
	v_mov_b32_e32 v4, 0
	v_mov_b32_e32 v5, v4
	scratch_store_dwordx2 off, v[4:5], off offset:256
	s_waitcnt vmcnt(1)
	ds_write_b64 v1, v[2:3]
.LBB45_225:
	s_or_b64 exec, exec, s[0:1]
	s_waitcnt lgkmcnt(0)
	; wave barrier
	scratch_load_dwordx4 v[4:7], off, off offset:264
	scratch_load_dwordx4 v[8:11], off, off offset:280
	;; [unrolled: 1-line block ×6, first 2 shown]
	scratch_load_dwordx2 v[52:53], off, off offset:360
	scratch_load_dwordx2 v[54:55], off, off offset:256
	v_mov_b32_e32 v2, 0
	ds_read2_b64 v[28:31], v2 offset0:79 offset1:80
	ds_read2_b64 v[32:35], v2 offset0:81 offset1:82
	;; [unrolled: 1-line block ×6, first 2 shown]
	ds_read_b64 v[56:57], v2 offset:728
	v_cmp_lt_u32_e32 vcc, 31, v0
	s_waitcnt vmcnt(7) lgkmcnt(6)
	v_mul_f32_e32 v63, v30, v7
	v_mul_f32_e32 v3, v28, v5
	s_waitcnt vmcnt(5) lgkmcnt(4)
	v_mul_f32_e32 v61, v36, v13
	v_mul_f32_e32 v5, v29, v5
	v_mov_b32_e32 v62, v15
	s_waitcnt vmcnt(2) lgkmcnt(1)
	v_pk_mul_f32 v[72:73], v[48:49], v[24:25] op_sel:[1,1] op_sel_hi:[0,1]
	v_fmac_f32_e32 v63, v31, v6
	v_mul_f32_e32 v7, v31, v7
	v_mul_f32_e32 v13, v37, v13
	v_fmac_f32_e32 v3, v29, v4
	v_fmac_f32_e32 v61, v37, v12
	v_fma_f32 v37, v28, v4, -v5
	v_pk_mul_f32 v[4:5], v[38:39], v[62:63] op_sel:[1,0] op_sel_hi:[0,0]
	v_pk_fma_f32 v[28:29], v[48:49], v[24:25], v[72:73] neg_lo:[0,0,1] neg_hi:[0,0,1]
	v_pk_fma_f32 v[24:25], v[48:49], v[24:25], v[72:73] op_sel_hi:[1,0,1]
	v_mul_f32_e32 v67, v32, v9
	v_mul_f32_e32 v9, v33, v9
	v_fma_f32 v71, v30, v6, -v7
	v_fma_f32 v60, v36, v12, -v13
	v_add_f32_e32 v3, 0, v3
	v_add_f32_e32 v24, 0, v37
	v_pk_fma_f32 v[36:37], v[38:39], v[14:15], v[4:5] neg_lo:[0,0,1] neg_hi:[0,0,1]
	v_pk_fma_f32 v[4:5], v[38:39], v[14:15], v[4:5] op_sel_hi:[1,0,1]
	v_mul_f32_e32 v59, v34, v11
	v_mul_f32_e32 v11, v35, v11
	v_fmac_f32_e32 v67, v33, v8
	v_fma_f32 v75, v32, v8, -v9
	v_add_f32_e32 v3, v3, v63
	v_add_f32_e32 v4, v24, v71
	v_fmac_f32_e32 v59, v35, v10
	v_fma_f32 v58, v34, v10, -v11
	v_mov_b32_e32 v37, v5
	v_add_f32_e32 v5, v3, v67
	v_add_f32_e32 v4, v4, v75
	v_pk_mul_f32 v[64:65], v[40:41], v[16:17] op_sel:[1,1] op_sel_hi:[0,1]
	v_mov_b32_e32 v66, v19
	v_pk_add_f32 v[4:5], v[4:5], v[58:59]
	v_pk_fma_f32 v[6:7], v[40:41], v[16:17], v[64:65] neg_lo:[0,0,1] neg_hi:[0,0,1]
	v_pk_fma_f32 v[8:9], v[40:41], v[16:17], v[64:65] op_sel_hi:[1,0,1]
	v_pk_mul_f32 v[10:11], v[42:43], v[66:67] op_sel:[1,0] op_sel_hi:[0,0]
	v_pk_add_f32 v[4:5], v[4:5], v[60:61]
	v_pk_mul_f32 v[68:69], v[44:45], v[20:21] op_sel:[1,1] op_sel_hi:[0,1]
	v_mov_b32_e32 v70, v23
	v_mov_b32_e32 v7, v9
	v_pk_fma_f32 v[8:9], v[42:43], v[18:19], v[10:11] neg_lo:[0,0,1] neg_hi:[0,0,1]
	v_pk_fma_f32 v[10:11], v[42:43], v[18:19], v[10:11] op_sel_hi:[1,0,1]
	v_pk_add_f32 v[4:5], v[4:5], v[36:37]
	v_pk_fma_f32 v[12:13], v[44:45], v[20:21], v[68:69] neg_lo:[0,0,1] neg_hi:[0,0,1]
	v_pk_fma_f32 v[16:17], v[44:45], v[20:21], v[68:69] op_sel_hi:[1,0,1]
	v_pk_mul_f32 v[20:21], v[46:47], v[70:71] op_sel:[1,0] op_sel_hi:[0,0]
	v_mov_b32_e32 v9, v11
	v_pk_add_f32 v[4:5], v[4:5], v[6:7]
	v_mov_b32_e32 v74, v27
	v_mov_b32_e32 v13, v17
	v_pk_fma_f32 v[14:15], v[46:47], v[22:23], v[20:21] neg_lo:[0,0,1] neg_hi:[0,0,1]
	v_pk_fma_f32 v[16:17], v[46:47], v[22:23], v[20:21] op_sel_hi:[1,0,1]
	v_pk_add_f32 v[4:5], v[4:5], v[8:9]
	v_pk_mul_f32 v[30:31], v[50:51], v[74:75] op_sel:[1,0] op_sel_hi:[0,0]
	v_mov_b32_e32 v15, v17
	v_pk_add_f32 v[4:5], v[4:5], v[12:13]
	s_waitcnt vmcnt(1) lgkmcnt(0)
	v_pk_mul_f32 v[76:77], v[56:57], v[52:53] op_sel:[1,1] op_sel_hi:[0,1]
	v_mov_b32_e32 v29, v25
	v_pk_fma_f32 v[18:19], v[50:51], v[26:27], v[30:31] neg_lo:[0,0,1] neg_hi:[0,0,1]
	v_pk_fma_f32 v[20:21], v[50:51], v[26:27], v[30:31] op_sel_hi:[1,0,1]
	v_pk_add_f32 v[4:5], v[4:5], v[14:15]
	v_pk_fma_f32 v[32:33], v[56:57], v[52:53], v[76:77] neg_lo:[0,0,1] neg_hi:[0,0,1]
	v_pk_fma_f32 v[34:35], v[56:57], v[52:53], v[76:77] op_sel_hi:[1,0,1]
	v_mov_b32_e32 v19, v21
	v_pk_add_f32 v[4:5], v[4:5], v[28:29]
	v_mov_b32_e32 v33, v35
	v_pk_add_f32 v[4:5], v[4:5], v[18:19]
	s_nop 0
	v_pk_add_f32 v[4:5], v[4:5], v[32:33]
	s_waitcnt vmcnt(0)
	v_pk_add_f32 v[4:5], v[54:55], v[4:5] neg_lo:[0,1] neg_hi:[0,1]
	scratch_store_dwordx2 off, v[4:5], off offset:256
	s_and_saveexec_b64 s[0:1], vcc
	s_cbranch_execz .LBB45_227
; %bb.226:
	scratch_load_dwordx2 v[4:5], off, off offset:248
	v_mov_b32_e32 v3, v2
	scratch_store_dwordx2 off, v[2:3], off offset:248
	s_waitcnt vmcnt(1)
	ds_write_b64 v1, v[4:5]
.LBB45_227:
	s_or_b64 exec, exec, s[0:1]
	s_waitcnt lgkmcnt(0)
	; wave barrier
	ds_read_b128 v[4:7], v2 offset:624
	ds_read_b128 v[8:11], v2 offset:640
	;; [unrolled: 1-line block ×4, first 2 shown]
	scratch_load_dwordx4 v[20:23], off, off offset:256
	v_cmp_lt_u32_e32 vcc, 30, v0
	s_waitcnt vmcnt(0) lgkmcnt(3)
	v_mul_f32_e32 v3, v4, v21
	v_fmac_f32_e32 v3, v5, v20
	v_mul_f32_e32 v24, v6, v23
	v_add_f32_e32 v3, 0, v3
	v_fmac_f32_e32 v24, v7, v22
	v_add_f32_e32 v3, v3, v24
	scratch_load_dwordx4 v[24:27], off, off offset:272
	s_waitcnt vmcnt(0) lgkmcnt(2)
	v_mul_f32_e32 v28, v8, v25
	v_fmac_f32_e32 v28, v9, v24
	v_add_f32_e32 v3, v3, v28
	v_mul_f32_e32 v28, v10, v27
	v_fmac_f32_e32 v28, v11, v26
	v_add_f32_e32 v49, v3, v28
	scratch_load_dwordx4 v[28:31], off, off offset:288
	scratch_load_dwordx4 v[32:35], off, off offset:304
	;; [unrolled: 1-line block ×5, first 2 shown]
	v_mul_f32_e32 v3, v5, v21
	v_fma_f32 v3, v4, v20, -v3
	v_mul_f32_e32 v4, v7, v23
	v_add_f32_e32 v3, 0, v3
	v_fma_f32 v4, v6, v22, -v4
	v_add_f32_e32 v3, v3, v4
	v_mul_f32_e32 v4, v9, v25
	v_fma_f32 v4, v8, v24, -v4
	v_add_f32_e32 v3, v3, v4
	v_mul_f32_e32 v4, v11, v27
	v_fma_f32 v4, v10, v26, -v4
	v_add_f32_e32 v48, v3, v4
	s_waitcnt vmcnt(3) lgkmcnt(0)
	v_pk_mul_f32 v[20:21], v[16:17], v[32:33] op_sel:[1,1] op_sel_hi:[0,1]
	v_pk_fma_f32 v[22:23], v[16:17], v[32:33], v[20:21] neg_lo:[0,0,1] neg_hi:[0,0,1]
	v_mul_f32_e32 v3, v13, v29
	v_mul_f32_e32 v51, v12, v29
	v_mul_f32_e32 v53, v14, v31
	v_fma_f32 v50, v12, v28, -v3
	v_mul_f32_e32 v3, v15, v31
	v_pk_fma_f32 v[16:17], v[16:17], v[32:33], v[20:21] op_sel_hi:[1,0,1]
	v_fmac_f32_e32 v51, v13, v28
	v_fmac_f32_e32 v53, v15, v30
	v_fma_f32 v52, v14, v30, -v3
	ds_read_b128 v[4:7], v2 offset:688
	ds_read_b128 v[8:11], v2 offset:704
	;; [unrolled: 1-line block ×3, first 2 shown]
	v_mov_b32_e32 v16, v35
	v_mov_b32_e32 v23, v17
	v_pk_mul_f32 v[16:17], v[18:19], v[16:17] op_sel:[1,0] op_sel_hi:[0,0]
	v_pk_fma_f32 v[20:21], v[18:19], v[34:35], v[16:17] neg_lo:[0,0,1] neg_hi:[0,0,1]
	v_pk_fma_f32 v[16:17], v[18:19], v[34:35], v[16:17] op_sel_hi:[1,0,1]
	v_pk_add_f32 v[2:3], v[48:49], v[50:51]
	v_mov_b32_e32 v21, v17
	s_waitcnt vmcnt(2) lgkmcnt(2)
	v_pk_mul_f32 v[16:17], v[4:5], v[36:37] op_sel:[1,1] op_sel_hi:[0,1]
	v_pk_fma_f32 v[18:19], v[4:5], v[36:37], v[16:17] neg_lo:[0,0,1] neg_hi:[0,0,1]
	v_pk_fma_f32 v[4:5], v[4:5], v[36:37], v[16:17] op_sel_hi:[1,0,1]
	v_pk_add_f32 v[2:3], v[2:3], v[52:53]
	v_mov_b32_e32 v4, v39
	v_mov_b32_e32 v19, v5
	v_pk_mul_f32 v[4:5], v[6:7], v[4:5] op_sel:[1,0] op_sel_hi:[0,0]
	v_pk_fma_f32 v[16:17], v[6:7], v[38:39], v[4:5] neg_lo:[0,0,1] neg_hi:[0,0,1]
	v_pk_fma_f32 v[4:5], v[6:7], v[38:39], v[4:5] op_sel_hi:[1,0,1]
	v_pk_add_f32 v[2:3], v[2:3], v[22:23]
	v_mov_b32_e32 v17, v5
	s_waitcnt vmcnt(1) lgkmcnt(1)
	v_pk_mul_f32 v[4:5], v[8:9], v[40:41] op_sel:[1,1] op_sel_hi:[0,1]
	v_pk_add_f32 v[2:3], v[2:3], v[20:21]
	v_pk_fma_f32 v[6:7], v[8:9], v[40:41], v[4:5] neg_lo:[0,0,1] neg_hi:[0,0,1]
	v_pk_fma_f32 v[4:5], v[8:9], v[40:41], v[4:5] op_sel_hi:[1,0,1]
	v_pk_add_f32 v[2:3], v[2:3], v[18:19]
	v_mov_b32_e32 v4, v43
	v_pk_add_f32 v[2:3], v[2:3], v[16:17]
	v_mov_b32_e32 v7, v5
	v_pk_mul_f32 v[4:5], v[10:11], v[4:5] op_sel:[1,0] op_sel_hi:[0,0]
	v_pk_add_f32 v[2:3], v[2:3], v[6:7]
	v_pk_fma_f32 v[6:7], v[10:11], v[42:43], v[4:5] neg_lo:[0,0,1] neg_hi:[0,0,1]
	v_pk_fma_f32 v[4:5], v[10:11], v[42:43], v[4:5] op_sel_hi:[1,0,1]
	s_nop 0
	v_mov_b32_e32 v7, v5
	s_waitcnt vmcnt(0) lgkmcnt(0)
	v_pk_mul_f32 v[4:5], v[12:13], v[44:45] op_sel:[1,1] op_sel_hi:[0,1]
	v_pk_add_f32 v[2:3], v[2:3], v[6:7]
	v_pk_fma_f32 v[6:7], v[12:13], v[44:45], v[4:5] neg_lo:[0,0,1] neg_hi:[0,0,1]
	v_pk_fma_f32 v[4:5], v[12:13], v[44:45], v[4:5] op_sel_hi:[1,0,1]
	s_nop 0
	v_mov_b32_e32 v4, v47
	v_mov_b32_e32 v7, v5
	v_pk_mul_f32 v[4:5], v[14:15], v[4:5] op_sel:[1,0] op_sel_hi:[0,0]
	v_pk_add_f32 v[2:3], v[2:3], v[6:7]
	v_pk_fma_f32 v[6:7], v[14:15], v[46:47], v[4:5] neg_lo:[0,0,1] neg_hi:[0,0,1]
	v_pk_fma_f32 v[4:5], v[14:15], v[46:47], v[4:5] op_sel_hi:[1,0,1]
	s_nop 0
	v_mov_b32_e32 v7, v5
	scratch_load_dwordx2 v[4:5], off, off offset:248
	v_pk_add_f32 v[2:3], v[2:3], v[6:7]
	s_waitcnt vmcnt(0)
	v_pk_add_f32 v[2:3], v[4:5], v[2:3] neg_lo:[0,1] neg_hi:[0,1]
	scratch_store_dwordx2 off, v[2:3], off offset:248
	s_and_saveexec_b64 s[0:1], vcc
	s_cbranch_execz .LBB45_229
; %bb.228:
	scratch_load_dwordx2 v[2:3], off, off offset:240
	v_mov_b32_e32 v4, 0
	v_mov_b32_e32 v5, v4
	scratch_store_dwordx2 off, v[4:5], off offset:240
	s_waitcnt vmcnt(1)
	ds_write_b64 v1, v[2:3]
.LBB45_229:
	s_or_b64 exec, exec, s[0:1]
	s_waitcnt lgkmcnt(0)
	; wave barrier
	scratch_load_dwordx4 v[8:11], off, off offset:248
	scratch_load_dwordx4 v[16:19], off, off offset:264
	;; [unrolled: 1-line block ×4, first 2 shown]
	v_mov_b32_e32 v2, 0
	ds_read2_b64 v[4:7], v2 offset0:77 offset1:78
	v_cmp_lt_u32_e32 vcc, 29, v0
	s_waitcnt vmcnt(3) lgkmcnt(0)
	v_mul_f32_e32 v3, v4, v9
	v_fmac_f32_e32 v3, v5, v8
	v_mul_f32_e32 v12, v6, v11
	v_add_f32_e32 v3, 0, v3
	v_fmac_f32_e32 v12, v7, v10
	v_add_f32_e32 v3, v3, v12
	ds_read2_b64 v[12:15], v2 offset0:79 offset1:80
	s_waitcnt vmcnt(2) lgkmcnt(0)
	v_mul_f32_e32 v20, v12, v17
	v_fmac_f32_e32 v20, v13, v16
	v_add_f32_e32 v3, v3, v20
	v_mul_f32_e32 v20, v14, v19
	v_fmac_f32_e32 v20, v15, v18
	v_add_f32_e32 v3, v3, v20
	ds_read2_b64 v[20:23], v2 offset0:81 offset1:82
	s_waitcnt vmcnt(1) lgkmcnt(0)
	v_mul_f32_e32 v28, v20, v25
	v_fmac_f32_e32 v28, v21, v24
	v_add_f32_e32 v49, v3, v28
	ds_read2_b64 v[28:31], v2 offset0:83 offset1:84
	scratch_load_dwordx4 v[36:39], off, off offset:312
	scratch_load_dwordx4 v[40:43], off, off offset:328
	;; [unrolled: 1-line block ×3, first 2 shown]
	scratch_load_dwordx2 v[54:55], off, off offset:360
	v_mul_f32_e32 v3, v5, v9
	v_fma_f32 v3, v4, v8, -v3
	v_mul_f32_e32 v4, v7, v11
	v_add_f32_e32 v3, 0, v3
	v_fma_f32 v4, v6, v10, -v4
	v_add_f32_e32 v3, v3, v4
	v_mul_f32_e32 v4, v13, v17
	v_fma_f32 v4, v12, v16, -v4
	v_add_f32_e32 v3, v3, v4
	v_mul_f32_e32 v4, v15, v19
	;; [unrolled: 3-line block ×3, first 2 shown]
	v_fma_f32 v4, v20, v24, -v4
	v_mul_f32_e32 v51, v22, v27
	v_add_f32_e32 v48, v3, v4
	v_mul_f32_e32 v3, v23, v27
	s_waitcnt vmcnt(4)
	v_mov_b32_e32 v20, v35
	v_fmac_f32_e32 v51, v23, v26
	s_waitcnt lgkmcnt(0)
	v_mul_f32_e32 v53, v28, v33
	v_fma_f32 v50, v22, v26, -v3
	v_mul_f32_e32 v3, v29, v33
	ds_read2_b64 v[4:7], v2 offset0:85 offset1:86
	ds_read2_b64 v[8:11], v2 offset0:87 offset1:88
	;; [unrolled: 1-line block ×3, first 2 shown]
	ds_read_b64 v[16:17], v2 offset:728
	v_pk_mul_f32 v[20:21], v[30:31], v[20:21] op_sel:[1,0] op_sel_hi:[0,0]
	v_fmac_f32_e32 v53, v29, v32
	v_fma_f32 v52, v28, v32, -v3
	v_pk_add_f32 v[18:19], v[48:49], v[50:51]
	v_pk_fma_f32 v[22:23], v[30:31], v[34:35], v[20:21] neg_lo:[0,0,1] neg_hi:[0,0,1]
	v_pk_fma_f32 v[20:21], v[30:31], v[34:35], v[20:21] op_sel_hi:[1,0,1]
	v_pk_add_f32 v[18:19], v[18:19], v[52:53]
	v_mov_b32_e32 v23, v21
	v_pk_add_f32 v[18:19], v[18:19], v[22:23]
	s_waitcnt vmcnt(3) lgkmcnt(3)
	v_pk_mul_f32 v[20:21], v[4:5], v[36:37] op_sel:[1,1] op_sel_hi:[0,1]
	v_pk_fma_f32 v[22:23], v[4:5], v[36:37], v[20:21] neg_lo:[0,0,1] neg_hi:[0,0,1]
	v_pk_fma_f32 v[4:5], v[4:5], v[36:37], v[20:21] op_sel_hi:[1,0,1]
	s_nop 0
	v_mov_b32_e32 v23, v5
	v_pk_add_f32 v[4:5], v[18:19], v[22:23]
	v_mov_b32_e32 v18, v39
	v_pk_mul_f32 v[18:19], v[6:7], v[18:19] op_sel:[1,0] op_sel_hi:[0,0]
	v_pk_fma_f32 v[20:21], v[6:7], v[38:39], v[18:19] neg_lo:[0,0,1] neg_hi:[0,0,1]
	v_pk_fma_f32 v[6:7], v[6:7], v[38:39], v[18:19] op_sel_hi:[1,0,1]
	s_nop 0
	v_mov_b32_e32 v21, v7
	s_waitcnt vmcnt(2) lgkmcnt(2)
	v_pk_mul_f32 v[6:7], v[8:9], v[40:41] op_sel:[1,1] op_sel_hi:[0,1]
	v_pk_fma_f32 v[18:19], v[8:9], v[40:41], v[6:7] neg_lo:[0,0,1] neg_hi:[0,0,1]
	v_pk_fma_f32 v[6:7], v[8:9], v[40:41], v[6:7] op_sel_hi:[1,0,1]
	v_pk_add_f32 v[4:5], v[4:5], v[20:21]
	v_mov_b32_e32 v6, v43
	v_mov_b32_e32 v19, v7
	v_pk_mul_f32 v[6:7], v[10:11], v[6:7] op_sel:[1,0] op_sel_hi:[0,0]
	v_pk_fma_f32 v[8:9], v[10:11], v[42:43], v[6:7] neg_lo:[0,0,1] neg_hi:[0,0,1]
	v_pk_fma_f32 v[6:7], v[10:11], v[42:43], v[6:7] op_sel_hi:[1,0,1]
	v_pk_add_f32 v[4:5], v[4:5], v[18:19]
	v_mov_b32_e32 v9, v7
	s_waitcnt vmcnt(1) lgkmcnt(1)
	v_pk_mul_f32 v[6:7], v[12:13], v[44:45] op_sel:[1,1] op_sel_hi:[0,1]
	v_pk_add_f32 v[4:5], v[4:5], v[8:9]
	v_pk_fma_f32 v[8:9], v[12:13], v[44:45], v[6:7] neg_lo:[0,0,1] neg_hi:[0,0,1]
	v_pk_fma_f32 v[6:7], v[12:13], v[44:45], v[6:7] op_sel_hi:[1,0,1]
	s_nop 0
	v_mov_b32_e32 v6, v47
	v_mov_b32_e32 v9, v7
	v_pk_mul_f32 v[6:7], v[14:15], v[6:7] op_sel:[1,0] op_sel_hi:[0,0]
	v_pk_add_f32 v[4:5], v[4:5], v[8:9]
	v_pk_fma_f32 v[8:9], v[14:15], v[46:47], v[6:7] neg_lo:[0,0,1] neg_hi:[0,0,1]
	v_pk_fma_f32 v[6:7], v[14:15], v[46:47], v[6:7] op_sel_hi:[1,0,1]
	s_nop 0
	v_mov_b32_e32 v9, v7
	s_waitcnt vmcnt(0) lgkmcnt(0)
	v_pk_mul_f32 v[6:7], v[16:17], v[54:55] op_sel:[1,1] op_sel_hi:[0,1]
	v_pk_add_f32 v[4:5], v[4:5], v[8:9]
	v_pk_fma_f32 v[8:9], v[16:17], v[54:55], v[6:7] neg_lo:[0,0,1] neg_hi:[0,0,1]
	v_pk_fma_f32 v[6:7], v[16:17], v[54:55], v[6:7] op_sel_hi:[1,0,1]
	s_nop 0
	v_mov_b32_e32 v9, v7
	scratch_load_dwordx2 v[6:7], off, off offset:240
	v_pk_add_f32 v[4:5], v[4:5], v[8:9]
	s_waitcnt vmcnt(0)
	v_pk_add_f32 v[4:5], v[6:7], v[4:5] neg_lo:[0,1] neg_hi:[0,1]
	scratch_store_dwordx2 off, v[4:5], off offset:240
	s_and_saveexec_b64 s[0:1], vcc
	s_cbranch_execz .LBB45_231
; %bb.230:
	scratch_load_dwordx2 v[4:5], off, off offset:232
	v_mov_b32_e32 v3, v2
	scratch_store_dwordx2 off, v[2:3], off offset:232
	s_waitcnt vmcnt(1)
	ds_write_b64 v1, v[4:5]
.LBB45_231:
	s_or_b64 exec, exec, s[0:1]
	s_waitcnt lgkmcnt(0)
	; wave barrier
	ds_read_b128 v[4:7], v2 offset:608
	ds_read_b128 v[8:11], v2 offset:624
	;; [unrolled: 1-line block ×4, first 2 shown]
	scratch_load_dwordx4 v[20:23], off, off offset:240
	v_cmp_lt_u32_e32 vcc, 28, v0
	s_waitcnt vmcnt(0) lgkmcnt(3)
	v_mul_f32_e32 v3, v4, v21
	v_fmac_f32_e32 v3, v5, v20
	v_mul_f32_e32 v24, v6, v23
	v_add_f32_e32 v3, 0, v3
	v_fmac_f32_e32 v24, v7, v22
	v_add_f32_e32 v3, v3, v24
	scratch_load_dwordx4 v[24:27], off, off offset:256
	s_waitcnt vmcnt(0) lgkmcnt(2)
	v_mul_f32_e32 v28, v8, v25
	v_fmac_f32_e32 v28, v9, v24
	v_add_f32_e32 v3, v3, v28
	v_mul_f32_e32 v28, v10, v27
	v_fmac_f32_e32 v28, v11, v26
	v_add_f32_e32 v3, v3, v28
	scratch_load_dwordx4 v[28:31], off, off offset:272
	s_waitcnt vmcnt(0) lgkmcnt(1)
	v_mul_f32_e32 v32, v12, v29
	v_fmac_f32_e32 v32, v13, v28
	v_add_f32_e32 v3, v3, v32
	v_mul_f32_e32 v32, v14, v31
	v_fmac_f32_e32 v32, v15, v30
	v_add_f32_e32 v53, v3, v32
	scratch_load_dwordx4 v[32:35], off, off offset:288
	scratch_load_dwordx4 v[36:39], off, off offset:304
	;; [unrolled: 1-line block ×5, first 2 shown]
	v_mul_f32_e32 v3, v5, v21
	v_fma_f32 v3, v4, v20, -v3
	v_mul_f32_e32 v4, v7, v23
	v_add_f32_e32 v3, 0, v3
	v_fma_f32 v4, v6, v22, -v4
	v_add_f32_e32 v3, v3, v4
	v_mul_f32_e32 v4, v9, v25
	v_fma_f32 v4, v8, v24, -v4
	v_add_f32_e32 v3, v3, v4
	v_mul_f32_e32 v4, v11, v27
	;; [unrolled: 3-line block ×4, first 2 shown]
	v_fma_f32 v4, v14, v30, -v4
	v_add_f32_e32 v52, v3, v4
	s_waitcnt vmcnt(4) lgkmcnt(0)
	v_mul_f32_e32 v3, v17, v33
	v_mul_f32_e32 v55, v16, v33
	;; [unrolled: 1-line block ×3, first 2 shown]
	v_fma_f32 v54, v16, v32, -v3
	v_mul_f32_e32 v3, v19, v35
	v_fmac_f32_e32 v55, v17, v32
	v_fmac_f32_e32 v57, v19, v34
	v_fma_f32 v56, v18, v34, -v3
	ds_read_b128 v[4:7], v2 offset:672
	ds_read_b128 v[8:11], v2 offset:688
	ds_read_b128 v[12:15], v2 offset:704
	ds_read_b128 v[16:19], v2 offset:720
	v_pk_add_f32 v[2:3], v[52:53], v[54:55]
	s_waitcnt vmcnt(3) lgkmcnt(3)
	v_pk_mul_f32 v[20:21], v[4:5], v[36:37] op_sel:[1,1] op_sel_hi:[0,1]
	v_pk_fma_f32 v[22:23], v[4:5], v[36:37], v[20:21] neg_lo:[0,0,1] neg_hi:[0,0,1]
	v_pk_fma_f32 v[4:5], v[4:5], v[36:37], v[20:21] op_sel_hi:[1,0,1]
	v_pk_add_f32 v[2:3], v[2:3], v[56:57]
	v_mov_b32_e32 v4, v39
	v_mov_b32_e32 v23, v5
	v_pk_mul_f32 v[4:5], v[6:7], v[4:5] op_sel:[1,0] op_sel_hi:[0,0]
	v_pk_fma_f32 v[20:21], v[6:7], v[38:39], v[4:5] neg_lo:[0,0,1] neg_hi:[0,0,1]
	v_pk_fma_f32 v[4:5], v[6:7], v[38:39], v[4:5] op_sel_hi:[1,0,1]
	v_pk_add_f32 v[2:3], v[2:3], v[22:23]
	v_mov_b32_e32 v21, v5
	s_waitcnt vmcnt(2) lgkmcnt(2)
	v_pk_mul_f32 v[4:5], v[8:9], v[40:41] op_sel:[1,1] op_sel_hi:[0,1]
	v_pk_fma_f32 v[6:7], v[8:9], v[40:41], v[4:5] neg_lo:[0,0,1] neg_hi:[0,0,1]
	v_pk_fma_f32 v[4:5], v[8:9], v[40:41], v[4:5] op_sel_hi:[1,0,1]
	v_pk_add_f32 v[2:3], v[2:3], v[20:21]
	v_mov_b32_e32 v4, v43
	v_mov_b32_e32 v7, v5
	v_pk_mul_f32 v[4:5], v[10:11], v[4:5] op_sel:[1,0] op_sel_hi:[0,0]
	v_pk_add_f32 v[2:3], v[2:3], v[6:7]
	v_pk_fma_f32 v[6:7], v[10:11], v[42:43], v[4:5] neg_lo:[0,0,1] neg_hi:[0,0,1]
	v_pk_fma_f32 v[4:5], v[10:11], v[42:43], v[4:5] op_sel_hi:[1,0,1]
	s_nop 0
	v_mov_b32_e32 v7, v5
	s_waitcnt vmcnt(1) lgkmcnt(1)
	v_pk_mul_f32 v[4:5], v[12:13], v[44:45] op_sel:[1,1] op_sel_hi:[0,1]
	v_pk_add_f32 v[2:3], v[2:3], v[6:7]
	v_pk_fma_f32 v[6:7], v[12:13], v[44:45], v[4:5] neg_lo:[0,0,1] neg_hi:[0,0,1]
	v_pk_fma_f32 v[4:5], v[12:13], v[44:45], v[4:5] op_sel_hi:[1,0,1]
	s_nop 0
	v_mov_b32_e32 v4, v47
	v_mov_b32_e32 v7, v5
	v_pk_mul_f32 v[4:5], v[14:15], v[4:5] op_sel:[1,0] op_sel_hi:[0,0]
	v_pk_add_f32 v[2:3], v[2:3], v[6:7]
	v_pk_fma_f32 v[6:7], v[14:15], v[46:47], v[4:5] neg_lo:[0,0,1] neg_hi:[0,0,1]
	v_pk_fma_f32 v[4:5], v[14:15], v[46:47], v[4:5] op_sel_hi:[1,0,1]
	s_nop 0
	v_mov_b32_e32 v7, v5
	s_waitcnt vmcnt(0) lgkmcnt(0)
	v_pk_mul_f32 v[4:5], v[16:17], v[48:49] op_sel:[1,1] op_sel_hi:[0,1]
	v_pk_add_f32 v[2:3], v[2:3], v[6:7]
	v_pk_fma_f32 v[6:7], v[16:17], v[48:49], v[4:5] neg_lo:[0,0,1] neg_hi:[0,0,1]
	v_pk_fma_f32 v[4:5], v[16:17], v[48:49], v[4:5] op_sel_hi:[1,0,1]
	s_nop 0
	v_mov_b32_e32 v4, v51
	v_mov_b32_e32 v7, v5
	v_pk_mul_f32 v[4:5], v[18:19], v[4:5] op_sel:[1,0] op_sel_hi:[0,0]
	v_pk_add_f32 v[2:3], v[2:3], v[6:7]
	v_pk_fma_f32 v[6:7], v[18:19], v[50:51], v[4:5] neg_lo:[0,0,1] neg_hi:[0,0,1]
	v_pk_fma_f32 v[4:5], v[18:19], v[50:51], v[4:5] op_sel_hi:[1,0,1]
	s_nop 0
	v_mov_b32_e32 v7, v5
	scratch_load_dwordx2 v[4:5], off, off offset:232
	v_pk_add_f32 v[2:3], v[2:3], v[6:7]
	s_waitcnt vmcnt(0)
	v_pk_add_f32 v[2:3], v[4:5], v[2:3] neg_lo:[0,1] neg_hi:[0,1]
	scratch_store_dwordx2 off, v[2:3], off offset:232
	s_and_saveexec_b64 s[0:1], vcc
	s_cbranch_execz .LBB45_233
; %bb.232:
	scratch_load_dwordx2 v[2:3], off, off offset:224
	v_mov_b32_e32 v4, 0
	v_mov_b32_e32 v5, v4
	scratch_store_dwordx2 off, v[4:5], off offset:224
	s_waitcnt vmcnt(1)
	ds_write_b64 v1, v[2:3]
.LBB45_233:
	s_or_b64 exec, exec, s[0:1]
	s_waitcnt lgkmcnt(0)
	; wave barrier
	scratch_load_dwordx4 v[8:11], off, off offset:232
	scratch_load_dwordx4 v[16:19], off, off offset:248
	;; [unrolled: 1-line block ×4, first 2 shown]
	v_mov_b32_e32 v2, 0
	ds_read2_b64 v[4:7], v2 offset0:75 offset1:76
	scratch_load_dwordx4 v[40:43], off, off offset:296
	v_cmp_lt_u32_e32 vcc, 27, v0
	s_waitcnt vmcnt(4) lgkmcnt(0)
	v_mul_f32_e32 v3, v4, v9
	v_fmac_f32_e32 v3, v5, v8
	v_mul_f32_e32 v12, v6, v11
	v_add_f32_e32 v3, 0, v3
	v_fmac_f32_e32 v12, v7, v10
	v_add_f32_e32 v3, v3, v12
	ds_read2_b64 v[12:15], v2 offset0:77 offset1:78
	s_waitcnt vmcnt(3) lgkmcnt(0)
	v_mul_f32_e32 v20, v12, v17
	v_fmac_f32_e32 v20, v13, v16
	v_add_f32_e32 v3, v3, v20
	v_mul_f32_e32 v20, v14, v19
	v_fmac_f32_e32 v20, v15, v18
	v_add_f32_e32 v3, v3, v20
	ds_read2_b64 v[20:23], v2 offset0:79 offset1:80
	s_waitcnt vmcnt(2) lgkmcnt(0)
	v_mul_f32_e32 v28, v20, v25
	v_fmac_f32_e32 v28, v21, v24
	v_add_f32_e32 v3, v3, v28
	v_mul_f32_e32 v28, v22, v27
	v_fmac_f32_e32 v28, v23, v26
	v_add_f32_e32 v3, v3, v28
	ds_read2_b64 v[28:31], v2 offset0:81 offset1:82
	s_waitcnt vmcnt(1) lgkmcnt(0)
	v_mul_f32_e32 v36, v28, v33
	v_fmac_f32_e32 v36, v29, v32
	v_add_f32_e32 v57, v3, v36
	ds_read2_b64 v[36:39], v2 offset0:83 offset1:84
	scratch_load_dwordx4 v[44:47], off, off offset:312
	scratch_load_dwordx4 v[48:51], off, off offset:328
	;; [unrolled: 1-line block ×3, first 2 shown]
	scratch_load_dwordx2 v[62:63], off, off offset:360
	v_mul_f32_e32 v3, v5, v9
	v_fma_f32 v3, v4, v8, -v3
	v_mul_f32_e32 v4, v7, v11
	v_add_f32_e32 v3, 0, v3
	v_fma_f32 v4, v6, v10, -v4
	v_add_f32_e32 v3, v3, v4
	v_mul_f32_e32 v4, v13, v17
	v_fma_f32 v4, v12, v16, -v4
	v_add_f32_e32 v3, v3, v4
	v_mul_f32_e32 v4, v15, v19
	;; [unrolled: 3-line block ×5, first 2 shown]
	v_fma_f32 v4, v28, v32, -v4
	v_mul_f32_e32 v59, v30, v35
	v_add_f32_e32 v56, v3, v4
	v_mul_f32_e32 v3, v31, v35
	s_waitcnt vmcnt(4)
	v_mov_b32_e32 v20, v43
	v_fmac_f32_e32 v59, v31, v34
	s_waitcnt lgkmcnt(0)
	v_mul_f32_e32 v61, v36, v41
	v_fma_f32 v58, v30, v34, -v3
	v_mul_f32_e32 v3, v37, v41
	ds_read2_b64 v[4:7], v2 offset0:85 offset1:86
	ds_read2_b64 v[8:11], v2 offset0:87 offset1:88
	;; [unrolled: 1-line block ×3, first 2 shown]
	ds_read_b64 v[16:17], v2 offset:728
	v_pk_mul_f32 v[20:21], v[38:39], v[20:21] op_sel:[1,0] op_sel_hi:[0,0]
	v_fmac_f32_e32 v61, v37, v40
	v_fma_f32 v60, v36, v40, -v3
	v_pk_add_f32 v[18:19], v[56:57], v[58:59]
	v_pk_fma_f32 v[22:23], v[38:39], v[42:43], v[20:21] neg_lo:[0,0,1] neg_hi:[0,0,1]
	v_pk_fma_f32 v[20:21], v[38:39], v[42:43], v[20:21] op_sel_hi:[1,0,1]
	v_pk_add_f32 v[18:19], v[18:19], v[60:61]
	v_mov_b32_e32 v23, v21
	v_pk_add_f32 v[18:19], v[18:19], v[22:23]
	s_waitcnt vmcnt(3) lgkmcnt(3)
	v_pk_mul_f32 v[20:21], v[4:5], v[44:45] op_sel:[1,1] op_sel_hi:[0,1]
	v_pk_fma_f32 v[22:23], v[4:5], v[44:45], v[20:21] neg_lo:[0,0,1] neg_hi:[0,0,1]
	v_pk_fma_f32 v[4:5], v[4:5], v[44:45], v[20:21] op_sel_hi:[1,0,1]
	s_nop 0
	v_mov_b32_e32 v23, v5
	v_pk_add_f32 v[4:5], v[18:19], v[22:23]
	v_mov_b32_e32 v18, v47
	v_pk_mul_f32 v[18:19], v[6:7], v[18:19] op_sel:[1,0] op_sel_hi:[0,0]
	v_pk_fma_f32 v[20:21], v[6:7], v[46:47], v[18:19] neg_lo:[0,0,1] neg_hi:[0,0,1]
	v_pk_fma_f32 v[6:7], v[6:7], v[46:47], v[18:19] op_sel_hi:[1,0,1]
	s_nop 0
	v_mov_b32_e32 v21, v7
	s_waitcnt vmcnt(2) lgkmcnt(2)
	v_pk_mul_f32 v[6:7], v[8:9], v[48:49] op_sel:[1,1] op_sel_hi:[0,1]
	v_pk_fma_f32 v[18:19], v[8:9], v[48:49], v[6:7] neg_lo:[0,0,1] neg_hi:[0,0,1]
	v_pk_fma_f32 v[6:7], v[8:9], v[48:49], v[6:7] op_sel_hi:[1,0,1]
	v_pk_add_f32 v[4:5], v[4:5], v[20:21]
	v_mov_b32_e32 v6, v51
	v_mov_b32_e32 v19, v7
	v_pk_mul_f32 v[6:7], v[10:11], v[6:7] op_sel:[1,0] op_sel_hi:[0,0]
	v_pk_fma_f32 v[8:9], v[10:11], v[50:51], v[6:7] neg_lo:[0,0,1] neg_hi:[0,0,1]
	v_pk_fma_f32 v[6:7], v[10:11], v[50:51], v[6:7] op_sel_hi:[1,0,1]
	v_pk_add_f32 v[4:5], v[4:5], v[18:19]
	v_mov_b32_e32 v9, v7
	s_waitcnt vmcnt(1) lgkmcnt(1)
	v_pk_mul_f32 v[6:7], v[12:13], v[52:53] op_sel:[1,1] op_sel_hi:[0,1]
	v_pk_add_f32 v[4:5], v[4:5], v[8:9]
	v_pk_fma_f32 v[8:9], v[12:13], v[52:53], v[6:7] neg_lo:[0,0,1] neg_hi:[0,0,1]
	v_pk_fma_f32 v[6:7], v[12:13], v[52:53], v[6:7] op_sel_hi:[1,0,1]
	s_nop 0
	v_mov_b32_e32 v6, v55
	v_mov_b32_e32 v9, v7
	v_pk_mul_f32 v[6:7], v[14:15], v[6:7] op_sel:[1,0] op_sel_hi:[0,0]
	v_pk_add_f32 v[4:5], v[4:5], v[8:9]
	v_pk_fma_f32 v[8:9], v[14:15], v[54:55], v[6:7] neg_lo:[0,0,1] neg_hi:[0,0,1]
	v_pk_fma_f32 v[6:7], v[14:15], v[54:55], v[6:7] op_sel_hi:[1,0,1]
	s_nop 0
	v_mov_b32_e32 v9, v7
	s_waitcnt vmcnt(0) lgkmcnt(0)
	v_pk_mul_f32 v[6:7], v[16:17], v[62:63] op_sel:[1,1] op_sel_hi:[0,1]
	v_pk_add_f32 v[4:5], v[4:5], v[8:9]
	v_pk_fma_f32 v[8:9], v[16:17], v[62:63], v[6:7] neg_lo:[0,0,1] neg_hi:[0,0,1]
	v_pk_fma_f32 v[6:7], v[16:17], v[62:63], v[6:7] op_sel_hi:[1,0,1]
	s_nop 0
	v_mov_b32_e32 v9, v7
	scratch_load_dwordx2 v[6:7], off, off offset:224
	v_pk_add_f32 v[4:5], v[4:5], v[8:9]
	s_waitcnt vmcnt(0)
	v_pk_add_f32 v[4:5], v[6:7], v[4:5] neg_lo:[0,1] neg_hi:[0,1]
	scratch_store_dwordx2 off, v[4:5], off offset:224
	s_and_saveexec_b64 s[0:1], vcc
	s_cbranch_execz .LBB45_235
; %bb.234:
	scratch_load_dwordx2 v[4:5], off, off offset:216
	v_mov_b32_e32 v3, v2
	scratch_store_dwordx2 off, v[2:3], off offset:216
	s_waitcnt vmcnt(1)
	ds_write_b64 v1, v[4:5]
.LBB45_235:
	s_or_b64 exec, exec, s[0:1]
	s_waitcnt lgkmcnt(0)
	; wave barrier
	ds_read_b128 v[4:7], v2 offset:592
	ds_read_b128 v[8:11], v2 offset:608
	;; [unrolled: 1-line block ×4, first 2 shown]
	scratch_load_dwordx4 v[20:23], off, off offset:224
	scratch_load_dwordx4 v[40:43], off, off offset:288
	v_cmp_lt_u32_e32 vcc, 26, v0
	s_waitcnt vmcnt(1) lgkmcnt(3)
	v_mul_f32_e32 v3, v4, v21
	v_fmac_f32_e32 v3, v5, v20
	v_mul_f32_e32 v24, v6, v23
	v_add_f32_e32 v3, 0, v3
	v_fmac_f32_e32 v24, v7, v22
	v_add_f32_e32 v3, v3, v24
	scratch_load_dwordx4 v[24:27], off, off offset:240
	s_waitcnt vmcnt(0) lgkmcnt(2)
	v_mul_f32_e32 v28, v8, v25
	v_fmac_f32_e32 v28, v9, v24
	v_add_f32_e32 v3, v3, v28
	v_mul_f32_e32 v28, v10, v27
	v_fmac_f32_e32 v28, v11, v26
	v_add_f32_e32 v3, v3, v28
	scratch_load_dwordx4 v[28:31], off, off offset:256
	s_waitcnt vmcnt(0) lgkmcnt(1)
	v_mul_f32_e32 v32, v12, v29
	v_fmac_f32_e32 v32, v13, v28
	v_add_f32_e32 v3, v3, v32
	v_mul_f32_e32 v32, v14, v31
	;; [unrolled: 8-line block ×3, first 2 shown]
	v_fmac_f32_e32 v36, v19, v34
	v_add_f32_e32 v61, v3, v36
	ds_read_b128 v[36:39], v2 offset:656
	scratch_load_dwordx4 v[44:47], off, off offset:304
	scratch_load_dwordx4 v[48:51], off, off offset:320
	;; [unrolled: 1-line block ×4, first 2 shown]
	v_mul_f32_e32 v3, v5, v21
	v_fma_f32 v3, v4, v20, -v3
	v_mul_f32_e32 v4, v7, v23
	v_add_f32_e32 v3, 0, v3
	v_fma_f32 v4, v6, v22, -v4
	v_add_f32_e32 v3, v3, v4
	v_mul_f32_e32 v4, v9, v25
	v_fma_f32 v4, v8, v24, -v4
	v_add_f32_e32 v3, v3, v4
	v_mul_f32_e32 v4, v11, v27
	;; [unrolled: 3-line block ×6, first 2 shown]
	v_fma_f32 v4, v18, v34, -v4
	v_add_f32_e32 v60, v3, v4
	ds_read_b128 v[4:7], v2 offset:672
	ds_read_b128 v[8:11], v2 offset:688
	;; [unrolled: 1-line block ×4, first 2 shown]
	s_waitcnt lgkmcnt(4)
	v_mul_f32_e32 v63, v36, v41
	v_mul_f32_e32 v3, v37, v41
	v_fmac_f32_e32 v63, v37, v40
	v_mul_f32_e32 v65, v38, v43
	v_fma_f32 v62, v36, v40, -v3
	v_mul_f32_e32 v3, v39, v43
	v_fmac_f32_e32 v65, v39, v42
	v_fma_f32 v64, v38, v42, -v3
	v_pk_add_f32 v[2:3], v[60:61], v[62:63]
	s_waitcnt vmcnt(3) lgkmcnt(3)
	v_pk_mul_f32 v[20:21], v[4:5], v[44:45] op_sel:[1,1] op_sel_hi:[0,1]
	v_pk_fma_f32 v[22:23], v[4:5], v[44:45], v[20:21] neg_lo:[0,0,1] neg_hi:[0,0,1]
	v_pk_fma_f32 v[4:5], v[4:5], v[44:45], v[20:21] op_sel_hi:[1,0,1]
	v_pk_add_f32 v[2:3], v[2:3], v[64:65]
	v_mov_b32_e32 v4, v47
	v_mov_b32_e32 v23, v5
	v_pk_mul_f32 v[4:5], v[6:7], v[4:5] op_sel:[1,0] op_sel_hi:[0,0]
	v_pk_fma_f32 v[20:21], v[6:7], v[46:47], v[4:5] neg_lo:[0,0,1] neg_hi:[0,0,1]
	v_pk_fma_f32 v[4:5], v[6:7], v[46:47], v[4:5] op_sel_hi:[1,0,1]
	v_pk_add_f32 v[2:3], v[2:3], v[22:23]
	v_mov_b32_e32 v21, v5
	s_waitcnt vmcnt(2) lgkmcnt(2)
	v_pk_mul_f32 v[4:5], v[8:9], v[48:49] op_sel:[1,1] op_sel_hi:[0,1]
	v_pk_fma_f32 v[6:7], v[8:9], v[48:49], v[4:5] neg_lo:[0,0,1] neg_hi:[0,0,1]
	v_pk_fma_f32 v[4:5], v[8:9], v[48:49], v[4:5] op_sel_hi:[1,0,1]
	v_pk_add_f32 v[2:3], v[2:3], v[20:21]
	v_mov_b32_e32 v4, v51
	v_mov_b32_e32 v7, v5
	v_pk_mul_f32 v[4:5], v[10:11], v[4:5] op_sel:[1,0] op_sel_hi:[0,0]
	v_pk_add_f32 v[2:3], v[2:3], v[6:7]
	v_pk_fma_f32 v[6:7], v[10:11], v[50:51], v[4:5] neg_lo:[0,0,1] neg_hi:[0,0,1]
	v_pk_fma_f32 v[4:5], v[10:11], v[50:51], v[4:5] op_sel_hi:[1,0,1]
	s_nop 0
	v_mov_b32_e32 v7, v5
	s_waitcnt vmcnt(1) lgkmcnt(1)
	v_pk_mul_f32 v[4:5], v[12:13], v[52:53] op_sel:[1,1] op_sel_hi:[0,1]
	v_pk_add_f32 v[2:3], v[2:3], v[6:7]
	v_pk_fma_f32 v[6:7], v[12:13], v[52:53], v[4:5] neg_lo:[0,0,1] neg_hi:[0,0,1]
	v_pk_fma_f32 v[4:5], v[12:13], v[52:53], v[4:5] op_sel_hi:[1,0,1]
	s_nop 0
	v_mov_b32_e32 v4, v55
	v_mov_b32_e32 v7, v5
	v_pk_mul_f32 v[4:5], v[14:15], v[4:5] op_sel:[1,0] op_sel_hi:[0,0]
	v_pk_add_f32 v[2:3], v[2:3], v[6:7]
	v_pk_fma_f32 v[6:7], v[14:15], v[54:55], v[4:5] neg_lo:[0,0,1] neg_hi:[0,0,1]
	v_pk_fma_f32 v[4:5], v[14:15], v[54:55], v[4:5] op_sel_hi:[1,0,1]
	s_nop 0
	v_mov_b32_e32 v7, v5
	s_waitcnt vmcnt(0) lgkmcnt(0)
	v_pk_mul_f32 v[4:5], v[16:17], v[56:57] op_sel:[1,1] op_sel_hi:[0,1]
	v_pk_add_f32 v[2:3], v[2:3], v[6:7]
	v_pk_fma_f32 v[6:7], v[16:17], v[56:57], v[4:5] neg_lo:[0,0,1] neg_hi:[0,0,1]
	v_pk_fma_f32 v[4:5], v[16:17], v[56:57], v[4:5] op_sel_hi:[1,0,1]
	s_nop 0
	v_mov_b32_e32 v4, v59
	v_mov_b32_e32 v7, v5
	v_pk_mul_f32 v[4:5], v[18:19], v[4:5] op_sel:[1,0] op_sel_hi:[0,0]
	v_pk_add_f32 v[2:3], v[2:3], v[6:7]
	v_pk_fma_f32 v[6:7], v[18:19], v[58:59], v[4:5] neg_lo:[0,0,1] neg_hi:[0,0,1]
	v_pk_fma_f32 v[4:5], v[18:19], v[58:59], v[4:5] op_sel_hi:[1,0,1]
	s_nop 0
	v_mov_b32_e32 v7, v5
	scratch_load_dwordx2 v[4:5], off, off offset:216
	v_pk_add_f32 v[2:3], v[2:3], v[6:7]
	s_waitcnt vmcnt(0)
	v_pk_add_f32 v[2:3], v[4:5], v[2:3] neg_lo:[0,1] neg_hi:[0,1]
	scratch_store_dwordx2 off, v[2:3], off offset:216
	s_and_saveexec_b64 s[0:1], vcc
	s_cbranch_execz .LBB45_237
; %bb.236:
	scratch_load_dwordx2 v[2:3], off, off offset:208
	v_mov_b32_e32 v4, 0
	v_mov_b32_e32 v5, v4
	scratch_store_dwordx2 off, v[4:5], off offset:208
	s_waitcnt vmcnt(1)
	ds_write_b64 v1, v[2:3]
.LBB45_237:
	s_or_b64 exec, exec, s[0:1]
	s_waitcnt lgkmcnt(0)
	; wave barrier
	scratch_load_dwordx4 v[8:11], off, off offset:216
	scratch_load_dwordx4 v[16:19], off, off offset:232
	;; [unrolled: 1-line block ×6, first 2 shown]
	v_mov_b32_e32 v2, 0
	ds_read2_b64 v[4:7], v2 offset0:73 offset1:74
	v_cmp_lt_u32_e32 vcc, 25, v0
	s_waitcnt vmcnt(5) lgkmcnt(0)
	v_mul_f32_e32 v3, v4, v9
	v_fmac_f32_e32 v3, v5, v8
	v_mul_f32_e32 v12, v6, v11
	v_add_f32_e32 v3, 0, v3
	v_fmac_f32_e32 v12, v7, v10
	v_add_f32_e32 v3, v3, v12
	ds_read2_b64 v[12:15], v2 offset0:75 offset1:76
	s_waitcnt vmcnt(4) lgkmcnt(0)
	v_mul_f32_e32 v20, v12, v17
	v_fmac_f32_e32 v20, v13, v16
	v_add_f32_e32 v3, v3, v20
	v_mul_f32_e32 v20, v14, v19
	v_fmac_f32_e32 v20, v15, v18
	v_add_f32_e32 v3, v3, v20
	ds_read2_b64 v[20:23], v2 offset0:77 offset1:78
	s_waitcnt vmcnt(3) lgkmcnt(0)
	v_mul_f32_e32 v28, v20, v25
	v_fmac_f32_e32 v28, v21, v24
	v_add_f32_e32 v3, v3, v28
	v_mul_f32_e32 v28, v22, v27
	;; [unrolled: 8-line block ×3, first 2 shown]
	v_fmac_f32_e32 v36, v31, v34
	v_add_f32_e32 v3, v3, v36
	ds_read2_b64 v[36:39], v2 offset0:81 offset1:82
	s_waitcnt vmcnt(1) lgkmcnt(0)
	v_mul_f32_e32 v44, v36, v41
	v_fmac_f32_e32 v44, v37, v40
	v_add_f32_e32 v65, v3, v44
	ds_read2_b64 v[44:47], v2 offset0:83 offset1:84
	scratch_load_dwordx4 v[52:55], off, off offset:312
	scratch_load_dwordx4 v[56:59], off, off offset:328
	scratch_load_dwordx4 v[60:63], off, off offset:344
	scratch_load_dwordx2 v[70:71], off, off offset:360
	v_mul_f32_e32 v3, v5, v9
	v_fma_f32 v3, v4, v8, -v3
	v_mul_f32_e32 v4, v7, v11
	v_add_f32_e32 v3, 0, v3
	v_fma_f32 v4, v6, v10, -v4
	v_add_f32_e32 v3, v3, v4
	v_mul_f32_e32 v4, v13, v17
	v_fma_f32 v4, v12, v16, -v4
	v_add_f32_e32 v3, v3, v4
	v_mul_f32_e32 v4, v15, v19
	;; [unrolled: 3-line block ×7, first 2 shown]
	v_fma_f32 v4, v36, v40, -v4
	v_mul_f32_e32 v67, v38, v43
	v_add_f32_e32 v64, v3, v4
	v_mul_f32_e32 v3, v39, v43
	s_waitcnt vmcnt(4)
	v_mov_b32_e32 v20, v51
	v_fmac_f32_e32 v67, v39, v42
	s_waitcnt lgkmcnt(0)
	v_mul_f32_e32 v69, v44, v49
	v_fma_f32 v66, v38, v42, -v3
	v_mul_f32_e32 v3, v45, v49
	ds_read2_b64 v[4:7], v2 offset0:85 offset1:86
	ds_read2_b64 v[8:11], v2 offset0:87 offset1:88
	;; [unrolled: 1-line block ×3, first 2 shown]
	ds_read_b64 v[16:17], v2 offset:728
	v_pk_mul_f32 v[20:21], v[46:47], v[20:21] op_sel:[1,0] op_sel_hi:[0,0]
	v_fmac_f32_e32 v69, v45, v48
	v_fma_f32 v68, v44, v48, -v3
	v_pk_add_f32 v[18:19], v[64:65], v[66:67]
	v_pk_fma_f32 v[22:23], v[46:47], v[50:51], v[20:21] neg_lo:[0,0,1] neg_hi:[0,0,1]
	v_pk_fma_f32 v[20:21], v[46:47], v[50:51], v[20:21] op_sel_hi:[1,0,1]
	v_pk_add_f32 v[18:19], v[18:19], v[68:69]
	v_mov_b32_e32 v23, v21
	v_pk_add_f32 v[18:19], v[18:19], v[22:23]
	s_waitcnt vmcnt(3) lgkmcnt(3)
	v_pk_mul_f32 v[20:21], v[4:5], v[52:53] op_sel:[1,1] op_sel_hi:[0,1]
	v_pk_fma_f32 v[22:23], v[4:5], v[52:53], v[20:21] neg_lo:[0,0,1] neg_hi:[0,0,1]
	v_pk_fma_f32 v[4:5], v[4:5], v[52:53], v[20:21] op_sel_hi:[1,0,1]
	s_nop 0
	v_mov_b32_e32 v23, v5
	v_pk_add_f32 v[4:5], v[18:19], v[22:23]
	v_mov_b32_e32 v18, v55
	v_pk_mul_f32 v[18:19], v[6:7], v[18:19] op_sel:[1,0] op_sel_hi:[0,0]
	v_pk_fma_f32 v[20:21], v[6:7], v[54:55], v[18:19] neg_lo:[0,0,1] neg_hi:[0,0,1]
	v_pk_fma_f32 v[6:7], v[6:7], v[54:55], v[18:19] op_sel_hi:[1,0,1]
	s_nop 0
	v_mov_b32_e32 v21, v7
	s_waitcnt vmcnt(2) lgkmcnt(2)
	v_pk_mul_f32 v[6:7], v[8:9], v[56:57] op_sel:[1,1] op_sel_hi:[0,1]
	v_pk_fma_f32 v[18:19], v[8:9], v[56:57], v[6:7] neg_lo:[0,0,1] neg_hi:[0,0,1]
	v_pk_fma_f32 v[6:7], v[8:9], v[56:57], v[6:7] op_sel_hi:[1,0,1]
	v_pk_add_f32 v[4:5], v[4:5], v[20:21]
	v_mov_b32_e32 v6, v59
	v_mov_b32_e32 v19, v7
	v_pk_mul_f32 v[6:7], v[10:11], v[6:7] op_sel:[1,0] op_sel_hi:[0,0]
	v_pk_fma_f32 v[8:9], v[10:11], v[58:59], v[6:7] neg_lo:[0,0,1] neg_hi:[0,0,1]
	v_pk_fma_f32 v[6:7], v[10:11], v[58:59], v[6:7] op_sel_hi:[1,0,1]
	v_pk_add_f32 v[4:5], v[4:5], v[18:19]
	v_mov_b32_e32 v9, v7
	s_waitcnt vmcnt(1) lgkmcnt(1)
	v_pk_mul_f32 v[6:7], v[12:13], v[60:61] op_sel:[1,1] op_sel_hi:[0,1]
	v_pk_add_f32 v[4:5], v[4:5], v[8:9]
	v_pk_fma_f32 v[8:9], v[12:13], v[60:61], v[6:7] neg_lo:[0,0,1] neg_hi:[0,0,1]
	v_pk_fma_f32 v[6:7], v[12:13], v[60:61], v[6:7] op_sel_hi:[1,0,1]
	s_nop 0
	v_mov_b32_e32 v6, v63
	v_mov_b32_e32 v9, v7
	v_pk_mul_f32 v[6:7], v[14:15], v[6:7] op_sel:[1,0] op_sel_hi:[0,0]
	v_pk_add_f32 v[4:5], v[4:5], v[8:9]
	v_pk_fma_f32 v[8:9], v[14:15], v[62:63], v[6:7] neg_lo:[0,0,1] neg_hi:[0,0,1]
	v_pk_fma_f32 v[6:7], v[14:15], v[62:63], v[6:7] op_sel_hi:[1,0,1]
	s_nop 0
	v_mov_b32_e32 v9, v7
	s_waitcnt vmcnt(0) lgkmcnt(0)
	v_pk_mul_f32 v[6:7], v[16:17], v[70:71] op_sel:[1,1] op_sel_hi:[0,1]
	v_pk_add_f32 v[4:5], v[4:5], v[8:9]
	v_pk_fma_f32 v[8:9], v[16:17], v[70:71], v[6:7] neg_lo:[0,0,1] neg_hi:[0,0,1]
	v_pk_fma_f32 v[6:7], v[16:17], v[70:71], v[6:7] op_sel_hi:[1,0,1]
	s_nop 0
	v_mov_b32_e32 v9, v7
	scratch_load_dwordx2 v[6:7], off, off offset:208
	v_pk_add_f32 v[4:5], v[4:5], v[8:9]
	s_waitcnt vmcnt(0)
	v_pk_add_f32 v[4:5], v[6:7], v[4:5] neg_lo:[0,1] neg_hi:[0,1]
	scratch_store_dwordx2 off, v[4:5], off offset:208
	s_and_saveexec_b64 s[0:1], vcc
	s_cbranch_execz .LBB45_239
; %bb.238:
	scratch_load_dwordx2 v[4:5], off, off offset:200
	v_mov_b32_e32 v3, v2
	scratch_store_dwordx2 off, v[2:3], off offset:200
	s_waitcnt vmcnt(1)
	ds_write_b64 v1, v[4:5]
.LBB45_239:
	s_or_b64 exec, exec, s[0:1]
	s_waitcnt lgkmcnt(0)
	; wave barrier
	ds_read_b128 v[4:7], v2 offset:576
	ds_read_b128 v[8:11], v2 offset:592
	;; [unrolled: 1-line block ×4, first 2 shown]
	scratch_load_dwordx4 v[20:23], off, off offset:208
	scratch_load_dwordx4 v[40:43], off, off offset:272
	v_cmp_lt_u32_e32 vcc, 24, v0
	scratch_load_dwordx4 v[48:51], off, off offset:288
	s_waitcnt vmcnt(2) lgkmcnt(3)
	v_mul_f32_e32 v3, v4, v21
	v_fmac_f32_e32 v3, v5, v20
	v_mul_f32_e32 v24, v6, v23
	v_add_f32_e32 v3, 0, v3
	v_fmac_f32_e32 v24, v7, v22
	v_add_f32_e32 v3, v3, v24
	scratch_load_dwordx4 v[24:27], off, off offset:224
	s_waitcnt vmcnt(0) lgkmcnt(2)
	v_mul_f32_e32 v28, v8, v25
	v_fmac_f32_e32 v28, v9, v24
	v_add_f32_e32 v3, v3, v28
	v_mul_f32_e32 v28, v10, v27
	v_fmac_f32_e32 v28, v11, v26
	v_add_f32_e32 v3, v3, v28
	scratch_load_dwordx4 v[28:31], off, off offset:240
	s_waitcnt vmcnt(0) lgkmcnt(1)
	v_mul_f32_e32 v32, v12, v29
	v_fmac_f32_e32 v32, v13, v28
	v_add_f32_e32 v3, v3, v32
	v_mul_f32_e32 v32, v14, v31
	;; [unrolled: 8-line block ×3, first 2 shown]
	v_fmac_f32_e32 v36, v19, v34
	v_add_f32_e32 v3, v3, v36
	ds_read_b128 v[36:39], v2 offset:640
	s_waitcnt lgkmcnt(0)
	v_mul_f32_e32 v44, v36, v41
	v_fmac_f32_e32 v44, v37, v40
	v_add_f32_e32 v3, v3, v44
	v_mul_f32_e32 v44, v38, v43
	v_fmac_f32_e32 v44, v39, v42
	v_add_f32_e32 v69, v3, v44
	ds_read_b128 v[44:47], v2 offset:656
	scratch_load_dwordx4 v[52:55], off, off offset:304
	scratch_load_dwordx4 v[56:59], off, off offset:320
	;; [unrolled: 1-line block ×4, first 2 shown]
	v_mul_f32_e32 v3, v5, v21
	v_fma_f32 v3, v4, v20, -v3
	v_mul_f32_e32 v4, v7, v23
	v_add_f32_e32 v3, 0, v3
	v_fma_f32 v4, v6, v22, -v4
	v_add_f32_e32 v3, v3, v4
	v_mul_f32_e32 v4, v9, v25
	v_fma_f32 v4, v8, v24, -v4
	v_add_f32_e32 v3, v3, v4
	v_mul_f32_e32 v4, v11, v27
	v_fma_f32 v4, v10, v26, -v4
	v_add_f32_e32 v3, v3, v4
	v_mul_f32_e32 v4, v13, v29
	v_fma_f32 v4, v12, v28, -v4
	v_add_f32_e32 v3, v3, v4
	v_mul_f32_e32 v4, v15, v31
	v_fma_f32 v4, v14, v30, -v4
	v_add_f32_e32 v3, v3, v4
	v_mul_f32_e32 v4, v17, v33
	v_fma_f32 v4, v16, v32, -v4
	v_add_f32_e32 v3, v3, v4
	v_mul_f32_e32 v4, v19, v35
	v_fma_f32 v4, v18, v34, -v4
	v_add_f32_e32 v3, v3, v4
	v_mul_f32_e32 v4, v37, v41
	v_fma_f32 v4, v36, v40, -v4
	v_add_f32_e32 v3, v3, v4
	v_mul_f32_e32 v4, v39, v43
	v_fma_f32 v4, v38, v42, -v4
	v_add_f32_e32 v68, v3, v4
	ds_read_b128 v[4:7], v2 offset:672
	ds_read_b128 v[8:11], v2 offset:688
	;; [unrolled: 1-line block ×4, first 2 shown]
	s_waitcnt lgkmcnt(4)
	v_mul_f32_e32 v71, v44, v49
	v_mul_f32_e32 v3, v45, v49
	v_fmac_f32_e32 v71, v45, v48
	v_mul_f32_e32 v73, v46, v51
	v_fma_f32 v70, v44, v48, -v3
	v_mul_f32_e32 v3, v47, v51
	v_fmac_f32_e32 v73, v47, v50
	v_fma_f32 v72, v46, v50, -v3
	v_pk_add_f32 v[2:3], v[68:69], v[70:71]
	s_waitcnt vmcnt(3) lgkmcnt(3)
	v_pk_mul_f32 v[20:21], v[4:5], v[52:53] op_sel:[1,1] op_sel_hi:[0,1]
	v_pk_fma_f32 v[22:23], v[4:5], v[52:53], v[20:21] neg_lo:[0,0,1] neg_hi:[0,0,1]
	v_pk_fma_f32 v[4:5], v[4:5], v[52:53], v[20:21] op_sel_hi:[1,0,1]
	v_pk_add_f32 v[2:3], v[2:3], v[72:73]
	v_mov_b32_e32 v4, v55
	v_mov_b32_e32 v23, v5
	v_pk_mul_f32 v[4:5], v[6:7], v[4:5] op_sel:[1,0] op_sel_hi:[0,0]
	v_pk_fma_f32 v[20:21], v[6:7], v[54:55], v[4:5] neg_lo:[0,0,1] neg_hi:[0,0,1]
	v_pk_fma_f32 v[4:5], v[6:7], v[54:55], v[4:5] op_sel_hi:[1,0,1]
	v_pk_add_f32 v[2:3], v[2:3], v[22:23]
	v_mov_b32_e32 v21, v5
	s_waitcnt vmcnt(2) lgkmcnt(2)
	v_pk_mul_f32 v[4:5], v[8:9], v[56:57] op_sel:[1,1] op_sel_hi:[0,1]
	v_pk_fma_f32 v[6:7], v[8:9], v[56:57], v[4:5] neg_lo:[0,0,1] neg_hi:[0,0,1]
	v_pk_fma_f32 v[4:5], v[8:9], v[56:57], v[4:5] op_sel_hi:[1,0,1]
	v_pk_add_f32 v[2:3], v[2:3], v[20:21]
	v_mov_b32_e32 v4, v59
	v_mov_b32_e32 v7, v5
	v_pk_mul_f32 v[4:5], v[10:11], v[4:5] op_sel:[1,0] op_sel_hi:[0,0]
	v_pk_add_f32 v[2:3], v[2:3], v[6:7]
	v_pk_fma_f32 v[6:7], v[10:11], v[58:59], v[4:5] neg_lo:[0,0,1] neg_hi:[0,0,1]
	v_pk_fma_f32 v[4:5], v[10:11], v[58:59], v[4:5] op_sel_hi:[1,0,1]
	s_nop 0
	v_mov_b32_e32 v7, v5
	s_waitcnt vmcnt(1) lgkmcnt(1)
	v_pk_mul_f32 v[4:5], v[12:13], v[60:61] op_sel:[1,1] op_sel_hi:[0,1]
	v_pk_add_f32 v[2:3], v[2:3], v[6:7]
	v_pk_fma_f32 v[6:7], v[12:13], v[60:61], v[4:5] neg_lo:[0,0,1] neg_hi:[0,0,1]
	v_pk_fma_f32 v[4:5], v[12:13], v[60:61], v[4:5] op_sel_hi:[1,0,1]
	s_nop 0
	v_mov_b32_e32 v4, v63
	v_mov_b32_e32 v7, v5
	v_pk_mul_f32 v[4:5], v[14:15], v[4:5] op_sel:[1,0] op_sel_hi:[0,0]
	v_pk_add_f32 v[2:3], v[2:3], v[6:7]
	v_pk_fma_f32 v[6:7], v[14:15], v[62:63], v[4:5] neg_lo:[0,0,1] neg_hi:[0,0,1]
	v_pk_fma_f32 v[4:5], v[14:15], v[62:63], v[4:5] op_sel_hi:[1,0,1]
	s_nop 0
	v_mov_b32_e32 v7, v5
	s_waitcnt vmcnt(0) lgkmcnt(0)
	v_pk_mul_f32 v[4:5], v[16:17], v[64:65] op_sel:[1,1] op_sel_hi:[0,1]
	v_pk_add_f32 v[2:3], v[2:3], v[6:7]
	v_pk_fma_f32 v[6:7], v[16:17], v[64:65], v[4:5] neg_lo:[0,0,1] neg_hi:[0,0,1]
	v_pk_fma_f32 v[4:5], v[16:17], v[64:65], v[4:5] op_sel_hi:[1,0,1]
	s_nop 0
	v_mov_b32_e32 v4, v67
	v_mov_b32_e32 v7, v5
	v_pk_mul_f32 v[4:5], v[18:19], v[4:5] op_sel:[1,0] op_sel_hi:[0,0]
	v_pk_add_f32 v[2:3], v[2:3], v[6:7]
	v_pk_fma_f32 v[6:7], v[18:19], v[66:67], v[4:5] neg_lo:[0,0,1] neg_hi:[0,0,1]
	v_pk_fma_f32 v[4:5], v[18:19], v[66:67], v[4:5] op_sel_hi:[1,0,1]
	s_nop 0
	v_mov_b32_e32 v7, v5
	scratch_load_dwordx2 v[4:5], off, off offset:200
	v_pk_add_f32 v[2:3], v[2:3], v[6:7]
	s_waitcnt vmcnt(0)
	v_pk_add_f32 v[2:3], v[4:5], v[2:3] neg_lo:[0,1] neg_hi:[0,1]
	scratch_store_dwordx2 off, v[2:3], off offset:200
	s_and_saveexec_b64 s[0:1], vcc
	s_cbranch_execz .LBB45_241
; %bb.240:
	scratch_load_dwordx2 v[2:3], off, off offset:192
	v_mov_b32_e32 v4, 0
	v_mov_b32_e32 v5, v4
	scratch_store_dwordx2 off, v[4:5], off offset:192
	s_waitcnt vmcnt(1)
	ds_write_b64 v1, v[2:3]
.LBB45_241:
	s_or_b64 exec, exec, s[0:1]
	s_waitcnt lgkmcnt(0)
	; wave barrier
	scratch_load_dwordx4 v[2:5], off, off offset:200
	scratch_load_dwordx4 v[8:11], off, off offset:216
	;; [unrolled: 1-line block ×10, first 2 shown]
	scratch_load_dwordx2 v[76:77], off, off offset:360
	scratch_load_dwordx2 v[78:79], off, off offset:192
	v_mov_b32_e32 v6, 0
	ds_read2_b64 v[44:47], v6 offset0:71 offset1:72
	ds_read2_b64 v[48:51], v6 offset0:73 offset1:74
	ds_read2_b64 v[52:55], v6 offset0:75 offset1:76
	ds_read2_b64 v[56:59], v6 offset0:77 offset1:78
	ds_read2_b64 v[60:63], v6 offset0:79 offset1:80
	ds_read2_b64 v[64:67], v6 offset0:81 offset1:82
	ds_read2_b64 v[68:71], v6 offset0:83 offset1:84
	ds_read2_b64 v[72:75], v6 offset0:85 offset1:86
	v_cmp_lt_u32_e32 vcc, 23, v0
	s_waitcnt vmcnt(11) lgkmcnt(7)
	v_mul_f32_e32 v7, v44, v3
	v_mul_f32_e32 v3, v45, v3
	;; [unrolled: 1-line block ×4, first 2 shown]
	v_fmac_f32_e32 v7, v45, v2
	v_fma_f32 v2, v44, v2, -v3
	s_waitcnt vmcnt(10) lgkmcnt(6)
	v_mul_f32_e32 v82, v48, v9
	v_mul_f32_e32 v9, v49, v9
	v_fma_f32 v3, v46, v4, -v5
	v_add_f32_e32 v2, 0, v2
	v_mul_f32_e32 v84, v50, v11
	v_mul_f32_e32 v11, v51, v11
	v_fmac_f32_e32 v80, v47, v4
	v_fma_f32 v4, v48, v8, -v9
	v_add_f32_e32 v7, 0, v7
	v_add_f32_e32 v2, v2, v3
	s_waitcnt vmcnt(9) lgkmcnt(5)
	v_mul_f32_e32 v85, v52, v13
	v_mul_f32_e32 v13, v53, v13
	v_fmac_f32_e32 v82, v49, v8
	v_fma_f32 v5, v50, v10, -v11
	v_add_f32_e32 v7, v7, v80
	v_add_f32_e32 v2, v2, v4
	v_mul_f32_e32 v86, v54, v15
	v_mul_f32_e32 v15, v55, v15
	v_fmac_f32_e32 v84, v51, v10
	v_fma_f32 v8, v52, v12, -v13
	v_add_f32_e32 v3, v7, v82
	v_add_f32_e32 v2, v2, v5
	s_waitcnt vmcnt(8) lgkmcnt(4)
	v_mul_f32_e32 v87, v56, v17
	v_mul_f32_e32 v17, v57, v17
	v_fmac_f32_e32 v85, v53, v12
	v_fma_f32 v9, v54, v14, -v15
	v_add_f32_e32 v3, v3, v84
	;; [unrolled: 13-line block ×4, first 2 shown]
	v_add_f32_e32 v2, v2, v12
	v_fmac_f32_e32 v90, v63, v22
	v_fma_f32 v14, v64, v24, -v25
	v_add_f32_e32 v3, v3, v89
	v_add_f32_e32 v2, v2, v13
	v_mul_f32_e32 v81, v66, v27
	v_fmac_f32_e32 v91, v65, v24
	v_add_f32_e32 v3, v3, v90
	v_add_f32_e32 v12, v2, v14
	v_mul_f32_e32 v2, v67, v27
	s_waitcnt vmcnt(5)
	v_mov_b32_e32 v16, v31
	s_waitcnt lgkmcnt(1)
	v_mul_f32_e32 v83, v68, v29
	v_fmac_f32_e32 v81, v67, v26
	v_add_f32_e32 v13, v3, v91
	v_fma_f32 v80, v66, v26, -v2
	v_mul_f32_e32 v2, v69, v29
	v_pk_mul_f32 v[16:17], v[70:71], v[16:17] op_sel:[1,0] op_sel_hi:[0,0]
	v_fmac_f32_e32 v83, v69, v28
	v_fma_f32 v82, v68, v28, -v2
	v_pk_add_f32 v[12:13], v[12:13], v[80:81]
	v_pk_fma_f32 v[18:19], v[70:71], v[30:31], v[16:17] neg_lo:[0,0,1] neg_hi:[0,0,1]
	v_pk_fma_f32 v[16:17], v[70:71], v[30:31], v[16:17] op_sel_hi:[1,0,1]
	v_pk_add_f32 v[12:13], v[12:13], v[82:83]
	v_mov_b32_e32 v19, v17
	s_waitcnt vmcnt(4) lgkmcnt(0)
	v_pk_mul_f32 v[16:17], v[72:73], v[32:33] op_sel:[1,1] op_sel_hi:[0,1]
	v_pk_add_f32 v[12:13], v[12:13], v[18:19]
	v_pk_fma_f32 v[18:19], v[72:73], v[32:33], v[16:17] neg_lo:[0,0,1] neg_hi:[0,0,1]
	v_pk_fma_f32 v[16:17], v[72:73], v[32:33], v[16:17] op_sel_hi:[1,0,1]
	ds_read2_b64 v[2:5], v6 offset0:87 offset1:88
	ds_read2_b64 v[8:11], v6 offset0:89 offset1:90
	ds_read_b64 v[14:15], v6 offset:728
	v_mov_b32_e32 v16, v35
	v_mov_b32_e32 v19, v17
	v_pk_mul_f32 v[16:17], v[74:75], v[16:17] op_sel:[1,0] op_sel_hi:[0,0]
	v_pk_add_f32 v[12:13], v[12:13], v[18:19]
	v_pk_fma_f32 v[18:19], v[74:75], v[34:35], v[16:17] neg_lo:[0,0,1] neg_hi:[0,0,1]
	v_pk_fma_f32 v[16:17], v[74:75], v[34:35], v[16:17] op_sel_hi:[1,0,1]
	s_nop 0
	v_mov_b32_e32 v19, v17
	s_waitcnt vmcnt(3) lgkmcnt(2)
	v_pk_mul_f32 v[16:17], v[2:3], v[36:37] op_sel:[1,1] op_sel_hi:[0,1]
	v_pk_add_f32 v[12:13], v[12:13], v[18:19]
	v_pk_fma_f32 v[18:19], v[2:3], v[36:37], v[16:17] neg_lo:[0,0,1] neg_hi:[0,0,1]
	v_pk_fma_f32 v[2:3], v[2:3], v[36:37], v[16:17] op_sel_hi:[1,0,1]
	s_nop 0
	v_mov_b32_e32 v19, v3
	v_pk_add_f32 v[2:3], v[12:13], v[18:19]
	v_mov_b32_e32 v12, v39
	v_pk_mul_f32 v[12:13], v[4:5], v[12:13] op_sel:[1,0] op_sel_hi:[0,0]
	v_pk_fma_f32 v[16:17], v[4:5], v[38:39], v[12:13] neg_lo:[0,0,1] neg_hi:[0,0,1]
	v_pk_fma_f32 v[4:5], v[4:5], v[38:39], v[12:13] op_sel_hi:[1,0,1]
	s_nop 0
	v_mov_b32_e32 v17, v5
	s_waitcnt vmcnt(2) lgkmcnt(1)
	v_pk_mul_f32 v[4:5], v[8:9], v[40:41] op_sel:[1,1] op_sel_hi:[0,1]
	v_pk_fma_f32 v[12:13], v[8:9], v[40:41], v[4:5] neg_lo:[0,0,1] neg_hi:[0,0,1]
	v_pk_fma_f32 v[4:5], v[8:9], v[40:41], v[4:5] op_sel_hi:[1,0,1]
	v_pk_add_f32 v[2:3], v[2:3], v[16:17]
	v_mov_b32_e32 v4, v43
	v_mov_b32_e32 v13, v5
	v_pk_mul_f32 v[4:5], v[10:11], v[4:5] op_sel:[1,0] op_sel_hi:[0,0]
	v_pk_fma_f32 v[8:9], v[10:11], v[42:43], v[4:5] neg_lo:[0,0,1] neg_hi:[0,0,1]
	v_pk_fma_f32 v[4:5], v[10:11], v[42:43], v[4:5] op_sel_hi:[1,0,1]
	v_pk_add_f32 v[2:3], v[2:3], v[12:13]
	v_mov_b32_e32 v9, v5
	s_waitcnt vmcnt(1) lgkmcnt(0)
	v_pk_mul_f32 v[4:5], v[14:15], v[76:77] op_sel:[1,1] op_sel_hi:[0,1]
	v_pk_add_f32 v[2:3], v[2:3], v[8:9]
	v_pk_fma_f32 v[8:9], v[14:15], v[76:77], v[4:5] neg_lo:[0,0,1] neg_hi:[0,0,1]
	v_pk_fma_f32 v[4:5], v[14:15], v[76:77], v[4:5] op_sel_hi:[1,0,1]
	s_nop 0
	v_mov_b32_e32 v9, v5
	v_pk_add_f32 v[2:3], v[2:3], v[8:9]
	s_waitcnt vmcnt(0)
	v_pk_add_f32 v[2:3], v[78:79], v[2:3] neg_lo:[0,1] neg_hi:[0,1]
	scratch_store_dwordx2 off, v[2:3], off offset:192
	s_and_saveexec_b64 s[0:1], vcc
	s_cbranch_execz .LBB45_243
; %bb.242:
	scratch_load_dwordx2 v[2:3], off, off offset:184
	v_mov_b32_e32 v7, v6
	scratch_store_dwordx2 off, v[6:7], off offset:184
	s_waitcnt vmcnt(1)
	ds_write_b64 v1, v[2:3]
.LBB45_243:
	s_or_b64 exec, exec, s[0:1]
	s_waitcnt lgkmcnt(0)
	; wave barrier
	scratch_load_dwordx4 v[8:11], off, off offset:192
	scratch_load_dwordx4 v[12:15], off, off offset:208
	;; [unrolled: 1-line block ×7, first 2 shown]
	ds_read_b128 v[36:39], v6 offset:560
	ds_read_b128 v[40:43], v6 offset:576
	ds_read_b128 v[44:47], v6 offset:592
	ds_read_b128 v[48:51], v6 offset:608
	ds_read_b128 v[52:55], v6 offset:624
	ds_read_b128 v[56:59], v6 offset:640
	scratch_load_dwordx4 v[60:63], off, off offset:304
	scratch_load_dwordx4 v[64:67], off, off offset:320
	;; [unrolled: 1-line block ×4, first 2 shown]
	ds_read_b128 v[72:75], v6 offset:656
	ds_read_b128 v[76:79], v6 offset:672
	scratch_load_dwordx2 v[80:81], off, off offset:184
	v_cmp_lt_u32_e32 vcc, 22, v0
	s_waitcnt vmcnt(11) lgkmcnt(7)
	v_mul_f32_e32 v7, v36, v9
	v_mul_f32_e32 v82, v38, v11
	v_mul_f32_e32 v9, v37, v9
	v_fmac_f32_e32 v7, v37, v8
	s_waitcnt vmcnt(10) lgkmcnt(6)
	v_mul_f32_e32 v84, v40, v13
	v_mul_f32_e32 v11, v39, v11
	v_fmac_f32_e32 v82, v39, v10
	v_fma_f32 v8, v36, v8, -v9
	v_add_f32_e32 v7, 0, v7
	v_mul_f32_e32 v86, v42, v15
	v_mul_f32_e32 v13, v41, v13
	v_fmac_f32_e32 v84, v41, v12
	v_fma_f32 v9, v38, v10, -v11
	v_add_f32_e32 v8, 0, v8
	v_add_f32_e32 v7, v7, v82
	s_waitcnt vmcnt(9) lgkmcnt(5)
	v_mul_f32_e32 v87, v44, v17
	v_mul_f32_e32 v15, v43, v15
	v_fmac_f32_e32 v86, v43, v14
	v_fma_f32 v10, v40, v12, -v13
	v_add_f32_e32 v8, v8, v9
	v_add_f32_e32 v7, v7, v84
	v_mul_f32_e32 v88, v46, v19
	v_mul_f32_e32 v17, v45, v17
	v_fmac_f32_e32 v87, v45, v16
	v_fma_f32 v11, v42, v14, -v15
	v_add_f32_e32 v8, v8, v10
	v_add_f32_e32 v7, v7, v86
	s_waitcnt vmcnt(8) lgkmcnt(4)
	v_mul_f32_e32 v89, v48, v21
	v_mul_f32_e32 v19, v47, v19
	v_fmac_f32_e32 v88, v47, v18
	v_fma_f32 v12, v44, v16, -v17
	v_add_f32_e32 v8, v8, v11
	;; [unrolled: 13-line block ×4, first 2 shown]
	v_add_f32_e32 v7, v7, v91
	v_mul_f32_e32 v94, v58, v31
	v_mul_f32_e32 v29, v57, v29
	v_fmac_f32_e32 v93, v57, v28
	v_fma_f32 v17, v54, v26, -v27
	v_add_f32_e32 v8, v8, v16
	v_add_f32_e32 v7, v7, v92
	v_fmac_f32_e32 v94, v59, v30
	v_fma_f32 v18, v56, v28, -v29
	v_add_f32_e32 v8, v8, v17
	v_add_f32_e32 v7, v7, v93
	;; [unrolled: 1-line block ×4, first 2 shown]
	v_mul_f32_e32 v8, v59, v31
	v_fma_f32 v8, v58, v30, -v8
	s_waitcnt vmcnt(5) lgkmcnt(1)
	v_mul_f32_e32 v83, v72, v33
	v_add_f32_e32 v20, v7, v8
	v_mul_f32_e32 v7, v73, v33
	v_fmac_f32_e32 v83, v73, v32
	v_fma_f32 v82, v72, v32, -v7
	v_mul_f32_e32 v7, v75, v35
	v_fma_f32 v84, v74, v34, -v7
	ds_read_b128 v[8:11], v6 offset:688
	ds_read_b128 v[12:15], v6 offset:704
	;; [unrolled: 1-line block ×3, first 2 shown]
	v_pk_add_f32 v[6:7], v[20:21], v[82:83]
	s_waitcnt vmcnt(4) lgkmcnt(3)
	v_pk_mul_f32 v[20:21], v[76:77], v[60:61] op_sel:[1,1] op_sel_hi:[0,1]
	v_mul_f32_e32 v85, v74, v35
	v_pk_fma_f32 v[22:23], v[76:77], v[60:61], v[20:21] neg_lo:[0,0,1] neg_hi:[0,0,1]
	v_pk_fma_f32 v[20:21], v[76:77], v[60:61], v[20:21] op_sel_hi:[1,0,1]
	v_fmac_f32_e32 v85, v75, v34
	v_mov_b32_e32 v20, v63
	v_pk_add_f32 v[6:7], v[6:7], v[84:85]
	v_mov_b32_e32 v23, v21
	v_pk_mul_f32 v[20:21], v[78:79], v[20:21] op_sel:[1,0] op_sel_hi:[0,0]
	v_pk_add_f32 v[6:7], v[6:7], v[22:23]
	v_pk_fma_f32 v[22:23], v[78:79], v[62:63], v[20:21] neg_lo:[0,0,1] neg_hi:[0,0,1]
	v_pk_fma_f32 v[20:21], v[78:79], v[62:63], v[20:21] op_sel_hi:[1,0,1]
	s_nop 0
	v_mov_b32_e32 v23, v21
	s_waitcnt vmcnt(3) lgkmcnt(2)
	v_pk_mul_f32 v[20:21], v[8:9], v[64:65] op_sel:[1,1] op_sel_hi:[0,1]
	v_pk_add_f32 v[6:7], v[6:7], v[22:23]
	v_pk_fma_f32 v[22:23], v[8:9], v[64:65], v[20:21] neg_lo:[0,0,1] neg_hi:[0,0,1]
	v_pk_fma_f32 v[8:9], v[8:9], v[64:65], v[20:21] op_sel_hi:[1,0,1]
	s_nop 0
	v_mov_b32_e32 v8, v67
	v_mov_b32_e32 v23, v9
	v_pk_mul_f32 v[8:9], v[10:11], v[8:9] op_sel:[1,0] op_sel_hi:[0,0]
	v_pk_fma_f32 v[20:21], v[10:11], v[66:67], v[8:9] neg_lo:[0,0,1] neg_hi:[0,0,1]
	v_pk_fma_f32 v[8:9], v[10:11], v[66:67], v[8:9] op_sel_hi:[1,0,1]
	v_pk_add_f32 v[6:7], v[6:7], v[22:23]
	v_mov_b32_e32 v21, v9
	s_waitcnt vmcnt(2) lgkmcnt(1)
	v_pk_mul_f32 v[8:9], v[12:13], v[68:69] op_sel:[1,1] op_sel_hi:[0,1]
	v_pk_fma_f32 v[10:11], v[12:13], v[68:69], v[8:9] neg_lo:[0,0,1] neg_hi:[0,0,1]
	v_pk_fma_f32 v[8:9], v[12:13], v[68:69], v[8:9] op_sel_hi:[1,0,1]
	v_pk_add_f32 v[6:7], v[6:7], v[20:21]
	v_mov_b32_e32 v8, v71
	v_mov_b32_e32 v11, v9
	v_pk_mul_f32 v[8:9], v[14:15], v[8:9] op_sel:[1,0] op_sel_hi:[0,0]
	v_pk_add_f32 v[6:7], v[6:7], v[10:11]
	v_pk_fma_f32 v[10:11], v[14:15], v[70:71], v[8:9] neg_lo:[0,0,1] neg_hi:[0,0,1]
	v_pk_fma_f32 v[8:9], v[14:15], v[70:71], v[8:9] op_sel_hi:[1,0,1]
	s_nop 0
	v_mov_b32_e32 v11, v9
	s_waitcnt vmcnt(1) lgkmcnt(0)
	v_pk_mul_f32 v[8:9], v[16:17], v[2:3] op_sel:[1,1] op_sel_hi:[0,1]
	v_pk_add_f32 v[6:7], v[6:7], v[10:11]
	v_pk_fma_f32 v[10:11], v[16:17], v[2:3], v[8:9] neg_lo:[0,0,1] neg_hi:[0,0,1]
	v_pk_fma_f32 v[2:3], v[16:17], v[2:3], v[8:9] op_sel_hi:[1,0,1]
	s_nop 0
	v_mov_b32_e32 v11, v3
	v_pk_add_f32 v[2:3], v[6:7], v[10:11]
	v_mov_b32_e32 v6, v5
	v_pk_mul_f32 v[6:7], v[18:19], v[6:7] op_sel:[1,0] op_sel_hi:[0,0]
	v_pk_fma_f32 v[8:9], v[18:19], v[4:5], v[6:7] neg_lo:[0,0,1] neg_hi:[0,0,1]
	v_pk_fma_f32 v[4:5], v[18:19], v[4:5], v[6:7] op_sel_hi:[1,0,1]
	s_nop 0
	v_mov_b32_e32 v9, v5
	v_pk_add_f32 v[2:3], v[2:3], v[8:9]
	s_waitcnt vmcnt(0)
	v_pk_add_f32 v[2:3], v[80:81], v[2:3] neg_lo:[0,1] neg_hi:[0,1]
	scratch_store_dwordx2 off, v[2:3], off offset:184
	s_and_saveexec_b64 s[0:1], vcc
	s_cbranch_execz .LBB45_245
; %bb.244:
	scratch_load_dwordx2 v[2:3], off, off offset:176
	v_mov_b32_e32 v4, 0
	v_mov_b32_e32 v5, v4
	scratch_store_dwordx2 off, v[4:5], off offset:176
	s_waitcnt vmcnt(1)
	ds_write_b64 v1, v[2:3]
.LBB45_245:
	s_or_b64 exec, exec, s[0:1]
	s_waitcnt lgkmcnt(0)
	; wave barrier
	scratch_load_dwordx4 v[2:5], off, off offset:184
	scratch_load_dwordx4 v[14:17], off, off offset:200
	;; [unrolled: 1-line block ×11, first 2 shown]
	scratch_load_dwordx2 v[22:23], off, off offset:360
	scratch_load_dwordx2 v[36:37], off, off offset:176
	v_mov_b32_e32 v38, 0
	ds_read2_b64 v[52:55], v38 offset0:69 offset1:70
	ds_read2_b64 v[56:59], v38 offset0:71 offset1:72
	;; [unrolled: 1-line block ×8, first 2 shown]
	v_cmp_lt_u32_e32 vcc, 21, v0
	s_waitcnt vmcnt(12) lgkmcnt(7)
	v_mul_f32_e32 v39, v52, v3
	v_mul_f32_e32 v84, v54, v5
	;; [unrolled: 1-line block ×3, first 2 shown]
	v_fmac_f32_e32 v39, v53, v2
	s_waitcnt vmcnt(8) lgkmcnt(3)
	v_mul_f32_e32 v93, v68, v19
	v_mul_f32_e32 v19, v69, v19
	;; [unrolled: 1-line block ×4, first 2 shown]
	v_fmac_f32_e32 v84, v55, v4
	v_fmac_f32_e32 v93, v69, v18
	v_fma_f32 v2, v52, v2, -v3
	v_fma_f32 v18, v68, v18, -v19
	v_add_f32_e32 v19, 0, v39
	v_mul_f32_e32 v88, v58, v17
	v_fmac_f32_e32 v86, v57, v14
	v_fma_f32 v3, v54, v4, -v5
	v_add_f32_e32 v2, 0, v2
	v_add_f32_e32 v19, v19, v84
	v_mul_f32_e32 v89, v60, v25
	v_fmac_f32_e32 v88, v59, v16
	v_add_f32_e32 v2, v2, v3
	v_add_f32_e32 v3, v19, v86
	v_mul_f32_e32 v90, v62, v27
	v_fmac_f32_e32 v89, v61, v24
	v_add_f32_e32 v3, v3, v88
	v_mul_f32_e32 v91, v64, v29
	v_mul_f32_e32 v15, v57, v15
	v_fmac_f32_e32 v90, v63, v26
	v_add_f32_e32 v3, v3, v89
	v_mul_f32_e32 v92, v66, v31
	v_mul_f32_e32 v17, v59, v17
	v_fmac_f32_e32 v91, v65, v28
	v_fma_f32 v4, v56, v14, -v15
	v_add_f32_e32 v3, v3, v90
	v_mul_f32_e32 v25, v61, v25
	v_fmac_f32_e32 v92, v67, v30
	v_fma_f32 v5, v58, v16, -v17
	v_add_f32_e32 v2, v2, v4
	v_add_f32_e32 v3, v3, v91
	v_mul_f32_e32 v94, v70, v21
	v_mul_f32_e32 v27, v63, v27
	v_fma_f32 v14, v60, v24, -v25
	v_add_f32_e32 v2, v2, v5
	v_add_f32_e32 v3, v3, v92
	s_waitcnt vmcnt(7) lgkmcnt(2)
	v_mul_f32_e32 v95, v72, v33
	v_mul_f32_e32 v29, v65, v29
	v_fmac_f32_e32 v94, v71, v20
	v_fma_f32 v15, v62, v26, -v27
	v_add_f32_e32 v2, v2, v14
	v_add_f32_e32 v3, v3, v93
	v_mul_f32_e32 v96, v74, v35
	v_mul_f32_e32 v31, v67, v31
	v_fmac_f32_e32 v95, v73, v32
	v_fma_f32 v16, v64, v28, -v29
	v_add_f32_e32 v2, v2, v15
	v_add_f32_e32 v3, v3, v94
	s_waitcnt vmcnt(6) lgkmcnt(1)
	v_mul_f32_e32 v97, v76, v41
	v_fmac_f32_e32 v96, v75, v34
	v_fma_f32 v17, v66, v30, -v31
	v_add_f32_e32 v2, v2, v16
	v_add_f32_e32 v3, v3, v95
	v_mul_f32_e32 v21, v71, v21
	v_fmac_f32_e32 v97, v77, v40
	v_add_f32_e32 v2, v2, v17
	v_add_f32_e32 v3, v3, v96
	;; [unrolled: 1-line block ×4, first 2 shown]
	v_fma_f32 v3, v70, v20, -v21
	v_add_f32_e32 v2, v2, v3
	v_mul_f32_e32 v3, v73, v33
	v_fma_f32 v3, v72, v32, -v3
	v_add_f32_e32 v2, v2, v3
	v_mul_f32_e32 v3, v75, v35
	;; [unrolled: 3-line block ×4, first 2 shown]
	v_mul_f32_e32 v85, v78, v43
	v_fma_f32 v84, v78, v42, -v2
	s_waitcnt vmcnt(5) lgkmcnt(0)
	v_mul_f32_e32 v2, v81, v45
	v_mov_b32_e32 v28, v47
	v_mul_f32_e32 v87, v80, v45
	v_fmac_f32_e32 v85, v79, v42
	v_fma_f32 v86, v80, v44, -v2
	ds_read2_b64 v[2:5], v38 offset0:85 offset1:86
	ds_read2_b64 v[14:17], v38 offset0:87 offset1:88
	;; [unrolled: 1-line block ×3, first 2 shown]
	ds_read_b64 v[26:27], v38 offset:728
	v_pk_mul_f32 v[28:29], v[82:83], v[28:29] op_sel:[1,0] op_sel_hi:[0,0]
	v_fmac_f32_e32 v87, v81, v44
	v_pk_add_f32 v[24:25], v[24:25], v[84:85]
	v_pk_fma_f32 v[30:31], v[82:83], v[46:47], v[28:29] neg_lo:[0,0,1] neg_hi:[0,0,1]
	v_pk_fma_f32 v[28:29], v[82:83], v[46:47], v[28:29] op_sel_hi:[1,0,1]
	v_pk_add_f32 v[24:25], v[24:25], v[86:87]
	v_mov_b32_e32 v31, v29
	s_waitcnt vmcnt(4) lgkmcnt(3)
	v_pk_mul_f32 v[28:29], v[2:3], v[48:49] op_sel:[1,1] op_sel_hi:[0,1]
	v_pk_add_f32 v[24:25], v[24:25], v[30:31]
	v_pk_fma_f32 v[30:31], v[2:3], v[48:49], v[28:29] neg_lo:[0,0,1] neg_hi:[0,0,1]
	v_pk_fma_f32 v[2:3], v[2:3], v[48:49], v[28:29] op_sel_hi:[1,0,1]
	s_nop 0
	v_mov_b32_e32 v31, v3
	v_pk_add_f32 v[2:3], v[24:25], v[30:31]
	v_mov_b32_e32 v24, v51
	v_pk_mul_f32 v[24:25], v[4:5], v[24:25] op_sel:[1,0] op_sel_hi:[0,0]
	v_pk_fma_f32 v[28:29], v[4:5], v[50:51], v[24:25] neg_lo:[0,0,1] neg_hi:[0,0,1]
	v_pk_fma_f32 v[4:5], v[4:5], v[50:51], v[24:25] op_sel_hi:[1,0,1]
	s_nop 0
	v_mov_b32_e32 v29, v5
	s_waitcnt vmcnt(3) lgkmcnt(2)
	v_pk_mul_f32 v[4:5], v[14:15], v[10:11] op_sel:[1,1] op_sel_hi:[0,1]
	v_pk_fma_f32 v[24:25], v[14:15], v[10:11], v[4:5] neg_lo:[0,0,1] neg_hi:[0,0,1]
	v_pk_fma_f32 v[4:5], v[14:15], v[10:11], v[4:5] op_sel_hi:[1,0,1]
	v_pk_add_f32 v[2:3], v[2:3], v[28:29]
	v_mov_b32_e32 v4, v13
	v_mov_b32_e32 v25, v5
	v_pk_mul_f32 v[4:5], v[16:17], v[4:5] op_sel:[1,0] op_sel_hi:[0,0]
	v_pk_fma_f32 v[10:11], v[16:17], v[12:13], v[4:5] neg_lo:[0,0,1] neg_hi:[0,0,1]
	v_pk_fma_f32 v[4:5], v[16:17], v[12:13], v[4:5] op_sel_hi:[1,0,1]
	v_pk_add_f32 v[2:3], v[2:3], v[24:25]
	v_mov_b32_e32 v11, v5
	s_waitcnt vmcnt(2) lgkmcnt(1)
	v_pk_mul_f32 v[4:5], v[18:19], v[6:7] op_sel:[1,1] op_sel_hi:[0,1]
	v_pk_add_f32 v[2:3], v[2:3], v[10:11]
	v_pk_fma_f32 v[10:11], v[18:19], v[6:7], v[4:5] neg_lo:[0,0,1] neg_hi:[0,0,1]
	v_pk_fma_f32 v[4:5], v[18:19], v[6:7], v[4:5] op_sel_hi:[1,0,1]
	s_nop 0
	v_mov_b32_e32 v4, v9
	v_mov_b32_e32 v11, v5
	v_pk_mul_f32 v[4:5], v[20:21], v[4:5] op_sel:[1,0] op_sel_hi:[0,0]
	v_pk_fma_f32 v[6:7], v[20:21], v[8:9], v[4:5] neg_lo:[0,0,1] neg_hi:[0,0,1]
	v_pk_fma_f32 v[4:5], v[20:21], v[8:9], v[4:5] op_sel_hi:[1,0,1]
	v_pk_add_f32 v[2:3], v[2:3], v[10:11]
	v_mov_b32_e32 v7, v5
	s_waitcnt vmcnt(1) lgkmcnt(0)
	v_pk_mul_f32 v[4:5], v[26:27], v[22:23] op_sel:[1,1] op_sel_hi:[0,1]
	v_pk_add_f32 v[2:3], v[2:3], v[6:7]
	v_pk_fma_f32 v[6:7], v[26:27], v[22:23], v[4:5] neg_lo:[0,0,1] neg_hi:[0,0,1]
	v_pk_fma_f32 v[4:5], v[26:27], v[22:23], v[4:5] op_sel_hi:[1,0,1]
	s_nop 0
	v_mov_b32_e32 v7, v5
	v_pk_add_f32 v[2:3], v[2:3], v[6:7]
	s_waitcnt vmcnt(0)
	v_pk_add_f32 v[2:3], v[36:37], v[2:3] neg_lo:[0,1] neg_hi:[0,1]
	scratch_store_dwordx2 off, v[2:3], off offset:176
	s_and_saveexec_b64 s[0:1], vcc
	s_cbranch_execz .LBB45_247
; %bb.246:
	scratch_load_dwordx2 v[2:3], off, off offset:168
	v_mov_b32_e32 v39, v38
	scratch_store_dwordx2 off, v[38:39], off offset:168
	s_waitcnt vmcnt(1)
	ds_write_b64 v1, v[2:3]
.LBB45_247:
	s_or_b64 exec, exec, s[0:1]
	s_waitcnt lgkmcnt(0)
	; wave barrier
	scratch_load_dwordx4 v[6:9], off, off offset:176
	scratch_load_dwordx4 v[18:21], off, off offset:192
	;; [unrolled: 1-line block ×8, first 2 shown]
	ds_read_b128 v[48:51], v38 offset:544
	ds_read_b128 v[52:55], v38 offset:560
	ds_read_b128 v[56:59], v38 offset:576
	ds_read_b128 v[60:63], v38 offset:592
	ds_read_b128 v[64:67], v38 offset:608
	ds_read_b128 v[68:71], v38 offset:624
	ds_read_b128 v[72:75], v38 offset:640
	ds_read_b128 v[76:79], v38 offset:656
	scratch_load_dwordx4 v[80:83], off, off offset:304
	scratch_load_dwordx4 v[26:29], off, off offset:320
	;; [unrolled: 1-line block ×4, first 2 shown]
	scratch_load_dwordx2 v[84:85], off, off offset:168
	v_cmp_lt_u32_e32 vcc, 20, v0
	s_waitcnt vmcnt(12) lgkmcnt(7)
	v_mul_f32_e32 v39, v48, v7
	v_mul_f32_e32 v86, v50, v9
	;; [unrolled: 1-line block ×3, first 2 shown]
	v_fmac_f32_e32 v39, v49, v6
	s_waitcnt vmcnt(8) lgkmcnt(3)
	v_mul_f32_e32 v95, v64, v15
	v_mul_f32_e32 v15, v65, v15
	;; [unrolled: 1-line block ×4, first 2 shown]
	v_fmac_f32_e32 v86, v51, v8
	v_fmac_f32_e32 v95, v65, v14
	v_fma_f32 v6, v48, v6, -v7
	v_fma_f32 v14, v64, v14, -v15
	v_add_f32_e32 v15, 0, v39
	v_mul_f32_e32 v90, v54, v21
	v_fmac_f32_e32 v88, v53, v18
	v_fma_f32 v7, v50, v8, -v9
	v_add_f32_e32 v6, 0, v6
	v_add_f32_e32 v15, v15, v86
	v_mul_f32_e32 v91, v56, v35
	v_fmac_f32_e32 v90, v55, v20
	v_add_f32_e32 v6, v6, v7
	v_add_f32_e32 v7, v15, v88
	v_mul_f32_e32 v92, v58, v37
	v_fmac_f32_e32 v91, v57, v34
	v_add_f32_e32 v7, v7, v90
	v_mul_f32_e32 v93, v60, v41
	v_fmac_f32_e32 v92, v59, v36
	;; [unrolled: 3-line block ×4, first 2 shown]
	v_add_f32_e32 v7, v7, v93
	v_mul_f32_e32 v96, v66, v17
	v_mul_f32_e32 v21, v55, v21
	v_fma_f32 v8, v52, v18, -v19
	v_add_f32_e32 v7, v7, v94
	s_waitcnt vmcnt(7) lgkmcnt(2)
	v_mul_f32_e32 v97, v68, v23
	v_mul_f32_e32 v35, v57, v35
	v_fmac_f32_e32 v96, v67, v16
	v_fma_f32 v9, v54, v20, -v21
	v_add_f32_e32 v6, v6, v8
	v_add_f32_e32 v7, v7, v95
	v_mul_f32_e32 v98, v70, v25
	v_mul_f32_e32 v37, v59, v37
	v_fmac_f32_e32 v97, v69, v22
	v_fma_f32 v18, v56, v34, -v35
	v_add_f32_e32 v6, v6, v9
	v_add_f32_e32 v7, v7, v96
	s_waitcnt vmcnt(6) lgkmcnt(1)
	v_mul_f32_e32 v99, v72, v31
	v_mul_f32_e32 v41, v61, v41
	v_fmac_f32_e32 v98, v71, v24
	v_fma_f32 v19, v58, v36, -v37
	v_add_f32_e32 v6, v6, v18
	v_add_f32_e32 v7, v7, v97
	v_mul_f32_e32 v100, v74, v33
	v_mul_f32_e32 v43, v63, v43
	v_fmac_f32_e32 v99, v73, v30
	v_fma_f32 v20, v60, v40, -v41
	v_add_f32_e32 v6, v6, v19
	v_add_f32_e32 v7, v7, v98
	v_fmac_f32_e32 v100, v75, v32
	v_fma_f32 v21, v62, v42, -v43
	v_add_f32_e32 v6, v6, v20
	v_add_f32_e32 v7, v7, v99
	;; [unrolled: 1-line block ×4, first 2 shown]
	v_mul_f32_e32 v7, v67, v17
	v_add_f32_e32 v6, v6, v14
	v_fma_f32 v7, v66, v16, -v7
	v_add_f32_e32 v6, v6, v7
	v_mul_f32_e32 v7, v69, v23
	v_fma_f32 v7, v68, v22, -v7
	v_add_f32_e32 v6, v6, v7
	v_mul_f32_e32 v7, v71, v25
	;; [unrolled: 3-line block ×4, first 2 shown]
	v_fma_f32 v7, v74, v32, -v7
	v_add_f32_e32 v34, v6, v7
	s_waitcnt vmcnt(5) lgkmcnt(0)
	v_mul_f32_e32 v6, v77, v45
	v_fma_f32 v86, v76, v44, -v6
	v_mul_f32_e32 v6, v79, v47
	v_fma_f32 v88, v78, v46, -v6
	ds_read_b128 v[6:9], v38 offset:672
	ds_read_b128 v[14:17], v38 offset:688
	;; [unrolled: 1-line block ×4, first 2 shown]
	v_mul_f32_e32 v87, v76, v45
	v_mul_f32_e32 v89, v78, v47
	v_fmac_f32_e32 v87, v77, v44
	s_waitcnt vmcnt(4) lgkmcnt(3)
	v_pk_mul_f32 v[32:33], v[6:7], v[80:81] op_sel:[1,1] op_sel_hi:[0,1]
	v_fmac_f32_e32 v89, v79, v46
	v_pk_add_f32 v[30:31], v[34:35], v[86:87]
	v_pk_fma_f32 v[34:35], v[6:7], v[80:81], v[32:33] neg_lo:[0,0,1] neg_hi:[0,0,1]
	v_pk_fma_f32 v[6:7], v[6:7], v[80:81], v[32:33] op_sel_hi:[1,0,1]
	v_pk_add_f32 v[30:31], v[30:31], v[88:89]
	v_mov_b32_e32 v35, v7
	v_pk_add_f32 v[6:7], v[30:31], v[34:35]
	v_mov_b32_e32 v30, v83
	v_pk_mul_f32 v[30:31], v[8:9], v[30:31] op_sel:[1,0] op_sel_hi:[0,0]
	v_pk_fma_f32 v[32:33], v[8:9], v[82:83], v[30:31] neg_lo:[0,0,1] neg_hi:[0,0,1]
	v_pk_fma_f32 v[8:9], v[8:9], v[82:83], v[30:31] op_sel_hi:[1,0,1]
	s_nop 0
	v_mov_b32_e32 v33, v9
	s_waitcnt vmcnt(3) lgkmcnt(2)
	v_pk_mul_f32 v[8:9], v[14:15], v[26:27] op_sel:[1,1] op_sel_hi:[0,1]
	v_pk_fma_f32 v[30:31], v[14:15], v[26:27], v[8:9] neg_lo:[0,0,1] neg_hi:[0,0,1]
	v_pk_fma_f32 v[8:9], v[14:15], v[26:27], v[8:9] op_sel_hi:[1,0,1]
	v_pk_add_f32 v[6:7], v[6:7], v[32:33]
	v_mov_b32_e32 v8, v29
	v_mov_b32_e32 v31, v9
	v_pk_mul_f32 v[8:9], v[16:17], v[8:9] op_sel:[1,0] op_sel_hi:[0,0]
	v_pk_fma_f32 v[14:15], v[16:17], v[28:29], v[8:9] neg_lo:[0,0,1] neg_hi:[0,0,1]
	v_pk_fma_f32 v[8:9], v[16:17], v[28:29], v[8:9] op_sel_hi:[1,0,1]
	v_pk_add_f32 v[6:7], v[6:7], v[30:31]
	v_mov_b32_e32 v15, v9
	s_waitcnt vmcnt(2) lgkmcnt(1)
	v_pk_mul_f32 v[8:9], v[18:19], v[10:11] op_sel:[1,1] op_sel_hi:[0,1]
	v_pk_add_f32 v[6:7], v[6:7], v[14:15]
	v_pk_fma_f32 v[14:15], v[18:19], v[10:11], v[8:9] neg_lo:[0,0,1] neg_hi:[0,0,1]
	v_pk_fma_f32 v[8:9], v[18:19], v[10:11], v[8:9] op_sel_hi:[1,0,1]
	s_nop 0
	v_mov_b32_e32 v8, v13
	v_mov_b32_e32 v15, v9
	v_pk_mul_f32 v[8:9], v[20:21], v[8:9] op_sel:[1,0] op_sel_hi:[0,0]
	v_pk_fma_f32 v[10:11], v[20:21], v[12:13], v[8:9] neg_lo:[0,0,1] neg_hi:[0,0,1]
	v_pk_fma_f32 v[8:9], v[20:21], v[12:13], v[8:9] op_sel_hi:[1,0,1]
	v_pk_add_f32 v[6:7], v[6:7], v[14:15]
	v_mov_b32_e32 v11, v9
	s_waitcnt vmcnt(1) lgkmcnt(0)
	v_pk_mul_f32 v[8:9], v[22:23], v[2:3] op_sel:[1,1] op_sel_hi:[0,1]
	v_pk_add_f32 v[6:7], v[6:7], v[10:11]
	v_pk_fma_f32 v[10:11], v[22:23], v[2:3], v[8:9] neg_lo:[0,0,1] neg_hi:[0,0,1]
	v_pk_fma_f32 v[2:3], v[22:23], v[2:3], v[8:9] op_sel_hi:[1,0,1]
	s_nop 0
	v_mov_b32_e32 v11, v3
	v_pk_add_f32 v[2:3], v[6:7], v[10:11]
	v_mov_b32_e32 v6, v5
	v_pk_mul_f32 v[6:7], v[24:25], v[6:7] op_sel:[1,0] op_sel_hi:[0,0]
	v_pk_fma_f32 v[8:9], v[24:25], v[4:5], v[6:7] neg_lo:[0,0,1] neg_hi:[0,0,1]
	v_pk_fma_f32 v[4:5], v[24:25], v[4:5], v[6:7] op_sel_hi:[1,0,1]
	s_nop 0
	v_mov_b32_e32 v9, v5
	v_pk_add_f32 v[2:3], v[2:3], v[8:9]
	s_waitcnt vmcnt(0)
	v_pk_add_f32 v[2:3], v[84:85], v[2:3] neg_lo:[0,1] neg_hi:[0,1]
	scratch_store_dwordx2 off, v[2:3], off offset:168
	s_and_saveexec_b64 s[0:1], vcc
	s_cbranch_execz .LBB45_249
; %bb.248:
	scratch_load_dwordx2 v[2:3], off, off offset:160
	v_mov_b32_e32 v4, 0
	v_mov_b32_e32 v5, v4
	scratch_store_dwordx2 off, v[4:5], off offset:160
	s_waitcnt vmcnt(1)
	ds_write_b64 v1, v[2:3]
.LBB45_249:
	s_or_b64 exec, exec, s[0:1]
	s_waitcnt lgkmcnt(0)
	; wave barrier
	scratch_load_dwordx4 v[2:5], off, off offset:168
	scratch_load_dwordx4 v[22:25], off, off offset:184
	;; [unrolled: 1-line block ×12, first 2 shown]
	scratch_load_dwordx2 v[50:51], off, off offset:360
	scratch_load_dwordx2 v[56:57], off, off offset:160
	v_mov_b32_e32 v58, 0
	ds_read2_b64 v[52:55], v58 offset0:67 offset1:68
	ds_read2_b64 v[60:63], v58 offset0:69 offset1:70
	;; [unrolled: 1-line block ×10, first 2 shown]
	v_cmp_lt_u32_e32 vcc, 19, v0
	s_waitcnt vmcnt(13) lgkmcnt(9)
	v_mul_f32_e32 v59, v52, v3
	v_mul_f32_e32 v96, v54, v5
	;; [unrolled: 1-line block ×3, first 2 shown]
	s_waitcnt vmcnt(10) lgkmcnt(6)
	v_mul_f32_e32 v103, v68, v11
	v_mul_f32_e32 v11, v69, v11
	v_fmac_f32_e32 v59, v53, v2
	v_mul_f32_e32 v98, v60, v23
	v_mul_f32_e32 v5, v55, v5
	v_fmac_f32_e32 v96, v55, v4
	v_fmac_f32_e32 v103, v69, v10
	v_fma_f32 v2, v52, v2, -v3
	v_fma_f32 v10, v68, v10, -v11
	v_add_f32_e32 v11, 0, v59
	v_mul_f32_e32 v100, v62, v25
	v_fmac_f32_e32 v98, v61, v22
	v_fma_f32 v3, v54, v4, -v5
	v_add_f32_e32 v2, 0, v2
	v_add_f32_e32 v11, v11, v96
	v_mul_f32_e32 v101, v64, v39
	v_fmac_f32_e32 v100, v63, v24
	v_add_f32_e32 v2, v2, v3
	v_add_f32_e32 v3, v11, v98
	v_mul_f32_e32 v102, v66, v41
	v_fmac_f32_e32 v101, v65, v38
	v_add_f32_e32 v3, v3, v100
	v_fmac_f32_e32 v102, v67, v40
	v_add_f32_e32 v3, v3, v101
	v_mul_f32_e32 v104, v70, v13
	v_add_f32_e32 v3, v3, v102
	s_waitcnt vmcnt(9) lgkmcnt(5)
	v_mul_f32_e32 v105, v72, v15
	v_fmac_f32_e32 v104, v71, v12
	v_add_f32_e32 v3, v3, v103
	v_mul_f32_e32 v106, v74, v17
	v_fmac_f32_e32 v105, v73, v14
	v_add_f32_e32 v3, v3, v104
	s_waitcnt vmcnt(8) lgkmcnt(4)
	v_mul_f32_e32 v107, v76, v27
	v_fmac_f32_e32 v106, v75, v16
	v_add_f32_e32 v3, v3, v105
	v_mul_f32_e32 v108, v78, v29
	v_mul_f32_e32 v23, v61, v23
	v_fmac_f32_e32 v107, v77, v26
	v_add_f32_e32 v3, v3, v106
	s_waitcnt vmcnt(7) lgkmcnt(3)
	v_mul_f32_e32 v109, v80, v31
	v_mul_f32_e32 v25, v63, v25
	v_fmac_f32_e32 v108, v79, v28
	v_fma_f32 v4, v60, v22, -v23
	v_add_f32_e32 v3, v3, v107
	v_mul_f32_e32 v110, v82, v33
	v_mul_f32_e32 v39, v65, v39
	v_fmac_f32_e32 v109, v81, v30
	v_fma_f32 v5, v62, v24, -v25
	v_add_f32_e32 v2, v2, v4
	v_add_f32_e32 v3, v3, v108
	s_waitcnt vmcnt(6) lgkmcnt(2)
	v_mul_f32_e32 v111, v84, v43
	v_mul_f32_e32 v41, v67, v41
	v_fmac_f32_e32 v110, v83, v32
	v_fma_f32 v22, v64, v38, -v39
	v_add_f32_e32 v2, v2, v5
	v_add_f32_e32 v3, v3, v109
	v_fmac_f32_e32 v111, v85, v42
	v_fma_f32 v23, v66, v40, -v41
	v_add_f32_e32 v2, v2, v22
	v_add_f32_e32 v3, v3, v110
	;; [unrolled: 1-line block ×4, first 2 shown]
	v_mul_f32_e32 v3, v71, v13
	v_add_f32_e32 v2, v2, v10
	v_fma_f32 v3, v70, v12, -v3
	v_add_f32_e32 v2, v2, v3
	v_mul_f32_e32 v3, v73, v15
	v_fma_f32 v3, v72, v14, -v3
	v_add_f32_e32 v2, v2, v3
	v_mul_f32_e32 v3, v75, v17
	;; [unrolled: 3-line block ×7, first 2 shown]
	v_fma_f32 v3, v84, v42, -v3
	v_mul_f32_e32 v97, v86, v45
	v_add_f32_e32 v22, v2, v3
	v_mul_f32_e32 v2, v87, v45
	v_fmac_f32_e32 v97, v87, v44
	v_fma_f32 v96, v86, v44, -v2
	v_pk_add_f32 v[16:17], v[22:23], v[96:97]
	s_waitcnt vmcnt(5)
	v_mov_b32_e32 v22, v49
	s_waitcnt lgkmcnt(1)
	v_mul_f32_e32 v99, v88, v47
	v_mul_f32_e32 v2, v89, v47
	v_pk_mul_f32 v[22:23], v[90:91], v[22:23] op_sel:[1,0] op_sel_hi:[0,0]
	v_fmac_f32_e32 v99, v89, v46
	v_fma_f32 v98, v88, v46, -v2
	v_pk_fma_f32 v[24:25], v[90:91], v[48:49], v[22:23] neg_lo:[0,0,1] neg_hi:[0,0,1]
	v_pk_fma_f32 v[22:23], v[90:91], v[48:49], v[22:23] op_sel_hi:[1,0,1]
	v_pk_add_f32 v[16:17], v[16:17], v[98:99]
	v_mov_b32_e32 v25, v23
	s_waitcnt vmcnt(4) lgkmcnt(0)
	v_pk_mul_f32 v[22:23], v[92:93], v[34:35] op_sel:[1,1] op_sel_hi:[0,1]
	v_pk_add_f32 v[16:17], v[16:17], v[24:25]
	v_pk_fma_f32 v[24:25], v[92:93], v[34:35], v[22:23] neg_lo:[0,0,1] neg_hi:[0,0,1]
	v_pk_fma_f32 v[22:23], v[92:93], v[34:35], v[22:23] op_sel_hi:[1,0,1]
	ds_read2_b64 v[2:5], v58 offset0:87 offset1:88
	ds_read2_b64 v[10:13], v58 offset0:89 offset1:90
	ds_read_b64 v[14:15], v58 offset:728
	v_mov_b32_e32 v22, v37
	v_mov_b32_e32 v25, v23
	v_pk_mul_f32 v[22:23], v[94:95], v[22:23] op_sel:[1,0] op_sel_hi:[0,0]
	v_pk_add_f32 v[16:17], v[16:17], v[24:25]
	v_pk_fma_f32 v[24:25], v[94:95], v[36:37], v[22:23] neg_lo:[0,0,1] neg_hi:[0,0,1]
	v_pk_fma_f32 v[22:23], v[94:95], v[36:37], v[22:23] op_sel_hi:[1,0,1]
	s_nop 0
	v_mov_b32_e32 v25, v23
	s_waitcnt vmcnt(3) lgkmcnt(2)
	v_pk_mul_f32 v[22:23], v[2:3], v[18:19] op_sel:[1,1] op_sel_hi:[0,1]
	v_pk_add_f32 v[16:17], v[16:17], v[24:25]
	v_pk_fma_f32 v[24:25], v[2:3], v[18:19], v[22:23] neg_lo:[0,0,1] neg_hi:[0,0,1]
	v_pk_fma_f32 v[2:3], v[2:3], v[18:19], v[22:23] op_sel_hi:[1,0,1]
	s_nop 0
	v_mov_b32_e32 v25, v3
	v_pk_add_f32 v[2:3], v[16:17], v[24:25]
	v_mov_b32_e32 v16, v21
	v_pk_mul_f32 v[16:17], v[4:5], v[16:17] op_sel:[1,0] op_sel_hi:[0,0]
	v_pk_fma_f32 v[18:19], v[4:5], v[20:21], v[16:17] neg_lo:[0,0,1] neg_hi:[0,0,1]
	v_pk_fma_f32 v[4:5], v[4:5], v[20:21], v[16:17] op_sel_hi:[1,0,1]
	s_nop 0
	v_mov_b32_e32 v19, v5
	s_waitcnt vmcnt(2) lgkmcnt(1)
	v_pk_mul_f32 v[4:5], v[10:11], v[6:7] op_sel:[1,1] op_sel_hi:[0,1]
	v_pk_fma_f32 v[16:17], v[10:11], v[6:7], v[4:5] neg_lo:[0,0,1] neg_hi:[0,0,1]
	v_pk_fma_f32 v[4:5], v[10:11], v[6:7], v[4:5] op_sel_hi:[1,0,1]
	v_pk_add_f32 v[2:3], v[2:3], v[18:19]
	v_mov_b32_e32 v4, v9
	v_mov_b32_e32 v17, v5
	v_pk_mul_f32 v[4:5], v[12:13], v[4:5] op_sel:[1,0] op_sel_hi:[0,0]
	v_pk_fma_f32 v[6:7], v[12:13], v[8:9], v[4:5] neg_lo:[0,0,1] neg_hi:[0,0,1]
	v_pk_fma_f32 v[4:5], v[12:13], v[8:9], v[4:5] op_sel_hi:[1,0,1]
	v_pk_add_f32 v[2:3], v[2:3], v[16:17]
	v_mov_b32_e32 v7, v5
	s_waitcnt vmcnt(1) lgkmcnt(0)
	v_pk_mul_f32 v[4:5], v[14:15], v[50:51] op_sel:[1,1] op_sel_hi:[0,1]
	v_pk_add_f32 v[2:3], v[2:3], v[6:7]
	v_pk_fma_f32 v[6:7], v[14:15], v[50:51], v[4:5] neg_lo:[0,0,1] neg_hi:[0,0,1]
	v_pk_fma_f32 v[4:5], v[14:15], v[50:51], v[4:5] op_sel_hi:[1,0,1]
	s_nop 0
	v_mov_b32_e32 v7, v5
	v_pk_add_f32 v[2:3], v[2:3], v[6:7]
	s_waitcnt vmcnt(0)
	v_pk_add_f32 v[2:3], v[56:57], v[2:3] neg_lo:[0,1] neg_hi:[0,1]
	scratch_store_dwordx2 off, v[2:3], off offset:160
	s_and_saveexec_b64 s[0:1], vcc
	s_cbranch_execz .LBB45_251
; %bb.250:
	scratch_load_dwordx2 v[2:3], off, off offset:152
	v_mov_b32_e32 v59, v58
	scratch_store_dwordx2 off, v[58:59], off offset:152
	s_waitcnt vmcnt(1)
	ds_write_b64 v1, v[2:3]
.LBB45_251:
	s_or_b64 exec, exec, s[0:1]
	s_waitcnt lgkmcnt(0)
	; wave barrier
	scratch_load_dwordx4 v[10:13], off, off offset:160
	scratch_load_dwordx4 v[26:29], off, off offset:176
	;; [unrolled: 1-line block ×9, first 2 shown]
	ds_read_b128 v[60:63], v58 offset:528
	ds_read_b128 v[64:67], v58 offset:544
	;; [unrolled: 1-line block ×8, first 2 shown]
	scratch_load_dwordx4 v[50:53], off, off offset:304
	scratch_load_dwordx4 v[34:37], off, off offset:320
	;; [unrolled: 1-line block ×4, first 2 shown]
	ds_read_b128 v[88:91], v58 offset:656
	ds_read_b128 v[92:95], v58 offset:672
	scratch_load_dwordx2 v[96:97], off, off offset:152
	v_cmp_lt_u32_e32 vcc, 18, v0
	s_waitcnt vmcnt(13) lgkmcnt(9)
	v_mul_f32_e32 v59, v60, v11
	v_mul_f32_e32 v98, v62, v13
	v_fmac_f32_e32 v59, v61, v10
	s_waitcnt vmcnt(10) lgkmcnt(6)
	v_mul_f32_e32 v105, v72, v3
	v_mul_f32_e32 v3, v73, v3
	;; [unrolled: 1-line block ×3, first 2 shown]
	v_fmac_f32_e32 v98, v63, v12
	v_fmac_f32_e32 v105, v73, v2
	v_fma_f32 v2, v72, v2, -v3
	v_add_f32_e32 v3, 0, v59
	v_mul_f32_e32 v102, v66, v29
	v_fmac_f32_e32 v100, v65, v26
	v_add_f32_e32 v3, v3, v98
	v_mul_f32_e32 v103, v68, v43
	v_fmac_f32_e32 v102, v67, v28
	;; [unrolled: 3-line block ×3, first 2 shown]
	v_add_f32_e32 v3, v3, v102
	v_fmac_f32_e32 v104, v71, v44
	v_add_f32_e32 v3, v3, v103
	v_mul_f32_e32 v106, v74, v5
	v_add_f32_e32 v3, v3, v104
	s_waitcnt vmcnt(9) lgkmcnt(5)
	v_mul_f32_e32 v107, v76, v15
	v_fmac_f32_e32 v106, v75, v4
	v_add_f32_e32 v3, v3, v105
	v_mul_f32_e32 v108, v78, v17
	v_fmac_f32_e32 v107, v77, v14
	v_add_f32_e32 v3, v3, v106
	s_waitcnt vmcnt(8) lgkmcnt(4)
	v_mul_f32_e32 v109, v80, v19
	v_mul_f32_e32 v11, v61, v11
	v_fmac_f32_e32 v108, v79, v16
	v_add_f32_e32 v3, v3, v107
	v_mul_f32_e32 v110, v82, v21
	v_mul_f32_e32 v13, v63, v13
	v_fmac_f32_e32 v109, v81, v18
	v_fma_f32 v10, v60, v10, -v11
	v_add_f32_e32 v3, v3, v108
	s_waitcnt vmcnt(7) lgkmcnt(3)
	v_mul_f32_e32 v111, v84, v31
	v_mul_f32_e32 v27, v65, v27
	v_fmac_f32_e32 v110, v83, v20
	v_fma_f32 v11, v62, v12, -v13
	v_add_f32_e32 v10, 0, v10
	v_add_f32_e32 v3, v3, v109
	v_mul_f32_e32 v112, v86, v33
	v_mul_f32_e32 v29, v67, v29
	v_fmac_f32_e32 v111, v85, v30
	v_fma_f32 v12, v64, v26, -v27
	v_add_f32_e32 v10, v10, v11
	v_add_f32_e32 v3, v3, v110
	s_waitcnt vmcnt(6) lgkmcnt(2)
	v_mul_f32_e32 v113, v54, v39
	v_mul_f32_e32 v43, v69, v43
	v_fmac_f32_e32 v112, v87, v32
	v_fma_f32 v13, v66, v28, -v29
	v_add_f32_e32 v10, v10, v12
	v_add_f32_e32 v3, v3, v111
	v_mul_f32_e32 v114, v56, v41
	v_mul_f32_e32 v45, v71, v45
	v_fmac_f32_e32 v113, v55, v38
	v_fma_f32 v26, v68, v42, -v43
	v_add_f32_e32 v10, v10, v13
	v_add_f32_e32 v3, v3, v112
	v_fmac_f32_e32 v114, v57, v40
	v_fma_f32 v27, v70, v44, -v45
	v_add_f32_e32 v10, v10, v26
	v_add_f32_e32 v3, v3, v113
	;; [unrolled: 1-line block ×4, first 2 shown]
	v_mul_f32_e32 v3, v75, v5
	v_add_f32_e32 v2, v10, v2
	v_fma_f32 v3, v74, v4, -v3
	v_add_f32_e32 v2, v2, v3
	v_mul_f32_e32 v3, v77, v15
	v_fma_f32 v3, v76, v14, -v3
	v_add_f32_e32 v2, v2, v3
	v_mul_f32_e32 v3, v79, v17
	;; [unrolled: 3-line block ×8, first 2 shown]
	v_fma_f32 v3, v56, v40, -v3
	s_waitcnt vmcnt(5) lgkmcnt(1)
	v_mul_f32_e32 v99, v88, v47
	v_add_f32_e32 v26, v2, v3
	v_mul_f32_e32 v2, v89, v47
	v_fmac_f32_e32 v99, v89, v46
	v_fma_f32 v98, v88, v46, -v2
	s_waitcnt vmcnt(4) lgkmcnt(0)
	v_pk_mul_f32 v[20:21], v[92:93], v[50:51] op_sel:[1,1] op_sel_hi:[0,1]
	v_mul_f32_e32 v101, v90, v49
	v_mul_f32_e32 v2, v91, v49
	v_pk_add_f32 v[18:19], v[26:27], v[98:99]
	v_pk_fma_f32 v[26:27], v[92:93], v[50:51], v[20:21] neg_lo:[0,0,1] neg_hi:[0,0,1]
	v_pk_fma_f32 v[20:21], v[92:93], v[50:51], v[20:21] op_sel_hi:[1,0,1]
	v_fmac_f32_e32 v101, v91, v48
	v_fma_f32 v100, v90, v48, -v2
	ds_read_b128 v[2:5], v58 offset:688
	ds_read_b128 v[10:13], v58 offset:704
	ds_read_b128 v[14:17], v58 offset:720
	v_mov_b32_e32 v20, v53
	v_pk_add_f32 v[18:19], v[18:19], v[100:101]
	v_mov_b32_e32 v27, v21
	v_pk_mul_f32 v[20:21], v[94:95], v[20:21] op_sel:[1,0] op_sel_hi:[0,0]
	v_pk_add_f32 v[18:19], v[18:19], v[26:27]
	v_pk_fma_f32 v[26:27], v[94:95], v[52:53], v[20:21] neg_lo:[0,0,1] neg_hi:[0,0,1]
	v_pk_fma_f32 v[20:21], v[94:95], v[52:53], v[20:21] op_sel_hi:[1,0,1]
	s_nop 0
	v_mov_b32_e32 v27, v21
	s_waitcnt vmcnt(3) lgkmcnt(2)
	v_pk_mul_f32 v[20:21], v[2:3], v[34:35] op_sel:[1,1] op_sel_hi:[0,1]
	v_pk_add_f32 v[18:19], v[18:19], v[26:27]
	v_pk_fma_f32 v[26:27], v[2:3], v[34:35], v[20:21] neg_lo:[0,0,1] neg_hi:[0,0,1]
	v_pk_fma_f32 v[2:3], v[2:3], v[34:35], v[20:21] op_sel_hi:[1,0,1]
	s_nop 0
	v_mov_b32_e32 v27, v3
	v_pk_add_f32 v[2:3], v[18:19], v[26:27]
	v_mov_b32_e32 v18, v37
	v_pk_mul_f32 v[18:19], v[4:5], v[18:19] op_sel:[1,0] op_sel_hi:[0,0]
	v_pk_fma_f32 v[20:21], v[4:5], v[36:37], v[18:19] neg_lo:[0,0,1] neg_hi:[0,0,1]
	v_pk_fma_f32 v[4:5], v[4:5], v[36:37], v[18:19] op_sel_hi:[1,0,1]
	s_nop 0
	v_mov_b32_e32 v21, v5
	s_waitcnt vmcnt(2) lgkmcnt(1)
	v_pk_mul_f32 v[4:5], v[10:11], v[22:23] op_sel:[1,1] op_sel_hi:[0,1]
	v_pk_fma_f32 v[18:19], v[10:11], v[22:23], v[4:5] neg_lo:[0,0,1] neg_hi:[0,0,1]
	v_pk_fma_f32 v[4:5], v[10:11], v[22:23], v[4:5] op_sel_hi:[1,0,1]
	v_pk_add_f32 v[2:3], v[2:3], v[20:21]
	v_mov_b32_e32 v4, v25
	v_mov_b32_e32 v19, v5
	v_pk_mul_f32 v[4:5], v[12:13], v[4:5] op_sel:[1,0] op_sel_hi:[0,0]
	v_pk_fma_f32 v[10:11], v[12:13], v[24:25], v[4:5] neg_lo:[0,0,1] neg_hi:[0,0,1]
	v_pk_fma_f32 v[4:5], v[12:13], v[24:25], v[4:5] op_sel_hi:[1,0,1]
	v_pk_add_f32 v[2:3], v[2:3], v[18:19]
	v_mov_b32_e32 v11, v5
	s_waitcnt vmcnt(1) lgkmcnt(0)
	v_pk_mul_f32 v[4:5], v[14:15], v[6:7] op_sel:[1,1] op_sel_hi:[0,1]
	v_pk_add_f32 v[2:3], v[2:3], v[10:11]
	v_pk_fma_f32 v[10:11], v[14:15], v[6:7], v[4:5] neg_lo:[0,0,1] neg_hi:[0,0,1]
	v_pk_fma_f32 v[4:5], v[14:15], v[6:7], v[4:5] op_sel_hi:[1,0,1]
	s_nop 0
	v_mov_b32_e32 v4, v9
	v_mov_b32_e32 v11, v5
	v_pk_mul_f32 v[4:5], v[16:17], v[4:5] op_sel:[1,0] op_sel_hi:[0,0]
	v_pk_fma_f32 v[6:7], v[16:17], v[8:9], v[4:5] neg_lo:[0,0,1] neg_hi:[0,0,1]
	v_pk_fma_f32 v[4:5], v[16:17], v[8:9], v[4:5] op_sel_hi:[1,0,1]
	v_pk_add_f32 v[2:3], v[2:3], v[10:11]
	v_mov_b32_e32 v7, v5
	v_pk_add_f32 v[2:3], v[2:3], v[6:7]
	s_waitcnt vmcnt(0)
	v_pk_add_f32 v[2:3], v[96:97], v[2:3] neg_lo:[0,1] neg_hi:[0,1]
	scratch_store_dwordx2 off, v[2:3], off offset:152
	s_and_saveexec_b64 s[0:1], vcc
	s_cbranch_execz .LBB45_253
; %bb.252:
	scratch_load_dwordx2 v[2:3], off, off offset:144
	v_mov_b32_e32 v4, 0
	v_mov_b32_e32 v5, v4
	scratch_store_dwordx2 off, v[4:5], off offset:144
	s_waitcnt vmcnt(1)
	ds_write_b64 v1, v[2:3]
.LBB45_253:
	s_or_b64 exec, exec, s[0:1]
	s_waitcnt lgkmcnt(0)
	; wave barrier
	scratch_load_dwordx4 v[10:13], off, off offset:152
	scratch_load_dwordx4 v[30:33], off, off offset:168
	;; [unrolled: 1-line block ×13, first 2 shown]
	scratch_load_dwordx2 v[54:55], off, off offset:360
	scratch_load_dwordx2 v[80:81], off, off offset:144
	v_mov_b32_e32 v82, 0
	ds_read2_b64 v[56:59], v82 offset0:65 offset1:66
	ds_read2_b64 v[60:63], v82 offset0:67 offset1:68
	;; [unrolled: 1-line block ×10, first 2 shown]
	v_cmp_lt_u32_e32 vcc, 17, v0
	s_waitcnt vmcnt(14) lgkmcnt(9)
	v_mul_f32_e32 v83, v56, v11
	v_mul_f32_e32 v100, v58, v13
	s_waitcnt vmcnt(12) lgkmcnt(7)
	v_mul_f32_e32 v105, v64, v3
	v_mul_f32_e32 v3, v65, v3
	v_fmac_f32_e32 v83, v57, v10
	v_mul_f32_e32 v102, v60, v31
	v_fmac_f32_e32 v100, v59, v12
	v_fmac_f32_e32 v105, v65, v2
	v_fma_f32 v2, v64, v2, -v3
	v_add_f32_e32 v3, 0, v83
	v_mul_f32_e32 v104, v62, v33
	v_fmac_f32_e32 v102, v61, v30
	v_add_f32_e32 v3, v3, v100
	v_fmac_f32_e32 v104, v63, v32
	v_add_f32_e32 v3, v3, v102
	v_mul_f32_e32 v106, v66, v5
	v_add_f32_e32 v3, v3, v104
	s_waitcnt vmcnt(11) lgkmcnt(6)
	v_mul_f32_e32 v107, v68, v7
	v_fmac_f32_e32 v106, v67, v4
	v_add_f32_e32 v3, v3, v105
	v_mul_f32_e32 v108, v70, v9
	v_fmac_f32_e32 v107, v69, v6
	v_add_f32_e32 v3, v3, v106
	s_waitcnt vmcnt(10) lgkmcnt(5)
	v_mul_f32_e32 v109, v72, v19
	v_fmac_f32_e32 v108, v71, v8
	v_add_f32_e32 v3, v3, v107
	v_mul_f32_e32 v110, v74, v21
	v_fmac_f32_e32 v109, v73, v18
	;; [unrolled: 7-line block ×3, first 2 shown]
	v_add_f32_e32 v3, v3, v110
	s_waitcnt vmcnt(8) lgkmcnt(3)
	v_mul_f32_e32 v113, v84, v35
	v_mul_f32_e32 v11, v57, v11
	v_fmac_f32_e32 v112, v79, v24
	v_add_f32_e32 v3, v3, v111
	v_mul_f32_e32 v114, v86, v37
	v_mul_f32_e32 v13, v59, v13
	v_fmac_f32_e32 v113, v85, v34
	v_fma_f32 v10, v56, v10, -v11
	v_add_f32_e32 v3, v3, v112
	s_waitcnt vmcnt(7) lgkmcnt(2)
	v_mul_f32_e32 v115, v88, v39
	v_mul_f32_e32 v31, v61, v31
	v_fmac_f32_e32 v114, v87, v36
	v_fma_f32 v11, v58, v12, -v13
	v_add_f32_e32 v10, 0, v10
	v_add_f32_e32 v3, v3, v113
	v_mul_f32_e32 v116, v90, v41
	v_mul_f32_e32 v33, v63, v33
	v_fmac_f32_e32 v115, v89, v38
	v_fma_f32 v12, v60, v30, -v31
	v_add_f32_e32 v10, v10, v11
	v_add_f32_e32 v3, v3, v114
	s_waitcnt vmcnt(6) lgkmcnt(1)
	v_mul_f32_e32 v117, v92, v51
	v_fmac_f32_e32 v116, v91, v40
	v_fma_f32 v13, v62, v32, -v33
	v_add_f32_e32 v10, v10, v12
	v_add_f32_e32 v3, v3, v115
	v_mul_f32_e32 v5, v67, v5
	v_fmac_f32_e32 v117, v93, v50
	v_add_f32_e32 v10, v10, v13
	v_add_f32_e32 v3, v3, v116
	;; [unrolled: 1-line block ×4, first 2 shown]
	v_fma_f32 v3, v66, v4, -v5
	v_add_f32_e32 v2, v2, v3
	v_mul_f32_e32 v3, v69, v7
	v_fma_f32 v3, v68, v6, -v3
	v_add_f32_e32 v2, v2, v3
	v_mul_f32_e32 v3, v71, v9
	;; [unrolled: 3-line block ×12, first 2 shown]
	v_mul_f32_e32 v101, v94, v53
	v_fma_f32 v100, v94, v52, -v2
	s_waitcnt vmcnt(5) lgkmcnt(0)
	v_mul_f32_e32 v2, v97, v47
	v_mov_b32_e32 v22, v49
	v_mul_f32_e32 v103, v96, v47
	v_fmac_f32_e32 v101, v95, v52
	v_fma_f32 v102, v96, v46, -v2
	ds_read2_b64 v[2:5], v82 offset0:85 offset1:86
	ds_read2_b64 v[6:9], v82 offset0:87 offset1:88
	;; [unrolled: 1-line block ×3, first 2 shown]
	ds_read_b64 v[18:19], v82 offset:728
	v_pk_mul_f32 v[22:23], v[98:99], v[22:23] op_sel:[1,0] op_sel_hi:[0,0]
	v_fmac_f32_e32 v103, v97, v46
	v_pk_add_f32 v[20:21], v[30:31], v[100:101]
	v_pk_fma_f32 v[24:25], v[98:99], v[48:49], v[22:23] neg_lo:[0,0,1] neg_hi:[0,0,1]
	v_pk_fma_f32 v[22:23], v[98:99], v[48:49], v[22:23] op_sel_hi:[1,0,1]
	v_pk_add_f32 v[20:21], v[20:21], v[102:103]
	v_mov_b32_e32 v25, v23
	s_waitcnt vmcnt(4) lgkmcnt(3)
	v_pk_mul_f32 v[22:23], v[2:3], v[42:43] op_sel:[1,1] op_sel_hi:[0,1]
	v_pk_add_f32 v[20:21], v[20:21], v[24:25]
	v_pk_fma_f32 v[24:25], v[2:3], v[42:43], v[22:23] neg_lo:[0,0,1] neg_hi:[0,0,1]
	v_pk_fma_f32 v[2:3], v[2:3], v[42:43], v[22:23] op_sel_hi:[1,0,1]
	s_nop 0
	v_mov_b32_e32 v25, v3
	v_pk_add_f32 v[2:3], v[20:21], v[24:25]
	v_mov_b32_e32 v20, v45
	v_pk_mul_f32 v[20:21], v[4:5], v[20:21] op_sel:[1,0] op_sel_hi:[0,0]
	v_pk_fma_f32 v[22:23], v[4:5], v[44:45], v[20:21] neg_lo:[0,0,1] neg_hi:[0,0,1]
	v_pk_fma_f32 v[4:5], v[4:5], v[44:45], v[20:21] op_sel_hi:[1,0,1]
	s_nop 0
	v_mov_b32_e32 v23, v5
	s_waitcnt vmcnt(3) lgkmcnt(2)
	v_pk_mul_f32 v[4:5], v[6:7], v[26:27] op_sel:[1,1] op_sel_hi:[0,1]
	v_pk_fma_f32 v[20:21], v[6:7], v[26:27], v[4:5] neg_lo:[0,0,1] neg_hi:[0,0,1]
	v_pk_fma_f32 v[4:5], v[6:7], v[26:27], v[4:5] op_sel_hi:[1,0,1]
	v_pk_add_f32 v[2:3], v[2:3], v[22:23]
	v_mov_b32_e32 v4, v29
	v_mov_b32_e32 v21, v5
	v_pk_mul_f32 v[4:5], v[8:9], v[4:5] op_sel:[1,0] op_sel_hi:[0,0]
	v_pk_fma_f32 v[6:7], v[8:9], v[28:29], v[4:5] neg_lo:[0,0,1] neg_hi:[0,0,1]
	v_pk_fma_f32 v[4:5], v[8:9], v[28:29], v[4:5] op_sel_hi:[1,0,1]
	v_pk_add_f32 v[2:3], v[2:3], v[20:21]
	v_mov_b32_e32 v7, v5
	s_waitcnt vmcnt(2) lgkmcnt(1)
	v_pk_mul_f32 v[4:5], v[10:11], v[14:15] op_sel:[1,1] op_sel_hi:[0,1]
	v_pk_add_f32 v[2:3], v[2:3], v[6:7]
	v_pk_fma_f32 v[6:7], v[10:11], v[14:15], v[4:5] neg_lo:[0,0,1] neg_hi:[0,0,1]
	v_pk_fma_f32 v[4:5], v[10:11], v[14:15], v[4:5] op_sel_hi:[1,0,1]
	s_nop 0
	v_mov_b32_e32 v4, v17
	v_mov_b32_e32 v7, v5
	v_pk_mul_f32 v[4:5], v[12:13], v[4:5] op_sel:[1,0] op_sel_hi:[0,0]
	v_pk_add_f32 v[2:3], v[2:3], v[6:7]
	v_pk_fma_f32 v[6:7], v[12:13], v[16:17], v[4:5] neg_lo:[0,0,1] neg_hi:[0,0,1]
	v_pk_fma_f32 v[4:5], v[12:13], v[16:17], v[4:5] op_sel_hi:[1,0,1]
	s_nop 0
	v_mov_b32_e32 v7, v5
	s_waitcnt vmcnt(1) lgkmcnt(0)
	v_pk_mul_f32 v[4:5], v[18:19], v[54:55] op_sel:[1,1] op_sel_hi:[0,1]
	v_pk_add_f32 v[2:3], v[2:3], v[6:7]
	v_pk_fma_f32 v[6:7], v[18:19], v[54:55], v[4:5] neg_lo:[0,0,1] neg_hi:[0,0,1]
	v_pk_fma_f32 v[4:5], v[18:19], v[54:55], v[4:5] op_sel_hi:[1,0,1]
	s_nop 0
	v_mov_b32_e32 v7, v5
	v_pk_add_f32 v[2:3], v[2:3], v[6:7]
	s_waitcnt vmcnt(0)
	v_pk_add_f32 v[2:3], v[80:81], v[2:3] neg_lo:[0,1] neg_hi:[0,1]
	scratch_store_dwordx2 off, v[2:3], off offset:144
	s_and_saveexec_b64 s[0:1], vcc
	s_cbranch_execz .LBB45_255
; %bb.254:
	scratch_load_dwordx2 v[2:3], off, off offset:136
	v_mov_b32_e32 v83, v82
	scratch_store_dwordx2 off, v[82:83], off offset:136
	s_waitcnt vmcnt(1)
	ds_write_b64 v1, v[2:3]
.LBB45_255:
	s_or_b64 exec, exec, s[0:1]
	s_waitcnt lgkmcnt(0)
	; wave barrier
	scratch_load_dwordx4 v[18:21], off, off offset:144
	scratch_load_dwordx4 v[34:37], off, off offset:160
	;; [unrolled: 1-line block ×10, first 2 shown]
	ds_read_b128 v[84:87], v82 offset:512
	ds_read_b128 v[88:91], v82 offset:528
	;; [unrolled: 1-line block ×10, first 2 shown]
	scratch_load_dwordx4 v[54:57], off, off offset:304
	scratch_load_dwordx4 v[46:49], off, off offset:320
	;; [unrolled: 1-line block ×4, first 2 shown]
	scratch_load_dwordx2 v[100:101], off, off offset:136
	v_cmp_lt_u32_e32 vcc, 16, v0
	s_waitcnt vmcnt(14) lgkmcnt(9)
	v_mul_f32_e32 v83, v84, v19
	v_mul_f32_e32 v102, v86, v21
	s_waitcnt vmcnt(12) lgkmcnt(7)
	v_mul_f32_e32 v107, v92, v3
	v_mul_f32_e32 v3, v93, v3
	v_fmac_f32_e32 v83, v85, v18
	v_mul_f32_e32 v104, v88, v35
	v_fmac_f32_e32 v102, v87, v20
	v_fmac_f32_e32 v107, v93, v2
	v_fma_f32 v2, v92, v2, -v3
	v_add_f32_e32 v3, 0, v83
	v_mul_f32_e32 v106, v90, v37
	v_fmac_f32_e32 v104, v89, v34
	v_add_f32_e32 v3, v3, v102
	v_fmac_f32_e32 v106, v91, v36
	v_add_f32_e32 v3, v3, v104
	v_mul_f32_e32 v108, v94, v5
	v_add_f32_e32 v3, v3, v106
	s_waitcnt vmcnt(11) lgkmcnt(6)
	v_mul_f32_e32 v109, v96, v7
	v_fmac_f32_e32 v108, v95, v4
	v_add_f32_e32 v3, v3, v107
	v_mul_f32_e32 v110, v98, v9
	v_fmac_f32_e32 v109, v97, v6
	v_add_f32_e32 v3, v3, v108
	s_waitcnt vmcnt(10) lgkmcnt(5)
	v_mul_f32_e32 v111, v78, v11
	v_fmac_f32_e32 v110, v99, v8
	v_add_f32_e32 v3, v3, v109
	v_mul_f32_e32 v112, v80, v13
	v_fmac_f32_e32 v111, v79, v10
	;; [unrolled: 7-line block ×4, first 2 shown]
	v_add_f32_e32 v3, v3, v114
	s_waitcnt vmcnt(7) lgkmcnt(2)
	v_mul_f32_e32 v117, v66, v39
	v_mul_f32_e32 v19, v85, v19
	v_fmac_f32_e32 v116, v73, v28
	v_add_f32_e32 v3, v3, v115
	v_mul_f32_e32 v118, v68, v41
	v_mul_f32_e32 v21, v87, v21
	v_fmac_f32_e32 v117, v67, v38
	v_fma_f32 v18, v84, v18, -v19
	v_add_f32_e32 v3, v3, v116
	s_waitcnt vmcnt(6) lgkmcnt(1)
	v_mul_f32_e32 v119, v62, v43
	v_mul_f32_e32 v35, v89, v35
	v_fmac_f32_e32 v118, v69, v40
	v_fma_f32 v19, v86, v20, -v21
	v_add_f32_e32 v18, 0, v18
	v_add_f32_e32 v3, v3, v117
	v_mul_f32_e32 v120, v64, v45
	v_mul_f32_e32 v37, v91, v37
	v_fmac_f32_e32 v119, v63, v42
	v_fma_f32 v20, v88, v34, -v35
	v_add_f32_e32 v18, v18, v19
	v_add_f32_e32 v3, v3, v118
	v_fmac_f32_e32 v120, v65, v44
	v_fma_f32 v21, v90, v36, -v37
	v_add_f32_e32 v18, v18, v20
	v_add_f32_e32 v3, v3, v119
	;; [unrolled: 1-line block ×4, first 2 shown]
	v_mul_f32_e32 v3, v95, v5
	v_add_f32_e32 v2, v18, v2
	v_fma_f32 v3, v94, v4, -v3
	v_add_f32_e32 v2, v2, v3
	v_mul_f32_e32 v3, v97, v7
	v_fma_f32 v3, v96, v6, -v3
	v_add_f32_e32 v2, v2, v3
	v_mul_f32_e32 v3, v99, v9
	;; [unrolled: 3-line block ×12, first 2 shown]
	v_fma_f32 v3, v64, v44, -v3
	v_add_f32_e32 v34, v2, v3
	s_waitcnt vmcnt(5) lgkmcnt(0)
	v_mul_f32_e32 v2, v59, v51
	v_fma_f32 v102, v58, v50, -v2
	v_mul_f32_e32 v2, v61, v53
	v_fma_f32 v104, v60, v52, -v2
	ds_read_b128 v[2:5], v82 offset:672
	ds_read_b128 v[6:9], v82 offset:688
	;; [unrolled: 1-line block ×4, first 2 shown]
	v_mul_f32_e32 v103, v58, v51
	v_mul_f32_e32 v105, v60, v53
	v_fmac_f32_e32 v103, v59, v50
	s_waitcnt vmcnt(4) lgkmcnt(3)
	v_pk_mul_f32 v[24:25], v[2:3], v[54:55] op_sel:[1,1] op_sel_hi:[0,1]
	v_fmac_f32_e32 v105, v61, v52
	v_pk_add_f32 v[22:23], v[34:35], v[102:103]
	v_pk_fma_f32 v[26:27], v[2:3], v[54:55], v[24:25] neg_lo:[0,0,1] neg_hi:[0,0,1]
	v_pk_fma_f32 v[2:3], v[2:3], v[54:55], v[24:25] op_sel_hi:[1,0,1]
	v_pk_add_f32 v[22:23], v[22:23], v[104:105]
	v_mov_b32_e32 v27, v3
	v_pk_add_f32 v[2:3], v[22:23], v[26:27]
	v_mov_b32_e32 v22, v57
	v_pk_mul_f32 v[22:23], v[4:5], v[22:23] op_sel:[1,0] op_sel_hi:[0,0]
	v_pk_fma_f32 v[24:25], v[4:5], v[56:57], v[22:23] neg_lo:[0,0,1] neg_hi:[0,0,1]
	v_pk_fma_f32 v[4:5], v[4:5], v[56:57], v[22:23] op_sel_hi:[1,0,1]
	s_nop 0
	v_mov_b32_e32 v25, v5
	s_waitcnt vmcnt(3) lgkmcnt(2)
	v_pk_mul_f32 v[4:5], v[6:7], v[46:47] op_sel:[1,1] op_sel_hi:[0,1]
	v_pk_fma_f32 v[22:23], v[6:7], v[46:47], v[4:5] neg_lo:[0,0,1] neg_hi:[0,0,1]
	v_pk_fma_f32 v[4:5], v[6:7], v[46:47], v[4:5] op_sel_hi:[1,0,1]
	v_pk_add_f32 v[2:3], v[2:3], v[24:25]
	v_mov_b32_e32 v4, v49
	v_mov_b32_e32 v23, v5
	v_pk_mul_f32 v[4:5], v[8:9], v[4:5] op_sel:[1,0] op_sel_hi:[0,0]
	v_pk_fma_f32 v[6:7], v[8:9], v[48:49], v[4:5] neg_lo:[0,0,1] neg_hi:[0,0,1]
	v_pk_fma_f32 v[4:5], v[8:9], v[48:49], v[4:5] op_sel_hi:[1,0,1]
	v_pk_add_f32 v[2:3], v[2:3], v[22:23]
	v_mov_b32_e32 v7, v5
	s_waitcnt vmcnt(2) lgkmcnt(1)
	v_pk_mul_f32 v[4:5], v[10:11], v[30:31] op_sel:[1,1] op_sel_hi:[0,1]
	v_pk_add_f32 v[2:3], v[2:3], v[6:7]
	v_pk_fma_f32 v[6:7], v[10:11], v[30:31], v[4:5] neg_lo:[0,0,1] neg_hi:[0,0,1]
	v_pk_fma_f32 v[4:5], v[10:11], v[30:31], v[4:5] op_sel_hi:[1,0,1]
	s_nop 0
	v_mov_b32_e32 v4, v33
	v_mov_b32_e32 v7, v5
	v_pk_mul_f32 v[4:5], v[12:13], v[4:5] op_sel:[1,0] op_sel_hi:[0,0]
	v_pk_add_f32 v[2:3], v[2:3], v[6:7]
	v_pk_fma_f32 v[6:7], v[12:13], v[32:33], v[4:5] neg_lo:[0,0,1] neg_hi:[0,0,1]
	v_pk_fma_f32 v[4:5], v[12:13], v[32:33], v[4:5] op_sel_hi:[1,0,1]
	s_nop 0
	v_mov_b32_e32 v7, v5
	s_waitcnt vmcnt(1) lgkmcnt(0)
	v_pk_mul_f32 v[4:5], v[18:19], v[14:15] op_sel:[1,1] op_sel_hi:[0,1]
	v_pk_add_f32 v[2:3], v[2:3], v[6:7]
	v_pk_fma_f32 v[6:7], v[18:19], v[14:15], v[4:5] neg_lo:[0,0,1] neg_hi:[0,0,1]
	v_pk_fma_f32 v[4:5], v[18:19], v[14:15], v[4:5] op_sel_hi:[1,0,1]
	s_nop 0
	v_mov_b32_e32 v4, v17
	v_mov_b32_e32 v7, v5
	v_pk_mul_f32 v[4:5], v[20:21], v[4:5] op_sel:[1,0] op_sel_hi:[0,0]
	v_pk_add_f32 v[2:3], v[2:3], v[6:7]
	v_pk_fma_f32 v[6:7], v[20:21], v[16:17], v[4:5] neg_lo:[0,0,1] neg_hi:[0,0,1]
	v_pk_fma_f32 v[4:5], v[20:21], v[16:17], v[4:5] op_sel_hi:[1,0,1]
	s_nop 0
	v_mov_b32_e32 v7, v5
	v_pk_add_f32 v[2:3], v[2:3], v[6:7]
	s_waitcnt vmcnt(0)
	v_pk_add_f32 v[2:3], v[100:101], v[2:3] neg_lo:[0,1] neg_hi:[0,1]
	scratch_store_dwordx2 off, v[2:3], off offset:136
	s_and_saveexec_b64 s[0:1], vcc
	s_cbranch_execz .LBB45_257
; %bb.256:
	scratch_load_dwordx2 v[2:3], off, off offset:128
	v_mov_b32_e32 v4, 0
	v_mov_b32_e32 v5, v4
	scratch_store_dwordx2 off, v[4:5], off offset:128
	s_waitcnt vmcnt(1)
	ds_write_b64 v1, v[2:3]
.LBB45_257:
	s_or_b64 exec, exec, s[0:1]
	s_waitcnt lgkmcnt(0)
	; wave barrier
	scratch_load_dwordx4 v[18:21], off, off offset:136
	scratch_load_dwordx4 v[2:5], off, off offset:152
	;; [unrolled: 1-line block ×14, first 2 shown]
	scratch_load_dwordx2 v[58:59], off, off offset:360
	scratch_load_dwordx2 v[100:101], off, off offset:128
	v_mov_b32_e32 v102, 0
	ds_read2_b64 v[60:63], v102 offset0:63 offset1:64
	ds_read2_b64 v[64:67], v102 offset0:65 offset1:66
	;; [unrolled: 1-line block ×12, first 2 shown]
	v_cmp_lt_u32_e32 vcc, 15, v0
	s_waitcnt vmcnt(15) lgkmcnt(11)
	v_mul_f32_e32 v103, v60, v19
	v_mul_f32_e32 v112, v62, v21
	s_waitcnt vmcnt(14) lgkmcnt(10)
	v_mul_f32_e32 v114, v64, v3
	v_mul_f32_e32 v3, v65, v3
	v_fmac_f32_e32 v103, v61, v18
	v_fmac_f32_e32 v112, v63, v20
	;; [unrolled: 1-line block ×3, first 2 shown]
	v_fma_f32 v2, v64, v2, -v3
	v_add_f32_e32 v3, 0, v103
	v_mul_f32_e32 v116, v66, v5
	v_add_f32_e32 v3, v3, v112
	s_waitcnt vmcnt(13) lgkmcnt(9)
	v_mul_f32_e32 v117, v68, v7
	v_fmac_f32_e32 v116, v67, v4
	v_add_f32_e32 v3, v3, v114
	v_mul_f32_e32 v118, v70, v9
	v_fmac_f32_e32 v117, v69, v6
	v_add_f32_e32 v3, v3, v116
	s_waitcnt vmcnt(12) lgkmcnt(8)
	v_mul_f32_e32 v119, v72, v11
	v_fmac_f32_e32 v118, v71, v8
	v_add_f32_e32 v3, v3, v117
	v_mul_f32_e32 v120, v74, v13
	v_fmac_f32_e32 v119, v73, v10
	;; [unrolled: 7-line block ×6, first 2 shown]
	v_add_f32_e32 v3, v3, v126
	s_waitcnt vmcnt(7) lgkmcnt(3)
	v_mul_f32_e32 v129, v92, v43
	v_fmac_f32_e32 v128, v91, v40
	v_add_f32_e32 v3, v3, v127
	v_mul_f32_e32 v130, v94, v45
	v_mul_f32_e32 v19, v61, v19
	v_fmac_f32_e32 v129, v93, v42
	v_add_f32_e32 v3, v3, v128
	s_waitcnt vmcnt(6) lgkmcnt(2)
	v_mul_f32_e32 v131, v96, v51
	v_mul_f32_e32 v21, v63, v21
	v_fmac_f32_e32 v130, v95, v44
	v_fma_f32 v18, v60, v18, -v19
	v_add_f32_e32 v3, v3, v129
	v_fmac_f32_e32 v131, v97, v50
	v_fma_f32 v19, v62, v20, -v21
	v_add_f32_e32 v18, 0, v18
	v_add_f32_e32 v3, v3, v130
	v_add_f32_e32 v18, v18, v19
	v_add_f32_e32 v19, v3, v131
	v_mul_f32_e32 v3, v67, v5
	v_add_f32_e32 v2, v18, v2
	v_fma_f32 v3, v66, v4, -v3
	v_add_f32_e32 v2, v2, v3
	v_mul_f32_e32 v3, v69, v7
	v_fma_f32 v3, v68, v6, -v3
	v_add_f32_e32 v2, v2, v3
	v_mul_f32_e32 v3, v71, v9
	;; [unrolled: 3-line block ×15, first 2 shown]
	v_fma_f32 v3, v96, v50, -v3
	v_mul_f32_e32 v113, v98, v53
	v_add_f32_e32 v18, v2, v3
	v_mul_f32_e32 v2, v99, v53
	s_waitcnt vmcnt(5)
	v_mov_b32_e32 v14, v57
	s_waitcnt lgkmcnt(1)
	v_mul_f32_e32 v115, v104, v55
	v_fmac_f32_e32 v113, v99, v52
	v_fma_f32 v112, v98, v52, -v2
	v_mul_f32_e32 v2, v105, v55
	v_pk_mul_f32 v[14:15], v[106:107], v[14:15] op_sel:[1,0] op_sel_hi:[0,0]
	v_fmac_f32_e32 v115, v105, v54
	v_fma_f32 v114, v104, v54, -v2
	v_pk_add_f32 v[12:13], v[18:19], v[112:113]
	v_pk_fma_f32 v[16:17], v[106:107], v[56:57], v[14:15] neg_lo:[0,0,1] neg_hi:[0,0,1]
	v_pk_fma_f32 v[14:15], v[106:107], v[56:57], v[14:15] op_sel_hi:[1,0,1]
	v_pk_add_f32 v[12:13], v[12:13], v[114:115]
	v_mov_b32_e32 v17, v15
	s_waitcnt vmcnt(4) lgkmcnt(0)
	v_pk_mul_f32 v[14:15], v[108:109], v[46:47] op_sel:[1,1] op_sel_hi:[0,1]
	v_pk_add_f32 v[12:13], v[12:13], v[16:17]
	v_pk_fma_f32 v[16:17], v[108:109], v[46:47], v[14:15] neg_lo:[0,0,1] neg_hi:[0,0,1]
	v_pk_fma_f32 v[14:15], v[108:109], v[46:47], v[14:15] op_sel_hi:[1,0,1]
	ds_read2_b64 v[2:5], v102 offset0:87 offset1:88
	ds_read2_b64 v[6:9], v102 offset0:89 offset1:90
	ds_read_b64 v[10:11], v102 offset:728
	v_mov_b32_e32 v14, v49
	v_mov_b32_e32 v17, v15
	v_pk_mul_f32 v[14:15], v[110:111], v[14:15] op_sel:[1,0] op_sel_hi:[0,0]
	v_pk_add_f32 v[12:13], v[12:13], v[16:17]
	v_pk_fma_f32 v[16:17], v[110:111], v[48:49], v[14:15] neg_lo:[0,0,1] neg_hi:[0,0,1]
	v_pk_fma_f32 v[14:15], v[110:111], v[48:49], v[14:15] op_sel_hi:[1,0,1]
	s_nop 0
	v_mov_b32_e32 v17, v15
	s_waitcnt vmcnt(3) lgkmcnt(2)
	v_pk_mul_f32 v[14:15], v[2:3], v[34:35] op_sel:[1,1] op_sel_hi:[0,1]
	v_pk_add_f32 v[12:13], v[12:13], v[16:17]
	v_pk_fma_f32 v[16:17], v[2:3], v[34:35], v[14:15] neg_lo:[0,0,1] neg_hi:[0,0,1]
	v_pk_fma_f32 v[2:3], v[2:3], v[34:35], v[14:15] op_sel_hi:[1,0,1]
	s_nop 0
	v_mov_b32_e32 v17, v3
	v_pk_add_f32 v[2:3], v[12:13], v[16:17]
	v_mov_b32_e32 v12, v37
	v_pk_mul_f32 v[12:13], v[4:5], v[12:13] op_sel:[1,0] op_sel_hi:[0,0]
	v_pk_fma_f32 v[14:15], v[4:5], v[36:37], v[12:13] neg_lo:[0,0,1] neg_hi:[0,0,1]
	v_pk_fma_f32 v[4:5], v[4:5], v[36:37], v[12:13] op_sel_hi:[1,0,1]
	s_nop 0
	v_mov_b32_e32 v15, v5
	s_waitcnt vmcnt(2) lgkmcnt(1)
	v_pk_mul_f32 v[4:5], v[6:7], v[22:23] op_sel:[1,1] op_sel_hi:[0,1]
	v_pk_fma_f32 v[12:13], v[6:7], v[22:23], v[4:5] neg_lo:[0,0,1] neg_hi:[0,0,1]
	v_pk_fma_f32 v[4:5], v[6:7], v[22:23], v[4:5] op_sel_hi:[1,0,1]
	v_pk_add_f32 v[2:3], v[2:3], v[14:15]
	v_mov_b32_e32 v4, v25
	v_mov_b32_e32 v13, v5
	v_pk_mul_f32 v[4:5], v[8:9], v[4:5] op_sel:[1,0] op_sel_hi:[0,0]
	v_pk_fma_f32 v[6:7], v[8:9], v[24:25], v[4:5] neg_lo:[0,0,1] neg_hi:[0,0,1]
	v_pk_fma_f32 v[4:5], v[8:9], v[24:25], v[4:5] op_sel_hi:[1,0,1]
	v_pk_add_f32 v[2:3], v[2:3], v[12:13]
	v_mov_b32_e32 v7, v5
	s_waitcnt vmcnt(1) lgkmcnt(0)
	v_pk_mul_f32 v[4:5], v[10:11], v[58:59] op_sel:[1,1] op_sel_hi:[0,1]
	v_pk_add_f32 v[2:3], v[2:3], v[6:7]
	v_pk_fma_f32 v[6:7], v[10:11], v[58:59], v[4:5] neg_lo:[0,0,1] neg_hi:[0,0,1]
	v_pk_fma_f32 v[4:5], v[10:11], v[58:59], v[4:5] op_sel_hi:[1,0,1]
	s_nop 0
	v_mov_b32_e32 v7, v5
	v_pk_add_f32 v[2:3], v[2:3], v[6:7]
	s_waitcnt vmcnt(0)
	v_pk_add_f32 v[2:3], v[100:101], v[2:3] neg_lo:[0,1] neg_hi:[0,1]
	scratch_store_dwordx2 off, v[2:3], off offset:128
	s_and_saveexec_b64 s[0:1], vcc
	s_cbranch_execz .LBB45_259
; %bb.258:
	scratch_load_dwordx2 v[2:3], off, off offset:120
	v_mov_b32_e32 v103, v102
	scratch_store_dwordx2 off, v[102:103], off offset:120
	s_waitcnt vmcnt(1)
	ds_write_b64 v1, v[2:3]
.LBB45_259:
	s_or_b64 exec, exec, s[0:1]
	s_waitcnt lgkmcnt(0)
	; wave barrier
	scratch_load_dwordx4 v[22:25], off, off offset:128
	scratch_load_dwordx4 v[2:5], off, off offset:144
	;; [unrolled: 1-line block ×11, first 2 shown]
	ds_read_b128 v[104:107], v102 offset:496
	ds_read_b128 v[98:101], v102 offset:512
	;; [unrolled: 1-line block ×10, first 2 shown]
	scratch_load_dwordx4 v[58:61], off, off offset:304
	scratch_load_dwordx4 v[50:53], off, off offset:320
	;; [unrolled: 1-line block ×4, first 2 shown]
	ds_read_b128 v[78:81], v102 offset:656
	ds_read_b128 v[108:111], v102 offset:672
	scratch_load_dwordx2 v[112:113], off, off offset:120
	v_cmp_lt_u32_e32 vcc, 14, v0
	s_waitcnt vmcnt(15) lgkmcnt(11)
	v_mul_f32_e32 v103, v104, v23
	v_mul_f32_e32 v114, v106, v25
	s_waitcnt vmcnt(14) lgkmcnt(10)
	v_mul_f32_e32 v116, v98, v3
	v_mul_f32_e32 v3, v99, v3
	v_fmac_f32_e32 v103, v105, v22
	v_fmac_f32_e32 v114, v107, v24
	;; [unrolled: 1-line block ×3, first 2 shown]
	v_fma_f32 v2, v98, v2, -v3
	v_add_f32_e32 v3, 0, v103
	v_mul_f32_e32 v118, v100, v5
	v_add_f32_e32 v3, v3, v114
	s_waitcnt vmcnt(13) lgkmcnt(9)
	v_mul_f32_e32 v119, v94, v7
	v_fmac_f32_e32 v118, v101, v4
	v_add_f32_e32 v3, v3, v116
	v_mul_f32_e32 v120, v96, v9
	v_fmac_f32_e32 v119, v95, v6
	v_add_f32_e32 v3, v3, v118
	s_waitcnt vmcnt(12) lgkmcnt(8)
	v_mul_f32_e32 v121, v90, v11
	v_fmac_f32_e32 v120, v97, v8
	v_add_f32_e32 v3, v3, v119
	v_mul_f32_e32 v122, v92, v13
	v_fmac_f32_e32 v121, v91, v10
	;; [unrolled: 7-line block ×7, first 2 shown]
	v_add_f32_e32 v3, v3, v130
	s_waitcnt vmcnt(6) lgkmcnt(2)
	v_mul_f32_e32 v133, v62, v47
	v_mul_f32_e32 v23, v105, v23
	v_fmac_f32_e32 v132, v69, v44
	v_add_f32_e32 v3, v3, v131
	v_mul_f32_e32 v134, v64, v49
	v_mul_f32_e32 v25, v107, v25
	v_fmac_f32_e32 v133, v63, v46
	v_fma_f32 v22, v104, v22, -v23
	v_add_f32_e32 v3, v3, v132
	v_fmac_f32_e32 v134, v65, v48
	v_fma_f32 v23, v106, v24, -v25
	v_add_f32_e32 v22, 0, v22
	v_add_f32_e32 v3, v3, v133
	;; [unrolled: 1-line block ×4, first 2 shown]
	v_mul_f32_e32 v3, v101, v5
	v_add_f32_e32 v2, v22, v2
	v_fma_f32 v3, v100, v4, -v3
	v_add_f32_e32 v2, v2, v3
	v_mul_f32_e32 v3, v95, v7
	v_fma_f32 v3, v94, v6, -v3
	v_add_f32_e32 v2, v2, v3
	v_mul_f32_e32 v3, v97, v9
	;; [unrolled: 3-line block ×16, first 2 shown]
	v_fma_f32 v3, v64, v48, -v3
	s_waitcnt vmcnt(5) lgkmcnt(1)
	v_mul_f32_e32 v115, v78, v55
	v_add_f32_e32 v22, v2, v3
	v_mul_f32_e32 v2, v79, v55
	s_waitcnt vmcnt(4) lgkmcnt(0)
	v_pk_mul_f32 v[16:17], v[108:109], v[58:59] op_sel:[1,1] op_sel_hi:[0,1]
	v_mul_f32_e32 v117, v80, v57
	v_fmac_f32_e32 v115, v79, v54
	v_fma_f32 v114, v78, v54, -v2
	v_mul_f32_e32 v2, v81, v57
	v_pk_fma_f32 v[18:19], v[108:109], v[58:59], v[16:17] neg_lo:[0,0,1] neg_hi:[0,0,1]
	v_pk_fma_f32 v[16:17], v[108:109], v[58:59], v[16:17] op_sel_hi:[1,0,1]
	v_fmac_f32_e32 v117, v81, v56
	v_fma_f32 v116, v80, v56, -v2
	ds_read_b128 v[2:5], v102 offset:688
	ds_read_b128 v[6:9], v102 offset:704
	;; [unrolled: 1-line block ×3, first 2 shown]
	v_pk_add_f32 v[14:15], v[22:23], v[114:115]
	v_mov_b32_e32 v16, v61
	v_pk_add_f32 v[14:15], v[14:15], v[116:117]
	v_mov_b32_e32 v19, v17
	v_pk_mul_f32 v[16:17], v[110:111], v[16:17] op_sel:[1,0] op_sel_hi:[0,0]
	v_pk_add_f32 v[14:15], v[14:15], v[18:19]
	v_pk_fma_f32 v[18:19], v[110:111], v[60:61], v[16:17] neg_lo:[0,0,1] neg_hi:[0,0,1]
	v_pk_fma_f32 v[16:17], v[110:111], v[60:61], v[16:17] op_sel_hi:[1,0,1]
	s_nop 0
	v_mov_b32_e32 v19, v17
	s_waitcnt vmcnt(3) lgkmcnt(2)
	v_pk_mul_f32 v[16:17], v[2:3], v[50:51] op_sel:[1,1] op_sel_hi:[0,1]
	v_pk_add_f32 v[14:15], v[14:15], v[18:19]
	v_pk_fma_f32 v[18:19], v[2:3], v[50:51], v[16:17] neg_lo:[0,0,1] neg_hi:[0,0,1]
	v_pk_fma_f32 v[2:3], v[2:3], v[50:51], v[16:17] op_sel_hi:[1,0,1]
	s_nop 0
	v_mov_b32_e32 v19, v3
	v_pk_add_f32 v[2:3], v[14:15], v[18:19]
	v_mov_b32_e32 v14, v53
	v_pk_mul_f32 v[14:15], v[4:5], v[14:15] op_sel:[1,0] op_sel_hi:[0,0]
	v_pk_fma_f32 v[16:17], v[4:5], v[52:53], v[14:15] neg_lo:[0,0,1] neg_hi:[0,0,1]
	v_pk_fma_f32 v[4:5], v[4:5], v[52:53], v[14:15] op_sel_hi:[1,0,1]
	s_nop 0
	v_mov_b32_e32 v17, v5
	s_waitcnt vmcnt(2) lgkmcnt(1)
	v_pk_mul_f32 v[4:5], v[6:7], v[38:39] op_sel:[1,1] op_sel_hi:[0,1]
	v_pk_fma_f32 v[14:15], v[6:7], v[38:39], v[4:5] neg_lo:[0,0,1] neg_hi:[0,0,1]
	v_pk_fma_f32 v[4:5], v[6:7], v[38:39], v[4:5] op_sel_hi:[1,0,1]
	v_pk_add_f32 v[2:3], v[2:3], v[16:17]
	v_mov_b32_e32 v4, v41
	v_mov_b32_e32 v15, v5
	v_pk_mul_f32 v[4:5], v[8:9], v[4:5] op_sel:[1,0] op_sel_hi:[0,0]
	v_pk_fma_f32 v[6:7], v[8:9], v[40:41], v[4:5] neg_lo:[0,0,1] neg_hi:[0,0,1]
	v_pk_fma_f32 v[4:5], v[8:9], v[40:41], v[4:5] op_sel_hi:[1,0,1]
	v_pk_add_f32 v[2:3], v[2:3], v[14:15]
	v_mov_b32_e32 v7, v5
	s_waitcnt vmcnt(1) lgkmcnt(0)
	v_pk_mul_f32 v[4:5], v[10:11], v[26:27] op_sel:[1,1] op_sel_hi:[0,1]
	v_pk_add_f32 v[2:3], v[2:3], v[6:7]
	v_pk_fma_f32 v[6:7], v[10:11], v[26:27], v[4:5] neg_lo:[0,0,1] neg_hi:[0,0,1]
	v_pk_fma_f32 v[4:5], v[10:11], v[26:27], v[4:5] op_sel_hi:[1,0,1]
	s_nop 0
	v_mov_b32_e32 v4, v29
	v_mov_b32_e32 v7, v5
	v_pk_mul_f32 v[4:5], v[12:13], v[4:5] op_sel:[1,0] op_sel_hi:[0,0]
	v_pk_add_f32 v[2:3], v[2:3], v[6:7]
	v_pk_fma_f32 v[6:7], v[12:13], v[28:29], v[4:5] neg_lo:[0,0,1] neg_hi:[0,0,1]
	v_pk_fma_f32 v[4:5], v[12:13], v[28:29], v[4:5] op_sel_hi:[1,0,1]
	s_nop 0
	v_mov_b32_e32 v7, v5
	v_pk_add_f32 v[2:3], v[2:3], v[6:7]
	s_waitcnt vmcnt(0)
	v_pk_add_f32 v[2:3], v[112:113], v[2:3] neg_lo:[0,1] neg_hi:[0,1]
	scratch_store_dwordx2 off, v[2:3], off offset:120
	s_and_saveexec_b64 s[0:1], vcc
	s_cbranch_execz .LBB45_261
; %bb.260:
	scratch_load_dwordx2 v[2:3], off, off offset:112
	v_mov_b32_e32 v4, 0
	v_mov_b32_e32 v5, v4
	scratch_store_dwordx2 off, v[4:5], off offset:112
	s_waitcnt vmcnt(1)
	ds_write_b64 v1, v[2:3]
.LBB45_261:
	s_or_b64 exec, exec, s[0:1]
	s_waitcnt lgkmcnt(0)
	; wave barrier
	scratch_load_dwordx4 v[2:5], off, off offset:120
	scratch_load_dwordx4 v[6:9], off, off offset:136
	scratch_load_dwordx4 v[10:13], off, off offset:152
	scratch_load_dwordx4 v[14:17], off, off offset:168
	scratch_load_dwordx4 v[18:21], off, off offset:184
	scratch_load_dwordx4 v[22:25], off, off offset:200
	scratch_load_dwordx4 v[30:33], off, off offset:216
	scratch_load_dwordx4 v[34:37], off, off offset:232
	scratch_load_dwordx4 v[42:45], off, off offset:248
	scratch_load_dwordx4 v[46:49], off, off offset:264
	scratch_load_dwordx4 v[58:61], off, off offset:280
	scratch_load_dwordx4 v[54:57], off, off offset:296
	scratch_load_dwordx4 v[50:53], off, off offset:312
	scratch_load_dwordx4 v[38:41], off, off offset:328
	scratch_load_dwordx4 v[26:29], off, off offset:344
	scratch_load_dwordx2 v[62:63], off, off offset:360
	scratch_load_dwordx2 v[112:113], off, off offset:112
	v_mov_b32_e32 v114, 0
	ds_read2_b64 v[64:67], v114 offset0:61 offset1:62
	ds_read2_b64 v[68:71], v114 offset0:63 offset1:64
	;; [unrolled: 1-line block ×12, first 2 shown]
	v_cmp_lt_u32_e32 vcc, 13, v0
	s_waitcnt vmcnt(16) lgkmcnt(11)
	v_mul_f32_e32 v115, v64, v3
	v_mul_f32_e32 v116, v66, v5
	;; [unrolled: 1-line block ×3, first 2 shown]
	v_fmac_f32_e32 v115, v65, v2
	s_waitcnt vmcnt(15) lgkmcnt(10)
	v_mul_f32_e32 v118, v68, v7
	v_fmac_f32_e32 v116, v67, v4
	v_fma_f32 v2, v64, v2, -v3
	v_add_f32_e32 v3, 0, v115
	v_mul_f32_e32 v120, v70, v9
	v_fmac_f32_e32 v118, v69, v6
	v_add_f32_e32 v3, v3, v116
	s_waitcnt vmcnt(14) lgkmcnt(9)
	v_mul_f32_e32 v121, v72, v11
	v_fmac_f32_e32 v120, v71, v8
	v_add_f32_e32 v3, v3, v118
	v_mul_f32_e32 v122, v74, v13
	v_fmac_f32_e32 v121, v73, v10
	v_add_f32_e32 v3, v3, v120
	s_waitcnt vmcnt(13) lgkmcnt(8)
	v_mul_f32_e32 v123, v76, v15
	v_fmac_f32_e32 v122, v75, v12
	;; [unrolled: 7-line block ×9, first 2 shown]
	v_add_f32_e32 v3, v3, v135
	v_mul_f32_e32 v5, v67, v5
	v_fmac_f32_e32 v137, v105, v58
	v_add_f32_e32 v3, v3, v136
	v_add_f32_e32 v2, 0, v2
	;; [unrolled: 1-line block ×3, first 2 shown]
	v_fma_f32 v3, v66, v4, -v5
	v_add_f32_e32 v2, v2, v3
	v_mul_f32_e32 v3, v69, v7
	v_fma_f32 v3, v68, v6, -v3
	v_add_f32_e32 v2, v2, v3
	v_mul_f32_e32 v3, v71, v9
	;; [unrolled: 3-line block ×20, first 2 shown]
	v_mul_f32_e32 v117, v106, v61
	v_fma_f32 v116, v106, v60, -v2
	s_waitcnt vmcnt(5) lgkmcnt(0)
	v_mul_f32_e32 v2, v109, v55
	v_mov_b32_e32 v18, v57
	v_mul_f32_e32 v119, v108, v55
	v_fmac_f32_e32 v117, v107, v60
	v_fma_f32 v118, v108, v54, -v2
	ds_read2_b64 v[2:5], v114 offset0:85 offset1:86
	ds_read2_b64 v[6:9], v114 offset0:87 offset1:88
	;; [unrolled: 1-line block ×3, first 2 shown]
	ds_read_b64 v[14:15], v114 offset:728
	v_pk_mul_f32 v[18:19], v[110:111], v[18:19] op_sel:[1,0] op_sel_hi:[0,0]
	v_fmac_f32_e32 v119, v109, v54
	v_pk_add_f32 v[16:17], v[64:65], v[116:117]
	v_pk_fma_f32 v[20:21], v[110:111], v[56:57], v[18:19] neg_lo:[0,0,1] neg_hi:[0,0,1]
	v_pk_fma_f32 v[18:19], v[110:111], v[56:57], v[18:19] op_sel_hi:[1,0,1]
	v_pk_add_f32 v[16:17], v[16:17], v[118:119]
	v_mov_b32_e32 v21, v19
	s_waitcnt vmcnt(4) lgkmcnt(3)
	v_pk_mul_f32 v[18:19], v[2:3], v[50:51] op_sel:[1,1] op_sel_hi:[0,1]
	v_pk_add_f32 v[16:17], v[16:17], v[20:21]
	v_pk_fma_f32 v[20:21], v[2:3], v[50:51], v[18:19] neg_lo:[0,0,1] neg_hi:[0,0,1]
	v_pk_fma_f32 v[2:3], v[2:3], v[50:51], v[18:19] op_sel_hi:[1,0,1]
	s_nop 0
	v_mov_b32_e32 v21, v3
	v_pk_add_f32 v[2:3], v[16:17], v[20:21]
	v_mov_b32_e32 v16, v53
	v_pk_mul_f32 v[16:17], v[4:5], v[16:17] op_sel:[1,0] op_sel_hi:[0,0]
	v_pk_fma_f32 v[18:19], v[4:5], v[52:53], v[16:17] neg_lo:[0,0,1] neg_hi:[0,0,1]
	v_pk_fma_f32 v[4:5], v[4:5], v[52:53], v[16:17] op_sel_hi:[1,0,1]
	s_nop 0
	v_mov_b32_e32 v19, v5
	s_waitcnt vmcnt(3) lgkmcnt(2)
	v_pk_mul_f32 v[4:5], v[6:7], v[38:39] op_sel:[1,1] op_sel_hi:[0,1]
	v_pk_fma_f32 v[16:17], v[6:7], v[38:39], v[4:5] neg_lo:[0,0,1] neg_hi:[0,0,1]
	v_pk_fma_f32 v[4:5], v[6:7], v[38:39], v[4:5] op_sel_hi:[1,0,1]
	v_pk_add_f32 v[2:3], v[2:3], v[18:19]
	v_mov_b32_e32 v4, v41
	v_mov_b32_e32 v17, v5
	v_pk_mul_f32 v[4:5], v[8:9], v[4:5] op_sel:[1,0] op_sel_hi:[0,0]
	v_pk_fma_f32 v[6:7], v[8:9], v[40:41], v[4:5] neg_lo:[0,0,1] neg_hi:[0,0,1]
	v_pk_fma_f32 v[4:5], v[8:9], v[40:41], v[4:5] op_sel_hi:[1,0,1]
	v_pk_add_f32 v[2:3], v[2:3], v[16:17]
	v_mov_b32_e32 v7, v5
	s_waitcnt vmcnt(2) lgkmcnt(1)
	v_pk_mul_f32 v[4:5], v[10:11], v[26:27] op_sel:[1,1] op_sel_hi:[0,1]
	v_pk_add_f32 v[2:3], v[2:3], v[6:7]
	v_pk_fma_f32 v[6:7], v[10:11], v[26:27], v[4:5] neg_lo:[0,0,1] neg_hi:[0,0,1]
	v_pk_fma_f32 v[4:5], v[10:11], v[26:27], v[4:5] op_sel_hi:[1,0,1]
	s_nop 0
	v_mov_b32_e32 v4, v29
	v_mov_b32_e32 v7, v5
	v_pk_mul_f32 v[4:5], v[12:13], v[4:5] op_sel:[1,0] op_sel_hi:[0,0]
	v_pk_add_f32 v[2:3], v[2:3], v[6:7]
	v_pk_fma_f32 v[6:7], v[12:13], v[28:29], v[4:5] neg_lo:[0,0,1] neg_hi:[0,0,1]
	v_pk_fma_f32 v[4:5], v[12:13], v[28:29], v[4:5] op_sel_hi:[1,0,1]
	s_nop 0
	v_mov_b32_e32 v7, v5
	s_waitcnt vmcnt(1) lgkmcnt(0)
	v_pk_mul_f32 v[4:5], v[14:15], v[62:63] op_sel:[1,1] op_sel_hi:[0,1]
	v_pk_add_f32 v[2:3], v[2:3], v[6:7]
	v_pk_fma_f32 v[6:7], v[14:15], v[62:63], v[4:5] neg_lo:[0,0,1] neg_hi:[0,0,1]
	v_pk_fma_f32 v[4:5], v[14:15], v[62:63], v[4:5] op_sel_hi:[1,0,1]
	s_nop 0
	v_mov_b32_e32 v7, v5
	v_pk_add_f32 v[2:3], v[2:3], v[6:7]
	s_waitcnt vmcnt(0)
	v_pk_add_f32 v[2:3], v[112:113], v[2:3] neg_lo:[0,1] neg_hi:[0,1]
	scratch_store_dwordx2 off, v[2:3], off offset:112
	s_and_saveexec_b64 s[0:1], vcc
	s_cbranch_execz .LBB45_263
; %bb.262:
	scratch_load_dwordx2 v[2:3], off, off offset:104
	v_mov_b32_e32 v115, v114
	scratch_store_dwordx2 off, v[114:115], off offset:104
	s_waitcnt vmcnt(1)
	ds_write_b64 v1, v[2:3]
.LBB45_263:
	s_or_b64 exec, exec, s[0:1]
	s_waitcnt lgkmcnt(0)
	; wave barrier
	scratch_load_dwordx4 v[2:5], off, off offset:112
	scratch_load_dwordx4 v[6:9], off, off offset:128
	;; [unrolled: 1-line block ×12, first 2 shown]
	ds_read_b128 v[110:113], v114 offset:480
	ds_read_b128 v[106:109], v114 offset:496
	;; [unrolled: 1-line block ×12, first 2 shown]
	scratch_load_dwordx4 v[62:65], off, off offset:304
	scratch_load_dwordx4 v[54:57], off, off offset:320
	;; [unrolled: 1-line block ×4, first 2 shown]
	scratch_load_dwordx2 v[116:117], off, off offset:104
	v_cmp_lt_u32_e32 vcc, 12, v0
	s_waitcnt vmcnt(16) lgkmcnt(11)
	v_mul_f32_e32 v115, v110, v3
	v_mul_f32_e32 v118, v112, v5
	;; [unrolled: 1-line block ×3, first 2 shown]
	v_fmac_f32_e32 v115, v111, v2
	s_waitcnt vmcnt(15) lgkmcnt(10)
	v_mul_f32_e32 v120, v106, v7
	v_fmac_f32_e32 v118, v113, v4
	v_fma_f32 v2, v110, v2, -v3
	v_add_f32_e32 v3, 0, v115
	v_mul_f32_e32 v122, v108, v9
	v_fmac_f32_e32 v120, v107, v6
	v_add_f32_e32 v3, v3, v118
	s_waitcnt vmcnt(14) lgkmcnt(9)
	v_mul_f32_e32 v123, v102, v11
	v_fmac_f32_e32 v122, v109, v8
	v_add_f32_e32 v3, v3, v120
	v_mul_f32_e32 v124, v104, v13
	v_fmac_f32_e32 v123, v103, v10
	v_add_f32_e32 v3, v3, v122
	s_waitcnt vmcnt(13) lgkmcnt(8)
	v_mul_f32_e32 v125, v98, v15
	v_fmac_f32_e32 v124, v105, v12
	;; [unrolled: 7-line block ×9, first 2 shown]
	v_add_f32_e32 v3, v3, v137
	v_mul_f32_e32 v140, v72, v53
	v_fmac_f32_e32 v139, v71, v50
	v_add_f32_e32 v3, v3, v138
	v_fmac_f32_e32 v140, v73, v52
	v_add_f32_e32 v3, v3, v139
	v_add_f32_e32 v111, v3, v140
	v_mul_f32_e32 v3, v113, v5
	v_add_f32_e32 v2, 0, v2
	v_fma_f32 v3, v112, v4, -v3
	v_add_f32_e32 v2, v2, v3
	v_mul_f32_e32 v3, v107, v7
	v_fma_f32 v3, v106, v6, -v3
	v_add_f32_e32 v2, v2, v3
	v_mul_f32_e32 v3, v109, v9
	;; [unrolled: 3-line block ×20, first 2 shown]
	v_fma_f32 v3, v72, v52, -v3
	v_add_f32_e32 v110, v2, v3
	s_waitcnt vmcnt(5) lgkmcnt(0)
	v_mul_f32_e32 v2, v67, v59
	v_fma_f32 v118, v66, v58, -v2
	v_mul_f32_e32 v2, v69, v61
	v_fma_f32 v120, v68, v60, -v2
	ds_read_b128 v[2:5], v114 offset:672
	ds_read_b128 v[6:9], v114 offset:688
	ds_read_b128 v[10:13], v114 offset:704
	ds_read_b128 v[14:17], v114 offset:720
	v_mul_f32_e32 v119, v66, v59
	v_mul_f32_e32 v121, v68, v61
	v_fmac_f32_e32 v119, v67, v58
	s_waitcnt vmcnt(4) lgkmcnt(3)
	v_pk_mul_f32 v[20:21], v[2:3], v[62:63] op_sel:[1,1] op_sel_hi:[0,1]
	v_fmac_f32_e32 v121, v69, v60
	v_pk_add_f32 v[18:19], v[110:111], v[118:119]
	v_pk_fma_f32 v[22:23], v[2:3], v[62:63], v[20:21] neg_lo:[0,0,1] neg_hi:[0,0,1]
	v_pk_fma_f32 v[2:3], v[2:3], v[62:63], v[20:21] op_sel_hi:[1,0,1]
	v_pk_add_f32 v[18:19], v[18:19], v[120:121]
	v_mov_b32_e32 v23, v3
	v_pk_add_f32 v[2:3], v[18:19], v[22:23]
	v_mov_b32_e32 v18, v65
	v_pk_mul_f32 v[18:19], v[4:5], v[18:19] op_sel:[1,0] op_sel_hi:[0,0]
	v_pk_fma_f32 v[20:21], v[4:5], v[64:65], v[18:19] neg_lo:[0,0,1] neg_hi:[0,0,1]
	v_pk_fma_f32 v[4:5], v[4:5], v[64:65], v[18:19] op_sel_hi:[1,0,1]
	s_nop 0
	v_mov_b32_e32 v21, v5
	s_waitcnt vmcnt(3) lgkmcnt(2)
	v_pk_mul_f32 v[4:5], v[6:7], v[54:55] op_sel:[1,1] op_sel_hi:[0,1]
	v_pk_fma_f32 v[18:19], v[6:7], v[54:55], v[4:5] neg_lo:[0,0,1] neg_hi:[0,0,1]
	v_pk_fma_f32 v[4:5], v[6:7], v[54:55], v[4:5] op_sel_hi:[1,0,1]
	v_pk_add_f32 v[2:3], v[2:3], v[20:21]
	v_mov_b32_e32 v4, v57
	v_mov_b32_e32 v19, v5
	v_pk_mul_f32 v[4:5], v[8:9], v[4:5] op_sel:[1,0] op_sel_hi:[0,0]
	v_pk_fma_f32 v[6:7], v[8:9], v[56:57], v[4:5] neg_lo:[0,0,1] neg_hi:[0,0,1]
	v_pk_fma_f32 v[4:5], v[8:9], v[56:57], v[4:5] op_sel_hi:[1,0,1]
	v_pk_add_f32 v[2:3], v[2:3], v[18:19]
	v_mov_b32_e32 v7, v5
	s_waitcnt vmcnt(2) lgkmcnt(1)
	v_pk_mul_f32 v[4:5], v[10:11], v[42:43] op_sel:[1,1] op_sel_hi:[0,1]
	v_pk_add_f32 v[2:3], v[2:3], v[6:7]
	v_pk_fma_f32 v[6:7], v[10:11], v[42:43], v[4:5] neg_lo:[0,0,1] neg_hi:[0,0,1]
	v_pk_fma_f32 v[4:5], v[10:11], v[42:43], v[4:5] op_sel_hi:[1,0,1]
	s_nop 0
	v_mov_b32_e32 v4, v45
	v_mov_b32_e32 v7, v5
	v_pk_mul_f32 v[4:5], v[12:13], v[4:5] op_sel:[1,0] op_sel_hi:[0,0]
	v_pk_add_f32 v[2:3], v[2:3], v[6:7]
	v_pk_fma_f32 v[6:7], v[12:13], v[44:45], v[4:5] neg_lo:[0,0,1] neg_hi:[0,0,1]
	v_pk_fma_f32 v[4:5], v[12:13], v[44:45], v[4:5] op_sel_hi:[1,0,1]
	s_nop 0
	v_mov_b32_e32 v7, v5
	s_waitcnt vmcnt(1) lgkmcnt(0)
	v_pk_mul_f32 v[4:5], v[14:15], v[34:35] op_sel:[1,1] op_sel_hi:[0,1]
	v_pk_add_f32 v[2:3], v[2:3], v[6:7]
	v_pk_fma_f32 v[6:7], v[14:15], v[34:35], v[4:5] neg_lo:[0,0,1] neg_hi:[0,0,1]
	v_pk_fma_f32 v[4:5], v[14:15], v[34:35], v[4:5] op_sel_hi:[1,0,1]
	s_nop 0
	v_mov_b32_e32 v4, v37
	v_mov_b32_e32 v7, v5
	v_pk_mul_f32 v[4:5], v[16:17], v[4:5] op_sel:[1,0] op_sel_hi:[0,0]
	v_pk_add_f32 v[2:3], v[2:3], v[6:7]
	v_pk_fma_f32 v[6:7], v[16:17], v[36:37], v[4:5] neg_lo:[0,0,1] neg_hi:[0,0,1]
	v_pk_fma_f32 v[4:5], v[16:17], v[36:37], v[4:5] op_sel_hi:[1,0,1]
	s_nop 0
	v_mov_b32_e32 v7, v5
	v_pk_add_f32 v[2:3], v[2:3], v[6:7]
	s_waitcnt vmcnt(0)
	v_pk_add_f32 v[2:3], v[116:117], v[2:3] neg_lo:[0,1] neg_hi:[0,1]
	scratch_store_dwordx2 off, v[2:3], off offset:104
	s_and_saveexec_b64 s[0:1], vcc
	s_cbranch_execz .LBB45_265
; %bb.264:
	scratch_load_dwordx2 v[2:3], off, off offset:96
	v_mov_b32_e32 v4, 0
	v_mov_b32_e32 v5, v4
	scratch_store_dwordx2 off, v[4:5], off offset:96
	s_waitcnt vmcnt(1)
	ds_write_b64 v1, v[2:3]
.LBB45_265:
	s_or_b64 exec, exec, s[0:1]
	s_waitcnt lgkmcnt(0)
	; wave barrier
	scratch_load_dwordx4 v[2:5], off, off offset:104
	scratch_load_dwordx4 v[6:9], off, off offset:120
	;; [unrolled: 1-line block ×13, first 2 shown]
	v_mov_b32_e32 v106, 0
	scratch_load_dwordx2 v[124:125], off, off offset:96
	ds_read2_b64 v[54:57], v106 offset0:59 offset1:60
	ds_read2_b64 v[58:61], v106 offset0:61 offset1:62
	;; [unrolled: 1-line block ×14, first 2 shown]
	v_cmp_lt_u32_e32 vcc, 11, v0
	s_waitcnt vmcnt(13) lgkmcnt(13)
	v_mul_f32_e32 v107, v54, v3
	v_mul_f32_e32 v112, v56, v5
	v_fmac_f32_e32 v107, v55, v2
	s_waitcnt vmcnt(12) lgkmcnt(12)
	v_mul_f32_e32 v113, v58, v7
	v_fmac_f32_e32 v112, v57, v4
	v_add_f32_e32 v107, 0, v107
	v_mul_f32_e32 v114, v60, v9
	v_fmac_f32_e32 v113, v59, v6
	v_add_f32_e32 v107, v107, v112
	s_waitcnt vmcnt(11) lgkmcnt(11)
	v_mul_f32_e32 v115, v62, v11
	v_fmac_f32_e32 v114, v61, v8
	v_add_f32_e32 v107, v107, v113
	v_mul_f32_e32 v116, v64, v13
	v_fmac_f32_e32 v115, v63, v10
	v_add_f32_e32 v107, v107, v114
	;; [unrolled: 7-line block ×8, first 2 shown]
	s_waitcnt vmcnt(4) lgkmcnt(4)
	v_mul_f32_e32 v133, v90, v39
	v_fmac_f32_e32 v132, v89, v36
	v_add_f32_e32 v107, v107, v131
	v_fmac_f32_e32 v133, v91, v38
	v_add_f32_e32 v107, v107, v132
	v_add_f32_e32 v107, v107, v133
	scratch_load_dwordx4 v[112:115], off, off offset:312
	scratch_load_dwordx4 v[116:119], off, off offset:328
	;; [unrolled: 1-line block ×3, first 2 shown]
	scratch_load_dwordx2 v[132:133], off, off offset:360
	v_mul_f32_e32 v3, v55, v3
	v_fma_f32 v2, v54, v2, -v3
	v_mul_f32_e32 v3, v57, v5
	v_add_f32_e32 v2, 0, v2
	v_fma_f32 v3, v56, v4, -v3
	v_add_f32_e32 v2, v2, v3
	v_mul_f32_e32 v3, v59, v7
	v_fma_f32 v3, v58, v6, -v3
	v_add_f32_e32 v2, v2, v3
	v_mul_f32_e32 v3, v61, v9
	v_fma_f32 v3, v60, v8, -v3
	v_add_f32_e32 v2, v2, v3
	v_mul_f32_e32 v3, v63, v11
	v_fma_f32 v3, v62, v10, -v3
	v_add_f32_e32 v2, v2, v3
	v_mul_f32_e32 v3, v65, v13
	v_fma_f32 v3, v64, v12, -v3
	v_add_f32_e32 v2, v2, v3
	v_mul_f32_e32 v3, v67, v15
	v_fma_f32 v3, v66, v14, -v3
	v_add_f32_e32 v2, v2, v3
	v_mul_f32_e32 v3, v69, v17
	v_fma_f32 v3, v68, v16, -v3
	v_add_f32_e32 v2, v2, v3
	v_mul_f32_e32 v3, v71, v19
	v_fma_f32 v3, v70, v18, -v3
	v_add_f32_e32 v2, v2, v3
	v_mul_f32_e32 v3, v73, v21
	v_fma_f32 v3, v72, v20, -v3
	v_add_f32_e32 v2, v2, v3
	v_mul_f32_e32 v3, v75, v23
	v_fma_f32 v3, v74, v22, -v3
	v_add_f32_e32 v2, v2, v3
	v_mul_f32_e32 v3, v77, v25
	v_fma_f32 v3, v76, v24, -v3
	v_add_f32_e32 v2, v2, v3
	v_mul_f32_e32 v3, v79, v27
	v_fma_f32 v3, v78, v26, -v3
	v_add_f32_e32 v2, v2, v3
	v_mul_f32_e32 v3, v81, v29
	v_fma_f32 v3, v80, v28, -v3
	v_add_f32_e32 v2, v2, v3
	v_mul_f32_e32 v3, v83, v31
	v_fma_f32 v3, v82, v30, -v3
	v_add_f32_e32 v2, v2, v3
	v_mul_f32_e32 v3, v85, v33
	v_fma_f32 v3, v84, v32, -v3
	v_add_f32_e32 v2, v2, v3
	v_mul_f32_e32 v3, v87, v35
	v_fma_f32 v3, v86, v34, -v3
	v_add_f32_e32 v2, v2, v3
	v_mul_f32_e32 v3, v89, v37
	v_fma_f32 v3, v88, v36, -v3
	v_add_f32_e32 v2, v2, v3
	v_mul_f32_e32 v3, v91, v39
	v_fma_f32 v3, v90, v38, -v3
	v_add_f32_e32 v2, v2, v3
	v_mul_f32_e32 v3, v93, v41
	v_fma_f32 v3, v92, v40, -v3
	v_add_f32_e32 v2, v2, v3
	s_waitcnt vmcnt(7) lgkmcnt(3)
	v_mul_f32_e32 v3, v95, v43
	v_fma_f32 v3, v94, v42, -v3
	v_mul_f32_e32 v134, v92, v41
	v_add_f32_e32 v2, v2, v3
	v_mul_f32_e32 v3, v97, v45
	v_mul_f32_e32 v135, v94, v43
	v_fmac_f32_e32 v134, v93, v40
	v_fma_f32 v3, v96, v44, -v3
	v_mul_f32_e32 v136, v96, v45
	v_fmac_f32_e32 v135, v95, v42
	v_add_f32_e32 v107, v107, v134
	v_add_f32_e32 v2, v2, v3
	s_waitcnt vmcnt(6) lgkmcnt(2)
	v_mul_f32_e32 v3, v99, v47
	v_mul_f32_e32 v137, v98, v47
	v_fmac_f32_e32 v136, v97, v44
	v_add_f32_e32 v107, v107, v135
	v_fma_f32 v3, v98, v46, -v3
	v_mul_f32_e32 v127, v100, v49
	v_fmac_f32_e32 v137, v99, v46
	v_add_f32_e32 v107, v107, v136
	v_add_f32_e32 v130, v2, v3
	v_mul_f32_e32 v2, v101, v49
	s_waitcnt vmcnt(5)
	v_mov_b32_e32 v14, v53
	s_waitcnt lgkmcnt(1)
	v_mul_f32_e32 v129, v102, v51
	v_fmac_f32_e32 v127, v101, v48
	v_add_f32_e32 v131, v107, v137
	v_fma_f32 v126, v100, v48, -v2
	v_mul_f32_e32 v2, v103, v51
	v_pk_mul_f32 v[14:15], v[104:105], v[14:15] op_sel:[1,0] op_sel_hi:[0,0]
	v_fmac_f32_e32 v129, v103, v50
	v_fma_f32 v128, v102, v50, -v2
	v_pk_add_f32 v[12:13], v[130:131], v[126:127]
	v_pk_fma_f32 v[16:17], v[104:105], v[52:53], v[14:15] neg_lo:[0,0,1] neg_hi:[0,0,1]
	v_pk_fma_f32 v[14:15], v[104:105], v[52:53], v[14:15] op_sel_hi:[1,0,1]
	v_pk_add_f32 v[12:13], v[12:13], v[128:129]
	v_mov_b32_e32 v17, v15
	s_waitcnt vmcnt(3) lgkmcnt(0)
	v_pk_mul_f32 v[14:15], v[108:109], v[112:113] op_sel:[1,1] op_sel_hi:[0,1]
	v_pk_add_f32 v[12:13], v[12:13], v[16:17]
	v_pk_fma_f32 v[16:17], v[108:109], v[112:113], v[14:15] neg_lo:[0,0,1] neg_hi:[0,0,1]
	v_pk_fma_f32 v[14:15], v[108:109], v[112:113], v[14:15] op_sel_hi:[1,0,1]
	ds_read2_b64 v[2:5], v106 offset0:87 offset1:88
	ds_read2_b64 v[6:9], v106 offset0:89 offset1:90
	ds_read_b64 v[10:11], v106 offset:728
	v_mov_b32_e32 v14, v115
	v_mov_b32_e32 v17, v15
	v_pk_mul_f32 v[14:15], v[110:111], v[14:15] op_sel:[1,0] op_sel_hi:[0,0]
	v_pk_add_f32 v[12:13], v[12:13], v[16:17]
	v_pk_fma_f32 v[16:17], v[110:111], v[114:115], v[14:15] neg_lo:[0,0,1] neg_hi:[0,0,1]
	v_pk_fma_f32 v[14:15], v[110:111], v[114:115], v[14:15] op_sel_hi:[1,0,1]
	s_nop 0
	v_mov_b32_e32 v17, v15
	s_waitcnt vmcnt(2) lgkmcnt(2)
	v_pk_mul_f32 v[14:15], v[2:3], v[116:117] op_sel:[1,1] op_sel_hi:[0,1]
	v_pk_add_f32 v[12:13], v[12:13], v[16:17]
	v_pk_fma_f32 v[16:17], v[2:3], v[116:117], v[14:15] neg_lo:[0,0,1] neg_hi:[0,0,1]
	v_pk_fma_f32 v[2:3], v[2:3], v[116:117], v[14:15] op_sel_hi:[1,0,1]
	s_nop 0
	v_mov_b32_e32 v17, v3
	v_pk_add_f32 v[2:3], v[12:13], v[16:17]
	v_mov_b32_e32 v12, v119
	v_pk_mul_f32 v[12:13], v[4:5], v[12:13] op_sel:[1,0] op_sel_hi:[0,0]
	v_pk_fma_f32 v[14:15], v[4:5], v[118:119], v[12:13] neg_lo:[0,0,1] neg_hi:[0,0,1]
	v_pk_fma_f32 v[4:5], v[4:5], v[118:119], v[12:13] op_sel_hi:[1,0,1]
	s_nop 0
	v_mov_b32_e32 v15, v5
	s_waitcnt vmcnt(1) lgkmcnt(1)
	v_pk_mul_f32 v[4:5], v[6:7], v[120:121] op_sel:[1,1] op_sel_hi:[0,1]
	v_pk_fma_f32 v[12:13], v[6:7], v[120:121], v[4:5] neg_lo:[0,0,1] neg_hi:[0,0,1]
	v_pk_fma_f32 v[4:5], v[6:7], v[120:121], v[4:5] op_sel_hi:[1,0,1]
	v_pk_add_f32 v[2:3], v[2:3], v[14:15]
	v_mov_b32_e32 v4, v123
	v_mov_b32_e32 v13, v5
	v_pk_mul_f32 v[4:5], v[8:9], v[4:5] op_sel:[1,0] op_sel_hi:[0,0]
	v_pk_fma_f32 v[6:7], v[8:9], v[122:123], v[4:5] neg_lo:[0,0,1] neg_hi:[0,0,1]
	v_pk_fma_f32 v[4:5], v[8:9], v[122:123], v[4:5] op_sel_hi:[1,0,1]
	v_pk_add_f32 v[2:3], v[2:3], v[12:13]
	v_mov_b32_e32 v7, v5
	s_waitcnt vmcnt(0) lgkmcnt(0)
	v_pk_mul_f32 v[4:5], v[10:11], v[132:133] op_sel:[1,1] op_sel_hi:[0,1]
	v_pk_add_f32 v[2:3], v[2:3], v[6:7]
	v_pk_fma_f32 v[6:7], v[10:11], v[132:133], v[4:5] neg_lo:[0,0,1] neg_hi:[0,0,1]
	v_pk_fma_f32 v[4:5], v[10:11], v[132:133], v[4:5] op_sel_hi:[1,0,1]
	s_nop 0
	v_mov_b32_e32 v7, v5
	v_pk_add_f32 v[2:3], v[2:3], v[6:7]
	s_nop 0
	v_pk_add_f32 v[2:3], v[124:125], v[2:3] neg_lo:[0,1] neg_hi:[0,1]
	scratch_store_dwordx2 off, v[2:3], off offset:96
	s_and_saveexec_b64 s[0:1], vcc
	s_cbranch_execz .LBB45_267
; %bb.266:
	scratch_load_dwordx2 v[2:3], off, off offset:88
	v_mov_b32_e32 v107, v106
	scratch_store_dwordx2 off, v[106:107], off offset:88
	s_waitcnt vmcnt(1)
	ds_write_b64 v1, v[2:3]
.LBB45_267:
	s_or_b64 exec, exec, s[0:1]
	s_waitcnt lgkmcnt(0)
	; wave barrier
	scratch_load_dwordx4 v[2:5], off, off offset:96
	scratch_load_dwordx4 v[6:9], off, off offset:112
	;; [unrolled: 1-line block ×13, first 2 shown]
	ds_read_b128 v[102:105], v106 offset:464
	ds_read_b128 v[98:101], v106 offset:480
	;; [unrolled: 1-line block ×14, first 2 shown]
	scratch_load_dwordx2 v[128:129], off, off offset:88
	v_cmp_lt_u32_e32 vcc, 10, v0
	s_waitcnt vmcnt(13) lgkmcnt(13)
	v_mul_f32_e32 v107, v102, v3
	v_mul_f32_e32 v112, v104, v5
	v_fmac_f32_e32 v107, v103, v2
	s_waitcnt vmcnt(12) lgkmcnt(12)
	v_mul_f32_e32 v113, v98, v7
	v_fmac_f32_e32 v112, v105, v4
	v_add_f32_e32 v107, 0, v107
	v_mul_f32_e32 v114, v100, v9
	v_fmac_f32_e32 v113, v99, v6
	v_add_f32_e32 v107, v107, v112
	s_waitcnt vmcnt(11) lgkmcnt(11)
	v_mul_f32_e32 v115, v94, v11
	v_fmac_f32_e32 v114, v101, v8
	v_add_f32_e32 v107, v107, v113
	v_mul_f32_e32 v116, v96, v13
	v_fmac_f32_e32 v115, v95, v10
	v_add_f32_e32 v107, v107, v114
	;; [unrolled: 7-line block ×7, first 2 shown]
	s_waitcnt vmcnt(5) lgkmcnt(5)
	v_mul_f32_e32 v127, v70, v35
	v_fmac_f32_e32 v126, v77, v32
	v_add_f32_e32 v107, v107, v125
	v_fmac_f32_e32 v127, v71, v34
	v_add_f32_e32 v107, v107, v126
	v_add_f32_e32 v107, v107, v127
	scratch_load_dwordx4 v[112:115], off, off offset:304
	scratch_load_dwordx4 v[116:119], off, off offset:320
	;; [unrolled: 1-line block ×4, first 2 shown]
	v_mul_f32_e32 v3, v103, v3
	v_fma_f32 v2, v102, v2, -v3
	v_mul_f32_e32 v3, v105, v5
	v_add_f32_e32 v2, 0, v2
	v_fma_f32 v3, v104, v4, -v3
	v_add_f32_e32 v2, v2, v3
	v_mul_f32_e32 v3, v99, v7
	v_fma_f32 v3, v98, v6, -v3
	v_add_f32_e32 v2, v2, v3
	v_mul_f32_e32 v3, v101, v9
	;; [unrolled: 3-line block ×16, first 2 shown]
	v_fma_f32 v3, v72, v36, -v3
	v_add_f32_e32 v2, v2, v3
	s_waitcnt vmcnt(8) lgkmcnt(4)
	v_mul_f32_e32 v3, v67, v39
	v_fma_f32 v3, v66, v38, -v3
	v_add_f32_e32 v2, v2, v3
	v_mul_f32_e32 v3, v69, v41
	v_fma_f32 v3, v68, v40, -v3
	v_add_f32_e32 v2, v2, v3
	s_waitcnt vmcnt(7) lgkmcnt(3)
	v_mul_f32_e32 v3, v63, v43
	v_mul_f32_e32 v130, v72, v37
	v_fma_f32 v3, v62, v42, -v3
	v_mul_f32_e32 v132, v66, v39
	v_fmac_f32_e32 v130, v73, v36
	v_add_f32_e32 v2, v2, v3
	v_mul_f32_e32 v3, v65, v45
	v_mul_f32_e32 v134, v68, v41
	v_fmac_f32_e32 v132, v67, v38
	v_add_f32_e32 v107, v107, v130
	v_fma_f32 v3, v64, v44, -v3
	v_mul_f32_e32 v135, v62, v43
	v_fmac_f32_e32 v134, v69, v40
	v_add_f32_e32 v107, v107, v132
	v_add_f32_e32 v2, v2, v3
	s_waitcnt vmcnt(6) lgkmcnt(2)
	v_mul_f32_e32 v3, v59, v47
	v_mul_f32_e32 v136, v64, v45
	v_fmac_f32_e32 v135, v63, v42
	v_add_f32_e32 v107, v107, v134
	v_fma_f32 v3, v58, v46, -v3
	v_mul_f32_e32 v137, v58, v47
	v_fmac_f32_e32 v136, v65, v44
	v_add_f32_e32 v107, v107, v135
	v_add_f32_e32 v2, v2, v3
	v_mul_f32_e32 v3, v61, v49
	v_mul_f32_e32 v138, v60, v49
	v_fmac_f32_e32 v137, v59, v46
	v_add_f32_e32 v107, v107, v136
	v_fma_f32 v3, v60, v48, -v3
	s_waitcnt vmcnt(5) lgkmcnt(1)
	v_mul_f32_e32 v131, v54, v51
	v_fmac_f32_e32 v138, v61, v48
	v_add_f32_e32 v107, v107, v137
	v_add_f32_e32 v134, v2, v3
	v_mul_f32_e32 v2, v55, v51
	s_waitcnt vmcnt(3) lgkmcnt(0)
	v_pk_mul_f32 v[16:17], v[108:109], v[112:113] op_sel:[1,1] op_sel_hi:[0,1]
	v_mul_f32_e32 v133, v56, v53
	v_fmac_f32_e32 v131, v55, v50
	v_add_f32_e32 v135, v107, v138
	v_fma_f32 v130, v54, v50, -v2
	v_mul_f32_e32 v2, v57, v53
	v_pk_fma_f32 v[18:19], v[108:109], v[112:113], v[16:17] neg_lo:[0,0,1] neg_hi:[0,0,1]
	v_pk_fma_f32 v[16:17], v[108:109], v[112:113], v[16:17] op_sel_hi:[1,0,1]
	v_fmac_f32_e32 v133, v57, v52
	v_fma_f32 v132, v56, v52, -v2
	ds_read_b128 v[2:5], v106 offset:688
	ds_read_b128 v[6:9], v106 offset:704
	;; [unrolled: 1-line block ×3, first 2 shown]
	v_pk_add_f32 v[14:15], v[134:135], v[130:131]
	v_mov_b32_e32 v16, v115
	v_pk_add_f32 v[14:15], v[14:15], v[132:133]
	v_mov_b32_e32 v19, v17
	v_pk_mul_f32 v[16:17], v[110:111], v[16:17] op_sel:[1,0] op_sel_hi:[0,0]
	v_pk_add_f32 v[14:15], v[14:15], v[18:19]
	v_pk_fma_f32 v[18:19], v[110:111], v[114:115], v[16:17] neg_lo:[0,0,1] neg_hi:[0,0,1]
	v_pk_fma_f32 v[16:17], v[110:111], v[114:115], v[16:17] op_sel_hi:[1,0,1]
	s_nop 0
	v_mov_b32_e32 v19, v17
	s_waitcnt vmcnt(2) lgkmcnt(2)
	v_pk_mul_f32 v[16:17], v[2:3], v[116:117] op_sel:[1,1] op_sel_hi:[0,1]
	v_pk_add_f32 v[14:15], v[14:15], v[18:19]
	v_pk_fma_f32 v[18:19], v[2:3], v[116:117], v[16:17] neg_lo:[0,0,1] neg_hi:[0,0,1]
	v_pk_fma_f32 v[2:3], v[2:3], v[116:117], v[16:17] op_sel_hi:[1,0,1]
	s_nop 0
	v_mov_b32_e32 v19, v3
	v_pk_add_f32 v[2:3], v[14:15], v[18:19]
	v_mov_b32_e32 v14, v119
	v_pk_mul_f32 v[14:15], v[4:5], v[14:15] op_sel:[1,0] op_sel_hi:[0,0]
	v_pk_fma_f32 v[16:17], v[4:5], v[118:119], v[14:15] neg_lo:[0,0,1] neg_hi:[0,0,1]
	v_pk_fma_f32 v[4:5], v[4:5], v[118:119], v[14:15] op_sel_hi:[1,0,1]
	s_nop 0
	v_mov_b32_e32 v17, v5
	s_waitcnt vmcnt(1) lgkmcnt(1)
	v_pk_mul_f32 v[4:5], v[6:7], v[120:121] op_sel:[1,1] op_sel_hi:[0,1]
	v_pk_fma_f32 v[14:15], v[6:7], v[120:121], v[4:5] neg_lo:[0,0,1] neg_hi:[0,0,1]
	v_pk_fma_f32 v[4:5], v[6:7], v[120:121], v[4:5] op_sel_hi:[1,0,1]
	v_pk_add_f32 v[2:3], v[2:3], v[16:17]
	v_mov_b32_e32 v4, v123
	v_mov_b32_e32 v15, v5
	v_pk_mul_f32 v[4:5], v[8:9], v[4:5] op_sel:[1,0] op_sel_hi:[0,0]
	v_pk_fma_f32 v[6:7], v[8:9], v[122:123], v[4:5] neg_lo:[0,0,1] neg_hi:[0,0,1]
	v_pk_fma_f32 v[4:5], v[8:9], v[122:123], v[4:5] op_sel_hi:[1,0,1]
	v_pk_add_f32 v[2:3], v[2:3], v[14:15]
	v_mov_b32_e32 v7, v5
	s_waitcnt vmcnt(0) lgkmcnt(0)
	v_pk_mul_f32 v[4:5], v[10:11], v[124:125] op_sel:[1,1] op_sel_hi:[0,1]
	v_pk_add_f32 v[2:3], v[2:3], v[6:7]
	v_pk_fma_f32 v[6:7], v[10:11], v[124:125], v[4:5] neg_lo:[0,0,1] neg_hi:[0,0,1]
	v_pk_fma_f32 v[4:5], v[10:11], v[124:125], v[4:5] op_sel_hi:[1,0,1]
	s_nop 0
	v_mov_b32_e32 v4, v127
	v_mov_b32_e32 v7, v5
	v_pk_mul_f32 v[4:5], v[12:13], v[4:5] op_sel:[1,0] op_sel_hi:[0,0]
	v_pk_add_f32 v[2:3], v[2:3], v[6:7]
	v_pk_fma_f32 v[6:7], v[12:13], v[126:127], v[4:5] neg_lo:[0,0,1] neg_hi:[0,0,1]
	v_pk_fma_f32 v[4:5], v[12:13], v[126:127], v[4:5] op_sel_hi:[1,0,1]
	s_nop 0
	v_mov_b32_e32 v7, v5
	v_pk_add_f32 v[2:3], v[2:3], v[6:7]
	s_nop 0
	v_pk_add_f32 v[2:3], v[128:129], v[2:3] neg_lo:[0,1] neg_hi:[0,1]
	scratch_store_dwordx2 off, v[2:3], off offset:88
	s_and_saveexec_b64 s[0:1], vcc
	s_cbranch_execz .LBB45_269
; %bb.268:
	scratch_load_dwordx2 v[2:3], off, off offset:80
	v_mov_b32_e32 v4, 0
	v_mov_b32_e32 v5, v4
	scratch_store_dwordx2 off, v[4:5], off offset:80
	s_waitcnt vmcnt(1)
	ds_write_b64 v1, v[2:3]
.LBB45_269:
	s_or_b64 exec, exec, s[0:1]
	s_waitcnt lgkmcnt(0)
	; wave barrier
	scratch_load_dwordx4 v[2:5], off, off offset:88
	scratch_load_dwordx4 v[6:9], off, off offset:104
	;; [unrolled: 1-line block ×13, first 2 shown]
	v_mov_b32_e32 v114, 0
	scratch_load_dwordx4 v[54:57], off, off offset:296
	scratch_load_dwordx2 v[128:129], off, off offset:80
	ds_read2_b64 v[58:61], v114 offset0:57 offset1:58
	ds_read2_b64 v[62:65], v114 offset0:59 offset1:60
	;; [unrolled: 1-line block ×14, first 2 shown]
	v_cmp_lt_u32_e32 vcc, 9, v0
	s_waitcnt vmcnt(14) lgkmcnt(13)
	v_mul_f32_e32 v115, v58, v3
	v_mul_f32_e32 v116, v60, v5
	v_fmac_f32_e32 v115, v59, v2
	s_waitcnt vmcnt(13) lgkmcnt(12)
	v_mul_f32_e32 v117, v62, v7
	v_fmac_f32_e32 v116, v61, v4
	v_add_f32_e32 v115, 0, v115
	v_mul_f32_e32 v118, v64, v9
	v_fmac_f32_e32 v117, v63, v6
	v_add_f32_e32 v115, v115, v116
	s_waitcnt vmcnt(12) lgkmcnt(11)
	v_mul_f32_e32 v119, v66, v11
	v_fmac_f32_e32 v118, v65, v8
	v_add_f32_e32 v115, v115, v117
	v_mul_f32_e32 v120, v68, v13
	v_fmac_f32_e32 v119, v67, v10
	v_add_f32_e32 v115, v115, v118
	;; [unrolled: 7-line block ×6, first 2 shown]
	s_waitcnt vmcnt(7) lgkmcnt(6)
	v_mul_f32_e32 v131, v86, v31
	v_fmac_f32_e32 v130, v85, v28
	v_add_f32_e32 v115, v115, v127
	scratch_load_dwordx4 v[116:119], off, off offset:312
	v_mul_f32_e32 v132, v88, v33
	v_fmac_f32_e32 v131, v87, v30
	v_add_f32_e32 v115, v115, v130
	s_waitcnt vmcnt(7) lgkmcnt(5)
	v_mul_f32_e32 v133, v90, v35
	v_fmac_f32_e32 v132, v89, v32
	v_add_f32_e32 v115, v115, v131
	v_mul_f32_e32 v134, v92, v37
	v_fmac_f32_e32 v133, v91, v34
	v_add_f32_e32 v115, v115, v132
	s_waitcnt vmcnt(6) lgkmcnt(4)
	v_mul_f32_e32 v135, v94, v39
	v_fmac_f32_e32 v134, v93, v36
	v_add_f32_e32 v115, v115, v133
	;; [unrolled: 7-line block ×3, first 2 shown]
	v_fmac_f32_e32 v137, v99, v42
	v_add_f32_e32 v115, v115, v136
	v_add_f32_e32 v115, v115, v137
	scratch_load_dwordx4 v[120:123], off, off offset:328
	scratch_load_dwordx4 v[124:127], off, off offset:344
	scratch_load_dwordx2 v[136:137], off, off offset:360
	v_mul_f32_e32 v3, v59, v3
	v_fma_f32 v2, v58, v2, -v3
	v_mul_f32_e32 v3, v61, v5
	v_add_f32_e32 v2, 0, v2
	v_fma_f32 v3, v60, v4, -v3
	v_add_f32_e32 v2, v2, v3
	v_mul_f32_e32 v3, v63, v7
	v_fma_f32 v3, v62, v6, -v3
	v_add_f32_e32 v2, v2, v3
	v_mul_f32_e32 v3, v65, v9
	;; [unrolled: 3-line block ×20, first 2 shown]
	v_fma_f32 v3, v100, v44, -v3
	v_add_f32_e32 v2, v2, v3
	s_waitcnt vmcnt(7) lgkmcnt(2)
	v_mul_f32_e32 v3, v103, v47
	v_fma_f32 v3, v102, v46, -v3
	v_add_f32_e32 v2, v2, v3
	v_mul_f32_e32 v3, v105, v49
	v_mul_f32_e32 v138, v100, v45
	v_fma_f32 v3, v104, v48, -v3
	v_mul_f32_e32 v139, v102, v47
	v_fmac_f32_e32 v138, v101, v44
	v_add_f32_e32 v2, v2, v3
	s_waitcnt vmcnt(6) lgkmcnt(1)
	v_mul_f32_e32 v3, v107, v51
	v_mul_f32_e32 v140, v104, v49
	v_fmac_f32_e32 v139, v103, v46
	v_add_f32_e32 v115, v115, v138
	v_fma_f32 v3, v106, v50, -v3
	v_mul_f32_e32 v141, v106, v51
	v_fmac_f32_e32 v140, v105, v48
	v_add_f32_e32 v115, v115, v139
	v_add_f32_e32 v130, v2, v3
	v_mul_f32_e32 v2, v109, v53
	v_fmac_f32_e32 v141, v107, v50
	v_add_f32_e32 v115, v115, v140
	v_mul_f32_e32 v133, v108, v53
	v_fma_f32 v132, v108, v52, -v2
	s_waitcnt vmcnt(5) lgkmcnt(0)
	v_mul_f32_e32 v2, v111, v55
	v_mov_b32_e32 v18, v57
	v_add_f32_e32 v131, v115, v141
	v_fmac_f32_e32 v133, v109, v52
	v_mul_f32_e32 v135, v110, v55
	v_fma_f32 v134, v110, v54, -v2
	ds_read2_b64 v[2:5], v114 offset0:85 offset1:86
	ds_read2_b64 v[6:9], v114 offset0:87 offset1:88
	;; [unrolled: 1-line block ×3, first 2 shown]
	ds_read_b64 v[14:15], v114 offset:728
	v_pk_mul_f32 v[18:19], v[112:113], v[18:19] op_sel:[1,0] op_sel_hi:[0,0]
	v_fmac_f32_e32 v135, v111, v54
	v_pk_add_f32 v[16:17], v[130:131], v[132:133]
	v_pk_fma_f32 v[20:21], v[112:113], v[56:57], v[18:19] neg_lo:[0,0,1] neg_hi:[0,0,1]
	v_pk_fma_f32 v[18:19], v[112:113], v[56:57], v[18:19] op_sel_hi:[1,0,1]
	v_pk_add_f32 v[16:17], v[16:17], v[134:135]
	v_mov_b32_e32 v21, v19
	s_waitcnt vmcnt(3) lgkmcnt(3)
	v_pk_mul_f32 v[18:19], v[2:3], v[116:117] op_sel:[1,1] op_sel_hi:[0,1]
	v_pk_add_f32 v[16:17], v[16:17], v[20:21]
	v_pk_fma_f32 v[20:21], v[2:3], v[116:117], v[18:19] neg_lo:[0,0,1] neg_hi:[0,0,1]
	v_pk_fma_f32 v[2:3], v[2:3], v[116:117], v[18:19] op_sel_hi:[1,0,1]
	s_nop 0
	v_mov_b32_e32 v21, v3
	v_pk_add_f32 v[2:3], v[16:17], v[20:21]
	v_mov_b32_e32 v16, v119
	v_pk_mul_f32 v[16:17], v[4:5], v[16:17] op_sel:[1,0] op_sel_hi:[0,0]
	v_pk_fma_f32 v[18:19], v[4:5], v[118:119], v[16:17] neg_lo:[0,0,1] neg_hi:[0,0,1]
	v_pk_fma_f32 v[4:5], v[4:5], v[118:119], v[16:17] op_sel_hi:[1,0,1]
	s_nop 0
	v_mov_b32_e32 v19, v5
	s_waitcnt vmcnt(2) lgkmcnt(2)
	v_pk_mul_f32 v[4:5], v[6:7], v[120:121] op_sel:[1,1] op_sel_hi:[0,1]
	v_pk_fma_f32 v[16:17], v[6:7], v[120:121], v[4:5] neg_lo:[0,0,1] neg_hi:[0,0,1]
	v_pk_fma_f32 v[4:5], v[6:7], v[120:121], v[4:5] op_sel_hi:[1,0,1]
	v_pk_add_f32 v[2:3], v[2:3], v[18:19]
	v_mov_b32_e32 v4, v123
	v_mov_b32_e32 v17, v5
	v_pk_mul_f32 v[4:5], v[8:9], v[4:5] op_sel:[1,0] op_sel_hi:[0,0]
	v_pk_fma_f32 v[6:7], v[8:9], v[122:123], v[4:5] neg_lo:[0,0,1] neg_hi:[0,0,1]
	v_pk_fma_f32 v[4:5], v[8:9], v[122:123], v[4:5] op_sel_hi:[1,0,1]
	v_pk_add_f32 v[2:3], v[2:3], v[16:17]
	v_mov_b32_e32 v7, v5
	s_waitcnt vmcnt(1) lgkmcnt(1)
	v_pk_mul_f32 v[4:5], v[10:11], v[124:125] op_sel:[1,1] op_sel_hi:[0,1]
	v_pk_add_f32 v[2:3], v[2:3], v[6:7]
	v_pk_fma_f32 v[6:7], v[10:11], v[124:125], v[4:5] neg_lo:[0,0,1] neg_hi:[0,0,1]
	v_pk_fma_f32 v[4:5], v[10:11], v[124:125], v[4:5] op_sel_hi:[1,0,1]
	s_nop 0
	v_mov_b32_e32 v4, v127
	v_mov_b32_e32 v7, v5
	v_pk_mul_f32 v[4:5], v[12:13], v[4:5] op_sel:[1,0] op_sel_hi:[0,0]
	v_pk_add_f32 v[2:3], v[2:3], v[6:7]
	v_pk_fma_f32 v[6:7], v[12:13], v[126:127], v[4:5] neg_lo:[0,0,1] neg_hi:[0,0,1]
	v_pk_fma_f32 v[4:5], v[12:13], v[126:127], v[4:5] op_sel_hi:[1,0,1]
	s_nop 0
	v_mov_b32_e32 v7, v5
	s_waitcnt vmcnt(0) lgkmcnt(0)
	v_pk_mul_f32 v[4:5], v[14:15], v[136:137] op_sel:[1,1] op_sel_hi:[0,1]
	v_pk_add_f32 v[2:3], v[2:3], v[6:7]
	v_pk_fma_f32 v[6:7], v[14:15], v[136:137], v[4:5] neg_lo:[0,0,1] neg_hi:[0,0,1]
	v_pk_fma_f32 v[4:5], v[14:15], v[136:137], v[4:5] op_sel_hi:[1,0,1]
	s_nop 0
	v_mov_b32_e32 v7, v5
	v_pk_add_f32 v[2:3], v[2:3], v[6:7]
	s_nop 0
	v_pk_add_f32 v[2:3], v[128:129], v[2:3] neg_lo:[0,1] neg_hi:[0,1]
	scratch_store_dwordx2 off, v[2:3], off offset:80
	s_and_saveexec_b64 s[0:1], vcc
	s_cbranch_execz .LBB45_271
; %bb.270:
	scratch_load_dwordx2 v[2:3], off, off offset:72
	v_mov_b32_e32 v115, v114
	scratch_store_dwordx2 off, v[114:115], off offset:72
	s_waitcnt vmcnt(1)
	ds_write_b64 v1, v[2:3]
.LBB45_271:
	s_or_b64 exec, exec, s[0:1]
	s_waitcnt lgkmcnt(0)
	; wave barrier
	scratch_load_dwordx4 v[2:5], off, off offset:80
	scratch_load_dwordx4 v[6:9], off, off offset:96
	;; [unrolled: 1-line block ×13, first 2 shown]
	ds_read_b128 v[110:113], v114 offset:448
	ds_read_b128 v[106:109], v114 offset:464
	;; [unrolled: 1-line block ×14, first 2 shown]
	scratch_load_dwordx4 v[66:69], off, off offset:288
	scratch_load_dwordx2 v[132:133], off, off offset:72
	v_cmp_lt_u32_e32 vcc, 8, v0
	s_waitcnt vmcnt(14) lgkmcnt(13)
	v_mul_f32_e32 v115, v110, v3
	v_mul_f32_e32 v116, v112, v5
	v_fmac_f32_e32 v115, v111, v2
	s_waitcnt vmcnt(13) lgkmcnt(12)
	v_mul_f32_e32 v117, v106, v7
	v_fmac_f32_e32 v116, v113, v4
	v_add_f32_e32 v115, 0, v115
	v_mul_f32_e32 v118, v108, v9
	v_fmac_f32_e32 v117, v107, v6
	v_add_f32_e32 v115, v115, v116
	s_waitcnt vmcnt(12) lgkmcnt(11)
	v_mul_f32_e32 v119, v102, v11
	v_fmac_f32_e32 v118, v109, v8
	v_add_f32_e32 v115, v115, v117
	v_mul_f32_e32 v120, v104, v13
	v_fmac_f32_e32 v119, v103, v10
	v_add_f32_e32 v115, v115, v118
	;; [unrolled: 7-line block ×4, first 2 shown]
	s_waitcnt vmcnt(9) lgkmcnt(8)
	v_mul_f32_e32 v125, v90, v23
	v_fmac_f32_e32 v124, v97, v20
	v_add_f32_e32 v115, v115, v123
	scratch_load_dwordx4 v[116:119], off, off offset:304
	v_mul_f32_e32 v126, v92, v25
	v_fmac_f32_e32 v125, v91, v22
	v_add_f32_e32 v115, v115, v124
	s_waitcnt vmcnt(9) lgkmcnt(7)
	v_mul_f32_e32 v127, v86, v27
	v_fmac_f32_e32 v126, v93, v24
	v_add_f32_e32 v115, v115, v125
	v_mul_f32_e32 v128, v88, v29
	v_fmac_f32_e32 v127, v87, v26
	v_add_f32_e32 v115, v115, v126
	s_waitcnt vmcnt(8) lgkmcnt(6)
	v_mul_f32_e32 v129, v82, v31
	v_fmac_f32_e32 v128, v89, v28
	v_add_f32_e32 v115, v115, v127
	;; [unrolled: 7-line block ×3, first 2 shown]
	v_fmac_f32_e32 v131, v79, v34
	v_add_f32_e32 v115, v115, v130
	v_add_f32_e32 v115, v115, v131
	scratch_load_dwordx4 v[120:123], off, off offset:320
	scratch_load_dwordx4 v[124:127], off, off offset:336
	scratch_load_dwordx4 v[128:131], off, off offset:352
	v_mul_f32_e32 v3, v111, v3
	v_fma_f32 v2, v110, v2, -v3
	v_mul_f32_e32 v3, v113, v5
	v_add_f32_e32 v2, 0, v2
	v_fma_f32 v3, v112, v4, -v3
	v_add_f32_e32 v2, v2, v3
	v_mul_f32_e32 v3, v107, v7
	v_fma_f32 v3, v106, v6, -v3
	v_add_f32_e32 v2, v2, v3
	v_mul_f32_e32 v3, v109, v9
	;; [unrolled: 3-line block ×16, first 2 shown]
	v_fma_f32 v3, v80, v36, -v3
	v_add_f32_e32 v2, v2, v3
	s_waitcnt vmcnt(9) lgkmcnt(4)
	v_mul_f32_e32 v3, v75, v39
	v_fma_f32 v3, v74, v38, -v3
	v_add_f32_e32 v2, v2, v3
	v_mul_f32_e32 v3, v77, v41
	v_fma_f32 v3, v76, v40, -v3
	v_add_f32_e32 v2, v2, v3
	s_waitcnt vmcnt(8) lgkmcnt(3)
	v_mul_f32_e32 v3, v71, v43
	v_fma_f32 v3, v70, v42, -v3
	v_add_f32_e32 v2, v2, v3
	v_mul_f32_e32 v3, v73, v45
	v_fma_f32 v3, v72, v44, -v3
	v_add_f32_e32 v2, v2, v3
	s_waitcnt vmcnt(7) lgkmcnt(2)
	v_mul_f32_e32 v3, v63, v47
	v_fma_f32 v3, v62, v46, -v3
	v_mul_f32_e32 v134, v80, v37
	v_add_f32_e32 v2, v2, v3
	v_mul_f32_e32 v3, v65, v49
	v_mul_f32_e32 v135, v74, v39
	v_fmac_f32_e32 v134, v81, v36
	v_fma_f32 v3, v64, v48, -v3
	v_mul_f32_e32 v136, v76, v41
	v_fmac_f32_e32 v135, v75, v38
	v_add_f32_e32 v115, v115, v134
	v_add_f32_e32 v2, v2, v3
	s_waitcnt vmcnt(6) lgkmcnt(1)
	v_mul_f32_e32 v3, v55, v51
	v_mul_f32_e32 v137, v70, v43
	v_fmac_f32_e32 v136, v77, v40
	v_add_f32_e32 v115, v115, v135
	v_fma_f32 v3, v54, v50, -v3
	v_mul_f32_e32 v138, v72, v45
	v_fmac_f32_e32 v137, v71, v42
	v_add_f32_e32 v115, v115, v136
	v_add_f32_e32 v2, v2, v3
	v_mul_f32_e32 v3, v57, v53
	v_mul_f32_e32 v139, v62, v47
	v_fmac_f32_e32 v138, v73, v44
	v_add_f32_e32 v115, v115, v137
	v_fma_f32 v3, v56, v52, -v3
	v_mul_f32_e32 v140, v64, v49
	v_fmac_f32_e32 v139, v63, v46
	v_add_f32_e32 v115, v115, v138
	v_add_f32_e32 v134, v2, v3
	s_waitcnt vmcnt(5) lgkmcnt(0)
	v_mul_f32_e32 v2, v59, v67
	v_mul_f32_e32 v141, v54, v51
	v_fmac_f32_e32 v140, v65, v48
	v_add_f32_e32 v115, v115, v139
	v_fma_f32 v136, v58, v66, -v2
	v_mul_f32_e32 v2, v61, v69
	v_mul_f32_e32 v142, v56, v53
	v_fmac_f32_e32 v141, v55, v50
	v_add_f32_e32 v115, v115, v140
	v_fma_f32 v138, v60, v68, -v2
	ds_read_b128 v[2:5], v114 offset:672
	ds_read_b128 v[6:9], v114 offset:688
	;; [unrolled: 1-line block ×4, first 2 shown]
	v_add_f32_e32 v115, v115, v141
	v_fmac_f32_e32 v142, v57, v52
	v_mul_f32_e32 v137, v58, v67
	v_add_f32_e32 v135, v115, v142
	v_fmac_f32_e32 v137, v59, v66
	v_mul_f32_e32 v139, v60, v69
	s_waitcnt vmcnt(3) lgkmcnt(3)
	v_pk_mul_f32 v[20:21], v[2:3], v[116:117] op_sel:[1,1] op_sel_hi:[0,1]
	v_fmac_f32_e32 v139, v61, v68
	v_pk_add_f32 v[18:19], v[134:135], v[136:137]
	v_pk_fma_f32 v[22:23], v[2:3], v[116:117], v[20:21] neg_lo:[0,0,1] neg_hi:[0,0,1]
	v_pk_fma_f32 v[2:3], v[2:3], v[116:117], v[20:21] op_sel_hi:[1,0,1]
	v_pk_add_f32 v[18:19], v[18:19], v[138:139]
	v_mov_b32_e32 v23, v3
	v_pk_add_f32 v[2:3], v[18:19], v[22:23]
	v_mov_b32_e32 v18, v119
	v_pk_mul_f32 v[18:19], v[4:5], v[18:19] op_sel:[1,0] op_sel_hi:[0,0]
	v_pk_fma_f32 v[20:21], v[4:5], v[118:119], v[18:19] neg_lo:[0,0,1] neg_hi:[0,0,1]
	v_pk_fma_f32 v[4:5], v[4:5], v[118:119], v[18:19] op_sel_hi:[1,0,1]
	s_nop 0
	v_mov_b32_e32 v21, v5
	s_waitcnt vmcnt(2) lgkmcnt(2)
	v_pk_mul_f32 v[4:5], v[6:7], v[120:121] op_sel:[1,1] op_sel_hi:[0,1]
	v_pk_fma_f32 v[18:19], v[6:7], v[120:121], v[4:5] neg_lo:[0,0,1] neg_hi:[0,0,1]
	v_pk_fma_f32 v[4:5], v[6:7], v[120:121], v[4:5] op_sel_hi:[1,0,1]
	v_pk_add_f32 v[2:3], v[2:3], v[20:21]
	v_mov_b32_e32 v4, v123
	v_mov_b32_e32 v19, v5
	v_pk_mul_f32 v[4:5], v[8:9], v[4:5] op_sel:[1,0] op_sel_hi:[0,0]
	v_pk_fma_f32 v[6:7], v[8:9], v[122:123], v[4:5] neg_lo:[0,0,1] neg_hi:[0,0,1]
	v_pk_fma_f32 v[4:5], v[8:9], v[122:123], v[4:5] op_sel_hi:[1,0,1]
	v_pk_add_f32 v[2:3], v[2:3], v[18:19]
	v_mov_b32_e32 v7, v5
	s_waitcnt vmcnt(1) lgkmcnt(1)
	v_pk_mul_f32 v[4:5], v[10:11], v[124:125] op_sel:[1,1] op_sel_hi:[0,1]
	v_pk_add_f32 v[2:3], v[2:3], v[6:7]
	v_pk_fma_f32 v[6:7], v[10:11], v[124:125], v[4:5] neg_lo:[0,0,1] neg_hi:[0,0,1]
	v_pk_fma_f32 v[4:5], v[10:11], v[124:125], v[4:5] op_sel_hi:[1,0,1]
	s_nop 0
	v_mov_b32_e32 v4, v127
	v_mov_b32_e32 v7, v5
	v_pk_mul_f32 v[4:5], v[12:13], v[4:5] op_sel:[1,0] op_sel_hi:[0,0]
	v_pk_add_f32 v[2:3], v[2:3], v[6:7]
	v_pk_fma_f32 v[6:7], v[12:13], v[126:127], v[4:5] neg_lo:[0,0,1] neg_hi:[0,0,1]
	v_pk_fma_f32 v[4:5], v[12:13], v[126:127], v[4:5] op_sel_hi:[1,0,1]
	s_nop 0
	v_mov_b32_e32 v7, v5
	s_waitcnt vmcnt(0) lgkmcnt(0)
	v_pk_mul_f32 v[4:5], v[14:15], v[128:129] op_sel:[1,1] op_sel_hi:[0,1]
	v_pk_add_f32 v[2:3], v[2:3], v[6:7]
	v_pk_fma_f32 v[6:7], v[14:15], v[128:129], v[4:5] neg_lo:[0,0,1] neg_hi:[0,0,1]
	v_pk_fma_f32 v[4:5], v[14:15], v[128:129], v[4:5] op_sel_hi:[1,0,1]
	s_nop 0
	v_mov_b32_e32 v4, v131
	v_mov_b32_e32 v7, v5
	v_pk_mul_f32 v[4:5], v[16:17], v[4:5] op_sel:[1,0] op_sel_hi:[0,0]
	v_pk_add_f32 v[2:3], v[2:3], v[6:7]
	v_pk_fma_f32 v[6:7], v[16:17], v[130:131], v[4:5] neg_lo:[0,0,1] neg_hi:[0,0,1]
	v_pk_fma_f32 v[4:5], v[16:17], v[130:131], v[4:5] op_sel_hi:[1,0,1]
	s_nop 0
	v_mov_b32_e32 v7, v5
	v_pk_add_f32 v[2:3], v[2:3], v[6:7]
	s_nop 0
	v_pk_add_f32 v[2:3], v[132:133], v[2:3] neg_lo:[0,1] neg_hi:[0,1]
	scratch_store_dwordx2 off, v[2:3], off offset:72
	s_and_saveexec_b64 s[0:1], vcc
	s_cbranch_execz .LBB45_273
; %bb.272:
	scratch_load_dwordx2 v[2:3], off, off offset:64
	v_mov_b32_e32 v4, 0
	v_mov_b32_e32 v5, v4
	scratch_store_dwordx2 off, v[4:5], off offset:64
	s_waitcnt vmcnt(1)
	ds_write_b64 v1, v[2:3]
.LBB45_273:
	s_or_b64 exec, exec, s[0:1]
	s_waitcnt lgkmcnt(0)
	; wave barrier
	scratch_load_dwordx4 v[2:5], off, off offset:72
	scratch_load_dwordx4 v[6:9], off, off offset:88
	;; [unrolled: 1-line block ×15, first 2 shown]
	scratch_load_dwordx2 v[140:141], off, off offset:64
	v_mov_b32_e32 v118, 0
	ds_read2_b64 v[62:65], v118 offset0:55 offset1:56
	ds_read2_b64 v[66:69], v118 offset0:57 offset1:58
	;; [unrolled: 1-line block ×14, first 2 shown]
	v_cmp_lt_u32_e32 vcc, 7, v0
	s_waitcnt vmcnt(15) lgkmcnt(13)
	v_mul_f32_e32 v119, v62, v3
	v_mul_f32_e32 v120, v64, v5
	v_fmac_f32_e32 v119, v63, v2
	s_waitcnt vmcnt(14) lgkmcnt(12)
	v_mul_f32_e32 v121, v66, v7
	v_fmac_f32_e32 v120, v65, v4
	v_add_f32_e32 v119, 0, v119
	v_mul_f32_e32 v122, v68, v9
	v_fmac_f32_e32 v121, v67, v6
	v_add_f32_e32 v119, v119, v120
	s_waitcnt vmcnt(13) lgkmcnt(11)
	v_mul_f32_e32 v123, v70, v11
	v_fmac_f32_e32 v122, v69, v8
	v_add_f32_e32 v119, v119, v121
	v_mul_f32_e32 v124, v72, v13
	v_fmac_f32_e32 v123, v71, v10
	v_add_f32_e32 v119, v119, v122
	;; [unrolled: 7-line block ×11, first 2 shown]
	s_waitcnt vmcnt(3) lgkmcnt(1)
	v_mul_f32_e32 v145, v110, v51
	v_fmac_f32_e32 v144, v109, v48
	v_add_f32_e32 v119, v119, v143
	v_add_f32_e32 v119, v119, v144
	v_fmac_f32_e32 v145, v111, v50
	v_mul_f32_e32 v120, v112, v53
	v_add_f32_e32 v119, v119, v145
	v_fmac_f32_e32 v120, v113, v52
	s_waitcnt vmcnt(2) lgkmcnt(0)
	v_mul_f32_e32 v124, v114, v55
	v_add_f32_e32 v119, v119, v120
	v_fmac_f32_e32 v124, v115, v54
	ds_read2_b64 v[120:123], v118 offset0:83 offset1:84
	v_add_f32_e32 v143, v119, v124
	ds_read2_b64 v[124:127], v118 offset0:85 offset1:86
	scratch_load_dwordx4 v[128:131], off, off offset:312
	scratch_load_dwordx4 v[132:135], off, off offset:328
	;; [unrolled: 1-line block ×3, first 2 shown]
	scratch_load_dwordx2 v[148:149], off, off offset:360
	v_mul_f32_e32 v3, v63, v3
	v_fma_f32 v2, v62, v2, -v3
	v_mul_f32_e32 v3, v65, v5
	v_add_f32_e32 v2, 0, v2
	v_fma_f32 v3, v64, v4, -v3
	v_add_f32_e32 v2, v2, v3
	v_mul_f32_e32 v3, v67, v7
	v_fma_f32 v3, v66, v6, -v3
	v_add_f32_e32 v2, v2, v3
	v_mul_f32_e32 v3, v69, v9
	;; [unrolled: 3-line block ×25, first 2 shown]
	v_fma_f32 v3, v114, v54, -v3
	v_mul_f32_e32 v145, v116, v57
	v_add_f32_e32 v142, v2, v3
	v_mul_f32_e32 v2, v117, v57
	s_waitcnt vmcnt(5)
	v_mov_b32_e32 v14, v61
	v_fmac_f32_e32 v145, v117, v56
	s_waitcnt lgkmcnt(1)
	v_mul_f32_e32 v147, v120, v59
	v_fma_f32 v144, v116, v56, -v2
	v_mul_f32_e32 v2, v121, v59
	v_pk_mul_f32 v[14:15], v[122:123], v[14:15] op_sel:[1,0] op_sel_hi:[0,0]
	v_fmac_f32_e32 v147, v121, v58
	v_fma_f32 v146, v120, v58, -v2
	v_pk_add_f32 v[12:13], v[142:143], v[144:145]
	v_pk_fma_f32 v[16:17], v[122:123], v[60:61], v[14:15] neg_lo:[0,0,1] neg_hi:[0,0,1]
	v_pk_fma_f32 v[14:15], v[122:123], v[60:61], v[14:15] op_sel_hi:[1,0,1]
	v_pk_add_f32 v[12:13], v[12:13], v[146:147]
	v_mov_b32_e32 v17, v15
	s_waitcnt vmcnt(3) lgkmcnt(0)
	v_pk_mul_f32 v[14:15], v[124:125], v[128:129] op_sel:[1,1] op_sel_hi:[0,1]
	v_pk_add_f32 v[12:13], v[12:13], v[16:17]
	v_pk_fma_f32 v[16:17], v[124:125], v[128:129], v[14:15] neg_lo:[0,0,1] neg_hi:[0,0,1]
	v_pk_fma_f32 v[14:15], v[124:125], v[128:129], v[14:15] op_sel_hi:[1,0,1]
	ds_read2_b64 v[2:5], v118 offset0:87 offset1:88
	ds_read2_b64 v[6:9], v118 offset0:89 offset1:90
	ds_read_b64 v[10:11], v118 offset:728
	v_mov_b32_e32 v14, v131
	v_mov_b32_e32 v17, v15
	v_pk_mul_f32 v[14:15], v[126:127], v[14:15] op_sel:[1,0] op_sel_hi:[0,0]
	v_pk_add_f32 v[12:13], v[12:13], v[16:17]
	v_pk_fma_f32 v[16:17], v[126:127], v[130:131], v[14:15] neg_lo:[0,0,1] neg_hi:[0,0,1]
	v_pk_fma_f32 v[14:15], v[126:127], v[130:131], v[14:15] op_sel_hi:[1,0,1]
	s_nop 0
	v_mov_b32_e32 v17, v15
	s_waitcnt vmcnt(2) lgkmcnt(2)
	v_pk_mul_f32 v[14:15], v[2:3], v[132:133] op_sel:[1,1] op_sel_hi:[0,1]
	v_pk_add_f32 v[12:13], v[12:13], v[16:17]
	v_pk_fma_f32 v[16:17], v[2:3], v[132:133], v[14:15] neg_lo:[0,0,1] neg_hi:[0,0,1]
	v_pk_fma_f32 v[2:3], v[2:3], v[132:133], v[14:15] op_sel_hi:[1,0,1]
	s_nop 0
	v_mov_b32_e32 v17, v3
	v_pk_add_f32 v[2:3], v[12:13], v[16:17]
	v_mov_b32_e32 v12, v135
	v_pk_mul_f32 v[12:13], v[4:5], v[12:13] op_sel:[1,0] op_sel_hi:[0,0]
	v_pk_fma_f32 v[14:15], v[4:5], v[134:135], v[12:13] neg_lo:[0,0,1] neg_hi:[0,0,1]
	v_pk_fma_f32 v[4:5], v[4:5], v[134:135], v[12:13] op_sel_hi:[1,0,1]
	s_nop 0
	v_mov_b32_e32 v15, v5
	s_waitcnt vmcnt(1) lgkmcnt(1)
	v_pk_mul_f32 v[4:5], v[6:7], v[136:137] op_sel:[1,1] op_sel_hi:[0,1]
	v_pk_fma_f32 v[12:13], v[6:7], v[136:137], v[4:5] neg_lo:[0,0,1] neg_hi:[0,0,1]
	v_pk_fma_f32 v[4:5], v[6:7], v[136:137], v[4:5] op_sel_hi:[1,0,1]
	v_pk_add_f32 v[2:3], v[2:3], v[14:15]
	v_mov_b32_e32 v4, v139
	v_mov_b32_e32 v13, v5
	v_pk_mul_f32 v[4:5], v[8:9], v[4:5] op_sel:[1,0] op_sel_hi:[0,0]
	v_pk_fma_f32 v[6:7], v[8:9], v[138:139], v[4:5] neg_lo:[0,0,1] neg_hi:[0,0,1]
	v_pk_fma_f32 v[4:5], v[8:9], v[138:139], v[4:5] op_sel_hi:[1,0,1]
	v_pk_add_f32 v[2:3], v[2:3], v[12:13]
	v_mov_b32_e32 v7, v5
	s_waitcnt vmcnt(0) lgkmcnt(0)
	v_pk_mul_f32 v[4:5], v[10:11], v[148:149] op_sel:[1,1] op_sel_hi:[0,1]
	v_pk_add_f32 v[2:3], v[2:3], v[6:7]
	v_pk_fma_f32 v[6:7], v[10:11], v[148:149], v[4:5] neg_lo:[0,0,1] neg_hi:[0,0,1]
	v_pk_fma_f32 v[4:5], v[10:11], v[148:149], v[4:5] op_sel_hi:[1,0,1]
	s_nop 0
	v_mov_b32_e32 v7, v5
	v_pk_add_f32 v[2:3], v[2:3], v[6:7]
	s_nop 0
	v_pk_add_f32 v[2:3], v[140:141], v[2:3] neg_lo:[0,1] neg_hi:[0,1]
	scratch_store_dwordx2 off, v[2:3], off offset:64
	s_and_saveexec_b64 s[0:1], vcc
	s_cbranch_execz .LBB45_275
; %bb.274:
	scratch_load_dwordx2 v[2:3], off, off offset:56
	v_mov_b32_e32 v119, v118
	scratch_store_dwordx2 off, v[118:119], off offset:56
	s_waitcnt vmcnt(1)
	ds_write_b64 v1, v[2:3]
.LBB45_275:
	s_or_b64 exec, exec, s[0:1]
	s_waitcnt lgkmcnt(0)
	; wave barrier
	scratch_load_dwordx4 v[2:5], off, off offset:64
	scratch_load_dwordx4 v[6:9], off, off offset:80
	;; [unrolled: 1-line block ×13, first 2 shown]
	ds_read_b128 v[114:117], v118 offset:432
	ds_read_b128 v[110:113], v118 offset:448
	;; [unrolled: 1-line block ×14, first 2 shown]
	scratch_load_dwordx4 v[62:65], off, off offset:272
	scratch_load_dwordx4 v[70:73], off, off offset:288
	scratch_load_dwordx2 v[144:145], off, off offset:56
	v_cmp_lt_u32_e32 vcc, 6, v0
	s_waitcnt vmcnt(15) lgkmcnt(13)
	v_mul_f32_e32 v119, v114, v3
	v_mul_f32_e32 v120, v116, v5
	v_fmac_f32_e32 v119, v115, v2
	s_waitcnt vmcnt(14) lgkmcnt(12)
	v_mul_f32_e32 v121, v110, v7
	v_fmac_f32_e32 v120, v117, v4
	v_add_f32_e32 v119, 0, v119
	v_mul_f32_e32 v122, v112, v9
	v_fmac_f32_e32 v121, v111, v6
	v_add_f32_e32 v119, v119, v120
	s_waitcnt vmcnt(13) lgkmcnt(11)
	v_mul_f32_e32 v123, v106, v11
	v_fmac_f32_e32 v122, v113, v8
	v_add_f32_e32 v119, v119, v121
	v_mul_f32_e32 v124, v108, v13
	v_fmac_f32_e32 v123, v107, v10
	v_add_f32_e32 v119, v119, v122
	;; [unrolled: 7-line block ×11, first 2 shown]
	s_waitcnt vmcnt(3) lgkmcnt(1)
	v_mul_f32_e32 v143, v54, v51
	v_fmac_f32_e32 v142, v69, v48
	v_add_f32_e32 v119, v119, v141
	v_fmac_f32_e32 v143, v55, v50
	v_add_f32_e32 v119, v119, v142
	v_mul_f32_e32 v120, v56, v53
	v_add_f32_e32 v119, v119, v143
	v_fmac_f32_e32 v120, v57, v52
	v_add_f32_e32 v119, v119, v120
	s_waitcnt vmcnt(2) lgkmcnt(0)
	v_mul_f32_e32 v120, v58, v63
	v_fmac_f32_e32 v120, v59, v62
	v_mul_f32_e32 v124, v60, v65
	v_add_f32_e32 v119, v119, v120
	v_fmac_f32_e32 v124, v61, v64
	ds_read_b128 v[120:123], v118 offset:656
	v_add_f32_e32 v147, v119, v124
	ds_read_b128 v[124:127], v118 offset:672
	scratch_load_dwordx4 v[128:131], off, off offset:304
	scratch_load_dwordx4 v[132:135], off, off offset:320
	;; [unrolled: 1-line block ×4, first 2 shown]
	v_mul_f32_e32 v3, v115, v3
	v_fma_f32 v2, v114, v2, -v3
	v_mul_f32_e32 v3, v117, v5
	v_add_f32_e32 v2, 0, v2
	v_fma_f32 v3, v116, v4, -v3
	v_add_f32_e32 v2, v2, v3
	v_mul_f32_e32 v3, v111, v7
	v_fma_f32 v3, v110, v6, -v3
	v_add_f32_e32 v2, v2, v3
	v_mul_f32_e32 v3, v113, v9
	;; [unrolled: 3-line block ×26, first 2 shown]
	v_fma_f32 v3, v60, v64, -v3
	s_waitcnt vmcnt(5) lgkmcnt(1)
	v_mul_f32_e32 v149, v120, v71
	v_add_f32_e32 v146, v2, v3
	v_mul_f32_e32 v2, v121, v71
	s_waitcnt vmcnt(3) lgkmcnt(0)
	v_pk_mul_f32 v[16:17], v[124:125], v[128:129] op_sel:[1,1] op_sel_hi:[0,1]
	v_fmac_f32_e32 v149, v121, v70
	v_mul_f32_e32 v151, v122, v73
	v_fma_f32 v148, v120, v70, -v2
	v_mul_f32_e32 v2, v123, v73
	v_pk_fma_f32 v[18:19], v[124:125], v[128:129], v[16:17] neg_lo:[0,0,1] neg_hi:[0,0,1]
	v_pk_fma_f32 v[16:17], v[124:125], v[128:129], v[16:17] op_sel_hi:[1,0,1]
	v_fmac_f32_e32 v151, v123, v72
	v_fma_f32 v150, v122, v72, -v2
	ds_read_b128 v[2:5], v118 offset:688
	ds_read_b128 v[6:9], v118 offset:704
	;; [unrolled: 1-line block ×3, first 2 shown]
	v_pk_add_f32 v[14:15], v[146:147], v[148:149]
	v_mov_b32_e32 v16, v131
	v_pk_add_f32 v[14:15], v[14:15], v[150:151]
	v_mov_b32_e32 v19, v17
	v_pk_mul_f32 v[16:17], v[126:127], v[16:17] op_sel:[1,0] op_sel_hi:[0,0]
	v_pk_add_f32 v[14:15], v[14:15], v[18:19]
	v_pk_fma_f32 v[18:19], v[126:127], v[130:131], v[16:17] neg_lo:[0,0,1] neg_hi:[0,0,1]
	v_pk_fma_f32 v[16:17], v[126:127], v[130:131], v[16:17] op_sel_hi:[1,0,1]
	s_nop 0
	v_mov_b32_e32 v19, v17
	s_waitcnt vmcnt(2) lgkmcnt(2)
	v_pk_mul_f32 v[16:17], v[2:3], v[132:133] op_sel:[1,1] op_sel_hi:[0,1]
	v_pk_add_f32 v[14:15], v[14:15], v[18:19]
	v_pk_fma_f32 v[18:19], v[2:3], v[132:133], v[16:17] neg_lo:[0,0,1] neg_hi:[0,0,1]
	v_pk_fma_f32 v[2:3], v[2:3], v[132:133], v[16:17] op_sel_hi:[1,0,1]
	s_nop 0
	v_mov_b32_e32 v19, v3
	v_pk_add_f32 v[2:3], v[14:15], v[18:19]
	v_mov_b32_e32 v14, v135
	v_pk_mul_f32 v[14:15], v[4:5], v[14:15] op_sel:[1,0] op_sel_hi:[0,0]
	v_pk_fma_f32 v[16:17], v[4:5], v[134:135], v[14:15] neg_lo:[0,0,1] neg_hi:[0,0,1]
	v_pk_fma_f32 v[4:5], v[4:5], v[134:135], v[14:15] op_sel_hi:[1,0,1]
	s_nop 0
	v_mov_b32_e32 v17, v5
	s_waitcnt vmcnt(1) lgkmcnt(1)
	v_pk_mul_f32 v[4:5], v[6:7], v[136:137] op_sel:[1,1] op_sel_hi:[0,1]
	v_pk_fma_f32 v[14:15], v[6:7], v[136:137], v[4:5] neg_lo:[0,0,1] neg_hi:[0,0,1]
	v_pk_fma_f32 v[4:5], v[6:7], v[136:137], v[4:5] op_sel_hi:[1,0,1]
	v_pk_add_f32 v[2:3], v[2:3], v[16:17]
	v_mov_b32_e32 v4, v139
	v_mov_b32_e32 v15, v5
	v_pk_mul_f32 v[4:5], v[8:9], v[4:5] op_sel:[1,0] op_sel_hi:[0,0]
	v_pk_fma_f32 v[6:7], v[8:9], v[138:139], v[4:5] neg_lo:[0,0,1] neg_hi:[0,0,1]
	v_pk_fma_f32 v[4:5], v[8:9], v[138:139], v[4:5] op_sel_hi:[1,0,1]
	v_pk_add_f32 v[2:3], v[2:3], v[14:15]
	v_mov_b32_e32 v7, v5
	s_waitcnt vmcnt(0) lgkmcnt(0)
	v_pk_mul_f32 v[4:5], v[10:11], v[140:141] op_sel:[1,1] op_sel_hi:[0,1]
	v_pk_add_f32 v[2:3], v[2:3], v[6:7]
	v_pk_fma_f32 v[6:7], v[10:11], v[140:141], v[4:5] neg_lo:[0,0,1] neg_hi:[0,0,1]
	v_pk_fma_f32 v[4:5], v[10:11], v[140:141], v[4:5] op_sel_hi:[1,0,1]
	s_nop 0
	v_mov_b32_e32 v4, v143
	v_mov_b32_e32 v7, v5
	v_pk_mul_f32 v[4:5], v[12:13], v[4:5] op_sel:[1,0] op_sel_hi:[0,0]
	v_pk_add_f32 v[2:3], v[2:3], v[6:7]
	v_pk_fma_f32 v[6:7], v[12:13], v[142:143], v[4:5] neg_lo:[0,0,1] neg_hi:[0,0,1]
	v_pk_fma_f32 v[4:5], v[12:13], v[142:143], v[4:5] op_sel_hi:[1,0,1]
	s_nop 0
	v_mov_b32_e32 v7, v5
	v_pk_add_f32 v[2:3], v[2:3], v[6:7]
	s_nop 0
	v_pk_add_f32 v[2:3], v[144:145], v[2:3] neg_lo:[0,1] neg_hi:[0,1]
	scratch_store_dwordx2 off, v[2:3], off offset:56
	s_and_saveexec_b64 s[0:1], vcc
	s_cbranch_execz .LBB45_277
; %bb.276:
	scratch_load_dwordx2 v[2:3], off, off offset:48
	v_mov_b32_e32 v4, 0
	v_mov_b32_e32 v5, v4
	scratch_store_dwordx2 off, v[4:5], off offset:48
	s_waitcnt vmcnt(1)
	ds_write_b64 v1, v[2:3]
.LBB45_277:
	s_or_b64 exec, exec, s[0:1]
	s_waitcnt lgkmcnt(0)
	; wave barrier
	scratch_load_dwordx4 v[2:5], off, off offset:56
	scratch_load_dwordx4 v[6:9], off, off offset:72
	;; [unrolled: 1-line block ×16, first 2 shown]
	scratch_load_dwordx2 v[144:145], off, off offset:48
	v_mov_b32_e32 v122, 0
	ds_read2_b64 v[66:69], v122 offset0:53 offset1:54
	ds_read2_b64 v[70:73], v122 offset0:55 offset1:56
	;; [unrolled: 1-line block ×14, first 2 shown]
	v_cmp_lt_u32_e32 vcc, 5, v0
	s_waitcnt vmcnt(16) lgkmcnt(13)
	v_mul_f32_e32 v123, v66, v3
	v_mul_f32_e32 v124, v68, v5
	v_fmac_f32_e32 v123, v67, v2
	s_waitcnt vmcnt(15) lgkmcnt(12)
	v_mul_f32_e32 v125, v70, v7
	v_fmac_f32_e32 v124, v69, v4
	v_add_f32_e32 v123, 0, v123
	v_mul_f32_e32 v126, v72, v9
	v_fmac_f32_e32 v125, v71, v6
	v_add_f32_e32 v123, v123, v124
	s_waitcnt vmcnt(14) lgkmcnt(11)
	v_mul_f32_e32 v127, v74, v11
	v_fmac_f32_e32 v126, v73, v8
	v_add_f32_e32 v123, v123, v125
	v_mul_f32_e32 v128, v76, v13
	v_fmac_f32_e32 v127, v75, v10
	v_add_f32_e32 v123, v123, v126
	;; [unrolled: 7-line block ×11, first 2 shown]
	v_fmac_f32_e32 v148, v113, v48
	v_add_f32_e32 v123, v123, v147
	s_waitcnt vmcnt(4) lgkmcnt(1)
	v_mul_f32_e32 v124, v114, v51
	v_add_f32_e32 v123, v123, v148
	v_fmac_f32_e32 v124, v115, v50
	v_add_f32_e32 v123, v123, v124
	v_mul_f32_e32 v124, v116, v53
	v_fmac_f32_e32 v124, v117, v52
	v_add_f32_e32 v123, v123, v124
	s_waitcnt vmcnt(3) lgkmcnt(0)
	v_mul_f32_e32 v124, v118, v55
	v_fmac_f32_e32 v124, v119, v54
	v_add_f32_e32 v123, v123, v124
	ds_read2_b64 v[124:127], v122 offset0:81 offset1:82
	v_mul_f32_e32 v128, v120, v57
	v_fmac_f32_e32 v128, v121, v56
	v_add_f32_e32 v123, v123, v128
	ds_read2_b64 v[128:131], v122 offset0:83 offset1:84
	s_waitcnt vmcnt(2) lgkmcnt(1)
	v_mul_f32_e32 v132, v124, v63
	v_fmac_f32_e32 v132, v125, v62
	v_add_f32_e32 v147, v123, v132
	scratch_load_dwordx4 v[132:135], off, off offset:312
	scratch_load_dwordx4 v[136:139], off, off offset:328
	;; [unrolled: 1-line block ×3, first 2 shown]
	scratch_load_dwordx2 v[152:153], off, off offset:360
	v_mul_f32_e32 v3, v67, v3
	v_fma_f32 v2, v66, v2, -v3
	v_mul_f32_e32 v3, v69, v5
	v_add_f32_e32 v2, 0, v2
	v_fma_f32 v3, v68, v4, -v3
	v_add_f32_e32 v2, v2, v3
	v_mul_f32_e32 v3, v71, v7
	v_fma_f32 v3, v70, v6, -v3
	v_add_f32_e32 v2, v2, v3
	v_mul_f32_e32 v3, v73, v9
	v_fma_f32 v3, v72, v8, -v3
	v_add_f32_e32 v2, v2, v3
	v_mul_f32_e32 v3, v75, v11
	v_fma_f32 v3, v74, v10, -v3
	v_add_f32_e32 v2, v2, v3
	v_mul_f32_e32 v3, v77, v13
	v_fma_f32 v3, v76, v12, -v3
	v_add_f32_e32 v2, v2, v3
	v_mul_f32_e32 v3, v79, v15
	v_fma_f32 v3, v78, v14, -v3
	v_add_f32_e32 v2, v2, v3
	v_mul_f32_e32 v3, v81, v17
	v_fma_f32 v3, v80, v16, -v3
	v_add_f32_e32 v2, v2, v3
	v_mul_f32_e32 v3, v83, v19
	v_fma_f32 v3, v82, v18, -v3
	v_add_f32_e32 v2, v2, v3
	v_mul_f32_e32 v3, v85, v21
	v_fma_f32 v3, v84, v20, -v3
	v_add_f32_e32 v2, v2, v3
	v_mul_f32_e32 v3, v87, v23
	v_fma_f32 v3, v86, v22, -v3
	v_add_f32_e32 v2, v2, v3
	v_mul_f32_e32 v3, v89, v25
	v_fma_f32 v3, v88, v24, -v3
	v_add_f32_e32 v2, v2, v3
	v_mul_f32_e32 v3, v91, v27
	v_fma_f32 v3, v90, v26, -v3
	v_add_f32_e32 v2, v2, v3
	v_mul_f32_e32 v3, v93, v29
	v_fma_f32 v3, v92, v28, -v3
	v_add_f32_e32 v2, v2, v3
	v_mul_f32_e32 v3, v95, v31
	v_fma_f32 v3, v94, v30, -v3
	v_add_f32_e32 v2, v2, v3
	v_mul_f32_e32 v3, v97, v33
	v_fma_f32 v3, v96, v32, -v3
	v_add_f32_e32 v2, v2, v3
	v_mul_f32_e32 v3, v99, v35
	v_fma_f32 v3, v98, v34, -v3
	v_add_f32_e32 v2, v2, v3
	v_mul_f32_e32 v3, v101, v37
	v_fma_f32 v3, v100, v36, -v3
	v_add_f32_e32 v2, v2, v3
	v_mul_f32_e32 v3, v103, v39
	v_fma_f32 v3, v102, v38, -v3
	v_add_f32_e32 v2, v2, v3
	v_mul_f32_e32 v3, v105, v41
	v_fma_f32 v3, v104, v40, -v3
	v_add_f32_e32 v2, v2, v3
	v_mul_f32_e32 v3, v107, v43
	v_fma_f32 v3, v106, v42, -v3
	v_add_f32_e32 v2, v2, v3
	v_mul_f32_e32 v3, v109, v45
	v_fma_f32 v3, v108, v44, -v3
	v_add_f32_e32 v2, v2, v3
	v_mul_f32_e32 v3, v111, v47
	v_fma_f32 v3, v110, v46, -v3
	v_add_f32_e32 v2, v2, v3
	v_mul_f32_e32 v3, v113, v49
	v_fma_f32 v3, v112, v48, -v3
	v_add_f32_e32 v2, v2, v3
	v_mul_f32_e32 v3, v115, v51
	v_fma_f32 v3, v114, v50, -v3
	v_add_f32_e32 v2, v2, v3
	v_mul_f32_e32 v3, v117, v53
	v_fma_f32 v3, v116, v52, -v3
	v_add_f32_e32 v2, v2, v3
	v_mul_f32_e32 v3, v119, v55
	v_fma_f32 v3, v118, v54, -v3
	v_add_f32_e32 v2, v2, v3
	v_mul_f32_e32 v3, v121, v57
	v_fma_f32 v3, v120, v56, -v3
	v_add_f32_e32 v2, v2, v3
	v_mul_f32_e32 v3, v125, v63
	v_fma_f32 v3, v124, v62, -v3
	v_add_f32_e32 v146, v2, v3
	v_mul_f32_e32 v2, v127, v65
	v_mul_f32_e32 v149, v126, v65
	v_fma_f32 v148, v126, v64, -v2
	s_waitcnt vmcnt(5) lgkmcnt(0)
	v_mul_f32_e32 v2, v129, v59
	v_mov_b32_e32 v18, v61
	v_fmac_f32_e32 v149, v127, v64
	v_mul_f32_e32 v151, v128, v59
	v_fma_f32 v150, v128, v58, -v2
	ds_read2_b64 v[2:5], v122 offset0:85 offset1:86
	ds_read2_b64 v[6:9], v122 offset0:87 offset1:88
	;; [unrolled: 1-line block ×3, first 2 shown]
	ds_read_b64 v[14:15], v122 offset:728
	v_pk_mul_f32 v[18:19], v[130:131], v[18:19] op_sel:[1,0] op_sel_hi:[0,0]
	v_fmac_f32_e32 v151, v129, v58
	v_pk_add_f32 v[16:17], v[146:147], v[148:149]
	v_pk_fma_f32 v[20:21], v[130:131], v[60:61], v[18:19] neg_lo:[0,0,1] neg_hi:[0,0,1]
	v_pk_fma_f32 v[18:19], v[130:131], v[60:61], v[18:19] op_sel_hi:[1,0,1]
	v_pk_add_f32 v[16:17], v[16:17], v[150:151]
	v_mov_b32_e32 v21, v19
	s_waitcnt vmcnt(3) lgkmcnt(3)
	v_pk_mul_f32 v[18:19], v[2:3], v[132:133] op_sel:[1,1] op_sel_hi:[0,1]
	v_pk_add_f32 v[16:17], v[16:17], v[20:21]
	v_pk_fma_f32 v[20:21], v[2:3], v[132:133], v[18:19] neg_lo:[0,0,1] neg_hi:[0,0,1]
	v_pk_fma_f32 v[2:3], v[2:3], v[132:133], v[18:19] op_sel_hi:[1,0,1]
	s_nop 0
	v_mov_b32_e32 v21, v3
	v_pk_add_f32 v[2:3], v[16:17], v[20:21]
	v_mov_b32_e32 v16, v135
	v_pk_mul_f32 v[16:17], v[4:5], v[16:17] op_sel:[1,0] op_sel_hi:[0,0]
	v_pk_fma_f32 v[18:19], v[4:5], v[134:135], v[16:17] neg_lo:[0,0,1] neg_hi:[0,0,1]
	v_pk_fma_f32 v[4:5], v[4:5], v[134:135], v[16:17] op_sel_hi:[1,0,1]
	s_nop 0
	v_mov_b32_e32 v19, v5
	s_waitcnt vmcnt(2) lgkmcnt(2)
	v_pk_mul_f32 v[4:5], v[6:7], v[136:137] op_sel:[1,1] op_sel_hi:[0,1]
	v_pk_fma_f32 v[16:17], v[6:7], v[136:137], v[4:5] neg_lo:[0,0,1] neg_hi:[0,0,1]
	v_pk_fma_f32 v[4:5], v[6:7], v[136:137], v[4:5] op_sel_hi:[1,0,1]
	v_pk_add_f32 v[2:3], v[2:3], v[18:19]
	v_mov_b32_e32 v4, v139
	v_mov_b32_e32 v17, v5
	v_pk_mul_f32 v[4:5], v[8:9], v[4:5] op_sel:[1,0] op_sel_hi:[0,0]
	v_pk_fma_f32 v[6:7], v[8:9], v[138:139], v[4:5] neg_lo:[0,0,1] neg_hi:[0,0,1]
	v_pk_fma_f32 v[4:5], v[8:9], v[138:139], v[4:5] op_sel_hi:[1,0,1]
	v_pk_add_f32 v[2:3], v[2:3], v[16:17]
	v_mov_b32_e32 v7, v5
	s_waitcnt vmcnt(1) lgkmcnt(1)
	v_pk_mul_f32 v[4:5], v[10:11], v[140:141] op_sel:[1,1] op_sel_hi:[0,1]
	v_pk_add_f32 v[2:3], v[2:3], v[6:7]
	v_pk_fma_f32 v[6:7], v[10:11], v[140:141], v[4:5] neg_lo:[0,0,1] neg_hi:[0,0,1]
	v_pk_fma_f32 v[4:5], v[10:11], v[140:141], v[4:5] op_sel_hi:[1,0,1]
	s_nop 0
	v_mov_b32_e32 v4, v143
	v_mov_b32_e32 v7, v5
	v_pk_mul_f32 v[4:5], v[12:13], v[4:5] op_sel:[1,0] op_sel_hi:[0,0]
	v_pk_add_f32 v[2:3], v[2:3], v[6:7]
	v_pk_fma_f32 v[6:7], v[12:13], v[142:143], v[4:5] neg_lo:[0,0,1] neg_hi:[0,0,1]
	v_pk_fma_f32 v[4:5], v[12:13], v[142:143], v[4:5] op_sel_hi:[1,0,1]
	s_nop 0
	v_mov_b32_e32 v7, v5
	s_waitcnt vmcnt(0) lgkmcnt(0)
	v_pk_mul_f32 v[4:5], v[14:15], v[152:153] op_sel:[1,1] op_sel_hi:[0,1]
	v_pk_add_f32 v[2:3], v[2:3], v[6:7]
	v_pk_fma_f32 v[6:7], v[14:15], v[152:153], v[4:5] neg_lo:[0,0,1] neg_hi:[0,0,1]
	v_pk_fma_f32 v[4:5], v[14:15], v[152:153], v[4:5] op_sel_hi:[1,0,1]
	s_nop 0
	v_mov_b32_e32 v7, v5
	v_pk_add_f32 v[2:3], v[2:3], v[6:7]
	s_nop 0
	v_pk_add_f32 v[2:3], v[144:145], v[2:3] neg_lo:[0,1] neg_hi:[0,1]
	scratch_store_dwordx2 off, v[2:3], off offset:48
	s_and_saveexec_b64 s[0:1], vcc
	s_cbranch_execz .LBB45_279
; %bb.278:
	scratch_load_dwordx2 v[2:3], off, off offset:40
	v_mov_b32_e32 v123, v122
	scratch_store_dwordx2 off, v[122:123], off offset:40
	s_waitcnt vmcnt(1)
	ds_write_b64 v1, v[2:3]
.LBB45_279:
	s_or_b64 exec, exec, s[0:1]
	s_waitcnt lgkmcnt(0)
	; wave barrier
	scratch_load_dwordx4 v[2:5], off, off offset:48
	scratch_load_dwordx4 v[6:9], off, off offset:64
	;; [unrolled: 1-line block ×13, first 2 shown]
	ds_read_b128 v[118:121], v122 offset:416
	ds_read_b128 v[114:117], v122 offset:432
	;; [unrolled: 1-line block ×14, first 2 shown]
	scratch_load_dwordx4 v[62:65], off, off offset:256
	scratch_load_dwordx4 v[70:73], off, off offset:272
	;; [unrolled: 1-line block ×3, first 2 shown]
	scratch_load_dwordx2 v[148:149], off, off offset:40
	v_cmp_lt_u32_e32 vcc, 4, v0
	s_waitcnt vmcnt(16) lgkmcnt(13)
	v_mul_f32_e32 v123, v118, v3
	v_mul_f32_e32 v124, v120, v5
	v_fmac_f32_e32 v123, v119, v2
	s_waitcnt vmcnt(15) lgkmcnt(12)
	v_mul_f32_e32 v125, v114, v7
	v_fmac_f32_e32 v124, v121, v4
	v_add_f32_e32 v123, 0, v123
	v_mul_f32_e32 v126, v116, v9
	v_fmac_f32_e32 v125, v115, v6
	v_add_f32_e32 v123, v123, v124
	s_waitcnt vmcnt(14) lgkmcnt(11)
	v_mul_f32_e32 v127, v110, v11
	v_fmac_f32_e32 v126, v117, v8
	v_add_f32_e32 v123, v123, v125
	v_mul_f32_e32 v128, v112, v13
	v_fmac_f32_e32 v127, v111, v10
	v_add_f32_e32 v123, v123, v126
	;; [unrolled: 7-line block ×11, first 2 shown]
	s_waitcnt vmcnt(4) lgkmcnt(1)
	v_mul_f32_e32 v147, v54, v51
	v_fmac_f32_e32 v146, v69, v48
	v_add_f32_e32 v123, v123, v145
	v_add_f32_e32 v123, v123, v146
	v_fmac_f32_e32 v147, v55, v50
	v_mul_f32_e32 v124, v56, v53
	v_add_f32_e32 v123, v123, v147
	v_fmac_f32_e32 v124, v57, v52
	v_add_f32_e32 v123, v123, v124
	s_waitcnt vmcnt(3) lgkmcnt(0)
	v_mul_f32_e32 v124, v58, v63
	v_fmac_f32_e32 v124, v59, v62
	v_add_f32_e32 v123, v123, v124
	ds_read_b128 v[124:127], v122 offset:640
	v_mul_f32_e32 v128, v60, v65
	v_fmac_f32_e32 v128, v61, v64
	v_add_f32_e32 v123, v123, v128
	ds_read_b128 v[128:131], v122 offset:656
	s_waitcnt vmcnt(2) lgkmcnt(1)
	v_mul_f32_e32 v132, v124, v71
	v_fmac_f32_e32 v132, v125, v70
	v_add_f32_e32 v123, v123, v132
	v_mul_f32_e32 v132, v126, v73
	v_fmac_f32_e32 v132, v127, v72
	v_add_f32_e32 v151, v123, v132
	scratch_load_dwordx4 v[132:135], off, off offset:304
	scratch_load_dwordx4 v[136:139], off, off offset:320
	;; [unrolled: 1-line block ×4, first 2 shown]
	v_mul_f32_e32 v3, v119, v3
	v_fma_f32 v2, v118, v2, -v3
	v_mul_f32_e32 v3, v121, v5
	v_add_f32_e32 v2, 0, v2
	v_fma_f32 v3, v120, v4, -v3
	v_add_f32_e32 v2, v2, v3
	v_mul_f32_e32 v3, v115, v7
	v_fma_f32 v3, v114, v6, -v3
	v_add_f32_e32 v2, v2, v3
	v_mul_f32_e32 v3, v117, v9
	;; [unrolled: 3-line block ×28, first 2 shown]
	v_fma_f32 v3, v126, v72, -v3
	v_add_f32_e32 v150, v2, v3
	s_waitcnt vmcnt(5) lgkmcnt(0)
	v_mul_f32_e32 v2, v129, v79
	v_fma_f32 v152, v128, v78, -v2
	v_mul_f32_e32 v2, v131, v81
	v_fma_f32 v154, v130, v80, -v2
	ds_read_b128 v[2:5], v122 offset:672
	ds_read_b128 v[6:9], v122 offset:688
	;; [unrolled: 1-line block ×4, first 2 shown]
	v_mul_f32_e32 v153, v128, v79
	v_fmac_f32_e32 v153, v129, v78
	v_mul_f32_e32 v155, v130, v81
	s_waitcnt vmcnt(3) lgkmcnt(3)
	v_pk_mul_f32 v[20:21], v[2:3], v[132:133] op_sel:[1,1] op_sel_hi:[0,1]
	v_fmac_f32_e32 v155, v131, v80
	v_pk_add_f32 v[18:19], v[150:151], v[152:153]
	v_pk_fma_f32 v[22:23], v[2:3], v[132:133], v[20:21] neg_lo:[0,0,1] neg_hi:[0,0,1]
	v_pk_fma_f32 v[2:3], v[2:3], v[132:133], v[20:21] op_sel_hi:[1,0,1]
	v_pk_add_f32 v[18:19], v[18:19], v[154:155]
	v_mov_b32_e32 v23, v3
	v_pk_add_f32 v[2:3], v[18:19], v[22:23]
	v_mov_b32_e32 v18, v135
	v_pk_mul_f32 v[18:19], v[4:5], v[18:19] op_sel:[1,0] op_sel_hi:[0,0]
	v_pk_fma_f32 v[20:21], v[4:5], v[134:135], v[18:19] neg_lo:[0,0,1] neg_hi:[0,0,1]
	v_pk_fma_f32 v[4:5], v[4:5], v[134:135], v[18:19] op_sel_hi:[1,0,1]
	s_nop 0
	v_mov_b32_e32 v21, v5
	s_waitcnt vmcnt(2) lgkmcnt(2)
	v_pk_mul_f32 v[4:5], v[6:7], v[136:137] op_sel:[1,1] op_sel_hi:[0,1]
	v_pk_fma_f32 v[18:19], v[6:7], v[136:137], v[4:5] neg_lo:[0,0,1] neg_hi:[0,0,1]
	v_pk_fma_f32 v[4:5], v[6:7], v[136:137], v[4:5] op_sel_hi:[1,0,1]
	v_pk_add_f32 v[2:3], v[2:3], v[20:21]
	v_mov_b32_e32 v4, v139
	v_mov_b32_e32 v19, v5
	v_pk_mul_f32 v[4:5], v[8:9], v[4:5] op_sel:[1,0] op_sel_hi:[0,0]
	v_pk_fma_f32 v[6:7], v[8:9], v[138:139], v[4:5] neg_lo:[0,0,1] neg_hi:[0,0,1]
	v_pk_fma_f32 v[4:5], v[8:9], v[138:139], v[4:5] op_sel_hi:[1,0,1]
	v_pk_add_f32 v[2:3], v[2:3], v[18:19]
	v_mov_b32_e32 v7, v5
	s_waitcnt vmcnt(1) lgkmcnt(1)
	v_pk_mul_f32 v[4:5], v[10:11], v[140:141] op_sel:[1,1] op_sel_hi:[0,1]
	v_pk_add_f32 v[2:3], v[2:3], v[6:7]
	v_pk_fma_f32 v[6:7], v[10:11], v[140:141], v[4:5] neg_lo:[0,0,1] neg_hi:[0,0,1]
	v_pk_fma_f32 v[4:5], v[10:11], v[140:141], v[4:5] op_sel_hi:[1,0,1]
	s_nop 0
	v_mov_b32_e32 v4, v143
	v_mov_b32_e32 v7, v5
	v_pk_mul_f32 v[4:5], v[12:13], v[4:5] op_sel:[1,0] op_sel_hi:[0,0]
	v_pk_add_f32 v[2:3], v[2:3], v[6:7]
	v_pk_fma_f32 v[6:7], v[12:13], v[142:143], v[4:5] neg_lo:[0,0,1] neg_hi:[0,0,1]
	v_pk_fma_f32 v[4:5], v[12:13], v[142:143], v[4:5] op_sel_hi:[1,0,1]
	s_nop 0
	v_mov_b32_e32 v7, v5
	s_waitcnt vmcnt(0) lgkmcnt(0)
	v_pk_mul_f32 v[4:5], v[14:15], v[144:145] op_sel:[1,1] op_sel_hi:[0,1]
	v_pk_add_f32 v[2:3], v[2:3], v[6:7]
	v_pk_fma_f32 v[6:7], v[14:15], v[144:145], v[4:5] neg_lo:[0,0,1] neg_hi:[0,0,1]
	v_pk_fma_f32 v[4:5], v[14:15], v[144:145], v[4:5] op_sel_hi:[1,0,1]
	s_nop 0
	v_mov_b32_e32 v4, v147
	v_mov_b32_e32 v7, v5
	v_pk_mul_f32 v[4:5], v[16:17], v[4:5] op_sel:[1,0] op_sel_hi:[0,0]
	v_pk_add_f32 v[2:3], v[2:3], v[6:7]
	v_pk_fma_f32 v[6:7], v[16:17], v[146:147], v[4:5] neg_lo:[0,0,1] neg_hi:[0,0,1]
	v_pk_fma_f32 v[4:5], v[16:17], v[146:147], v[4:5] op_sel_hi:[1,0,1]
	s_nop 0
	v_mov_b32_e32 v7, v5
	v_pk_add_f32 v[2:3], v[2:3], v[6:7]
	s_nop 0
	v_pk_add_f32 v[2:3], v[148:149], v[2:3] neg_lo:[0,1] neg_hi:[0,1]
	scratch_store_dwordx2 off, v[2:3], off offset:40
	s_and_saveexec_b64 s[0:1], vcc
	s_cbranch_execz .LBB45_281
; %bb.280:
	scratch_load_dwordx2 v[2:3], off, off offset:32
	v_mov_b32_e32 v4, 0
	v_mov_b32_e32 v5, v4
	scratch_store_dwordx2 off, v[4:5], off offset:32
	s_waitcnt vmcnt(1)
	ds_write_b64 v1, v[2:3]
.LBB45_281:
	s_or_b64 exec, exec, s[0:1]
	s_waitcnt lgkmcnt(0)
	; wave barrier
	scratch_load_dwordx4 v[2:5], off, off offset:40
	scratch_load_dwordx4 v[6:9], off, off offset:56
	;; [unrolled: 1-line block ×17, first 2 shown]
	scratch_load_dwordx2 v[70:71], off, off offset:32
	v_mov_b32_e32 v246, 0
	ds_read2_b64 v[72:75], v246 offset0:51 offset1:52
	ds_read2_b64 v[76:79], v246 offset0:53 offset1:54
	;; [unrolled: 1-line block ×13, first 2 shown]
	v_cmp_lt_u32_e32 vcc, 3, v0
	s_waitcnt vmcnt(17) lgkmcnt(12)
	v_mul_f32_e32 v124, v72, v3
	v_mul_f32_e32 v125, v74, v5
	v_fmac_f32_e32 v124, v73, v2
	s_waitcnt vmcnt(16) lgkmcnt(11)
	v_mul_f32_e32 v126, v76, v7
	v_fmac_f32_e32 v125, v75, v4
	v_add_f32_e32 v124, 0, v124
	v_mul_f32_e32 v127, v78, v9
	v_fmac_f32_e32 v126, v77, v6
	v_add_f32_e32 v124, v124, v125
	s_waitcnt vmcnt(15) lgkmcnt(10)
	v_mul_f32_e32 v128, v80, v11
	v_fmac_f32_e32 v127, v79, v8
	v_add_f32_e32 v124, v124, v126
	v_mul_f32_e32 v129, v82, v13
	v_fmac_f32_e32 v128, v81, v10
	v_add_f32_e32 v124, v124, v127
	;; [unrolled: 7-line block ×11, first 2 shown]
	v_fmac_f32_e32 v147, v119, v48
	v_add_f32_e32 v124, v124, v146
	v_add_f32_e32 v128, v124, v147
	ds_read2_b64 v[124:127], v246 offset0:77 offset1:78
	s_waitcnt vmcnt(5) lgkmcnt(1)
	v_mul_f32_e32 v129, v120, v51
	v_fmac_f32_e32 v129, v121, v50
	v_add_f32_e32 v128, v128, v129
	v_mul_f32_e32 v129, v122, v53
	v_fmac_f32_e32 v129, v123, v52
	v_add_f32_e32 v128, v128, v129
	s_waitcnt vmcnt(4) lgkmcnt(0)
	v_mul_f32_e32 v129, v124, v55
	v_fmac_f32_e32 v129, v125, v54
	v_add_f32_e32 v132, v128, v129
	ds_read2_b64 v[128:131], v246 offset0:79 offset1:80
	v_mul_f32_e32 v133, v126, v57
	v_fmac_f32_e32 v133, v127, v56
	v_add_f32_e32 v136, v132, v133
	ds_read2_b64 v[132:135], v246 offset0:81 offset1:82
	s_waitcnt vmcnt(3) lgkmcnt(1)
	v_mul_f32_e32 v137, v128, v59
	v_fmac_f32_e32 v137, v129, v58
	v_add_f32_e32 v136, v136, v137
	v_mul_f32_e32 v137, v130, v61
	v_fmac_f32_e32 v137, v131, v60
	s_waitcnt vmcnt(2) lgkmcnt(0)
	v_mul_f32_e32 v141, v132, v63
	v_add_f32_e32 v140, v136, v137
	v_fmac_f32_e32 v141, v133, v62
	ds_read2_b64 v[136:139], v246 offset0:83 offset1:84
	v_add_f32_e32 v153, v140, v141
	ds_read2_b64 v[140:143], v246 offset0:85 offset1:86
	scratch_load_dwordx4 v[144:147], off, off offset:312
	scratch_load_dwordx4 v[148:151], off, off offset:328
	;; [unrolled: 1-line block ×3, first 2 shown]
	scratch_load_dwordx2 v[252:253], off, off offset:360
	v_mul_f32_e32 v3, v73, v3
	v_fma_f32 v2, v72, v2, -v3
	v_mul_f32_e32 v3, v75, v5
	v_add_f32_e32 v2, 0, v2
	v_fma_f32 v3, v74, v4, -v3
	v_add_f32_e32 v2, v2, v3
	v_mul_f32_e32 v3, v77, v7
	v_fma_f32 v3, v76, v6, -v3
	v_add_f32_e32 v2, v2, v3
	v_mul_f32_e32 v3, v79, v9
	;; [unrolled: 3-line block ×29, first 2 shown]
	v_fma_f32 v3, v132, v62, -v3
	v_mul_f32_e32 v155, v134, v65
	v_add_f32_e32 v152, v2, v3
	v_mul_f32_e32 v2, v135, v65
	s_waitcnt vmcnt(5)
	v_mov_b32_e32 v14, v69
	v_fmac_f32_e32 v155, v135, v64
	s_waitcnt lgkmcnt(1)
	v_mul_f32_e32 v157, v136, v67
	v_fma_f32 v154, v134, v64, -v2
	v_mul_f32_e32 v2, v137, v67
	v_pk_mul_f32 v[14:15], v[138:139], v[14:15] op_sel:[1,0] op_sel_hi:[0,0]
	v_fmac_f32_e32 v157, v137, v66
	v_fma_f32 v156, v136, v66, -v2
	v_pk_add_f32 v[12:13], v[152:153], v[154:155]
	v_pk_fma_f32 v[16:17], v[138:139], v[68:69], v[14:15] neg_lo:[0,0,1] neg_hi:[0,0,1]
	v_pk_fma_f32 v[14:15], v[138:139], v[68:69], v[14:15] op_sel_hi:[1,0,1]
	v_pk_add_f32 v[12:13], v[12:13], v[156:157]
	v_mov_b32_e32 v17, v15
	s_waitcnt vmcnt(3) lgkmcnt(0)
	v_pk_mul_f32 v[14:15], v[140:141], v[144:145] op_sel:[1,1] op_sel_hi:[0,1]
	v_pk_add_f32 v[12:13], v[12:13], v[16:17]
	v_pk_fma_f32 v[16:17], v[140:141], v[144:145], v[14:15] neg_lo:[0,0,1] neg_hi:[0,0,1]
	v_pk_fma_f32 v[14:15], v[140:141], v[144:145], v[14:15] op_sel_hi:[1,0,1]
	ds_read2_b64 v[2:5], v246 offset0:87 offset1:88
	ds_read2_b64 v[6:9], v246 offset0:89 offset1:90
	ds_read_b64 v[10:11], v246 offset:728
	v_mov_b32_e32 v14, v147
	v_mov_b32_e32 v17, v15
	v_pk_mul_f32 v[14:15], v[142:143], v[14:15] op_sel:[1,0] op_sel_hi:[0,0]
	v_pk_add_f32 v[12:13], v[12:13], v[16:17]
	v_pk_fma_f32 v[16:17], v[142:143], v[146:147], v[14:15] neg_lo:[0,0,1] neg_hi:[0,0,1]
	v_pk_fma_f32 v[14:15], v[142:143], v[146:147], v[14:15] op_sel_hi:[1,0,1]
	s_nop 0
	v_mov_b32_e32 v17, v15
	s_waitcnt vmcnt(2) lgkmcnt(2)
	v_pk_mul_f32 v[14:15], v[2:3], v[148:149] op_sel:[1,1] op_sel_hi:[0,1]
	v_pk_add_f32 v[12:13], v[12:13], v[16:17]
	v_pk_fma_f32 v[16:17], v[2:3], v[148:149], v[14:15] neg_lo:[0,0,1] neg_hi:[0,0,1]
	v_pk_fma_f32 v[2:3], v[2:3], v[148:149], v[14:15] op_sel_hi:[1,0,1]
	s_nop 0
	v_mov_b32_e32 v17, v3
	v_pk_add_f32 v[2:3], v[12:13], v[16:17]
	v_mov_b32_e32 v12, v151
	v_pk_mul_f32 v[12:13], v[4:5], v[12:13] op_sel:[1,0] op_sel_hi:[0,0]
	v_pk_fma_f32 v[14:15], v[4:5], v[150:151], v[12:13] neg_lo:[0,0,1] neg_hi:[0,0,1]
	v_pk_fma_f32 v[4:5], v[4:5], v[150:151], v[12:13] op_sel_hi:[1,0,1]
	s_nop 0
	v_mov_b32_e32 v15, v5
	s_waitcnt vmcnt(1) lgkmcnt(1)
	v_pk_mul_f32 v[4:5], v[6:7], v[248:249] op_sel:[1,1] op_sel_hi:[0,1]
	v_pk_fma_f32 v[12:13], v[6:7], v[248:249], v[4:5] neg_lo:[0,0,1] neg_hi:[0,0,1]
	v_pk_fma_f32 v[4:5], v[6:7], v[248:249], v[4:5] op_sel_hi:[1,0,1]
	v_pk_add_f32 v[2:3], v[2:3], v[14:15]
	v_mov_b32_e32 v4, v251
	v_mov_b32_e32 v13, v5
	v_pk_mul_f32 v[4:5], v[8:9], v[4:5] op_sel:[1,0] op_sel_hi:[0,0]
	v_pk_fma_f32 v[6:7], v[8:9], v[250:251], v[4:5] neg_lo:[0,0,1] neg_hi:[0,0,1]
	v_pk_fma_f32 v[4:5], v[8:9], v[250:251], v[4:5] op_sel_hi:[1,0,1]
	v_pk_add_f32 v[2:3], v[2:3], v[12:13]
	v_mov_b32_e32 v7, v5
	s_waitcnt vmcnt(0) lgkmcnt(0)
	v_pk_mul_f32 v[4:5], v[10:11], v[252:253] op_sel:[1,1] op_sel_hi:[0,1]
	v_pk_add_f32 v[2:3], v[2:3], v[6:7]
	v_pk_fma_f32 v[6:7], v[10:11], v[252:253], v[4:5] neg_lo:[0,0,1] neg_hi:[0,0,1]
	v_pk_fma_f32 v[4:5], v[10:11], v[252:253], v[4:5] op_sel_hi:[1,0,1]
	s_nop 0
	v_mov_b32_e32 v7, v5
	v_pk_add_f32 v[2:3], v[2:3], v[6:7]
	s_nop 0
	v_pk_add_f32 v[2:3], v[70:71], v[2:3] neg_lo:[0,1] neg_hi:[0,1]
	scratch_store_dwordx2 off, v[2:3], off offset:32
	s_and_saveexec_b64 s[0:1], vcc
	s_cbranch_execz .LBB45_283
; %bb.282:
	scratch_load_dwordx2 v[2:3], off, off offset:24
	v_mov_b32_e32 v247, v246
	scratch_store_dwordx2 off, v[246:247], off offset:24
	s_waitcnt vmcnt(1)
	ds_write_b64 v1, v[2:3]
.LBB45_283:
	s_or_b64 exec, exec, s[0:1]
	s_waitcnt lgkmcnt(0)
	; wave barrier
	scratch_load_dwordx4 v[58:61], off, off offset:32
	scratch_load_dwordx4 v[62:65], off, off offset:48
	;; [unrolled: 1-line block ×13, first 2 shown]
	ds_read_b128 v[150:153], v246 offset:400
	ds_read_b128 v[146:149], v246 offset:416
	;; [unrolled: 1-line block ×13, first 2 shown]
	scratch_load_dwordx4 v[26:29], off, off offset:240
	scratch_load_dwordx4 v[30:33], off, off offset:256
	;; [unrolled: 1-line block ×4, first 2 shown]
	v_cmp_lt_u32_e32 vcc, 2, v0
	ds_read_b128 v[54:57], v246 offset:656
	s_waitcnt vmcnt(16) lgkmcnt(13)
	v_mul_f32_e32 v2, v150, v59
	v_mul_f32_e32 v3, v152, v61
	v_fmac_f32_e32 v2, v151, v58
	s_waitcnt vmcnt(15) lgkmcnt(12)
	v_mul_f32_e32 v4, v146, v63
	v_fmac_f32_e32 v3, v153, v60
	v_add_f32_e32 v2, 0, v2
	v_mul_f32_e32 v5, v148, v65
	v_fmac_f32_e32 v4, v147, v62
	v_add_f32_e32 v2, v2, v3
	s_waitcnt vmcnt(14) lgkmcnt(11)
	v_mul_f32_e32 v6, v142, v67
	v_fmac_f32_e32 v5, v149, v64
	v_add_f32_e32 v2, v2, v4
	v_mul_f32_e32 v7, v144, v69
	v_fmac_f32_e32 v6, v143, v66
	v_add_f32_e32 v2, v2, v5
	;; [unrolled: 7-line block ×6, first 2 shown]
	s_waitcnt vmcnt(9) lgkmcnt(6)
	v_mul_f32_e32 v16, v122, v87
	v_fmac_f32_e32 v15, v129, v84
	v_add_f32_e32 v2, v2, v14
	v_mul_f32_e32 v59, v151, v59
	v_mul_f32_e32 v17, v124, v89
	v_fmac_f32_e32 v16, v123, v86
	v_add_f32_e32 v2, v2, v15
	v_fma_f32 v58, v150, v58, -v59
	v_mul_f32_e32 v59, v153, v61
	s_waitcnt vmcnt(8) lgkmcnt(5)
	v_mul_f32_e32 v42, v118, v91
	v_fmac_f32_e32 v17, v125, v88
	v_add_f32_e32 v2, v2, v16
	v_add_f32_e32 v58, 0, v58
	v_fma_f32 v59, v152, v60, -v59
	v_mul_f32_e32 v43, v120, v93
	v_fmac_f32_e32 v42, v119, v90
	v_add_f32_e32 v2, v2, v17
	v_add_f32_e32 v58, v58, v59
	v_mul_f32_e32 v59, v147, v63
	s_waitcnt vmcnt(7) lgkmcnt(4)
	v_mul_f32_e32 v44, v114, v95
	v_fmac_f32_e32 v43, v121, v92
	v_add_f32_e32 v2, v2, v42
	v_fma_f32 v59, v146, v62, -v59
	v_mul_f32_e32 v45, v116, v97
	v_fmac_f32_e32 v44, v115, v94
	v_add_f32_e32 v2, v2, v43
	v_add_f32_e32 v58, v58, v59
	v_mul_f32_e32 v59, v149, v65
	s_waitcnt vmcnt(6) lgkmcnt(3)
	v_mul_f32_e32 v46, v110, v99
	v_fmac_f32_e32 v45, v117, v96
	;; [unrolled: 10-line block ×3, first 2 shown]
	v_add_f32_e32 v2, v2, v46
	ds_read_b128 v[42:45], v246 offset:608
	v_fma_f32 v59, v142, v66, -v59
	v_mul_f32_e32 v49, v108, v105
	v_fmac_f32_e32 v48, v107, v102
	v_add_f32_e32 v2, v2, v47
	v_add_f32_e32 v58, v58, v59
	v_mul_f32_e32 v59, v145, v69
	s_waitcnt vmcnt(4) lgkmcnt(2)
	v_mul_f32_e32 v50, v22, v19
	v_fmac_f32_e32 v49, v109, v104
	v_add_f32_e32 v2, v2, v48
	v_fma_f32 v59, v144, v68, -v59
	v_fmac_f32_e32 v50, v23, v18
	v_add_f32_e32 v2, v2, v49
	v_mul_f32_e32 v3, v24, v21
	v_add_f32_e32 v58, v58, v59
	v_mul_f32_e32 v59, v139, v71
	v_add_f32_e32 v2, v2, v50
	v_fmac_f32_e32 v3, v25, v20
	ds_read_b128 v[46:49], v246 offset:624
	v_fma_f32 v59, v138, v70, -v59
	v_add_f32_e32 v2, v2, v3
	s_waitcnt vmcnt(3) lgkmcnt(1)
	v_mul_f32_e32 v3, v42, v27
	v_add_f32_e32 v58, v58, v59
	v_mul_f32_e32 v59, v141, v73
	v_fmac_f32_e32 v3, v43, v26
	v_fma_f32 v59, v140, v72, -v59
	v_add_f32_e32 v2, v2, v3
	v_mul_f32_e32 v3, v44, v29
	v_add_f32_e32 v58, v58, v59
	v_mul_f32_e32 v59, v135, v75
	v_fmac_f32_e32 v3, v45, v28
	ds_read_b128 v[50:53], v246 offset:640
	v_fma_f32 v59, v134, v74, -v59
	v_add_f32_e32 v2, v2, v3
	s_waitcnt vmcnt(2) lgkmcnt(1)
	v_mul_f32_e32 v3, v46, v31
	v_add_f32_e32 v58, v58, v59
	v_mul_f32_e32 v59, v137, v77
	v_fmac_f32_e32 v3, v47, v30
	v_fma_f32 v59, v136, v76, -v59
	v_add_f32_e32 v2, v2, v3
	v_mul_f32_e32 v3, v48, v33
	v_add_f32_e32 v58, v58, v59
	v_mul_f32_e32 v59, v131, v79
	v_fmac_f32_e32 v3, v49, v32
	v_fma_f32 v59, v130, v78, -v59
	v_add_f32_e32 v2, v2, v3
	s_waitcnt vmcnt(1) lgkmcnt(0)
	v_mul_f32_e32 v3, v50, v35
	v_add_f32_e32 v58, v58, v59
	v_mul_f32_e32 v59, v133, v81
	v_fmac_f32_e32 v3, v51, v34
	v_fma_f32 v59, v132, v80, -v59
	v_add_f32_e32 v2, v2, v3
	v_mul_f32_e32 v3, v52, v37
	v_add_f32_e32 v58, v58, v59
	v_mul_f32_e32 v59, v127, v83
	v_fmac_f32_e32 v3, v53, v36
	v_fma_f32 v59, v126, v82, -v59
	v_add_f32_e32 v249, v2, v3
	scratch_load_dwordx4 v[14:17], off, off offset:304
	scratch_load_dwordx4 v[10:13], off, off offset:320
	;; [unrolled: 1-line block ×4, first 2 shown]
	v_add_f32_e32 v58, v58, v59
	v_mul_f32_e32 v59, v129, v85
	v_fma_f32 v59, v128, v84, -v59
	v_add_f32_e32 v58, v58, v59
	v_mul_f32_e32 v59, v123, v87
	v_fma_f32 v59, v122, v86, -v59
	v_add_f32_e32 v58, v58, v59
	v_mul_f32_e32 v59, v125, v89
	v_fma_f32 v59, v124, v88, -v59
	v_add_f32_e32 v58, v58, v59
	v_mul_f32_e32 v59, v119, v91
	v_fma_f32 v59, v118, v90, -v59
	v_add_f32_e32 v58, v58, v59
	v_mul_f32_e32 v59, v121, v93
	v_fma_f32 v59, v120, v92, -v59
	v_add_f32_e32 v58, v58, v59
	v_mul_f32_e32 v59, v115, v95
	v_fma_f32 v59, v114, v94, -v59
	v_add_f32_e32 v58, v58, v59
	v_mul_f32_e32 v59, v117, v97
	v_fma_f32 v59, v116, v96, -v59
	v_add_f32_e32 v58, v58, v59
	v_mul_f32_e32 v59, v111, v99
	v_fma_f32 v59, v110, v98, -v59
	v_add_f32_e32 v58, v58, v59
	v_mul_f32_e32 v59, v113, v101
	v_fma_f32 v59, v112, v100, -v59
	v_add_f32_e32 v58, v58, v59
	v_mul_f32_e32 v59, v107, v103
	v_fma_f32 v59, v106, v102, -v59
	v_add_f32_e32 v60, v58, v59
	v_mul_f32_e32 v58, v109, v105
	v_fma_f32 v61, v108, v104, -v58
	scratch_load_dwordx2 v[58:59], off, off offset:24
	v_mul_f32_e32 v19, v23, v19
	v_add_f32_e32 v60, v60, v61
	v_fma_f32 v18, v22, v18, -v19
	v_mul_f32_e32 v19, v25, v21
	v_add_f32_e32 v18, v60, v18
	v_fma_f32 v19, v24, v20, -v19
	v_add_f32_e32 v18, v18, v19
	v_mul_f32_e32 v19, v43, v27
	v_fma_f32 v19, v42, v26, -v19
	v_add_f32_e32 v18, v18, v19
	v_mul_f32_e32 v19, v45, v29
	;; [unrolled: 3-line block ×6, first 2 shown]
	v_fma_f32 v19, v52, v36, -v19
	v_add_f32_e32 v248, v18, v19
	s_waitcnt vmcnt(5)
	v_mul_f32_e32 v18, v55, v39
	v_fma_f32 v250, v54, v38, -v18
	v_mul_f32_e32 v18, v57, v41
	v_fma_f32 v252, v56, v40, -v18
	ds_read_b128 v[18:21], v246 offset:672
	ds_read_b128 v[22:25], v246 offset:688
	;; [unrolled: 1-line block ×4, first 2 shown]
	v_mul_f32_e32 v251, v54, v39
	v_fmac_f32_e32 v251, v55, v38
	v_mul_f32_e32 v253, v56, v41
	v_fmac_f32_e32 v253, v57, v40
	v_pk_add_f32 v[34:35], v[248:249], v[250:251]
	s_waitcnt vmcnt(4) lgkmcnt(3)
	v_pk_mul_f32 v[36:37], v[18:19], v[14:15] op_sel:[1,1] op_sel_hi:[0,1]
	v_pk_fma_f32 v[38:39], v[18:19], v[14:15], v[36:37] neg_lo:[0,0,1] neg_hi:[0,0,1]
	v_pk_fma_f32 v[14:15], v[18:19], v[14:15], v[36:37] op_sel_hi:[1,0,1]
	v_mov_b32_e32 v18, v17
	v_pk_add_f32 v[34:35], v[34:35], v[252:253]
	v_mov_b32_e32 v39, v15
	v_pk_mul_f32 v[18:19], v[20:21], v[18:19] op_sel:[1,0] op_sel_hi:[0,0]
	v_pk_add_f32 v[14:15], v[34:35], v[38:39]
	v_pk_fma_f32 v[34:35], v[20:21], v[16:17], v[18:19] neg_lo:[0,0,1] neg_hi:[0,0,1]
	v_pk_fma_f32 v[16:17], v[20:21], v[16:17], v[18:19] op_sel_hi:[1,0,1]
	s_nop 0
	v_mov_b32_e32 v35, v17
	s_waitcnt vmcnt(3) lgkmcnt(2)
	v_pk_mul_f32 v[16:17], v[22:23], v[10:11] op_sel:[1,1] op_sel_hi:[0,1]
	v_pk_fma_f32 v[18:19], v[22:23], v[10:11], v[16:17] neg_lo:[0,0,1] neg_hi:[0,0,1]
	v_pk_fma_f32 v[10:11], v[22:23], v[10:11], v[16:17] op_sel_hi:[1,0,1]
	v_pk_add_f32 v[14:15], v[14:15], v[34:35]
	v_mov_b32_e32 v19, v11
	v_pk_add_f32 v[10:11], v[14:15], v[18:19]
	v_mov_b32_e32 v14, v13
	v_pk_mul_f32 v[14:15], v[24:25], v[14:15] op_sel:[1,0] op_sel_hi:[0,0]
	v_pk_fma_f32 v[16:17], v[24:25], v[12:13], v[14:15] neg_lo:[0,0,1] neg_hi:[0,0,1]
	v_pk_fma_f32 v[12:13], v[24:25], v[12:13], v[14:15] op_sel_hi:[1,0,1]
	s_nop 0
	v_mov_b32_e32 v17, v13
	s_waitcnt vmcnt(2) lgkmcnt(1)
	v_pk_mul_f32 v[12:13], v[26:27], v[6:7] op_sel:[1,1] op_sel_hi:[0,1]
	v_pk_fma_f32 v[14:15], v[26:27], v[6:7], v[12:13] neg_lo:[0,0,1] neg_hi:[0,0,1]
	v_pk_fma_f32 v[6:7], v[26:27], v[6:7], v[12:13] op_sel_hi:[1,0,1]
	v_pk_add_f32 v[10:11], v[10:11], v[16:17]
	v_mov_b32_e32 v15, v7
	v_pk_add_f32 v[6:7], v[10:11], v[14:15]
	v_mov_b32_e32 v10, v9
	v_pk_mul_f32 v[10:11], v[28:29], v[10:11] op_sel:[1,0] op_sel_hi:[0,0]
	;; [unrolled: 13-line block ×3, first 2 shown]
	v_pk_fma_f32 v[8:9], v[32:33], v[4:5], v[6:7] neg_lo:[0,0,1] neg_hi:[0,0,1]
	v_pk_fma_f32 v[4:5], v[32:33], v[4:5], v[6:7] op_sel_hi:[1,0,1]
	s_nop 0
	v_mov_b32_e32 v9, v5
	v_pk_add_f32 v[2:3], v[2:3], v[8:9]
	s_waitcnt vmcnt(0)
	v_pk_add_f32 v[2:3], v[58:59], v[2:3] neg_lo:[0,1] neg_hi:[0,1]
	scratch_store_dwordx2 off, v[2:3], off offset:24
	s_and_saveexec_b64 s[0:1], vcc
	s_cbranch_execz .LBB45_285
; %bb.284:
	scratch_load_dwordx2 v[2:3], off, off offset:16
	v_mov_b32_e32 v4, 0
	v_mov_b32_e32 v5, v4
	scratch_store_dwordx2 off, v[4:5], off offset:16
	s_waitcnt vmcnt(1)
	ds_write_b64 v1, v[2:3]
.LBB45_285:
	s_or_b64 exec, exec, s[0:1]
	s_waitcnt lgkmcnt(0)
	; wave barrier
	scratch_load_dwordx4 v[6:9], off, off offset:24
	scratch_load_dwordx4 v[14:17], off, off offset:40
	;; [unrolled: 1-line block ×10, first 2 shown]
	v_mov_b32_e32 v102, 0
	ds_read2_b64 v[2:5], v102 offset0:49 offset1:50
	scratch_load_dwordx4 v[86:89], off, off offset:184
	scratch_load_dwordx4 v[94:97], off, off offset:200
	scratch_load_dwordx4 v[104:107], off, off offset:216
	scratch_load_dwordx4 v[112:115], off, off offset:232
	scratch_load_dwordx4 v[120:123], off, off offset:248
	scratch_load_dwordx4 v[128:131], off, off offset:264
	scratch_load_dwordx4 v[136:139], off, off offset:280
	scratch_load_dwordx4 v[144:147], off, off offset:296
	v_cmp_lt_u32_e32 vcc, 1, v0
	s_waitcnt vmcnt(17) lgkmcnt(0)
	v_mul_f32_e32 v10, v2, v7
	v_fmac_f32_e32 v10, v3, v6
	v_mul_f32_e32 v11, v4, v9
	v_add_f32_e32 v10, 0, v10
	v_fmac_f32_e32 v11, v5, v8
	v_add_f32_e32 v18, v10, v11
	ds_read2_b64 v[10:13], v102 offset0:51 offset1:52
	v_mul_f32_e32 v3, v3, v7
	v_fma_f32 v2, v2, v6, -v3
	v_mul_f32_e32 v3, v5, v9
	v_add_f32_e32 v2, 0, v2
	s_waitcnt vmcnt(16) lgkmcnt(0)
	v_mul_f32_e32 v19, v10, v15
	v_fmac_f32_e32 v19, v11, v14
	v_add_f32_e32 v18, v18, v19
	v_mul_f32_e32 v19, v12, v17
	v_fmac_f32_e32 v19, v13, v16
	v_add_f32_e32 v26, v18, v19
	ds_read2_b64 v[18:21], v102 offset0:53 offset1:54
	v_fma_f32 v3, v4, v8, -v3
	v_add_f32_e32 v2, v2, v3
	v_mul_f32_e32 v3, v11, v15
	v_fma_f32 v3, v10, v14, -v3
	s_waitcnt vmcnt(15) lgkmcnt(0)
	v_mul_f32_e32 v27, v18, v23
	v_fmac_f32_e32 v27, v19, v22
	v_add_f32_e32 v26, v26, v27
	v_mul_f32_e32 v27, v20, v25
	v_fmac_f32_e32 v27, v21, v24
	v_add_f32_e32 v34, v26, v27
	ds_read2_b64 v[26:29], v102 offset0:55 offset1:56
	v_add_f32_e32 v2, v2, v3
	v_mul_f32_e32 v3, v13, v17
	v_fma_f32 v3, v12, v16, -v3
	v_add_f32_e32 v2, v2, v3
	s_waitcnt vmcnt(14) lgkmcnt(0)
	v_mul_f32_e32 v35, v26, v31
	v_fmac_f32_e32 v35, v27, v30
	v_add_f32_e32 v34, v34, v35
	v_mul_f32_e32 v35, v28, v33
	v_fmac_f32_e32 v35, v29, v32
	v_add_f32_e32 v42, v34, v35
	ds_read2_b64 v[34:37], v102 offset0:57 offset1:58
	v_mul_f32_e32 v3, v19, v23
	v_fma_f32 v3, v18, v22, -v3
	v_add_f32_e32 v2, v2, v3
	v_mul_f32_e32 v3, v21, v25
	s_waitcnt vmcnt(13) lgkmcnt(0)
	v_mul_f32_e32 v43, v34, v39
	v_fmac_f32_e32 v43, v35, v38
	v_add_f32_e32 v42, v42, v43
	v_mul_f32_e32 v43, v36, v41
	v_fmac_f32_e32 v43, v37, v40
	v_add_f32_e32 v50, v42, v43
	ds_read2_b64 v[42:45], v102 offset0:59 offset1:60
	v_fma_f32 v3, v20, v24, -v3
	v_add_f32_e32 v2, v2, v3
	v_mul_f32_e32 v3, v27, v31
	v_fma_f32 v3, v26, v30, -v3
	s_waitcnt vmcnt(12) lgkmcnt(0)
	v_mul_f32_e32 v51, v42, v47
	v_fmac_f32_e32 v51, v43, v46
	v_add_f32_e32 v50, v50, v51
	v_mul_f32_e32 v51, v44, v49
	v_fmac_f32_e32 v51, v45, v48
	v_add_f32_e32 v58, v50, v51
	ds_read2_b64 v[50:53], v102 offset0:61 offset1:62
	v_add_f32_e32 v2, v2, v3
	v_mul_f32_e32 v3, v29, v33
	v_fma_f32 v3, v28, v32, -v3
	v_add_f32_e32 v2, v2, v3
	s_waitcnt vmcnt(11) lgkmcnt(0)
	v_mul_f32_e32 v59, v50, v55
	v_fmac_f32_e32 v59, v51, v54
	v_add_f32_e32 v58, v58, v59
	v_mul_f32_e32 v59, v52, v57
	v_fmac_f32_e32 v59, v53, v56
	v_add_f32_e32 v66, v58, v59
	ds_read2_b64 v[58:61], v102 offset0:63 offset1:64
	v_mul_f32_e32 v3, v35, v39
	v_fma_f32 v3, v34, v38, -v3
	v_add_f32_e32 v2, v2, v3
	v_mul_f32_e32 v3, v37, v41
	;; [unrolled: 36-line block ×5, first 2 shown]
	s_waitcnt vmcnt(1) lgkmcnt(0)
	v_mul_f32_e32 v140, v132, v137
	v_fmac_f32_e32 v140, v133, v136
	v_add_f32_e32 v153, v103, v140
	ds_read2_b64 v[140:143], v102 offset0:83 offset1:84
	scratch_load_dwordx4 v[148:151], off, off offset:312
	scratch_load_dwordx4 v[246:249], off, off offset:328
	;; [unrolled: 1-line block ×3, first 2 shown]
	scratch_load_dwordx2 v[254:255], off, off offset:360
	v_fma_f32 v3, v84, v88, -v3
	v_add_f32_e32 v2, v2, v3
	v_mul_f32_e32 v3, v91, v95
	v_fma_f32 v3, v90, v94, -v3
	v_add_f32_e32 v2, v2, v3
	v_mul_f32_e32 v3, v93, v97
	;; [unrolled: 3-line block ×12, first 2 shown]
	v_mul_f32_e32 v155, v134, v139
	v_fma_f32 v154, v134, v138, -v2
	s_waitcnt vmcnt(4) lgkmcnt(0)
	v_mul_f32_e32 v2, v141, v145
	v_mov_b32_e32 v18, v147
	v_fmac_f32_e32 v155, v135, v138
	v_mul_f32_e32 v157, v140, v145
	v_fma_f32 v156, v140, v144, -v2
	ds_read2_b64 v[2:5], v102 offset0:85 offset1:86
	ds_read2_b64 v[6:9], v102 offset0:87 offset1:88
	ds_read2_b64 v[10:13], v102 offset0:89 offset1:90
	ds_read_b64 v[14:15], v102 offset:728
	v_pk_mul_f32 v[18:19], v[142:143], v[18:19] op_sel:[1,0] op_sel_hi:[0,0]
	v_fmac_f32_e32 v157, v141, v144
	v_pk_add_f32 v[16:17], v[152:153], v[154:155]
	v_pk_fma_f32 v[20:21], v[142:143], v[146:147], v[18:19] neg_lo:[0,0,1] neg_hi:[0,0,1]
	v_pk_fma_f32 v[18:19], v[142:143], v[146:147], v[18:19] op_sel_hi:[1,0,1]
	v_pk_add_f32 v[16:17], v[16:17], v[156:157]
	v_mov_b32_e32 v21, v19
	v_pk_add_f32 v[16:17], v[16:17], v[20:21]
	s_waitcnt vmcnt(3) lgkmcnt(3)
	v_pk_mul_f32 v[18:19], v[2:3], v[148:149] op_sel:[1,1] op_sel_hi:[0,1]
	v_pk_fma_f32 v[20:21], v[2:3], v[148:149], v[18:19] neg_lo:[0,0,1] neg_hi:[0,0,1]
	v_pk_fma_f32 v[2:3], v[2:3], v[148:149], v[18:19] op_sel_hi:[1,0,1]
	s_nop 0
	v_mov_b32_e32 v21, v3
	v_pk_add_f32 v[2:3], v[16:17], v[20:21]
	v_mov_b32_e32 v16, v151
	v_pk_mul_f32 v[16:17], v[4:5], v[16:17] op_sel:[1,0] op_sel_hi:[0,0]
	v_pk_fma_f32 v[18:19], v[4:5], v[150:151], v[16:17] neg_lo:[0,0,1] neg_hi:[0,0,1]
	v_pk_fma_f32 v[4:5], v[4:5], v[150:151], v[16:17] op_sel_hi:[1,0,1]
	s_nop 0
	v_mov_b32_e32 v19, v5
	s_waitcnt vmcnt(2) lgkmcnt(2)
	v_pk_mul_f32 v[4:5], v[6:7], v[246:247] op_sel:[1,1] op_sel_hi:[0,1]
	v_pk_fma_f32 v[16:17], v[6:7], v[246:247], v[4:5] neg_lo:[0,0,1] neg_hi:[0,0,1]
	v_pk_fma_f32 v[4:5], v[6:7], v[246:247], v[4:5] op_sel_hi:[1,0,1]
	v_pk_add_f32 v[2:3], v[2:3], v[18:19]
	v_mov_b32_e32 v4, v249
	v_mov_b32_e32 v17, v5
	v_pk_mul_f32 v[4:5], v[8:9], v[4:5] op_sel:[1,0] op_sel_hi:[0,0]
	v_pk_fma_f32 v[6:7], v[8:9], v[248:249], v[4:5] neg_lo:[0,0,1] neg_hi:[0,0,1]
	v_pk_fma_f32 v[4:5], v[8:9], v[248:249], v[4:5] op_sel_hi:[1,0,1]
	v_pk_add_f32 v[2:3], v[2:3], v[16:17]
	v_mov_b32_e32 v7, v5
	s_waitcnt vmcnt(1) lgkmcnt(1)
	v_pk_mul_f32 v[4:5], v[10:11], v[250:251] op_sel:[1,1] op_sel_hi:[0,1]
	v_pk_add_f32 v[2:3], v[2:3], v[6:7]
	v_pk_fma_f32 v[6:7], v[10:11], v[250:251], v[4:5] neg_lo:[0,0,1] neg_hi:[0,0,1]
	v_pk_fma_f32 v[4:5], v[10:11], v[250:251], v[4:5] op_sel_hi:[1,0,1]
	s_nop 0
	v_mov_b32_e32 v4, v253
	v_mov_b32_e32 v7, v5
	v_pk_mul_f32 v[4:5], v[12:13], v[4:5] op_sel:[1,0] op_sel_hi:[0,0]
	v_pk_add_f32 v[2:3], v[2:3], v[6:7]
	v_pk_fma_f32 v[6:7], v[12:13], v[252:253], v[4:5] neg_lo:[0,0,1] neg_hi:[0,0,1]
	v_pk_fma_f32 v[4:5], v[12:13], v[252:253], v[4:5] op_sel_hi:[1,0,1]
	s_nop 0
	v_mov_b32_e32 v7, v5
	s_waitcnt vmcnt(0) lgkmcnt(0)
	v_pk_mul_f32 v[4:5], v[14:15], v[254:255] op_sel:[1,1] op_sel_hi:[0,1]
	v_pk_add_f32 v[2:3], v[2:3], v[6:7]
	v_pk_fma_f32 v[6:7], v[14:15], v[254:255], v[4:5] neg_lo:[0,0,1] neg_hi:[0,0,1]
	v_pk_fma_f32 v[4:5], v[14:15], v[254:255], v[4:5] op_sel_hi:[1,0,1]
	s_nop 0
	v_mov_b32_e32 v7, v5
	scratch_load_dwordx2 v[4:5], off, off offset:16
	v_pk_add_f32 v[2:3], v[2:3], v[6:7]
	s_waitcnt vmcnt(0)
	v_pk_add_f32 v[2:3], v[4:5], v[2:3] neg_lo:[0,1] neg_hi:[0,1]
	scratch_store_dwordx2 off, v[2:3], off offset:16
	s_and_saveexec_b64 s[0:1], vcc
	s_cbranch_execz .LBB45_287
; %bb.286:
	scratch_load_dwordx2 v[2:3], off, off offset:8
	v_mov_b32_e32 v103, v102
	scratch_store_dwordx2 off, v[102:103], off offset:8
	s_waitcnt vmcnt(1)
	ds_write_b64 v1, v[2:3]
.LBB45_287:
	s_or_b64 exec, exec, s[0:1]
	s_waitcnt lgkmcnt(0)
	; wave barrier
	ds_read_b128 v[14:17], v102 offset:384
	ds_read_b128 v[10:13], v102 offset:400
	;; [unrolled: 1-line block ×4, first 2 shown]
	scratch_load_dwordx4 v[18:21], off, off offset:16
	scratch_load_dwordx4 v[38:41], off, off offset:80
	;; [unrolled: 1-line block ×12, first 2 shown]
	v_cmp_ne_u32_e32 vcc, 0, v0
	scratch_load_dwordx4 v[46:49], off, off offset:96
	scratch_load_dwordx4 v[54:57], off, off offset:112
	;; [unrolled: 1-line block ×3, first 2 shown]
	s_waitcnt vmcnt(14) lgkmcnt(3)
	v_mul_f32_e32 v22, v14, v19
	v_fmac_f32_e32 v22, v15, v18
	v_mul_f32_e32 v23, v16, v21
	v_add_f32_e32 v22, 0, v22
	v_fmac_f32_e32 v23, v17, v20
	v_add_f32_e32 v26, v22, v23
	scratch_load_dwordx4 v[22:25], off, off offset:32
	v_mul_f32_e32 v15, v15, v19
	v_fma_f32 v14, v14, v18, -v15
	v_mul_f32_e32 v15, v17, v21
	v_add_f32_e32 v14, 0, v14
	v_fma_f32 v15, v16, v20, -v15
	v_add_f32_e32 v14, v14, v15
	s_waitcnt vmcnt(0) lgkmcnt(2)
	v_mul_f32_e32 v27, v10, v23
	v_fmac_f32_e32 v27, v11, v22
	v_add_f32_e32 v26, v26, v27
	v_mul_f32_e32 v27, v12, v25
	v_fmac_f32_e32 v27, v13, v24
	v_add_f32_e32 v30, v26, v27
	scratch_load_dwordx4 v[26:29], off, off offset:48
	v_mul_f32_e32 v11, v11, v23
	v_fma_f32 v10, v10, v22, -v11
	v_mul_f32_e32 v11, v13, v25
	v_add_f32_e32 v10, v14, v10
	v_fma_f32 v11, v12, v24, -v11
	v_add_f32_e32 v10, v10, v11
	s_waitcnt vmcnt(0) lgkmcnt(1)
	v_mul_f32_e32 v31, v6, v27
	v_fmac_f32_e32 v31, v7, v26
	v_add_f32_e32 v30, v30, v31
	v_mul_f32_e32 v31, v8, v29
	;; [unrolled: 14-line block ×3, first 2 shown]
	v_fmac_f32_e32 v35, v5, v32
	v_add_f32_e32 v42, v34, v35
	ds_read_b128 v[34:37], v102 offset:448
	v_mul_f32_e32 v3, v3, v31
	v_fma_f32 v2, v2, v30, -v3
	v_mul_f32_e32 v3, v5, v33
	v_add_f32_e32 v2, v6, v2
	s_waitcnt lgkmcnt(0)
	v_mul_f32_e32 v43, v34, v39
	v_fmac_f32_e32 v43, v35, v38
	v_add_f32_e32 v42, v42, v43
	v_mul_f32_e32 v43, v36, v41
	v_fmac_f32_e32 v43, v37, v40
	v_add_f32_e32 v50, v42, v43
	ds_read_b128 v[42:45], v102 offset:464
	v_fma_f32 v3, v4, v32, -v3
	v_add_f32_e32 v2, v2, v3
	v_mul_f32_e32 v3, v35, v39
	v_fma_f32 v3, v34, v38, -v3
	s_waitcnt lgkmcnt(0)
	v_mul_f32_e32 v51, v42, v47
	v_fmac_f32_e32 v51, v43, v46
	v_add_f32_e32 v50, v50, v51
	v_mul_f32_e32 v51, v44, v49
	v_fmac_f32_e32 v51, v45, v48
	v_add_f32_e32 v58, v50, v51
	ds_read_b128 v[50:53], v102 offset:480
	v_add_f32_e32 v2, v2, v3
	v_mul_f32_e32 v3, v37, v41
	v_fma_f32 v3, v36, v40, -v3
	v_add_f32_e32 v2, v2, v3
	s_waitcnt lgkmcnt(0)
	v_mul_f32_e32 v59, v50, v55
	v_fmac_f32_e32 v59, v51, v54
	v_add_f32_e32 v58, v58, v59
	v_mul_f32_e32 v59, v52, v57
	v_fmac_f32_e32 v59, v53, v56
	v_add_f32_e32 v66, v58, v59
	ds_read_b128 v[58:61], v102 offset:496
	v_mul_f32_e32 v3, v43, v47
	v_fma_f32 v3, v42, v46, -v3
	v_add_f32_e32 v2, v2, v3
	v_mul_f32_e32 v3, v45, v49
	s_waitcnt lgkmcnt(0)
	v_mul_f32_e32 v67, v58, v63
	v_fmac_f32_e32 v67, v59, v62
	v_add_f32_e32 v66, v66, v67
	v_mul_f32_e32 v67, v60, v65
	v_fmac_f32_e32 v67, v61, v64
	v_add_f32_e32 v74, v66, v67
	ds_read_b128 v[66:69], v102 offset:512
	v_fma_f32 v3, v44, v48, -v3
	v_add_f32_e32 v2, v2, v3
	v_mul_f32_e32 v3, v51, v55
	v_fma_f32 v3, v50, v54, -v3
	s_waitcnt lgkmcnt(0)
	v_mul_f32_e32 v75, v66, v71
	v_fmac_f32_e32 v75, v67, v70
	v_add_f32_e32 v74, v74, v75
	v_mul_f32_e32 v75, v68, v73
	v_fmac_f32_e32 v75, v69, v72
	v_add_f32_e32 v82, v74, v75
	ds_read_b128 v[74:77], v102 offset:528
	v_add_f32_e32 v2, v2, v3
	v_mul_f32_e32 v3, v53, v57
	v_fma_f32 v3, v52, v56, -v3
	v_add_f32_e32 v2, v2, v3
	s_waitcnt lgkmcnt(0)
	v_mul_f32_e32 v83, v74, v79
	v_fmac_f32_e32 v83, v75, v78
	v_add_f32_e32 v82, v82, v83
	v_mul_f32_e32 v83, v76, v81
	v_fmac_f32_e32 v83, v77, v80
	v_add_f32_e32 v90, v82, v83
	ds_read_b128 v[82:85], v102 offset:544
	v_mul_f32_e32 v3, v59, v63
	v_fma_f32 v3, v58, v62, -v3
	v_add_f32_e32 v2, v2, v3
	v_mul_f32_e32 v3, v61, v65
	;; [unrolled: 36-line block ×4, first 2 shown]
	s_waitcnt lgkmcnt(0)
	v_mul_f32_e32 v140, v132, v137
	v_fmac_f32_e32 v140, v133, v136
	v_add_f32_e32 v103, v103, v140
	v_mul_f32_e32 v140, v134, v139
	v_fmac_f32_e32 v140, v135, v138
	v_add_f32_e32 v157, v103, v140
	ds_read_b128 v[140:143], v102 offset:656
	scratch_load_dwordx4 v[148:151], off, off offset:304
	scratch_load_dwordx4 v[246:249], off, off offset:320
	;; [unrolled: 1-line block ×4, first 2 shown]
	v_fma_f32 v3, v92, v96, -v3
	v_add_f32_e32 v2, v2, v3
	v_mul_f32_e32 v3, v99, v105
	v_fma_f32 v3, v98, v104, -v3
	v_add_f32_e32 v2, v2, v3
	v_mul_f32_e32 v3, v101, v107
	;; [unrolled: 3-line block ×10, first 2 shown]
	v_fma_f32 v3, v134, v138, -v3
	v_add_f32_e32 v156, v2, v3
	s_waitcnt lgkmcnt(0)
	v_mul_f32_e32 v2, v141, v145
	v_fma_f32 v254, v140, v144, -v2
	v_mul_f32_e32 v2, v143, v147
	v_fma_f32 v158, v142, v146, -v2
	ds_read_b128 v[2:5], v102 offset:672
	ds_read_b128 v[6:9], v102 offset:688
	;; [unrolled: 1-line block ×4, first 2 shown]
	v_mul_f32_e32 v255, v140, v145
	v_fmac_f32_e32 v255, v141, v144
	v_mul_f32_e32 v159, v142, v147
	v_fmac_f32_e32 v159, v143, v146
	v_pk_add_f32 v[18:19], v[156:157], v[254:255]
	s_waitcnt vmcnt(3) lgkmcnt(3)
	v_pk_mul_f32 v[20:21], v[2:3], v[148:149] op_sel:[1,1] op_sel_hi:[0,1]
	v_pk_fma_f32 v[22:23], v[2:3], v[148:149], v[20:21] neg_lo:[0,0,1] neg_hi:[0,0,1]
	v_pk_fma_f32 v[2:3], v[2:3], v[148:149], v[20:21] op_sel_hi:[1,0,1]
	v_pk_add_f32 v[18:19], v[18:19], v[158:159]
	v_mov_b32_e32 v23, v3
	v_pk_add_f32 v[2:3], v[18:19], v[22:23]
	v_mov_b32_e32 v18, v151
	v_pk_mul_f32 v[18:19], v[4:5], v[18:19] op_sel:[1,0] op_sel_hi:[0,0]
	v_pk_fma_f32 v[20:21], v[4:5], v[150:151], v[18:19] neg_lo:[0,0,1] neg_hi:[0,0,1]
	v_pk_fma_f32 v[4:5], v[4:5], v[150:151], v[18:19] op_sel_hi:[1,0,1]
	s_nop 0
	v_mov_b32_e32 v21, v5
	s_waitcnt vmcnt(2) lgkmcnt(2)
	v_pk_mul_f32 v[4:5], v[6:7], v[246:247] op_sel:[1,1] op_sel_hi:[0,1]
	v_pk_fma_f32 v[18:19], v[6:7], v[246:247], v[4:5] neg_lo:[0,0,1] neg_hi:[0,0,1]
	v_pk_fma_f32 v[4:5], v[6:7], v[246:247], v[4:5] op_sel_hi:[1,0,1]
	v_pk_add_f32 v[2:3], v[2:3], v[20:21]
	v_mov_b32_e32 v4, v249
	v_mov_b32_e32 v19, v5
	v_pk_mul_f32 v[4:5], v[8:9], v[4:5] op_sel:[1,0] op_sel_hi:[0,0]
	v_pk_fma_f32 v[6:7], v[8:9], v[248:249], v[4:5] neg_lo:[0,0,1] neg_hi:[0,0,1]
	v_pk_fma_f32 v[4:5], v[8:9], v[248:249], v[4:5] op_sel_hi:[1,0,1]
	v_pk_add_f32 v[2:3], v[2:3], v[18:19]
	v_mov_b32_e32 v7, v5
	s_waitcnt vmcnt(1) lgkmcnt(1)
	v_pk_mul_f32 v[4:5], v[10:11], v[250:251] op_sel:[1,1] op_sel_hi:[0,1]
	v_pk_add_f32 v[2:3], v[2:3], v[6:7]
	v_pk_fma_f32 v[6:7], v[10:11], v[250:251], v[4:5] neg_lo:[0,0,1] neg_hi:[0,0,1]
	v_pk_fma_f32 v[4:5], v[10:11], v[250:251], v[4:5] op_sel_hi:[1,0,1]
	s_nop 0
	v_mov_b32_e32 v4, v253
	v_mov_b32_e32 v7, v5
	v_pk_mul_f32 v[4:5], v[12:13], v[4:5] op_sel:[1,0] op_sel_hi:[0,0]
	v_pk_add_f32 v[2:3], v[2:3], v[6:7]
	v_pk_fma_f32 v[6:7], v[12:13], v[252:253], v[4:5] neg_lo:[0,0,1] neg_hi:[0,0,1]
	v_pk_fma_f32 v[4:5], v[12:13], v[252:253], v[4:5] op_sel_hi:[1,0,1]
	s_nop 0
	v_mov_b32_e32 v7, v5
	s_waitcnt vmcnt(0) lgkmcnt(0)
	v_pk_mul_f32 v[4:5], v[14:15], v[152:153] op_sel:[1,1] op_sel_hi:[0,1]
	v_pk_add_f32 v[2:3], v[2:3], v[6:7]
	v_pk_fma_f32 v[6:7], v[14:15], v[152:153], v[4:5] neg_lo:[0,0,1] neg_hi:[0,0,1]
	v_pk_fma_f32 v[4:5], v[14:15], v[152:153], v[4:5] op_sel_hi:[1,0,1]
	s_nop 0
	v_mov_b32_e32 v4, v155
	v_mov_b32_e32 v7, v5
	v_pk_mul_f32 v[4:5], v[16:17], v[4:5] op_sel:[1,0] op_sel_hi:[0,0]
	v_pk_add_f32 v[2:3], v[2:3], v[6:7]
	v_pk_fma_f32 v[6:7], v[16:17], v[154:155], v[4:5] neg_lo:[0,0,1] neg_hi:[0,0,1]
	v_pk_fma_f32 v[4:5], v[16:17], v[154:155], v[4:5] op_sel_hi:[1,0,1]
	s_nop 0
	v_mov_b32_e32 v7, v5
	scratch_load_dwordx2 v[4:5], off, off offset:8
	v_pk_add_f32 v[2:3], v[2:3], v[6:7]
	s_waitcnt vmcnt(0)
	v_pk_add_f32 v[2:3], v[4:5], v[2:3] neg_lo:[0,1] neg_hi:[0,1]
	scratch_store_dwordx2 off, v[2:3], off offset:8
	s_and_saveexec_b64 s[0:1], vcc
	s_cbranch_execz .LBB45_289
; %bb.288:
	scratch_load_dwordx2 v[2:3], off, off
	v_mov_b32_e32 v4, 0
	v_mov_b32_e32 v5, v4
	scratch_store_dwordx2 off, v[4:5], off
	s_waitcnt vmcnt(1)
	ds_write_b64 v1, v[2:3]
.LBB45_289:
	s_or_b64 exec, exec, s[0:1]
	s_waitcnt lgkmcnt(0)
	; wave barrier
	scratch_load_dwordx4 v[4:7], off, off offset:8
	scratch_load_dwordx4 v[12:15], off, off offset:24
	;; [unrolled: 1-line block ×10, first 2 shown]
	v_mov_b32_e32 v108, 0
	ds_read2_b64 v[0:3], v108 offset0:47 offset1:48
	scratch_load_dwordx4 v[84:87], off, off offset:168
	scratch_load_dwordx4 v[92:95], off, off offset:184
	;; [unrolled: 1-line block ×9, first 2 shown]
	s_and_b64 vcc, exec, s[18:19]
	s_waitcnt vmcnt(18) lgkmcnt(0)
	v_mul_f32_e32 v8, v0, v5
	v_fmac_f32_e32 v8, v1, v4
	v_mul_f32_e32 v9, v2, v7
	v_add_f32_e32 v8, 0, v8
	v_fmac_f32_e32 v9, v3, v6
	v_add_f32_e32 v16, v8, v9
	ds_read2_b64 v[8:11], v108 offset0:49 offset1:50
	v_mul_f32_e32 v1, v1, v5
	v_fma_f32 v0, v0, v4, -v1
	v_mul_f32_e32 v1, v3, v7
	v_add_f32_e32 v0, 0, v0
	s_waitcnt vmcnt(17) lgkmcnt(0)
	v_mul_f32_e32 v17, v8, v13
	v_fmac_f32_e32 v17, v9, v12
	v_add_f32_e32 v16, v16, v17
	v_mul_f32_e32 v17, v10, v15
	v_fmac_f32_e32 v17, v11, v14
	v_add_f32_e32 v24, v16, v17
	ds_read2_b64 v[16:19], v108 offset0:51 offset1:52
	v_fma_f32 v1, v2, v6, -v1
	v_add_f32_e32 v0, v0, v1
	v_mul_f32_e32 v1, v9, v13
	v_fma_f32 v1, v8, v12, -v1
	s_waitcnt vmcnt(16) lgkmcnt(0)
	v_mul_f32_e32 v25, v16, v21
	v_fmac_f32_e32 v25, v17, v20
	v_add_f32_e32 v24, v24, v25
	v_mul_f32_e32 v25, v18, v23
	v_fmac_f32_e32 v25, v19, v22
	v_add_f32_e32 v32, v24, v25
	ds_read2_b64 v[24:27], v108 offset0:53 offset1:54
	v_add_f32_e32 v0, v0, v1
	v_mul_f32_e32 v1, v11, v15
	v_fma_f32 v1, v10, v14, -v1
	v_add_f32_e32 v0, v0, v1
	s_waitcnt vmcnt(15) lgkmcnt(0)
	v_mul_f32_e32 v33, v24, v29
	v_fmac_f32_e32 v33, v25, v28
	v_add_f32_e32 v32, v32, v33
	v_mul_f32_e32 v33, v26, v31
	v_fmac_f32_e32 v33, v27, v30
	v_add_f32_e32 v40, v32, v33
	ds_read2_b64 v[32:35], v108 offset0:55 offset1:56
	v_mul_f32_e32 v1, v17, v21
	v_fma_f32 v1, v16, v20, -v1
	v_add_f32_e32 v0, v0, v1
	v_mul_f32_e32 v1, v19, v23
	s_waitcnt vmcnt(14) lgkmcnt(0)
	v_mul_f32_e32 v41, v32, v37
	v_fmac_f32_e32 v41, v33, v36
	v_add_f32_e32 v40, v40, v41
	v_mul_f32_e32 v41, v34, v39
	v_fmac_f32_e32 v41, v35, v38
	v_add_f32_e32 v48, v40, v41
	ds_read2_b64 v[40:43], v108 offset0:57 offset1:58
	v_fma_f32 v1, v18, v22, -v1
	v_add_f32_e32 v0, v0, v1
	v_mul_f32_e32 v1, v25, v29
	v_fma_f32 v1, v24, v28, -v1
	s_waitcnt vmcnt(13) lgkmcnt(0)
	v_mul_f32_e32 v49, v40, v45
	v_fmac_f32_e32 v49, v41, v44
	v_add_f32_e32 v48, v48, v49
	v_mul_f32_e32 v49, v42, v47
	v_fmac_f32_e32 v49, v43, v46
	v_add_f32_e32 v56, v48, v49
	ds_read2_b64 v[48:51], v108 offset0:59 offset1:60
	v_add_f32_e32 v0, v0, v1
	v_mul_f32_e32 v1, v27, v31
	v_fma_f32 v1, v26, v30, -v1
	v_add_f32_e32 v0, v0, v1
	s_waitcnt vmcnt(12) lgkmcnt(0)
	v_mul_f32_e32 v57, v48, v53
	v_fmac_f32_e32 v57, v49, v52
	v_add_f32_e32 v56, v56, v57
	v_mul_f32_e32 v57, v50, v55
	v_fmac_f32_e32 v57, v51, v54
	v_add_f32_e32 v64, v56, v57
	ds_read2_b64 v[56:59], v108 offset0:61 offset1:62
	v_mul_f32_e32 v1, v33, v37
	v_fma_f32 v1, v32, v36, -v1
	v_add_f32_e32 v0, v0, v1
	v_mul_f32_e32 v1, v35, v39
	;; [unrolled: 36-line block ×5, first 2 shown]
	s_waitcnt vmcnt(2) lgkmcnt(0)
	v_mul_f32_e32 v138, v130, v135
	v_fmac_f32_e32 v138, v131, v134
	v_add_f32_e32 v109, v109, v138
	v_mul_f32_e32 v138, v132, v137
	v_fmac_f32_e32 v138, v133, v136
	v_add_f32_e32 v109, v109, v138
	ds_read2_b64 v[138:141], v108 offset0:81 offset1:82
	v_fma_f32 v1, v82, v86, -v1
	v_add_f32_e32 v0, v0, v1
	v_mul_f32_e32 v1, v89, v93
	v_fma_f32 v1, v88, v92, -v1
	s_waitcnt vmcnt(1) lgkmcnt(0)
	v_mul_f32_e32 v146, v138, v143
	v_fmac_f32_e32 v146, v139, v142
	v_add_f32_e32 v159, v109, v146
	ds_read2_b64 v[146:149], v108 offset0:83 offset1:84
	scratch_load_dwordx4 v[246:249], off, off offset:312
	scratch_load_dwordx4 v[250:253], off, off offset:328
	;; [unrolled: 1-line block ×3, first 2 shown]
	scratch_load_dwordx2 v[162:163], off, off offset:360
	v_add_f32_e32 v0, v0, v1
	v_mul_f32_e32 v1, v91, v95
	v_fma_f32 v1, v90, v94, -v1
	v_add_f32_e32 v0, v0, v1
	v_mul_f32_e32 v1, v97, v101
	v_fma_f32 v1, v96, v100, -v1
	;; [unrolled: 3-line block ×12, first 2 shown]
	v_add_f32_e32 v158, v0, v1
	v_mul_f32_e32 v0, v141, v145
	v_mul_f32_e32 v255, v140, v145
	v_fma_f32 v254, v140, v144, -v0
	s_waitcnt vmcnt(4) lgkmcnt(0)
	v_mul_f32_e32 v0, v147, v151
	v_mov_b32_e32 v16, v153
	v_fmac_f32_e32 v255, v141, v144
	v_mul_f32_e32 v161, v146, v151
	v_fma_f32 v160, v146, v150, -v0
	ds_read2_b64 v[0:3], v108 offset0:85 offset1:86
	ds_read2_b64 v[4:7], v108 offset0:87 offset1:88
	;; [unrolled: 1-line block ×3, first 2 shown]
	ds_read_b64 v[12:13], v108 offset:728
	v_pk_mul_f32 v[16:17], v[148:149], v[16:17] op_sel:[1,0] op_sel_hi:[0,0]
	v_fmac_f32_e32 v161, v147, v150
	v_pk_add_f32 v[14:15], v[158:159], v[254:255]
	v_pk_fma_f32 v[18:19], v[148:149], v[152:153], v[16:17] neg_lo:[0,0,1] neg_hi:[0,0,1]
	v_pk_fma_f32 v[16:17], v[148:149], v[152:153], v[16:17] op_sel_hi:[1,0,1]
	v_pk_add_f32 v[14:15], v[14:15], v[160:161]
	v_mov_b32_e32 v19, v17
	v_pk_add_f32 v[14:15], v[14:15], v[18:19]
	s_waitcnt vmcnt(3) lgkmcnt(3)
	v_pk_mul_f32 v[16:17], v[0:1], v[246:247] op_sel:[1,1] op_sel_hi:[0,1]
	v_pk_fma_f32 v[18:19], v[0:1], v[246:247], v[16:17] neg_lo:[0,0,1] neg_hi:[0,0,1]
	v_pk_fma_f32 v[0:1], v[0:1], v[246:247], v[16:17] op_sel_hi:[1,0,1]
	s_nop 0
	v_mov_b32_e32 v19, v1
	v_pk_add_f32 v[0:1], v[14:15], v[18:19]
	v_mov_b32_e32 v14, v249
	v_pk_mul_f32 v[14:15], v[2:3], v[14:15] op_sel:[1,0] op_sel_hi:[0,0]
	v_pk_fma_f32 v[16:17], v[2:3], v[248:249], v[14:15] neg_lo:[0,0,1] neg_hi:[0,0,1]
	v_pk_fma_f32 v[2:3], v[2:3], v[248:249], v[14:15] op_sel_hi:[1,0,1]
	s_nop 0
	v_mov_b32_e32 v17, v3
	s_waitcnt vmcnt(2) lgkmcnt(2)
	v_pk_mul_f32 v[2:3], v[4:5], v[250:251] op_sel:[1,1] op_sel_hi:[0,1]
	v_pk_fma_f32 v[14:15], v[4:5], v[250:251], v[2:3] neg_lo:[0,0,1] neg_hi:[0,0,1]
	v_pk_fma_f32 v[2:3], v[4:5], v[250:251], v[2:3] op_sel_hi:[1,0,1]
	v_pk_add_f32 v[0:1], v[0:1], v[16:17]
	v_mov_b32_e32 v2, v253
	v_mov_b32_e32 v15, v3
	v_pk_mul_f32 v[2:3], v[6:7], v[2:3] op_sel:[1,0] op_sel_hi:[0,0]
	v_pk_fma_f32 v[4:5], v[6:7], v[252:253], v[2:3] neg_lo:[0,0,1] neg_hi:[0,0,1]
	v_pk_fma_f32 v[2:3], v[6:7], v[252:253], v[2:3] op_sel_hi:[1,0,1]
	v_pk_add_f32 v[0:1], v[0:1], v[14:15]
	v_mov_b32_e32 v5, v3
	s_waitcnt vmcnt(1) lgkmcnt(1)
	v_pk_mul_f32 v[2:3], v[8:9], v[154:155] op_sel:[1,1] op_sel_hi:[0,1]
	v_pk_add_f32 v[0:1], v[0:1], v[4:5]
	v_pk_fma_f32 v[4:5], v[8:9], v[154:155], v[2:3] neg_lo:[0,0,1] neg_hi:[0,0,1]
	v_pk_fma_f32 v[2:3], v[8:9], v[154:155], v[2:3] op_sel_hi:[1,0,1]
	s_nop 0
	v_mov_b32_e32 v2, v157
	v_mov_b32_e32 v5, v3
	v_pk_mul_f32 v[2:3], v[10:11], v[2:3] op_sel:[1,0] op_sel_hi:[0,0]
	v_pk_add_f32 v[0:1], v[0:1], v[4:5]
	v_pk_fma_f32 v[4:5], v[10:11], v[156:157], v[2:3] neg_lo:[0,0,1] neg_hi:[0,0,1]
	v_pk_fma_f32 v[2:3], v[10:11], v[156:157], v[2:3] op_sel_hi:[1,0,1]
	s_nop 0
	v_mov_b32_e32 v5, v3
	s_waitcnt vmcnt(0) lgkmcnt(0)
	v_pk_mul_f32 v[2:3], v[12:13], v[162:163] op_sel:[1,1] op_sel_hi:[0,1]
	v_pk_add_f32 v[0:1], v[0:1], v[4:5]
	v_pk_fma_f32 v[4:5], v[12:13], v[162:163], v[2:3] neg_lo:[0,0,1] neg_hi:[0,0,1]
	v_pk_fma_f32 v[2:3], v[12:13], v[162:163], v[2:3] op_sel_hi:[1,0,1]
	s_nop 0
	v_mov_b32_e32 v5, v3
	scratch_load_dwordx2 v[2:3], off, off
	v_pk_add_f32 v[0:1], v[0:1], v[4:5]
	s_waitcnt vmcnt(0)
	v_pk_add_f32 v[0:1], v[2:3], v[0:1] neg_lo:[0,1] neg_hi:[0,1]
	scratch_store_dwordx2 off, v[0:1], off
	s_cbranch_vccz .LBB45_380
; %bb.290:
	global_load_dword v0, v108, s[16:17] offset:176
	s_waitcnt vmcnt(0)
	v_readfirstlane_b32 s0, v0
	s_add_i32 s0, s0, -1
	s_cmp_lg_u32 s0, 44
	s_cbranch_scc0 .LBB45_292
; %bb.291:
	s_lshl_b32 s0, s0, 3
	s_nop 0
	scratch_load_dwordx2 v[0:1], off, s0
	scratch_load_dwordx2 v[2:3], off, off offset:352
	s_waitcnt vmcnt(1)
	scratch_store_dwordx2 off, v[0:1], off offset:352
	s_waitcnt vmcnt(1)
	scratch_store_dwordx2 off, v[2:3], s0
.LBB45_292:
	v_mov_b32_e32 v0, 0
	global_load_dword v1, v0, s[16:17] offset:172
	s_waitcnt vmcnt(0)
	v_readfirstlane_b32 s0, v1
	s_add_i32 s0, s0, -1
	s_cmp_eq_u32 s0, 43
	s_cbranch_scc1 .LBB45_294
; %bb.293:
	s_lshl_b32 s0, s0, 3
	s_nop 0
	scratch_load_dwordx2 v[2:3], off, s0
	scratch_load_dwordx2 v[4:5], off, off offset:344
	s_waitcnt vmcnt(1)
	scratch_store_dwordx2 off, v[2:3], off offset:344
	s_waitcnt vmcnt(1)
	scratch_store_dwordx2 off, v[4:5], s0
.LBB45_294:
	global_load_dword v0, v0, s[16:17] offset:168
	s_waitcnt vmcnt(0)
	v_readfirstlane_b32 s0, v0
	s_add_i32 s0, s0, -1
	s_cmp_eq_u32 s0, 42
	s_cbranch_scc1 .LBB45_296
; %bb.295:
	s_lshl_b32 s0, s0, 3
	s_nop 0
	scratch_load_dwordx2 v[0:1], off, s0
	scratch_load_dwordx2 v[2:3], off, off offset:336
	s_waitcnt vmcnt(1)
	scratch_store_dwordx2 off, v[0:1], off offset:336
	s_waitcnt vmcnt(1)
	scratch_store_dwordx2 off, v[2:3], s0
.LBB45_296:
	v_mov_b32_e32 v0, 0
	global_load_dword v1, v0, s[16:17] offset:164
	s_waitcnt vmcnt(0)
	v_readfirstlane_b32 s0, v1
	s_add_i32 s0, s0, -1
	s_cmp_eq_u32 s0, 41
	s_cbranch_scc1 .LBB45_298
; %bb.297:
	s_lshl_b32 s0, s0, 3
	s_nop 0
	scratch_load_dwordx2 v[2:3], off, s0
	scratch_load_dwordx2 v[4:5], off, off offset:328
	s_waitcnt vmcnt(1)
	scratch_store_dwordx2 off, v[2:3], off offset:328
	s_waitcnt vmcnt(1)
	scratch_store_dwordx2 off, v[4:5], s0
.LBB45_298:
	global_load_dword v0, v0, s[16:17] offset:160
	s_waitcnt vmcnt(0)
	v_readfirstlane_b32 s0, v0
	s_add_i32 s0, s0, -1
	s_cmp_eq_u32 s0, 40
	s_cbranch_scc1 .LBB45_300
; %bb.299:
	s_lshl_b32 s0, s0, 3
	s_nop 0
	scratch_load_dwordx2 v[0:1], off, s0
	scratch_load_dwordx2 v[2:3], off, off offset:320
	s_waitcnt vmcnt(1)
	scratch_store_dwordx2 off, v[0:1], off offset:320
	s_waitcnt vmcnt(1)
	scratch_store_dwordx2 off, v[2:3], s0
.LBB45_300:
	;; [unrolled: 33-line block ×21, first 2 shown]
	v_mov_b32_e32 v0, 0
	global_load_dword v1, v0, s[16:17] offset:4
	s_waitcnt vmcnt(0)
	v_readfirstlane_b32 s0, v1
	s_add_i32 s0, s0, -1
	s_cmp_eq_u32 s0, 1
	s_cbranch_scc1 .LBB45_378
; %bb.377:
	s_lshl_b32 s0, s0, 3
	s_nop 0
	scratch_load_dwordx2 v[2:3], off, s0
	scratch_load_dwordx2 v[4:5], off, off offset:8
	s_waitcnt vmcnt(1)
	scratch_store_dwordx2 off, v[2:3], off offset:8
	s_waitcnt vmcnt(1)
	scratch_store_dwordx2 off, v[4:5], s0
.LBB45_378:
	global_load_dword v2, v0, s[16:17]
	s_nop 0
	scratch_load_dwordx2 v[0:1], off, off
	s_waitcnt vmcnt(1)
	v_readfirstlane_b32 s0, v2
	s_add_i32 s0, s0, -1
	s_cmp_eq_u32 s0, 0
	s_cbranch_scc1 .LBB45_380
; %bb.379:
	s_lshl_b32 s0, s0, 3
	s_nop 0
	scratch_load_dwordx2 v[2:3], off, s0
	s_waitcnt vmcnt(0)
	scratch_store_dwordx2 off, v[2:3], off
	scratch_store_dwordx2 off, v[0:1], s0
	scratch_load_dwordx2 v[0:1], off, off
.LBB45_380:
	s_nop 0
	scratch_load_dwordx4 v[4:7], off, off offset:8
	scratch_load_dwordx4 v[8:11], off, off offset:24
	;; [unrolled: 1-line block ×22, first 2 shown]
	scratch_load_dwordx2 v[2:3], off, off offset:360
	v_accvgpr_read_b32 v93, a1
	v_accvgpr_read_b32 v92, a0
	s_waitcnt vmcnt(23)
	global_store_dwordx2 v[92:93], v[0:1], off
	v_accvgpr_read_b32 v0, a2
	v_accvgpr_read_b32 v1, a3
	s_waitcnt vmcnt(23)
	global_store_dwordx2 v[0:1], v[4:5], off
	v_accvgpr_read_b32 v0, a4
	v_accvgpr_read_b32 v1, a5
	global_store_dwordx2 v[0:1], v[6:7], off
	v_accvgpr_read_b32 v0, a6
	v_accvgpr_read_b32 v1, a7
	s_waitcnt vmcnt(24)
	global_store_dwordx2 v[0:1], v[8:9], off
	v_accvgpr_read_b32 v0, a8
	v_accvgpr_read_b32 v1, a9
	global_store_dwordx2 v[0:1], v[10:11], off
	s_waitcnt vmcnt(25)
	global_store_dwordx2 v[164:165], v[12:13], off
	global_store_dwordx2 v[166:167], v[14:15], off
	s_waitcnt vmcnt(26)
	global_store_dwordx2 v[168:169], v[16:17], off
	;; [unrolled: 3-line block ×21, first 2 shown]
	s_endpgm
	.section	.rodata,"a",@progbits
	.p2align	6, 0x0
	.amdhsa_kernel _ZN9rocsolver6v33100L18getri_kernel_smallILi46E19rocblas_complex_numIfEPS3_EEvT1_iilPiilS6_bb
		.amdhsa_group_segment_fixed_size 740
		.amdhsa_private_segment_fixed_size 384
		.amdhsa_kernarg_size 60
		.amdhsa_user_sgpr_count 2
		.amdhsa_user_sgpr_dispatch_ptr 0
		.amdhsa_user_sgpr_queue_ptr 0
		.amdhsa_user_sgpr_kernarg_segment_ptr 1
		.amdhsa_user_sgpr_dispatch_id 0
		.amdhsa_user_sgpr_kernarg_preload_length 0
		.amdhsa_user_sgpr_kernarg_preload_offset 0
		.amdhsa_user_sgpr_private_segment_size 0
		.amdhsa_uses_dynamic_stack 0
		.amdhsa_enable_private_segment 1
		.amdhsa_system_sgpr_workgroup_id_x 1
		.amdhsa_system_sgpr_workgroup_id_y 0
		.amdhsa_system_sgpr_workgroup_id_z 0
		.amdhsa_system_sgpr_workgroup_info 0
		.amdhsa_system_vgpr_workitem_id 0
		.amdhsa_next_free_vgpr 266
		.amdhsa_next_free_sgpr 20
		.amdhsa_accum_offset 256
		.amdhsa_reserve_vcc 1
		.amdhsa_float_round_mode_32 0
		.amdhsa_float_round_mode_16_64 0
		.amdhsa_float_denorm_mode_32 3
		.amdhsa_float_denorm_mode_16_64 3
		.amdhsa_dx10_clamp 1
		.amdhsa_ieee_mode 1
		.amdhsa_fp16_overflow 0
		.amdhsa_tg_split 0
		.amdhsa_exception_fp_ieee_invalid_op 0
		.amdhsa_exception_fp_denorm_src 0
		.amdhsa_exception_fp_ieee_div_zero 0
		.amdhsa_exception_fp_ieee_overflow 0
		.amdhsa_exception_fp_ieee_underflow 0
		.amdhsa_exception_fp_ieee_inexact 0
		.amdhsa_exception_int_div_zero 0
	.end_amdhsa_kernel
	.section	.text._ZN9rocsolver6v33100L18getri_kernel_smallILi46E19rocblas_complex_numIfEPS3_EEvT1_iilPiilS6_bb,"axG",@progbits,_ZN9rocsolver6v33100L18getri_kernel_smallILi46E19rocblas_complex_numIfEPS3_EEvT1_iilPiilS6_bb,comdat
.Lfunc_end45:
	.size	_ZN9rocsolver6v33100L18getri_kernel_smallILi46E19rocblas_complex_numIfEPS3_EEvT1_iilPiilS6_bb, .Lfunc_end45-_ZN9rocsolver6v33100L18getri_kernel_smallILi46E19rocblas_complex_numIfEPS3_EEvT1_iilPiilS6_bb
                                        ; -- End function
	.set _ZN9rocsolver6v33100L18getri_kernel_smallILi46E19rocblas_complex_numIfEPS3_EEvT1_iilPiilS6_bb.num_vgpr, 256
	.set _ZN9rocsolver6v33100L18getri_kernel_smallILi46E19rocblas_complex_numIfEPS3_EEvT1_iilPiilS6_bb.num_agpr, 10
	.set _ZN9rocsolver6v33100L18getri_kernel_smallILi46E19rocblas_complex_numIfEPS3_EEvT1_iilPiilS6_bb.numbered_sgpr, 20
	.set _ZN9rocsolver6v33100L18getri_kernel_smallILi46E19rocblas_complex_numIfEPS3_EEvT1_iilPiilS6_bb.num_named_barrier, 0
	.set _ZN9rocsolver6v33100L18getri_kernel_smallILi46E19rocblas_complex_numIfEPS3_EEvT1_iilPiilS6_bb.private_seg_size, 384
	.set _ZN9rocsolver6v33100L18getri_kernel_smallILi46E19rocblas_complex_numIfEPS3_EEvT1_iilPiilS6_bb.uses_vcc, 1
	.set _ZN9rocsolver6v33100L18getri_kernel_smallILi46E19rocblas_complex_numIfEPS3_EEvT1_iilPiilS6_bb.uses_flat_scratch, 0
	.set _ZN9rocsolver6v33100L18getri_kernel_smallILi46E19rocblas_complex_numIfEPS3_EEvT1_iilPiilS6_bb.has_dyn_sized_stack, 0
	.set _ZN9rocsolver6v33100L18getri_kernel_smallILi46E19rocblas_complex_numIfEPS3_EEvT1_iilPiilS6_bb.has_recursion, 0
	.set _ZN9rocsolver6v33100L18getri_kernel_smallILi46E19rocblas_complex_numIfEPS3_EEvT1_iilPiilS6_bb.has_indirect_call, 0
	.section	.AMDGPU.csdata,"",@progbits
; Kernel info:
; codeLenInByte = 63596
; TotalNumSgprs: 26
; NumVgprs: 256
; NumAgprs: 10
; TotalNumVgprs: 266
; ScratchSize: 384
; MemoryBound: 0
; FloatMode: 240
; IeeeMode: 1
; LDSByteSize: 740 bytes/workgroup (compile time only)
; SGPRBlocks: 3
; VGPRBlocks: 33
; NumSGPRsForWavesPerEU: 26
; NumVGPRsForWavesPerEU: 266
; AccumOffset: 256
; Occupancy: 1
; WaveLimiterHint : 1
; COMPUTE_PGM_RSRC2:SCRATCH_EN: 1
; COMPUTE_PGM_RSRC2:USER_SGPR: 2
; COMPUTE_PGM_RSRC2:TRAP_HANDLER: 0
; COMPUTE_PGM_RSRC2:TGID_X_EN: 1
; COMPUTE_PGM_RSRC2:TGID_Y_EN: 0
; COMPUTE_PGM_RSRC2:TGID_Z_EN: 0
; COMPUTE_PGM_RSRC2:TIDIG_COMP_CNT: 0
; COMPUTE_PGM_RSRC3_GFX90A:ACCUM_OFFSET: 63
; COMPUTE_PGM_RSRC3_GFX90A:TG_SPLIT: 0
	.section	.text._ZN9rocsolver6v33100L18getri_kernel_smallILi47E19rocblas_complex_numIfEPS3_EEvT1_iilPiilS6_bb,"axG",@progbits,_ZN9rocsolver6v33100L18getri_kernel_smallILi47E19rocblas_complex_numIfEPS3_EEvT1_iilPiilS6_bb,comdat
	.globl	_ZN9rocsolver6v33100L18getri_kernel_smallILi47E19rocblas_complex_numIfEPS3_EEvT1_iilPiilS6_bb ; -- Begin function _ZN9rocsolver6v33100L18getri_kernel_smallILi47E19rocblas_complex_numIfEPS3_EEvT1_iilPiilS6_bb
	.p2align	8
	.type	_ZN9rocsolver6v33100L18getri_kernel_smallILi47E19rocblas_complex_numIfEPS3_EEvT1_iilPiilS6_bb,@function
_ZN9rocsolver6v33100L18getri_kernel_smallILi47E19rocblas_complex_numIfEPS3_EEvT1_iilPiilS6_bb: ; @_ZN9rocsolver6v33100L18getri_kernel_smallILi47E19rocblas_complex_numIfEPS3_EEvT1_iilPiilS6_bb
; %bb.0:
	v_cmp_gt_u32_e32 vcc, 47, v0
	s_and_saveexec_b64 s[4:5], vcc
	s_cbranch_execz .LBB46_202
; %bb.1:
	s_load_dword s8, s[0:1], 0x38
	s_load_dwordx4 s[12:15], s[0:1], 0x10
	s_load_dwordx4 s[4:7], s[0:1], 0x28
                                        ; implicit-def: $sgpr16_sgpr17
	s_waitcnt lgkmcnt(0)
	s_bitcmp1_b32 s8, 8
	s_cselect_b64 s[18:19], -1, 0
	s_ashr_i32 s3, s2, 31
	s_bfe_u32 s8, s8, 0x10008
	s_cmp_eq_u32 s8, 0
	s_cbranch_scc1 .LBB46_3
; %bb.2:
	s_load_dword s8, s[0:1], 0x20
	s_mul_i32 s9, s4, s3
	s_mul_hi_u32 s10, s4, s2
	s_mul_i32 s5, s5, s2
	s_add_i32 s10, s10, s9
	s_add_i32 s5, s10, s5
	s_mul_i32 s4, s4, s2
	s_waitcnt lgkmcnt(0)
	s_ashr_i32 s9, s8, 31
	s_lshl_b64 s[4:5], s[4:5], 2
	s_add_u32 s10, s14, s4
	s_addc_u32 s11, s15, s5
	s_lshl_b64 s[4:5], s[8:9], 2
	s_add_u32 s16, s10, s4
	s_addc_u32 s17, s11, s5
.LBB46_3:
	s_load_dwordx4 s[8:11], s[0:1], 0x0
	s_load_dword s4, s[0:1], 0x38
	s_mul_i32 s5, s12, s3
	s_mul_hi_u32 s14, s12, s2
	s_add_i32 s5, s14, s5
	s_waitcnt lgkmcnt(0)
	s_ashr_i32 s1, s10, 31
	s_mov_b32 s0, s10
	s_mul_i32 s10, s13, s2
	s_add_i32 s13, s5, s10
	s_mul_i32 s12, s12, s2
	s_lshl_b64 s[12:13], s[12:13], 3
	s_add_u32 s5, s8, s12
	s_addc_u32 s8, s9, s13
	s_lshl_b64 s[0:1], s[0:1], 3
	s_add_u32 s0, s5, s0
	s_addc_u32 s1, s8, s1
	v_lshlrev_b32_e32 v2, 3, v0
	v_mov_b32_e32 v3, 0
	v_lshl_add_u64 v[6:7], s[0:1], 0, v[2:3]
	s_ashr_i32 s9, s11, 31
	s_mov_b32 s8, s11
	v_accvgpr_write_b32 a0, v6
	s_add_i32 s5, s11, s11
	v_accvgpr_write_b32 a1, v7
	v_lshl_add_u64 v[8:9], s[8:9], 3, v[6:7]
	v_add_u32_e32 v6, s5, v0
	v_ashrrev_i32_e32 v7, 31, v6
	v_lshl_add_u64 v[10:11], v[6:7], 3, s[0:1]
	v_add_u32_e32 v6, s11, v6
	v_add_u32_e32 v14, s11, v6
	v_ashrrev_i32_e32 v15, 31, v14
	v_lshl_add_u64 v[16:17], v[14:15], 3, s[0:1]
	v_add_u32_e32 v14, s11, v14
	v_ashrrev_i32_e32 v15, 31, v14
	v_ashrrev_i32_e32 v7, 31, v6
	v_lshl_add_u64 v[18:19], v[14:15], 3, s[0:1]
	v_add_u32_e32 v14, s11, v14
	v_lshl_add_u64 v[12:13], v[6:7], 3, s[0:1]
	v_ashrrev_i32_e32 v15, 31, v14
	v_accvgpr_write_b32 a2, v8
	v_accvgpr_write_b32 a4, v10
	;; [unrolled: 1-line block ×4, first 2 shown]
	v_lshl_add_u64 v[20:21], v[14:15], 3, s[0:1]
	v_add_u32_e32 v14, s11, v14
	global_load_dwordx2 v[4:5], v2, s[0:1]
	global_load_dwordx2 v[6:7], v[8:9], off
	v_accvgpr_write_b32 a3, v9
	v_accvgpr_write_b32 a5, v11
	global_load_dwordx2 v[8:9], v[10:11], off
	v_accvgpr_write_b32 a7, v13
	global_load_dwordx2 v[10:11], v[12:13], off
	;; [unrolled: 2-line block ×3, first 2 shown]
	v_add_u32_e32 v16, s11, v14
	v_ashrrev_i32_e32 v17, 31, v16
	v_lshl_add_u64 v[170:171], v[16:17], 3, s[0:1]
	v_add_u32_e32 v16, s11, v16
	v_ashrrev_i32_e32 v17, 31, v16
	v_lshl_add_u64 v[172:173], v[16:17], 3, s[0:1]
	;; [unrolled: 3-line block ×38, first 2 shown]
	v_add_u32_e32 v16, s11, v16
	v_ashrrev_i32_e32 v15, 31, v14
	v_accvgpr_write_b32 a10, v18
	v_accvgpr_write_b32 a12, v20
	v_ashrrev_i32_e32 v17, 31, v16
	v_lshl_add_u64 v[168:169], v[14:15], 3, s[0:1]
	v_accvgpr_write_b32 a11, v19
	global_load_dwordx2 v[14:15], v[18:19], off
	v_accvgpr_write_b32 a13, v21
	global_load_dwordx2 v[18:19], v[20:21], off
	s_nop 0
	global_load_dwordx2 v[20:21], v[168:169], off
	global_load_dwordx2 v[22:23], v[170:171], off
	;; [unrolled: 1-line block ×38, first 2 shown]
	v_lshl_add_u64 v[246:247], v[16:17], 3, s[0:1]
	global_load_dwordx2 v[96:97], v[244:245], off
	global_load_dwordx2 v[16:17], v[246:247], off
	s_bitcmp0_b32 s4, 0
	s_mov_b64 s[4:5], -1
	s_waitcnt vmcnt(45)
	scratch_store_dwordx4 off, v[4:7], off
	s_waitcnt vmcnt(44)
	scratch_store_dwordx4 off, v[8:11], off offset:16
	s_waitcnt vmcnt(43)
	scratch_store_dwordx4 off, v[12:15], off offset:32
	;; [unrolled: 2-line block ×22, first 2 shown]
	s_waitcnt vmcnt(23)
	scratch_store_dwordx2 off, v[16:17], off offset:368
	s_cbranch_scc1 .LBB46_200
; %bb.4:
	v_cmp_eq_u32_e64 s[0:1], 0, v0
	s_and_saveexec_b64 s[4:5], s[0:1]
; %bb.5:
	v_mov_b32_e32 v1, 0
	ds_write_b32 v1, v1 offset:376
; %bb.6:
	s_or_b64 exec, exec, s[4:5]
	s_waitcnt lgkmcnt(0)
	; wave barrier
	scratch_load_dwordx2 v[4:5], v2, off
	s_waitcnt vmcnt(0)
	v_cmp_eq_f32_e32 vcc, 0, v4
	v_cmp_eq_f32_e64 s[4:5], 0, v5
	s_and_b64 s[4:5], vcc, s[4:5]
	s_and_saveexec_b64 s[8:9], s[4:5]
	s_cbranch_execz .LBB46_10
; %bb.7:
	v_mov_b32_e32 v1, 0
	ds_read_b32 v4, v1 offset:376
	v_add_u32_e32 v3, 1, v0
	s_waitcnt lgkmcnt(0)
	v_readfirstlane_b32 s4, v4
	s_cmp_eq_u32 s4, 0
	s_cselect_b64 s[10:11], -1, 0
	v_cmp_gt_i32_e32 vcc, s4, v3
	s_or_b64 s[10:11], s[10:11], vcc
	s_and_b64 exec, exec, s[10:11]
	s_cbranch_execz .LBB46_10
; %bb.8:
	s_mov_b64 s[10:11], 0
	v_mov_b32_e32 v4, s4
.LBB46_9:                               ; =>This Inner Loop Header: Depth=1
	ds_cmpst_rtn_b32 v4, v1, v4, v3 offset:376
	s_waitcnt lgkmcnt(0)
	v_cmp_ne_u32_e32 vcc, 0, v4
	v_cmp_le_i32_e64 s[4:5], v4, v3
	s_and_b64 s[4:5], vcc, s[4:5]
	s_and_b64 s[4:5], exec, s[4:5]
	s_or_b64 s[10:11], s[4:5], s[10:11]
	s_andn2_b64 exec, exec, s[10:11]
	s_cbranch_execnz .LBB46_9
.LBB46_10:
	s_or_b64 exec, exec, s[8:9]
	v_mov_b32_e32 v3, 0
	; wave barrier
	ds_read_b32 v1, v3 offset:376
	s_and_saveexec_b64 s[4:5], s[0:1]
	s_cbranch_execz .LBB46_12
; %bb.11:
	s_lshl_b64 s[8:9], s[2:3], 2
	s_add_u32 s8, s6, s8
	s_addc_u32 s9, s7, s9
	s_waitcnt lgkmcnt(0)
	global_store_dword v3, v1, s[8:9]
.LBB46_12:
	s_or_b64 exec, exec, s[4:5]
	s_waitcnt lgkmcnt(0)
	v_cmp_ne_u32_e32 vcc, 0, v1
	s_mov_b64 s[4:5], 0
	s_cbranch_vccnz .LBB46_200
; %bb.13:
	v_mov_b32_e32 v3, v2
	scratch_load_dwordx2 v[4:5], v3, off
                                        ; implicit-def: $vgpr7
                                        ; implicit-def: $vgpr8
	s_waitcnt vmcnt(0)
	v_cmp_ngt_f32_e64 s[4:5], |v4|, |v5|
	s_and_saveexec_b64 s[8:9], s[4:5]
	s_xor_b64 s[4:5], exec, s[8:9]
	s_cbranch_execz .LBB46_15
; %bb.14:
	v_div_scale_f32 v1, s[8:9], v5, v5, v4
	v_rcp_f32_e32 v6, v1
	v_div_scale_f32 v7, vcc, v4, v5, v4
	v_fma_f32 v8, -v1, v6, 1.0
	v_fmac_f32_e32 v6, v8, v6
	v_mul_f32_e32 v8, v7, v6
	v_fma_f32 v9, -v1, v8, v7
	v_fmac_f32_e32 v8, v9, v6
	v_fma_f32 v1, -v1, v8, v7
	v_div_fmas_f32 v1, v1, v6, v8
	v_div_fixup_f32 v1, v1, v5, v4
	v_fmac_f32_e32 v5, v4, v1
	v_div_scale_f32 v4, s[8:9], v5, v5, -1.0
	v_rcp_f32_e32 v6, v4
	s_nop 0
	v_fma_f32 v7, -v4, v6, 1.0
	v_fmac_f32_e32 v6, v7, v6
	v_div_scale_f32 v7, vcc, -1.0, v5, -1.0
	v_mul_f32_e32 v8, v7, v6
	v_fma_f32 v9, -v4, v8, v7
	v_fmac_f32_e32 v8, v9, v6
	v_fma_f32 v4, -v4, v8, v7
	v_div_fmas_f32 v4, v4, v6, v8
	v_div_fixup_f32 v7, v4, v5, -1.0
	v_mul_f32_e32 v8, v1, v7
	v_xor_b32_e32 v6, 0x80000000, v8
                                        ; implicit-def: $vgpr4_vgpr5
.LBB46_15:
	s_andn2_saveexec_b64 s[4:5], s[4:5]
	s_cbranch_execz .LBB46_17
; %bb.16:
	v_div_scale_f32 v1, s[8:9], v4, v4, v5
	v_rcp_f32_e32 v6, v1
	v_div_scale_f32 v7, vcc, v5, v4, v5
	v_fma_f32 v8, -v1, v6, 1.0
	v_fmac_f32_e32 v6, v8, v6
	v_mul_f32_e32 v8, v7, v6
	v_fma_f32 v9, -v1, v8, v7
	v_fmac_f32_e32 v8, v9, v6
	v_fma_f32 v1, -v1, v8, v7
	v_div_fmas_f32 v1, v1, v6, v8
	v_div_fixup_f32 v1, v1, v4, v5
	v_fmac_f32_e32 v4, v5, v1
	v_div_scale_f32 v5, s[8:9], v4, v4, 1.0
	v_rcp_f32_e32 v6, v5
	s_nop 0
	v_fma_f32 v7, -v5, v6, 1.0
	v_fmac_f32_e32 v6, v7, v6
	v_div_scale_f32 v7, vcc, 1.0, v4, 1.0
	v_mul_f32_e32 v8, v7, v6
	v_fma_f32 v9, -v5, v8, v7
	v_fmac_f32_e32 v8, v9, v6
	v_fma_f32 v5, -v5, v8, v7
	v_div_fmas_f32 v5, v5, v6, v8
	v_div_fixup_f32 v6, v5, v4, 1.0
	v_xor_b32_e32 v8, 0x80000000, v6
	v_mul_f32_e64 v7, v1, -v6
.LBB46_17:
	s_or_b64 exec, exec, s[4:5]
	scratch_store_dwordx2 v3, v[6:7], off
	scratch_load_dwordx2 v[4:5], off, off offset:8
	v_xor_b32_e32 v9, 0x80000000, v7
	v_add_u32_e32 v1, 0x180, v2
	s_waitcnt vmcnt(0)
	ds_write2_b64 v2, v[8:9], v[4:5] offset1:48
	s_waitcnt lgkmcnt(0)
	; wave barrier
	s_and_saveexec_b64 s[4:5], s[0:1]
	s_cbranch_execz .LBB46_19
; %bb.18:
	scratch_load_dwordx2 v[4:5], v3, off
	ds_read_b64 v[6:7], v1
	v_mov_b32_e32 v8, 0
	ds_read_b64 v[8:9], v8 offset:8
	s_waitcnt vmcnt(0) lgkmcnt(1)
	v_pk_mul_f32 v[10:11], v[6:7], v[4:5] op_sel:[1,1] op_sel_hi:[0,1]
	v_pk_fma_f32 v[12:13], v[6:7], v[4:5], v[10:11] neg_lo:[0,0,1] neg_hi:[0,0,1]
	v_pk_fma_f32 v[4:5], v[6:7], v[4:5], v[10:11] op_sel_hi:[1,0,1]
	s_nop 0
	v_mov_b32_e32 v13, v5
	v_pk_add_f32 v[4:5], v[12:13], 0 op_sel_hi:[1,0]
	s_waitcnt lgkmcnt(0)
	v_pk_mul_f32 v[6:7], v[4:5], v[8:9] op_sel:[1,1] op_sel_hi:[0,1]
	v_pk_fma_f32 v[10:11], v[4:5], v[8:9], v[6:7] neg_lo:[0,0,1] neg_hi:[0,0,1]
	v_pk_fma_f32 v[4:5], v[4:5], v[8:9], v[6:7] op_sel_hi:[1,0,1]
	s_nop 0
	v_mov_b32_e32 v11, v5
	scratch_store_dwordx2 off, v[10:11], off offset:8
.LBB46_19:
	s_or_b64 exec, exec, s[4:5]
	; wave barrier
	scratch_load_dwordx2 v[4:5], off, off offset:16
	v_cmp_gt_u32_e32 vcc, 2, v0
	s_waitcnt vmcnt(0)
	ds_write_b64 v1, v[4:5]
	s_waitcnt lgkmcnt(0)
	; wave barrier
	s_and_saveexec_b64 s[4:5], vcc
	s_cbranch_execz .LBB46_23
; %bb.20:
	scratch_load_dwordx2 v[4:5], v3, off
	ds_read_b64 v[6:7], v1
	s_waitcnt vmcnt(0) lgkmcnt(0)
	v_pk_mul_f32 v[8:9], v[6:7], v[4:5] op_sel:[1,1] op_sel_hi:[0,1]
	v_pk_fma_f32 v[10:11], v[6:7], v[4:5], v[8:9] neg_lo:[0,0,1] neg_hi:[0,0,1]
	v_pk_fma_f32 v[4:5], v[6:7], v[4:5], v[8:9] op_sel_hi:[1,0,1]
	s_nop 0
	v_mov_b32_e32 v11, v5
	v_pk_add_f32 v[4:5], v[10:11], 0 op_sel_hi:[1,0]
	s_and_saveexec_b64 s[8:9], s[0:1]
	s_cbranch_execz .LBB46_22
; %bb.21:
	scratch_load_dwordx2 v[6:7], off, off offset:8
	v_mov_b32_e32 v3, 0
	ds_read_b64 v[8:9], v3 offset:392
	s_waitcnt vmcnt(0) lgkmcnt(0)
	v_pk_mul_f32 v[10:11], v[8:9], v[6:7] op_sel:[1,1] op_sel_hi:[0,1]
	v_pk_fma_f32 v[12:13], v[8:9], v[6:7], v[10:11] neg_lo:[0,0,1] neg_hi:[0,0,1]
	v_pk_fma_f32 v[6:7], v[8:9], v[6:7], v[10:11] op_sel_hi:[1,0,1]
	s_nop 0
	v_mov_b32_e32 v13, v7
	v_pk_add_f32 v[4:5], v[4:5], v[12:13]
.LBB46_22:
	s_or_b64 exec, exec, s[8:9]
	v_mov_b32_e32 v3, 0
	ds_read_b64 v[6:7], v3 offset:16
	s_waitcnt lgkmcnt(0)
	v_pk_mul_f32 v[8:9], v[4:5], v[6:7] op_sel:[1,1] op_sel_hi:[0,1]
	v_pk_fma_f32 v[10:11], v[4:5], v[6:7], v[8:9] neg_lo:[0,0,1] neg_hi:[0,0,1]
	v_pk_fma_f32 v[4:5], v[4:5], v[6:7], v[8:9] op_sel_hi:[1,0,1]
	s_nop 0
	v_mov_b32_e32 v11, v5
	scratch_store_dwordx2 off, v[10:11], off offset:16
.LBB46_23:
	s_or_b64 exec, exec, s[4:5]
	; wave barrier
	scratch_load_dwordx2 v[4:5], off, off offset:24
	v_cmp_gt_u32_e32 vcc, 3, v0
	v_add_u32_e32 v6, -1, v0
	s_waitcnt vmcnt(0)
	ds_write_b64 v1, v[4:5]
	s_waitcnt lgkmcnt(0)
	; wave barrier
	s_and_saveexec_b64 s[0:1], vcc
	s_cbranch_execz .LBB46_27
; %bb.24:
	v_mov_b32_e32 v4, 0
	v_add_u32_e32 v3, -1, v0
	v_add_u32_e32 v7, 0x180, v2
	v_mov_b32_e32 v8, v2
	s_mov_b64 s[4:5], 0
	v_mov_b32_e32 v5, v4
.LBB46_25:                              ; =>This Inner Loop Header: Depth=1
	scratch_load_dwordx2 v[10:11], v8, off
	ds_read_b64 v[12:13], v7
	v_add_u32_e32 v3, 1, v3
	v_cmp_lt_u32_e32 vcc, 1, v3
	v_add_u32_e32 v7, 8, v7
	v_add_u32_e32 v8, 8, v8
	s_or_b64 s[4:5], vcc, s[4:5]
	s_waitcnt vmcnt(0) lgkmcnt(0)
	v_pk_mul_f32 v[14:15], v[12:13], v[10:11] op_sel:[1,1] op_sel_hi:[0,1]
	v_pk_fma_f32 v[16:17], v[12:13], v[10:11], v[14:15] neg_lo:[0,0,1] neg_hi:[0,0,1]
	v_pk_fma_f32 v[10:11], v[12:13], v[10:11], v[14:15] op_sel_hi:[1,0,1]
	s_nop 0
	v_mov_b32_e32 v17, v11
	v_pk_add_f32 v[4:5], v[4:5], v[16:17]
	s_andn2_b64 exec, exec, s[4:5]
	s_cbranch_execnz .LBB46_25
; %bb.26:
	s_or_b64 exec, exec, s[4:5]
	v_mov_b32_e32 v3, 0
	ds_read_b64 v[8:9], v3 offset:24
	s_waitcnt lgkmcnt(0)
	v_pk_mul_f32 v[10:11], v[4:5], v[8:9] op_sel:[1,1] op_sel_hi:[0,1]
	v_pk_fma_f32 v[12:13], v[4:5], v[8:9], v[10:11] neg_lo:[0,0,1] neg_hi:[0,0,1]
	v_pk_fma_f32 v[4:5], v[4:5], v[8:9], v[10:11] op_sel_hi:[1,0,1]
	s_nop 0
	v_mov_b32_e32 v13, v5
	scratch_store_dwordx2 off, v[12:13], off offset:24
.LBB46_27:
	s_or_b64 exec, exec, s[0:1]
	; wave barrier
	scratch_load_dwordx2 v[4:5], off, off offset:32
	v_cmp_gt_u32_e32 vcc, 4, v0
	s_waitcnt vmcnt(0)
	ds_write_b64 v1, v[4:5]
	s_waitcnt lgkmcnt(0)
	; wave barrier
	s_and_saveexec_b64 s[0:1], vcc
	s_cbranch_execz .LBB46_31
; %bb.28:
	v_mov_b32_e32 v4, 0
	v_add_u32_e32 v3, -1, v0
	v_add_u32_e32 v7, 0x180, v2
	v_mov_b32_e32 v8, v2
	s_mov_b64 s[4:5], 0
	v_mov_b32_e32 v5, v4
.LBB46_29:                              ; =>This Inner Loop Header: Depth=1
	scratch_load_dwordx2 v[10:11], v8, off
	ds_read_b64 v[12:13], v7
	v_add_u32_e32 v3, 1, v3
	v_cmp_lt_u32_e32 vcc, 2, v3
	v_add_u32_e32 v7, 8, v7
	v_add_u32_e32 v8, 8, v8
	s_or_b64 s[4:5], vcc, s[4:5]
	s_waitcnt vmcnt(0) lgkmcnt(0)
	v_pk_mul_f32 v[14:15], v[12:13], v[10:11] op_sel:[1,1] op_sel_hi:[0,1]
	v_pk_fma_f32 v[16:17], v[12:13], v[10:11], v[14:15] neg_lo:[0,0,1] neg_hi:[0,0,1]
	v_pk_fma_f32 v[10:11], v[12:13], v[10:11], v[14:15] op_sel_hi:[1,0,1]
	s_nop 0
	v_mov_b32_e32 v17, v11
	v_pk_add_f32 v[4:5], v[4:5], v[16:17]
	s_andn2_b64 exec, exec, s[4:5]
	s_cbranch_execnz .LBB46_29
; %bb.30:
	s_or_b64 exec, exec, s[4:5]
	v_mov_b32_e32 v3, 0
	ds_read_b64 v[8:9], v3 offset:32
	s_waitcnt lgkmcnt(0)
	v_pk_mul_f32 v[10:11], v[4:5], v[8:9] op_sel:[1,1] op_sel_hi:[0,1]
	v_pk_fma_f32 v[12:13], v[4:5], v[8:9], v[10:11] neg_lo:[0,0,1] neg_hi:[0,0,1]
	v_pk_fma_f32 v[4:5], v[4:5], v[8:9], v[10:11] op_sel_hi:[1,0,1]
	s_nop 0
	v_mov_b32_e32 v13, v5
	scratch_store_dwordx2 off, v[12:13], off offset:32
.LBB46_31:
	s_or_b64 exec, exec, s[0:1]
	; wave barrier
	scratch_load_dwordx2 v[4:5], off, off offset:40
	v_cmp_gt_u32_e32 vcc, 5, v0
	;; [unrolled: 46-line block ×19, first 2 shown]
	s_waitcnt vmcnt(0)
	ds_write_b64 v1, v[4:5]
	s_waitcnt lgkmcnt(0)
	; wave barrier
	s_and_saveexec_b64 s[0:1], vcc
	s_cbranch_execz .LBB46_103
; %bb.100:
	v_mov_b32_e32 v4, 0
	v_add_u32_e32 v3, -1, v0
	v_add_u32_e32 v7, 0x180, v2
	v_mov_b32_e32 v8, v2
	s_mov_b64 s[4:5], 0
	v_mov_b32_e32 v5, v4
.LBB46_101:                             ; =>This Inner Loop Header: Depth=1
	scratch_load_dwordx2 v[10:11], v8, off
	ds_read_b64 v[12:13], v7
	v_add_u32_e32 v3, 1, v3
	v_cmp_lt_u32_e32 vcc, 20, v3
	v_add_u32_e32 v7, 8, v7
	v_add_u32_e32 v8, 8, v8
	s_or_b64 s[4:5], vcc, s[4:5]
	s_waitcnt vmcnt(0) lgkmcnt(0)
	v_pk_mul_f32 v[14:15], v[12:13], v[10:11] op_sel:[1,1] op_sel_hi:[0,1]
	v_pk_fma_f32 v[16:17], v[12:13], v[10:11], v[14:15] neg_lo:[0,0,1] neg_hi:[0,0,1]
	v_pk_fma_f32 v[10:11], v[12:13], v[10:11], v[14:15] op_sel_hi:[1,0,1]
	s_nop 0
	v_mov_b32_e32 v17, v11
	v_pk_add_f32 v[4:5], v[4:5], v[16:17]
	s_andn2_b64 exec, exec, s[4:5]
	s_cbranch_execnz .LBB46_101
; %bb.102:
	s_or_b64 exec, exec, s[4:5]
	v_mov_b32_e32 v3, 0
	ds_read_b64 v[8:9], v3 offset:176
	s_waitcnt lgkmcnt(0)
	v_pk_mul_f32 v[10:11], v[4:5], v[8:9] op_sel:[1,1] op_sel_hi:[0,1]
	v_pk_fma_f32 v[12:13], v[4:5], v[8:9], v[10:11] neg_lo:[0,0,1] neg_hi:[0,0,1]
	v_pk_fma_f32 v[4:5], v[4:5], v[8:9], v[10:11] op_sel_hi:[1,0,1]
	s_nop 0
	v_mov_b32_e32 v13, v5
	scratch_store_dwordx2 off, v[12:13], off offset:176
.LBB46_103:
	s_or_b64 exec, exec, s[0:1]
	; wave barrier
	scratch_load_dwordx2 v[4:5], off, off offset:184
	v_cmp_gt_u32_e32 vcc, 23, v0
	s_waitcnt vmcnt(0)
	ds_write_b64 v1, v[4:5]
	s_waitcnt lgkmcnt(0)
	; wave barrier
	s_and_saveexec_b64 s[0:1], vcc
	s_cbranch_execz .LBB46_107
; %bb.104:
	v_mov_b32_e32 v4, 0
	v_add_u32_e32 v3, -1, v0
	v_add_u32_e32 v7, 0x180, v2
	v_mov_b32_e32 v8, v2
	s_mov_b64 s[4:5], 0
	v_mov_b32_e32 v5, v4
.LBB46_105:                             ; =>This Inner Loop Header: Depth=1
	scratch_load_dwordx2 v[10:11], v8, off
	ds_read_b64 v[12:13], v7
	v_add_u32_e32 v3, 1, v3
	v_cmp_lt_u32_e32 vcc, 21, v3
	v_add_u32_e32 v7, 8, v7
	v_add_u32_e32 v8, 8, v8
	s_or_b64 s[4:5], vcc, s[4:5]
	s_waitcnt vmcnt(0) lgkmcnt(0)
	v_pk_mul_f32 v[14:15], v[12:13], v[10:11] op_sel:[1,1] op_sel_hi:[0,1]
	v_pk_fma_f32 v[16:17], v[12:13], v[10:11], v[14:15] neg_lo:[0,0,1] neg_hi:[0,0,1]
	v_pk_fma_f32 v[10:11], v[12:13], v[10:11], v[14:15] op_sel_hi:[1,0,1]
	s_nop 0
	v_mov_b32_e32 v17, v11
	v_pk_add_f32 v[4:5], v[4:5], v[16:17]
	s_andn2_b64 exec, exec, s[4:5]
	s_cbranch_execnz .LBB46_105
; %bb.106:
	s_or_b64 exec, exec, s[4:5]
	v_mov_b32_e32 v3, 0
	ds_read_b64 v[8:9], v3 offset:184
	s_waitcnt lgkmcnt(0)
	v_pk_mul_f32 v[10:11], v[4:5], v[8:9] op_sel:[1,1] op_sel_hi:[0,1]
	v_pk_fma_f32 v[12:13], v[4:5], v[8:9], v[10:11] neg_lo:[0,0,1] neg_hi:[0,0,1]
	v_pk_fma_f32 v[4:5], v[4:5], v[8:9], v[10:11] op_sel_hi:[1,0,1]
	s_nop 0
	v_mov_b32_e32 v13, v5
	scratch_store_dwordx2 off, v[12:13], off offset:184
.LBB46_107:
	s_or_b64 exec, exec, s[0:1]
	; wave barrier
	scratch_load_dwordx2 v[4:5], off, off offset:192
	v_cmp_gt_u32_e32 vcc, 24, v0
	;; [unrolled: 46-line block ×23, first 2 shown]
	s_waitcnt vmcnt(0)
	ds_write_b64 v1, v[4:5]
	s_waitcnt lgkmcnt(0)
	; wave barrier
	s_and_saveexec_b64 s[0:1], vcc
	s_cbranch_execz .LBB46_195
; %bb.192:
	v_mov_b32_e32 v4, 0
	v_add_u32_e32 v3, -1, v0
	v_add_u32_e32 v7, 0x180, v2
	v_mov_b32_e32 v8, v2
	s_mov_b64 s[4:5], 0
	v_mov_b32_e32 v5, v4
.LBB46_193:                             ; =>This Inner Loop Header: Depth=1
	scratch_load_dwordx2 v[10:11], v8, off
	ds_read_b64 v[12:13], v7
	v_add_u32_e32 v3, 1, v3
	v_cmp_lt_u32_e32 vcc, 43, v3
	v_add_u32_e32 v7, 8, v7
	v_add_u32_e32 v8, 8, v8
	s_or_b64 s[4:5], vcc, s[4:5]
	s_waitcnt vmcnt(0) lgkmcnt(0)
	v_pk_mul_f32 v[14:15], v[12:13], v[10:11] op_sel:[1,1] op_sel_hi:[0,1]
	v_pk_fma_f32 v[16:17], v[12:13], v[10:11], v[14:15] neg_lo:[0,0,1] neg_hi:[0,0,1]
	v_pk_fma_f32 v[10:11], v[12:13], v[10:11], v[14:15] op_sel_hi:[1,0,1]
	s_nop 0
	v_mov_b32_e32 v17, v11
	v_pk_add_f32 v[4:5], v[4:5], v[16:17]
	s_andn2_b64 exec, exec, s[4:5]
	s_cbranch_execnz .LBB46_193
; %bb.194:
	s_or_b64 exec, exec, s[4:5]
	v_mov_b32_e32 v3, 0
	ds_read_b64 v[8:9], v3 offset:360
	s_waitcnt lgkmcnt(0)
	v_pk_mul_f32 v[10:11], v[4:5], v[8:9] op_sel:[1,1] op_sel_hi:[0,1]
	v_pk_fma_f32 v[12:13], v[4:5], v[8:9], v[10:11] neg_lo:[0,0,1] neg_hi:[0,0,1]
	v_pk_fma_f32 v[4:5], v[4:5], v[8:9], v[10:11] op_sel_hi:[1,0,1]
	s_nop 0
	v_mov_b32_e32 v13, v5
	scratch_store_dwordx2 off, v[12:13], off offset:360
.LBB46_195:
	s_or_b64 exec, exec, s[0:1]
	; wave barrier
	scratch_load_dwordx2 v[4:5], off, off offset:368
	v_cmp_ne_u32_e32 vcc, 46, v0
	s_waitcnt vmcnt(0)
	ds_write_b64 v1, v[4:5]
	s_waitcnt lgkmcnt(0)
	; wave barrier
	s_and_saveexec_b64 s[0:1], vcc
	s_cbranch_execz .LBB46_199
; %bb.196:
	v_add_u32_e32 v1, 0x180, v2
	v_mov_b32_e32 v4, v2
	v_mov_b32_e32 v2, 0
	s_mov_b64 s[4:5], 0
	v_mov_b32_e32 v3, v2
.LBB46_197:                             ; =>This Inner Loop Header: Depth=1
	scratch_load_dwordx2 v[8:9], v4, off
	ds_read_b64 v[10:11], v1
	v_add_u32_e32 v6, 1, v6
	v_cmp_lt_u32_e32 vcc, 44, v6
	v_add_u32_e32 v1, 8, v1
	v_add_u32_e32 v4, 8, v4
	s_or_b64 s[4:5], vcc, s[4:5]
	s_waitcnt vmcnt(0) lgkmcnt(0)
	v_pk_mul_f32 v[12:13], v[10:11], v[8:9] op_sel:[1,1] op_sel_hi:[0,1]
	v_pk_fma_f32 v[14:15], v[10:11], v[8:9], v[12:13] neg_lo:[0,0,1] neg_hi:[0,0,1]
	v_pk_fma_f32 v[8:9], v[10:11], v[8:9], v[12:13] op_sel_hi:[1,0,1]
	s_nop 0
	v_mov_b32_e32 v15, v9
	v_pk_add_f32 v[2:3], v[2:3], v[14:15]
	s_andn2_b64 exec, exec, s[4:5]
	s_cbranch_execnz .LBB46_197
; %bb.198:
	s_or_b64 exec, exec, s[4:5]
	v_mov_b32_e32 v1, 0
	ds_read_b64 v[4:5], v1 offset:368
	s_waitcnt lgkmcnt(0)
	v_pk_mul_f32 v[6:7], v[2:3], v[4:5] op_sel:[1,1] op_sel_hi:[0,1]
	v_pk_fma_f32 v[8:9], v[2:3], v[4:5], v[6:7] neg_lo:[0,0,1] neg_hi:[0,0,1]
	v_pk_fma_f32 v[2:3], v[2:3], v[4:5], v[6:7] op_sel_hi:[1,0,1]
	s_nop 0
	v_mov_b32_e32 v9, v3
	scratch_store_dwordx2 off, v[8:9], off offset:368
.LBB46_199:
	s_or_b64 exec, exec, s[0:1]
	s_mov_b64 s[4:5], -1
	; wave barrier
.LBB46_200:
	s_and_b64 vcc, exec, s[4:5]
	s_cbranch_vccz .LBB46_202
; %bb.201:
	s_lshl_b64 s[0:1], s[2:3], 2
	s_add_u32 s0, s6, s0
	s_addc_u32 s1, s7, s1
	v_mov_b32_e32 v1, 0
	global_load_dword v1, v1, s[0:1]
	s_waitcnt vmcnt(0)
	v_cmp_ne_u32_e32 vcc, 0, v1
	s_cbranch_vccz .LBB46_203
.LBB46_202:
	s_endpgm
.LBB46_203:
	v_mov_b32_e32 v1, 0x180
	v_lshl_add_u32 v1, v0, 3, v1
	v_cmp_eq_u32_e32 vcc, 46, v0
	s_and_saveexec_b64 s[0:1], vcc
	s_cbranch_execz .LBB46_205
; %bb.204:
	scratch_load_dwordx2 v[2:3], off, off offset:360
	v_mov_b32_e32 v4, 0
	v_mov_b32_e32 v5, v4
	scratch_store_dwordx2 off, v[4:5], off offset:360
	s_waitcnt vmcnt(1)
	ds_write_b64 v1, v[2:3]
.LBB46_205:
	s_or_b64 exec, exec, s[0:1]
	s_waitcnt lgkmcnt(0)
	; wave barrier
	scratch_load_dwordx2 v[4:5], off, off offset:368
	scratch_load_dwordx2 v[6:7], off, off offset:360
	v_mov_b32_e32 v2, 0
	ds_read_b64 v[8:9], v2 offset:752
	v_cmp_lt_u32_e32 vcc, 44, v0
	s_waitcnt vmcnt(1) lgkmcnt(0)
	v_pk_mul_f32 v[10:11], v[8:9], v[4:5] op_sel:[1,1] op_sel_hi:[0,1]
	v_pk_fma_f32 v[12:13], v[8:9], v[4:5], v[10:11] neg_lo:[0,0,1] neg_hi:[0,0,1]
	v_pk_fma_f32 v[4:5], v[8:9], v[4:5], v[10:11] op_sel_hi:[1,0,1]
	s_nop 0
	v_mov_b32_e32 v13, v5
	v_pk_add_f32 v[4:5], v[12:13], 0 op_sel_hi:[1,0]
	s_waitcnt vmcnt(0)
	v_pk_add_f32 v[4:5], v[6:7], v[4:5] neg_lo:[0,1] neg_hi:[0,1]
	scratch_store_dwordx2 off, v[4:5], off offset:360
	s_and_saveexec_b64 s[0:1], vcc
	s_cbranch_execz .LBB46_207
; %bb.206:
	scratch_load_dwordx2 v[4:5], off, off offset:352
	v_mov_b32_e32 v3, v2
	scratch_store_dwordx2 off, v[2:3], off offset:352
	s_waitcnt vmcnt(1)
	ds_write_b64 v1, v[4:5]
.LBB46_207:
	s_or_b64 exec, exec, s[0:1]
	s_waitcnt lgkmcnt(0)
	; wave barrier
	scratch_load_dwordx4 v[4:7], off, off offset:360
	scratch_load_dwordx2 v[12:13], off, off offset:352
	ds_read2_b64 v[8:11], v2 offset0:93 offset1:94
	v_cmp_lt_u32_e32 vcc, 43, v0
	s_waitcnt vmcnt(1) lgkmcnt(0)
	v_pk_mul_f32 v[2:3], v[8:9], v[4:5] op_sel:[1,1] op_sel_hi:[0,1]
	v_mov_b32_e32 v14, v7
	v_pk_fma_f32 v[16:17], v[8:9], v[4:5], v[2:3] neg_lo:[0,0,1] neg_hi:[0,0,1]
	v_pk_fma_f32 v[2:3], v[8:9], v[4:5], v[2:3] op_sel_hi:[1,0,1]
	v_pk_mul_f32 v[4:5], v[10:11], v[14:15] op_sel:[1,0] op_sel_hi:[0,0]
	v_mov_b32_e32 v17, v3
	v_pk_fma_f32 v[2:3], v[10:11], v[6:7], v[4:5] neg_lo:[0,0,1] neg_hi:[0,0,1]
	v_pk_fma_f32 v[4:5], v[10:11], v[6:7], v[4:5] op_sel_hi:[1,0,1]
	v_pk_add_f32 v[6:7], v[16:17], 0 op_sel_hi:[1,0]
	v_mov_b32_e32 v3, v5
	v_pk_add_f32 v[2:3], v[6:7], v[2:3]
	s_waitcnt vmcnt(0)
	v_pk_add_f32 v[2:3], v[12:13], v[2:3] neg_lo:[0,1] neg_hi:[0,1]
	scratch_store_dwordx2 off, v[2:3], off offset:352
	s_and_saveexec_b64 s[0:1], vcc
	s_cbranch_execz .LBB46_209
; %bb.208:
	scratch_load_dwordx2 v[2:3], off, off offset:344
	v_mov_b32_e32 v4, 0
	v_mov_b32_e32 v5, v4
	scratch_store_dwordx2 off, v[4:5], off offset:344
	s_waitcnt vmcnt(1)
	ds_write_b64 v1, v[2:3]
.LBB46_209:
	s_or_b64 exec, exec, s[0:1]
	s_waitcnt lgkmcnt(0)
	; wave barrier
	scratch_load_dwordx4 v[4:7], off, off offset:352
	scratch_load_dwordx2 v[12:13], off, off offset:368
	scratch_load_dwordx2 v[14:15], off, off offset:344
	v_mov_b32_e32 v2, 0
	ds_read_b128 v[8:11], v2 offset:736
	ds_read_b64 v[16:17], v2 offset:752
	v_cmp_lt_u32_e32 vcc, 42, v0
	s_waitcnt vmcnt(2) lgkmcnt(1)
	v_pk_mul_f32 v[18:19], v[8:9], v[4:5] op_sel:[1,1] op_sel_hi:[0,1]
	v_mov_b32_e32 v20, v7
	v_pk_fma_f32 v[24:25], v[8:9], v[4:5], v[18:19] neg_lo:[0,0,1] neg_hi:[0,0,1]
	v_pk_fma_f32 v[4:5], v[8:9], v[4:5], v[18:19] op_sel_hi:[1,0,1]
	v_pk_mul_f32 v[8:9], v[10:11], v[20:21] op_sel:[1,0] op_sel_hi:[0,0]
	s_waitcnt vmcnt(1) lgkmcnt(0)
	v_pk_mul_f32 v[22:23], v[16:17], v[12:13] op_sel:[1,1] op_sel_hi:[0,1]
	v_mov_b32_e32 v25, v5
	v_pk_fma_f32 v[4:5], v[10:11], v[6:7], v[8:9] neg_lo:[0,0,1] neg_hi:[0,0,1]
	v_pk_fma_f32 v[6:7], v[10:11], v[6:7], v[8:9] op_sel_hi:[1,0,1]
	v_pk_fma_f32 v[18:19], v[16:17], v[12:13], v[22:23] neg_lo:[0,0,1] neg_hi:[0,0,1]
	v_pk_fma_f32 v[12:13], v[16:17], v[12:13], v[22:23] op_sel_hi:[1,0,1]
	v_pk_add_f32 v[8:9], v[24:25], 0 op_sel_hi:[1,0]
	v_mov_b32_e32 v5, v7
	v_mov_b32_e32 v19, v13
	v_pk_add_f32 v[4:5], v[8:9], v[4:5]
	s_nop 0
	v_pk_add_f32 v[4:5], v[4:5], v[18:19]
	s_waitcnt vmcnt(0)
	v_pk_add_f32 v[4:5], v[14:15], v[4:5] neg_lo:[0,1] neg_hi:[0,1]
	scratch_store_dwordx2 off, v[4:5], off offset:344
	s_and_saveexec_b64 s[0:1], vcc
	s_cbranch_execz .LBB46_211
; %bb.210:
	scratch_load_dwordx2 v[4:5], off, off offset:336
	v_mov_b32_e32 v3, v2
	scratch_store_dwordx2 off, v[2:3], off offset:336
	s_waitcnt vmcnt(1)
	ds_write_b64 v1, v[4:5]
.LBB46_211:
	s_or_b64 exec, exec, s[0:1]
	s_waitcnt lgkmcnt(0)
	; wave barrier
	scratch_load_dwordx4 v[4:7], off, off offset:344
	scratch_load_dwordx4 v[8:11], off, off offset:360
	scratch_load_dwordx2 v[20:21], off, off offset:336
	ds_read2_b64 v[12:15], v2 offset0:91 offset1:92
	ds_read2_b64 v[16:19], v2 offset0:93 offset1:94
	v_cmp_lt_u32_e32 vcc, 41, v0
	s_waitcnt vmcnt(2) lgkmcnt(1)
	v_pk_mul_f32 v[2:3], v[12:13], v[4:5] op_sel:[1,1] op_sel_hi:[0,1]
	v_mov_b32_e32 v22, v7
	s_waitcnt vmcnt(1) lgkmcnt(0)
	v_pk_mul_f32 v[24:25], v[16:17], v[8:9] op_sel:[1,1] op_sel_hi:[0,1]
	v_mov_b32_e32 v26, v11
	v_pk_fma_f32 v[28:29], v[12:13], v[4:5], v[2:3] neg_lo:[0,0,1] neg_hi:[0,0,1]
	v_pk_fma_f32 v[2:3], v[12:13], v[4:5], v[2:3] op_sel_hi:[1,0,1]
	v_pk_mul_f32 v[4:5], v[14:15], v[22:23] op_sel:[1,0] op_sel_hi:[0,0]
	v_pk_fma_f32 v[12:13], v[16:17], v[8:9], v[24:25] neg_lo:[0,0,1] neg_hi:[0,0,1]
	v_pk_fma_f32 v[8:9], v[16:17], v[8:9], v[24:25] op_sel_hi:[1,0,1]
	v_pk_mul_f32 v[16:17], v[18:19], v[26:27] op_sel:[1,0] op_sel_hi:[0,0]
	v_mov_b32_e32 v29, v3
	v_pk_fma_f32 v[2:3], v[14:15], v[6:7], v[4:5] neg_lo:[0,0,1] neg_hi:[0,0,1]
	v_pk_fma_f32 v[4:5], v[14:15], v[6:7], v[4:5] op_sel_hi:[1,0,1]
	v_mov_b32_e32 v13, v9
	v_pk_fma_f32 v[6:7], v[18:19], v[10:11], v[16:17] neg_lo:[0,0,1] neg_hi:[0,0,1]
	v_pk_fma_f32 v[8:9], v[18:19], v[10:11], v[16:17] op_sel_hi:[1,0,1]
	v_pk_add_f32 v[10:11], v[28:29], 0 op_sel_hi:[1,0]
	v_mov_b32_e32 v3, v5
	v_pk_add_f32 v[2:3], v[10:11], v[2:3]
	v_mov_b32_e32 v7, v9
	v_pk_add_f32 v[2:3], v[2:3], v[12:13]
	s_nop 0
	v_pk_add_f32 v[2:3], v[2:3], v[6:7]
	s_waitcnt vmcnt(0)
	v_pk_add_f32 v[2:3], v[20:21], v[2:3] neg_lo:[0,1] neg_hi:[0,1]
	scratch_store_dwordx2 off, v[2:3], off offset:336
	s_and_saveexec_b64 s[0:1], vcc
	s_cbranch_execz .LBB46_213
; %bb.212:
	scratch_load_dwordx2 v[2:3], off, off offset:328
	v_mov_b32_e32 v4, 0
	v_mov_b32_e32 v5, v4
	scratch_store_dwordx2 off, v[4:5], off offset:328
	s_waitcnt vmcnt(1)
	ds_write_b64 v1, v[2:3]
.LBB46_213:
	s_or_b64 exec, exec, s[0:1]
	s_waitcnt lgkmcnt(0)
	; wave barrier
	scratch_load_dwordx4 v[4:7], off, off offset:336
	scratch_load_dwordx4 v[8:11], off, off offset:352
	scratch_load_dwordx2 v[20:21], off, off offset:368
	v_mov_b32_e32 v2, 0
	ds_read_b128 v[12:15], v2 offset:720
	ds_read_b128 v[16:19], v2 offset:736
	ds_read_b64 v[22:23], v2 offset:752
	v_cmp_lt_u32_e32 vcc, 40, v0
	s_waitcnt vmcnt(2) lgkmcnt(2)
	v_pk_mul_f32 v[24:25], v[12:13], v[4:5] op_sel:[1,1] op_sel_hi:[0,1]
	v_pk_fma_f32 v[26:27], v[12:13], v[4:5], v[24:25] neg_lo:[0,0,1] neg_hi:[0,0,1]
	v_pk_fma_f32 v[4:5], v[12:13], v[4:5], v[24:25] op_sel_hi:[1,0,1]
	v_mov_b32_e32 v12, v7
	v_pk_mul_f32 v[12:13], v[14:15], v[12:13] op_sel:[1,0] op_sel_hi:[0,0]
	v_pk_fma_f32 v[24:25], v[14:15], v[6:7], v[12:13] neg_lo:[0,0,1] neg_hi:[0,0,1]
	v_pk_fma_f32 v[6:7], v[14:15], v[6:7], v[12:13] op_sel_hi:[1,0,1]
	v_mov_b32_e32 v27, v5
	v_mov_b32_e32 v25, v7
	s_waitcnt vmcnt(1) lgkmcnt(1)
	v_pk_mul_f32 v[6:7], v[16:17], v[8:9] op_sel:[1,1] op_sel_hi:[0,1]
	v_pk_fma_f32 v[12:13], v[16:17], v[8:9], v[6:7] neg_lo:[0,0,1] neg_hi:[0,0,1]
	v_pk_fma_f32 v[6:7], v[16:17], v[8:9], v[6:7] op_sel_hi:[1,0,1]
	v_pk_add_f32 v[4:5], v[26:27], 0 op_sel_hi:[1,0]
	v_mov_b32_e32 v6, v11
	v_mov_b32_e32 v13, v7
	v_pk_mul_f32 v[6:7], v[18:19], v[6:7] op_sel:[1,0] op_sel_hi:[0,0]
	v_pk_add_f32 v[4:5], v[4:5], v[24:25]
	v_pk_fma_f32 v[8:9], v[18:19], v[10:11], v[6:7] neg_lo:[0,0,1] neg_hi:[0,0,1]
	v_pk_fma_f32 v[6:7], v[18:19], v[10:11], v[6:7] op_sel_hi:[1,0,1]
	v_pk_add_f32 v[4:5], v[4:5], v[12:13]
	v_mov_b32_e32 v9, v7
	s_waitcnt vmcnt(0) lgkmcnt(0)
	v_pk_mul_f32 v[6:7], v[22:23], v[20:21] op_sel:[1,1] op_sel_hi:[0,1]
	v_pk_add_f32 v[4:5], v[4:5], v[8:9]
	v_pk_fma_f32 v[8:9], v[22:23], v[20:21], v[6:7] neg_lo:[0,0,1] neg_hi:[0,0,1]
	v_pk_fma_f32 v[6:7], v[22:23], v[20:21], v[6:7] op_sel_hi:[1,0,1]
	s_nop 0
	v_mov_b32_e32 v9, v7
	scratch_load_dwordx2 v[6:7], off, off offset:328
	v_pk_add_f32 v[4:5], v[4:5], v[8:9]
	s_waitcnt vmcnt(0)
	v_pk_add_f32 v[4:5], v[6:7], v[4:5] neg_lo:[0,1] neg_hi:[0,1]
	scratch_store_dwordx2 off, v[4:5], off offset:328
	s_and_saveexec_b64 s[0:1], vcc
	s_cbranch_execz .LBB46_215
; %bb.214:
	scratch_load_dwordx2 v[4:5], off, off offset:320
	v_mov_b32_e32 v3, v2
	scratch_store_dwordx2 off, v[2:3], off offset:320
	s_waitcnt vmcnt(1)
	ds_write_b64 v1, v[4:5]
.LBB46_215:
	s_or_b64 exec, exec, s[0:1]
	s_waitcnt lgkmcnt(0)
	; wave barrier
	scratch_load_dwordx4 v[4:7], off, off offset:328
	scratch_load_dwordx4 v[8:11], off, off offset:344
	;; [unrolled: 1-line block ×3, first 2 shown]
	ds_read2_b64 v[16:19], v2 offset0:89 offset1:90
	ds_read2_b64 v[20:23], v2 offset0:91 offset1:92
	;; [unrolled: 1-line block ×3, first 2 shown]
	v_cmp_lt_u32_e32 vcc, 39, v0
	s_waitcnt vmcnt(2) lgkmcnt(2)
	v_pk_mul_f32 v[2:3], v[16:17], v[4:5] op_sel:[1,1] op_sel_hi:[0,1]
	v_pk_fma_f32 v[28:29], v[16:17], v[4:5], v[2:3] neg_lo:[0,0,1] neg_hi:[0,0,1]
	v_pk_fma_f32 v[2:3], v[16:17], v[4:5], v[2:3] op_sel_hi:[1,0,1]
	v_mov_b32_e32 v4, v7
	v_pk_mul_f32 v[4:5], v[18:19], v[4:5] op_sel:[1,0] op_sel_hi:[0,0]
	v_pk_fma_f32 v[16:17], v[18:19], v[6:7], v[4:5] neg_lo:[0,0,1] neg_hi:[0,0,1]
	v_pk_fma_f32 v[4:5], v[18:19], v[6:7], v[4:5] op_sel_hi:[1,0,1]
	v_mov_b32_e32 v29, v3
	v_mov_b32_e32 v17, v5
	s_waitcnt vmcnt(1) lgkmcnt(1)
	v_pk_mul_f32 v[4:5], v[20:21], v[8:9] op_sel:[1,1] op_sel_hi:[0,1]
	v_pk_fma_f32 v[6:7], v[20:21], v[8:9], v[4:5] neg_lo:[0,0,1] neg_hi:[0,0,1]
	v_pk_fma_f32 v[4:5], v[20:21], v[8:9], v[4:5] op_sel_hi:[1,0,1]
	v_pk_add_f32 v[2:3], v[28:29], 0 op_sel_hi:[1,0]
	v_mov_b32_e32 v4, v11
	v_pk_add_f32 v[2:3], v[2:3], v[16:17]
	v_mov_b32_e32 v7, v5
	v_pk_mul_f32 v[4:5], v[22:23], v[4:5] op_sel:[1,0] op_sel_hi:[0,0]
	v_pk_add_f32 v[2:3], v[2:3], v[6:7]
	v_pk_fma_f32 v[6:7], v[22:23], v[10:11], v[4:5] neg_lo:[0,0,1] neg_hi:[0,0,1]
	v_pk_fma_f32 v[4:5], v[22:23], v[10:11], v[4:5] op_sel_hi:[1,0,1]
	s_nop 0
	v_mov_b32_e32 v7, v5
	s_waitcnt vmcnt(0) lgkmcnt(0)
	v_pk_mul_f32 v[4:5], v[24:25], v[12:13] op_sel:[1,1] op_sel_hi:[0,1]
	v_pk_add_f32 v[2:3], v[2:3], v[6:7]
	v_pk_fma_f32 v[6:7], v[24:25], v[12:13], v[4:5] neg_lo:[0,0,1] neg_hi:[0,0,1]
	v_pk_fma_f32 v[4:5], v[24:25], v[12:13], v[4:5] op_sel_hi:[1,0,1]
	s_nop 0
	v_mov_b32_e32 v4, v15
	v_mov_b32_e32 v7, v5
	v_pk_mul_f32 v[4:5], v[26:27], v[4:5] op_sel:[1,0] op_sel_hi:[0,0]
	v_pk_add_f32 v[2:3], v[2:3], v[6:7]
	v_pk_fma_f32 v[6:7], v[26:27], v[14:15], v[4:5] neg_lo:[0,0,1] neg_hi:[0,0,1]
	v_pk_fma_f32 v[4:5], v[26:27], v[14:15], v[4:5] op_sel_hi:[1,0,1]
	s_nop 0
	v_mov_b32_e32 v7, v5
	scratch_load_dwordx2 v[4:5], off, off offset:320
	v_pk_add_f32 v[2:3], v[2:3], v[6:7]
	s_waitcnt vmcnt(0)
	v_pk_add_f32 v[2:3], v[4:5], v[2:3] neg_lo:[0,1] neg_hi:[0,1]
	scratch_store_dwordx2 off, v[2:3], off offset:320
	s_and_saveexec_b64 s[0:1], vcc
	s_cbranch_execz .LBB46_217
; %bb.216:
	scratch_load_dwordx2 v[2:3], off, off offset:312
	v_mov_b32_e32 v4, 0
	v_mov_b32_e32 v5, v4
	scratch_store_dwordx2 off, v[4:5], off offset:312
	s_waitcnt vmcnt(1)
	ds_write_b64 v1, v[2:3]
.LBB46_217:
	s_or_b64 exec, exec, s[0:1]
	s_waitcnt lgkmcnt(0)
	; wave barrier
	scratch_load_dwordx4 v[4:7], off, off offset:320
	scratch_load_dwordx4 v[8:11], off, off offset:336
	;; [unrolled: 1-line block ×3, first 2 shown]
	scratch_load_dwordx2 v[28:29], off, off offset:368
	scratch_load_dwordx2 v[30:31], off, off offset:312
	v_mov_b32_e32 v2, 0
	ds_read_b128 v[16:19], v2 offset:704
	ds_read_b128 v[20:23], v2 offset:720
	;; [unrolled: 1-line block ×3, first 2 shown]
	ds_read_b64 v[32:33], v2 offset:752
	v_cmp_lt_u32_e32 vcc, 38, v0
	s_waitcnt vmcnt(4) lgkmcnt(3)
	v_pk_mul_f32 v[34:35], v[16:17], v[4:5] op_sel:[1,1] op_sel_hi:[0,1]
	v_mov_b32_e32 v36, v7
	v_pk_fma_f32 v[48:49], v[16:17], v[4:5], v[34:35] neg_lo:[0,0,1] neg_hi:[0,0,1]
	v_pk_fma_f32 v[4:5], v[16:17], v[4:5], v[34:35] op_sel_hi:[1,0,1]
	v_pk_mul_f32 v[16:17], v[18:19], v[36:37] op_sel:[1,0] op_sel_hi:[0,0]
	s_waitcnt vmcnt(3) lgkmcnt(2)
	v_pk_mul_f32 v[38:39], v[20:21], v[8:9] op_sel:[1,1] op_sel_hi:[0,1]
	v_mov_b32_e32 v40, v11
	v_mov_b32_e32 v49, v5
	v_pk_fma_f32 v[4:5], v[18:19], v[6:7], v[16:17] neg_lo:[0,0,1] neg_hi:[0,0,1]
	v_pk_fma_f32 v[6:7], v[18:19], v[6:7], v[16:17] op_sel_hi:[1,0,1]
	v_pk_fma_f32 v[34:35], v[20:21], v[8:9], v[38:39] neg_lo:[0,0,1] neg_hi:[0,0,1]
	v_pk_fma_f32 v[8:9], v[20:21], v[8:9], v[38:39] op_sel_hi:[1,0,1]
	v_pk_mul_f32 v[20:21], v[22:23], v[40:41] op_sel:[1,0] op_sel_hi:[0,0]
	v_pk_add_f32 v[16:17], v[48:49], 0 op_sel_hi:[1,0]
	v_mov_b32_e32 v5, v7
	s_waitcnt vmcnt(2) lgkmcnt(1)
	v_pk_mul_f32 v[42:43], v[24:25], v[12:13] op_sel:[1,1] op_sel_hi:[0,1]
	v_mov_b32_e32 v44, v15
	v_mov_b32_e32 v35, v9
	v_pk_fma_f32 v[8:9], v[22:23], v[10:11], v[20:21] neg_lo:[0,0,1] neg_hi:[0,0,1]
	v_pk_fma_f32 v[10:11], v[22:23], v[10:11], v[20:21] op_sel_hi:[1,0,1]
	v_pk_add_f32 v[4:5], v[16:17], v[4:5]
	v_pk_fma_f32 v[36:37], v[24:25], v[12:13], v[42:43] neg_lo:[0,0,1] neg_hi:[0,0,1]
	v_pk_fma_f32 v[12:13], v[24:25], v[12:13], v[42:43] op_sel_hi:[1,0,1]
	v_pk_mul_f32 v[24:25], v[26:27], v[44:45] op_sel:[1,0] op_sel_hi:[0,0]
	v_mov_b32_e32 v9, v11
	v_pk_add_f32 v[4:5], v[4:5], v[34:35]
	s_waitcnt vmcnt(1) lgkmcnt(0)
	v_pk_mul_f32 v[46:47], v[32:33], v[28:29] op_sel:[1,1] op_sel_hi:[0,1]
	v_mov_b32_e32 v37, v13
	v_pk_fma_f32 v[12:13], v[26:27], v[14:15], v[24:25] neg_lo:[0,0,1] neg_hi:[0,0,1]
	v_pk_fma_f32 v[14:15], v[26:27], v[14:15], v[24:25] op_sel_hi:[1,0,1]
	v_pk_add_f32 v[4:5], v[4:5], v[8:9]
	v_pk_fma_f32 v[38:39], v[32:33], v[28:29], v[46:47] neg_lo:[0,0,1] neg_hi:[0,0,1]
	v_pk_fma_f32 v[28:29], v[32:33], v[28:29], v[46:47] op_sel_hi:[1,0,1]
	v_mov_b32_e32 v13, v15
	v_pk_add_f32 v[4:5], v[4:5], v[36:37]
	v_mov_b32_e32 v39, v29
	v_pk_add_f32 v[4:5], v[4:5], v[12:13]
	s_nop 0
	v_pk_add_f32 v[4:5], v[4:5], v[38:39]
	s_waitcnt vmcnt(0)
	v_pk_add_f32 v[4:5], v[30:31], v[4:5] neg_lo:[0,1] neg_hi:[0,1]
	scratch_store_dwordx2 off, v[4:5], off offset:312
	s_and_saveexec_b64 s[0:1], vcc
	s_cbranch_execz .LBB46_219
; %bb.218:
	scratch_load_dwordx2 v[4:5], off, off offset:304
	v_mov_b32_e32 v3, v2
	scratch_store_dwordx2 off, v[2:3], off offset:304
	s_waitcnt vmcnt(1)
	ds_write_b64 v1, v[4:5]
.LBB46_219:
	s_or_b64 exec, exec, s[0:1]
	s_waitcnt lgkmcnt(0)
	; wave barrier
	scratch_load_dwordx4 v[4:7], off, off offset:312
	scratch_load_dwordx4 v[8:11], off, off offset:328
	;; [unrolled: 1-line block ×4, first 2 shown]
	scratch_load_dwordx2 v[36:37], off, off offset:304
	ds_read2_b64 v[20:23], v2 offset0:87 offset1:88
	ds_read2_b64 v[24:27], v2 offset0:89 offset1:90
	;; [unrolled: 1-line block ×4, first 2 shown]
	v_cmp_lt_u32_e32 vcc, 37, v0
	s_waitcnt vmcnt(4) lgkmcnt(3)
	v_pk_mul_f32 v[2:3], v[20:21], v[4:5] op_sel:[1,1] op_sel_hi:[0,1]
	v_mov_b32_e32 v38, v7
	s_waitcnt vmcnt(3) lgkmcnt(2)
	v_pk_mul_f32 v[40:41], v[24:25], v[8:9] op_sel:[1,1] op_sel_hi:[0,1]
	v_mov_b32_e32 v42, v11
	;; [unrolled: 3-line block ×4, first 2 shown]
	v_pk_fma_f32 v[52:53], v[20:21], v[4:5], v[2:3] neg_lo:[0,0,1] neg_hi:[0,0,1]
	v_pk_fma_f32 v[2:3], v[20:21], v[4:5], v[2:3] op_sel_hi:[1,0,1]
	v_pk_mul_f32 v[4:5], v[22:23], v[38:39] op_sel:[1,0] op_sel_hi:[0,0]
	v_pk_fma_f32 v[20:21], v[24:25], v[8:9], v[40:41] neg_lo:[0,0,1] neg_hi:[0,0,1]
	v_pk_fma_f32 v[8:9], v[24:25], v[8:9], v[40:41] op_sel_hi:[1,0,1]
	v_pk_mul_f32 v[24:25], v[26:27], v[42:43] op_sel:[1,0] op_sel_hi:[0,0]
	v_pk_fma_f32 v[38:39], v[28:29], v[12:13], v[44:45] neg_lo:[0,0,1] neg_hi:[0,0,1]
	v_pk_fma_f32 v[12:13], v[28:29], v[12:13], v[44:45] op_sel_hi:[1,0,1]
	v_pk_mul_f32 v[28:29], v[30:31], v[46:47] op_sel:[1,0] op_sel_hi:[0,0]
	v_pk_fma_f32 v[40:41], v[32:33], v[16:17], v[48:49] neg_lo:[0,0,1] neg_hi:[0,0,1]
	v_pk_fma_f32 v[16:17], v[32:33], v[16:17], v[48:49] op_sel_hi:[1,0,1]
	v_pk_mul_f32 v[32:33], v[34:35], v[50:51] op_sel:[1,0] op_sel_hi:[0,0]
	v_mov_b32_e32 v53, v3
	v_pk_fma_f32 v[2:3], v[22:23], v[6:7], v[4:5] neg_lo:[0,0,1] neg_hi:[0,0,1]
	v_pk_fma_f32 v[4:5], v[22:23], v[6:7], v[4:5] op_sel_hi:[1,0,1]
	v_mov_b32_e32 v21, v9
	v_pk_fma_f32 v[6:7], v[26:27], v[10:11], v[24:25] neg_lo:[0,0,1] neg_hi:[0,0,1]
	v_pk_fma_f32 v[8:9], v[26:27], v[10:11], v[24:25] op_sel_hi:[1,0,1]
	;; [unrolled: 3-line block ×4, first 2 shown]
	v_pk_add_f32 v[18:19], v[52:53], 0 op_sel_hi:[1,0]
	v_mov_b32_e32 v3, v5
	v_pk_add_f32 v[2:3], v[18:19], v[2:3]
	v_mov_b32_e32 v7, v9
	v_pk_add_f32 v[2:3], v[2:3], v[20:21]
	;; [unrolled: 2-line block ×4, first 2 shown]
	s_nop 0
	v_pk_add_f32 v[2:3], v[2:3], v[10:11]
	s_nop 0
	v_pk_add_f32 v[2:3], v[2:3], v[40:41]
	;; [unrolled: 2-line block ×3, first 2 shown]
	s_waitcnt vmcnt(0)
	v_pk_add_f32 v[2:3], v[36:37], v[2:3] neg_lo:[0,1] neg_hi:[0,1]
	scratch_store_dwordx2 off, v[2:3], off offset:304
	s_and_saveexec_b64 s[0:1], vcc
	s_cbranch_execz .LBB46_221
; %bb.220:
	scratch_load_dwordx2 v[2:3], off, off offset:296
	v_mov_b32_e32 v4, 0
	v_mov_b32_e32 v5, v4
	scratch_store_dwordx2 off, v[4:5], off offset:296
	s_waitcnt vmcnt(1)
	ds_write_b64 v1, v[2:3]
.LBB46_221:
	s_or_b64 exec, exec, s[0:1]
	s_waitcnt lgkmcnt(0)
	; wave barrier
	scratch_load_dwordx4 v[4:7], off, off offset:304
	scratch_load_dwordx4 v[8:11], off, off offset:320
	;; [unrolled: 1-line block ×4, first 2 shown]
	scratch_load_dwordx2 v[36:37], off, off offset:368
	scratch_load_dwordx2 v[38:39], off, off offset:296
	v_mov_b32_e32 v2, 0
	ds_read_b128 v[20:23], v2 offset:688
	ds_read_b128 v[24:27], v2 offset:704
	;; [unrolled: 1-line block ×4, first 2 shown]
	ds_read_b64 v[40:41], v2 offset:752
	v_cmp_lt_u32_e32 vcc, 36, v0
	s_waitcnt vmcnt(5) lgkmcnt(4)
	v_mul_f32_e32 v43, v20, v5
	v_mul_f32_e32 v3, v21, v5
	v_mov_b32_e32 v44, v7
	s_waitcnt vmcnt(4) lgkmcnt(3)
	v_pk_mul_f32 v[46:47], v[24:25], v[8:9] op_sel:[1,1] op_sel_hi:[0,1]
	v_mov_b32_e32 v48, v11
	s_waitcnt vmcnt(1) lgkmcnt(0)
	v_pk_mul_f32 v[58:59], v[40:41], v[36:37] op_sel:[1,1] op_sel_hi:[0,1]
	v_fmac_f32_e32 v43, v21, v4
	v_fma_f32 v42, v20, v4, -v3
	v_pk_mul_f32 v[4:5], v[22:23], v[44:45] op_sel:[1,0] op_sel_hi:[0,0]
	v_pk_fma_f32 v[20:21], v[24:25], v[8:9], v[46:47] neg_lo:[0,0,1] neg_hi:[0,0,1]
	v_pk_fma_f32 v[8:9], v[24:25], v[8:9], v[46:47] op_sel_hi:[1,0,1]
	v_pk_mul_f32 v[24:25], v[26:27], v[48:49] op_sel:[1,0] op_sel_hi:[0,0]
	v_pk_fma_f32 v[48:49], v[40:41], v[36:37], v[58:59] neg_lo:[0,0,1] neg_hi:[0,0,1]
	v_pk_fma_f32 v[36:37], v[40:41], v[36:37], v[58:59] op_sel_hi:[1,0,1]
	v_pk_add_f32 v[40:41], v[42:43], 0 op_sel_hi:[1,0]
	v_pk_fma_f32 v[42:43], v[22:23], v[6:7], v[4:5] neg_lo:[0,0,1] neg_hi:[0,0,1]
	v_pk_fma_f32 v[4:5], v[22:23], v[6:7], v[4:5] op_sel_hi:[1,0,1]
	v_pk_mul_f32 v[50:51], v[28:29], v[12:13] op_sel:[1,1] op_sel_hi:[0,1]
	v_mov_b32_e32 v43, v5
	v_mov_b32_e32 v52, v15
	;; [unrolled: 1-line block ×3, first 2 shown]
	v_pk_fma_f32 v[6:7], v[26:27], v[10:11], v[24:25] neg_lo:[0,0,1] neg_hi:[0,0,1]
	v_pk_fma_f32 v[8:9], v[26:27], v[10:11], v[24:25] op_sel_hi:[1,0,1]
	v_pk_add_f32 v[4:5], v[40:41], v[42:43]
	v_pk_fma_f32 v[44:45], v[28:29], v[12:13], v[50:51] neg_lo:[0,0,1] neg_hi:[0,0,1]
	v_pk_fma_f32 v[12:13], v[28:29], v[12:13], v[50:51] op_sel_hi:[1,0,1]
	v_pk_mul_f32 v[28:29], v[30:31], v[52:53] op_sel:[1,0] op_sel_hi:[0,0]
	v_mov_b32_e32 v7, v9
	v_pk_add_f32 v[4:5], v[4:5], v[20:21]
	v_pk_mul_f32 v[54:55], v[32:33], v[16:17] op_sel:[1,1] op_sel_hi:[0,1]
	v_mov_b32_e32 v56, v19
	v_mov_b32_e32 v45, v13
	v_pk_fma_f32 v[10:11], v[30:31], v[14:15], v[28:29] neg_lo:[0,0,1] neg_hi:[0,0,1]
	v_pk_fma_f32 v[12:13], v[30:31], v[14:15], v[28:29] op_sel_hi:[1,0,1]
	v_pk_add_f32 v[4:5], v[4:5], v[6:7]
	v_pk_fma_f32 v[46:47], v[32:33], v[16:17], v[54:55] neg_lo:[0,0,1] neg_hi:[0,0,1]
	v_pk_fma_f32 v[16:17], v[32:33], v[16:17], v[54:55] op_sel_hi:[1,0,1]
	v_pk_mul_f32 v[32:33], v[34:35], v[56:57] op_sel:[1,0] op_sel_hi:[0,0]
	v_mov_b32_e32 v11, v13
	v_pk_add_f32 v[4:5], v[4:5], v[44:45]
	v_mov_b32_e32 v47, v17
	v_pk_fma_f32 v[14:15], v[34:35], v[18:19], v[32:33] neg_lo:[0,0,1] neg_hi:[0,0,1]
	v_pk_fma_f32 v[16:17], v[34:35], v[18:19], v[32:33] op_sel_hi:[1,0,1]
	v_pk_add_f32 v[4:5], v[4:5], v[10:11]
	v_mov_b32_e32 v15, v17
	v_pk_add_f32 v[4:5], v[4:5], v[46:47]
	v_mov_b32_e32 v49, v37
	v_pk_add_f32 v[4:5], v[4:5], v[14:15]
	s_nop 0
	v_pk_add_f32 v[4:5], v[4:5], v[48:49]
	s_waitcnt vmcnt(0)
	v_pk_add_f32 v[4:5], v[38:39], v[4:5] neg_lo:[0,1] neg_hi:[0,1]
	scratch_store_dwordx2 off, v[4:5], off offset:296
	s_and_saveexec_b64 s[0:1], vcc
	s_cbranch_execz .LBB46_223
; %bb.222:
	scratch_load_dwordx2 v[4:5], off, off offset:288
	v_mov_b32_e32 v3, v2
	scratch_store_dwordx2 off, v[2:3], off offset:288
	s_waitcnt vmcnt(1)
	ds_write_b64 v1, v[4:5]
.LBB46_223:
	s_or_b64 exec, exec, s[0:1]
	s_waitcnt lgkmcnt(0)
	; wave barrier
	scratch_load_dwordx4 v[4:7], off, off offset:296
	scratch_load_dwordx4 v[8:11], off, off offset:312
	;; [unrolled: 1-line block ×5, first 2 shown]
	scratch_load_dwordx2 v[44:45], off, off offset:288
	ds_read2_b64 v[24:27], v2 offset0:85 offset1:86
	ds_read2_b64 v[28:31], v2 offset0:87 offset1:88
	;; [unrolled: 1-line block ×5, first 2 shown]
	v_cmp_lt_u32_e32 vcc, 35, v0
	s_waitcnt vmcnt(5) lgkmcnt(4)
	v_mul_f32_e32 v3, v24, v5
	v_mul_f32_e32 v2, v25, v5
	;; [unrolled: 1-line block ×4, first 2 shown]
	s_waitcnt vmcnt(4) lgkmcnt(3)
	v_pk_mul_f32 v[48:49], v[28:29], v[8:9] op_sel:[1,1] op_sel_hi:[0,1]
	v_mov_b32_e32 v50, v11
	v_fmac_f32_e32 v3, v25, v4
	v_fma_f32 v2, v24, v4, -v2
	v_fmac_f32_e32 v47, v27, v6
	v_fma_f32 v46, v26, v6, -v5
	v_pk_fma_f32 v[4:5], v[28:29], v[8:9], v[48:49] neg_lo:[0,0,1] neg_hi:[0,0,1]
	v_pk_fma_f32 v[6:7], v[28:29], v[8:9], v[48:49] op_sel_hi:[1,0,1]
	v_pk_mul_f32 v[8:9], v[30:31], v[50:51] op_sel:[1,0] op_sel_hi:[0,0]
	v_pk_add_f32 v[2:3], v[2:3], 0 op_sel_hi:[1,0]
	s_waitcnt vmcnt(3) lgkmcnt(2)
	v_pk_mul_f32 v[52:53], v[32:33], v[12:13] op_sel:[1,1] op_sel_hi:[0,1]
	v_mov_b32_e32 v54, v15
	v_mov_b32_e32 v5, v7
	v_pk_fma_f32 v[6:7], v[30:31], v[10:11], v[8:9] neg_lo:[0,0,1] neg_hi:[0,0,1]
	v_pk_fma_f32 v[8:9], v[30:31], v[10:11], v[8:9] op_sel_hi:[1,0,1]
	v_pk_add_f32 v[2:3], v[2:3], v[46:47]
	v_pk_fma_f32 v[24:25], v[32:33], v[12:13], v[52:53] neg_lo:[0,0,1] neg_hi:[0,0,1]
	v_pk_fma_f32 v[12:13], v[32:33], v[12:13], v[52:53] op_sel_hi:[1,0,1]
	v_pk_mul_f32 v[26:27], v[34:35], v[54:55] op_sel:[1,0] op_sel_hi:[0,0]
	v_mov_b32_e32 v7, v9
	v_pk_add_f32 v[2:3], v[2:3], v[4:5]
	s_waitcnt vmcnt(2) lgkmcnt(1)
	v_pk_mul_f32 v[56:57], v[36:37], v[16:17] op_sel:[1,1] op_sel_hi:[0,1]
	v_mov_b32_e32 v58, v19
	v_mov_b32_e32 v25, v13
	v_pk_fma_f32 v[10:11], v[34:35], v[14:15], v[26:27] neg_lo:[0,0,1] neg_hi:[0,0,1]
	v_pk_fma_f32 v[12:13], v[34:35], v[14:15], v[26:27] op_sel_hi:[1,0,1]
	v_pk_add_f32 v[2:3], v[2:3], v[6:7]
	v_pk_fma_f32 v[28:29], v[36:37], v[16:17], v[56:57] neg_lo:[0,0,1] neg_hi:[0,0,1]
	v_pk_fma_f32 v[16:17], v[36:37], v[16:17], v[56:57] op_sel_hi:[1,0,1]
	v_pk_mul_f32 v[32:33], v[38:39], v[58:59] op_sel:[1,0] op_sel_hi:[0,0]
	v_mov_b32_e32 v11, v13
	v_pk_add_f32 v[2:3], v[2:3], v[24:25]
	;; [unrolled: 12-line block ×3, first 2 shown]
	v_mov_b32_e32 v37, v21
	v_pk_fma_f32 v[18:19], v[42:43], v[22:23], v[40:41] neg_lo:[0,0,1] neg_hi:[0,0,1]
	v_pk_fma_f32 v[20:21], v[42:43], v[22:23], v[40:41] op_sel_hi:[1,0,1]
	v_pk_add_f32 v[2:3], v[2:3], v[14:15]
	v_mov_b32_e32 v19, v21
	v_pk_add_f32 v[2:3], v[2:3], v[36:37]
	s_nop 0
	v_pk_add_f32 v[2:3], v[2:3], v[18:19]
	s_waitcnt vmcnt(0)
	v_pk_add_f32 v[2:3], v[44:45], v[2:3] neg_lo:[0,1] neg_hi:[0,1]
	scratch_store_dwordx2 off, v[2:3], off offset:288
	s_and_saveexec_b64 s[0:1], vcc
	s_cbranch_execz .LBB46_225
; %bb.224:
	scratch_load_dwordx2 v[2:3], off, off offset:280
	v_mov_b32_e32 v4, 0
	v_mov_b32_e32 v5, v4
	scratch_store_dwordx2 off, v[4:5], off offset:280
	s_waitcnt vmcnt(1)
	ds_write_b64 v1, v[2:3]
.LBB46_225:
	s_or_b64 exec, exec, s[0:1]
	s_waitcnt lgkmcnt(0)
	; wave barrier
	scratch_load_dwordx4 v[4:7], off, off offset:288
	scratch_load_dwordx4 v[8:11], off, off offset:304
	;; [unrolled: 1-line block ×5, first 2 shown]
	scratch_load_dwordx2 v[44:45], off, off offset:368
	scratch_load_dwordx2 v[46:47], off, off offset:280
	v_mov_b32_e32 v2, 0
	ds_read_b128 v[24:27], v2 offset:672
	ds_read_b128 v[28:31], v2 offset:688
	;; [unrolled: 1-line block ×5, first 2 shown]
	ds_read_b64 v[48:49], v2 offset:752
	v_cmp_lt_u32_e32 vcc, 34, v0
	s_waitcnt vmcnt(6) lgkmcnt(5)
	v_mul_f32_e32 v3, v24, v5
	v_mul_f32_e32 v5, v25, v5
	;; [unrolled: 1-line block ×3, first 2 shown]
	s_waitcnt vmcnt(5) lgkmcnt(4)
	v_mul_f32_e32 v53, v28, v9
	v_mul_f32_e32 v7, v27, v7
	;; [unrolled: 1-line block ×3, first 2 shown]
	v_mov_b32_e32 v54, v11
	s_waitcnt vmcnt(3) lgkmcnt(2)
	v_pk_mul_f32 v[60:61], v[36:37], v[16:17] op_sel:[1,1] op_sel_hi:[0,1]
	s_waitcnt vmcnt(2) lgkmcnt(1)
	v_pk_mul_f32 v[64:65], v[40:41], v[20:21] op_sel:[1,1] op_sel_hi:[0,1]
	;; [unrolled: 2-line block ×3, first 2 shown]
	v_fmac_f32_e32 v3, v25, v4
	v_fma_f32 v55, v24, v4, -v5
	v_fmac_f32_e32 v51, v27, v6
	v_fmac_f32_e32 v53, v29, v8
	v_fma_f32 v50, v26, v6, -v7
	v_fma_f32 v52, v28, v8, -v9
	v_pk_mul_f32 v[4:5], v[30:31], v[54:55] op_sel:[1,0] op_sel_hi:[0,0]
	v_pk_fma_f32 v[24:25], v[36:37], v[16:17], v[60:61] neg_lo:[0,0,1] neg_hi:[0,0,1]
	v_pk_fma_f32 v[16:17], v[36:37], v[16:17], v[60:61] op_sel_hi:[1,0,1]
	v_pk_fma_f32 v[28:29], v[40:41], v[20:21], v[64:65] neg_lo:[0,0,1] neg_hi:[0,0,1]
	v_pk_fma_f32 v[20:21], v[40:41], v[20:21], v[64:65] op_sel_hi:[1,0,1]
	;; [unrolled: 2-line block ×3, first 2 shown]
	v_add_f32_e32 v45, 0, v3
	v_add_f32_e32 v44, 0, v55
	v_pk_mul_f32 v[56:57], v[32:33], v[12:13] op_sel:[1,1] op_sel_hi:[0,1]
	v_mov_b32_e32 v58, v15
	v_pk_fma_f32 v[48:49], v[30:31], v[10:11], v[4:5] neg_lo:[0,0,1] neg_hi:[0,0,1]
	v_pk_fma_f32 v[4:5], v[30:31], v[10:11], v[4:5] op_sel_hi:[1,0,1]
	v_mov_b32_e32 v29, v21
	v_pk_add_f32 v[20:21], v[44:45], v[50:51]
	v_pk_fma_f32 v[6:7], v[32:33], v[12:13], v[56:57] neg_lo:[0,0,1] neg_hi:[0,0,1]
	v_pk_fma_f32 v[8:9], v[32:33], v[12:13], v[56:57] op_sel_hi:[1,0,1]
	v_pk_mul_f32 v[12:13], v[34:35], v[58:59] op_sel:[1,0] op_sel_hi:[0,0]
	v_mov_b32_e32 v49, v5
	v_pk_add_f32 v[4:5], v[20:21], v[52:53]
	v_mov_b32_e32 v62, v19
	v_mov_b32_e32 v7, v9
	v_pk_fma_f32 v[8:9], v[34:35], v[14:15], v[12:13] neg_lo:[0,0,1] neg_hi:[0,0,1]
	v_pk_fma_f32 v[10:11], v[34:35], v[14:15], v[12:13] op_sel_hi:[1,0,1]
	v_pk_add_f32 v[4:5], v[4:5], v[48:49]
	v_pk_mul_f32 v[26:27], v[38:39], v[62:63] op_sel:[1,0] op_sel_hi:[0,0]
	v_mov_b32_e32 v9, v11
	v_pk_add_f32 v[4:5], v[4:5], v[6:7]
	v_mov_b32_e32 v66, v23
	v_mov_b32_e32 v25, v17
	v_pk_fma_f32 v[12:13], v[38:39], v[18:19], v[26:27] neg_lo:[0,0,1] neg_hi:[0,0,1]
	v_pk_fma_f32 v[14:15], v[38:39], v[18:19], v[26:27] op_sel_hi:[1,0,1]
	v_pk_add_f32 v[4:5], v[4:5], v[8:9]
	v_pk_mul_f32 v[32:33], v[42:43], v[66:67] op_sel:[1,0] op_sel_hi:[0,0]
	v_mov_b32_e32 v13, v15
	v_pk_add_f32 v[4:5], v[4:5], v[24:25]
	v_pk_fma_f32 v[16:17], v[42:43], v[22:23], v[32:33] neg_lo:[0,0,1] neg_hi:[0,0,1]
	v_pk_fma_f32 v[18:19], v[42:43], v[22:23], v[32:33] op_sel_hi:[1,0,1]
	v_pk_add_f32 v[4:5], v[4:5], v[12:13]
	v_mov_b32_e32 v17, v19
	v_pk_add_f32 v[4:5], v[4:5], v[28:29]
	v_mov_b32_e32 v37, v41
	v_pk_add_f32 v[4:5], v[4:5], v[16:17]
	s_nop 0
	v_pk_add_f32 v[4:5], v[4:5], v[36:37]
	s_waitcnt vmcnt(0)
	v_pk_add_f32 v[4:5], v[46:47], v[4:5] neg_lo:[0,1] neg_hi:[0,1]
	scratch_store_dwordx2 off, v[4:5], off offset:280
	s_and_saveexec_b64 s[0:1], vcc
	s_cbranch_execz .LBB46_227
; %bb.226:
	scratch_load_dwordx2 v[4:5], off, off offset:272
	v_mov_b32_e32 v3, v2
	scratch_store_dwordx2 off, v[2:3], off offset:272
	s_waitcnt vmcnt(1)
	ds_write_b64 v1, v[4:5]
.LBB46_227:
	s_or_b64 exec, exec, s[0:1]
	s_waitcnt lgkmcnt(0)
	; wave barrier
	scratch_load_dwordx4 v[4:7], off, off offset:280
	scratch_load_dwordx4 v[8:11], off, off offset:296
	;; [unrolled: 1-line block ×6, first 2 shown]
	scratch_load_dwordx2 v[52:53], off, off offset:272
	ds_read2_b64 v[28:31], v2 offset0:83 offset1:84
	ds_read2_b64 v[32:35], v2 offset0:85 offset1:86
	;; [unrolled: 1-line block ×6, first 2 shown]
	v_cmp_lt_u32_e32 vcc, 33, v0
	s_waitcnt vmcnt(6) lgkmcnt(5)
	v_mul_f32_e32 v59, v28, v5
	v_mul_f32_e32 v63, v30, v7
	s_waitcnt vmcnt(5) lgkmcnt(4)
	v_mul_f32_e32 v3, v32, v9
	v_mul_f32_e32 v2, v29, v5
	;; [unrolled: 1-line block ×4, first 2 shown]
	s_waitcnt vmcnt(1) lgkmcnt(0)
	v_pk_mul_f32 v[68:69], v[48:49], v[24:25] op_sel:[1,1] op_sel_hi:[0,1]
	v_pk_mul_f32 v[56:57], v[36:37], v[12:13] op_sel:[1,1] op_sel_hi:[0,1]
	v_fmac_f32_e32 v59, v29, v4
	v_fmac_f32_e32 v3, v33, v8
	v_fma_f32 v67, v28, v4, -v2
	v_fma_f32 v2, v32, v8, -v7
	v_pk_fma_f32 v[32:33], v[48:49], v[24:25], v[68:69] neg_lo:[0,0,1] neg_hi:[0,0,1]
	v_pk_fma_f32 v[24:25], v[48:49], v[24:25], v[68:69] op_sel_hi:[1,0,1]
	v_fmac_f32_e32 v63, v31, v6
	v_fma_f32 v71, v30, v6, -v5
	v_pk_fma_f32 v[4:5], v[36:37], v[12:13], v[56:57] neg_lo:[0,0,1] neg_hi:[0,0,1]
	v_pk_fma_f32 v[6:7], v[36:37], v[12:13], v[56:57] op_sel_hi:[1,0,1]
	v_add_f32_e32 v24, 0, v59
	v_add_f32_e32 v36, 0, v67
	v_mul_f32_e32 v55, v34, v11
	v_mul_f32_e32 v9, v35, v11
	v_mov_b32_e32 v58, v15
	v_mov_b32_e32 v33, v25
	v_add_f32_e32 v25, v24, v63
	v_add_f32_e32 v24, v36, v71
	v_fmac_f32_e32 v55, v35, v10
	v_fma_f32 v54, v34, v10, -v9
	v_pk_mul_f32 v[8:9], v[38:39], v[58:59] op_sel:[1,0] op_sel_hi:[0,0]
	v_pk_add_f32 v[2:3], v[24:25], v[2:3]
	v_pk_mul_f32 v[60:61], v[40:41], v[16:17] op_sel:[1,1] op_sel_hi:[0,1]
	v_mov_b32_e32 v62, v19
	v_mov_b32_e32 v5, v7
	v_pk_fma_f32 v[6:7], v[38:39], v[14:15], v[8:9] neg_lo:[0,0,1] neg_hi:[0,0,1]
	v_pk_fma_f32 v[8:9], v[38:39], v[14:15], v[8:9] op_sel_hi:[1,0,1]
	v_pk_add_f32 v[2:3], v[2:3], v[54:55]
	v_pk_fma_f32 v[10:11], v[40:41], v[16:17], v[60:61] neg_lo:[0,0,1] neg_hi:[0,0,1]
	v_pk_fma_f32 v[12:13], v[40:41], v[16:17], v[60:61] op_sel_hi:[1,0,1]
	v_pk_mul_f32 v[16:17], v[42:43], v[62:63] op_sel:[1,0] op_sel_hi:[0,0]
	v_mov_b32_e32 v7, v9
	v_pk_add_f32 v[2:3], v[2:3], v[4:5]
	v_pk_mul_f32 v[64:65], v[44:45], v[20:21] op_sel:[1,1] op_sel_hi:[0,1]
	v_mov_b32_e32 v66, v23
	v_mov_b32_e32 v11, v13
	v_pk_fma_f32 v[12:13], v[42:43], v[18:19], v[16:17] neg_lo:[0,0,1] neg_hi:[0,0,1]
	v_pk_fma_f32 v[14:15], v[42:43], v[18:19], v[16:17] op_sel_hi:[1,0,1]
	v_pk_add_f32 v[2:3], v[2:3], v[6:7]
	v_pk_fma_f32 v[28:29], v[44:45], v[20:21], v[64:65] neg_lo:[0,0,1] neg_hi:[0,0,1]
	v_pk_fma_f32 v[20:21], v[44:45], v[20:21], v[64:65] op_sel_hi:[1,0,1]
	v_pk_mul_f32 v[30:31], v[46:47], v[66:67] op_sel:[1,0] op_sel_hi:[0,0]
	v_mov_b32_e32 v13, v15
	v_pk_add_f32 v[2:3], v[2:3], v[10:11]
	v_mov_b32_e32 v70, v27
	v_mov_b32_e32 v29, v21
	v_pk_fma_f32 v[16:17], v[46:47], v[22:23], v[30:31] neg_lo:[0,0,1] neg_hi:[0,0,1]
	v_pk_fma_f32 v[18:19], v[46:47], v[22:23], v[30:31] op_sel_hi:[1,0,1]
	v_pk_add_f32 v[2:3], v[2:3], v[12:13]
	v_pk_mul_f32 v[34:35], v[50:51], v[70:71] op_sel:[1,0] op_sel_hi:[0,0]
	v_mov_b32_e32 v17, v19
	v_pk_add_f32 v[2:3], v[2:3], v[28:29]
	v_pk_fma_f32 v[20:21], v[50:51], v[26:27], v[34:35] neg_lo:[0,0,1] neg_hi:[0,0,1]
	v_pk_fma_f32 v[22:23], v[50:51], v[26:27], v[34:35] op_sel_hi:[1,0,1]
	v_pk_add_f32 v[2:3], v[2:3], v[16:17]
	v_mov_b32_e32 v21, v23
	v_pk_add_f32 v[2:3], v[2:3], v[32:33]
	s_nop 0
	v_pk_add_f32 v[2:3], v[2:3], v[20:21]
	s_waitcnt vmcnt(0)
	v_pk_add_f32 v[2:3], v[52:53], v[2:3] neg_lo:[0,1] neg_hi:[0,1]
	scratch_store_dwordx2 off, v[2:3], off offset:272
	s_and_saveexec_b64 s[0:1], vcc
	s_cbranch_execz .LBB46_229
; %bb.228:
	scratch_load_dwordx2 v[2:3], off, off offset:264
	v_mov_b32_e32 v4, 0
	v_mov_b32_e32 v5, v4
	scratch_store_dwordx2 off, v[4:5], off offset:264
	s_waitcnt vmcnt(1)
	ds_write_b64 v1, v[2:3]
.LBB46_229:
	s_or_b64 exec, exec, s[0:1]
	s_waitcnt lgkmcnt(0)
	; wave barrier
	scratch_load_dwordx4 v[4:7], off, off offset:272
	scratch_load_dwordx4 v[8:11], off, off offset:288
	;; [unrolled: 1-line block ×6, first 2 shown]
	scratch_load_dwordx2 v[52:53], off, off offset:368
	scratch_load_dwordx2 v[54:55], off, off offset:264
	v_mov_b32_e32 v2, 0
	ds_read_b128 v[28:31], v2 offset:656
	ds_read_b128 v[32:35], v2 offset:672
	;; [unrolled: 1-line block ×6, first 2 shown]
	ds_read_b64 v[56:57], v2 offset:752
	v_cmp_lt_u32_e32 vcc, 32, v0
	s_waitcnt vmcnt(7) lgkmcnt(6)
	v_mul_f32_e32 v63, v30, v7
	v_mul_f32_e32 v3, v28, v5
	s_waitcnt vmcnt(5) lgkmcnt(4)
	v_mul_f32_e32 v61, v36, v13
	v_mul_f32_e32 v5, v29, v5
	v_mov_b32_e32 v62, v15
	s_waitcnt vmcnt(2) lgkmcnt(1)
	v_pk_mul_f32 v[72:73], v[48:49], v[24:25] op_sel:[1,1] op_sel_hi:[0,1]
	v_fmac_f32_e32 v63, v31, v6
	v_mul_f32_e32 v7, v31, v7
	v_mul_f32_e32 v13, v37, v13
	v_fmac_f32_e32 v3, v29, v4
	v_fmac_f32_e32 v61, v37, v12
	v_fma_f32 v37, v28, v4, -v5
	v_pk_mul_f32 v[4:5], v[38:39], v[62:63] op_sel:[1,0] op_sel_hi:[0,0]
	v_pk_fma_f32 v[28:29], v[48:49], v[24:25], v[72:73] neg_lo:[0,0,1] neg_hi:[0,0,1]
	v_pk_fma_f32 v[24:25], v[48:49], v[24:25], v[72:73] op_sel_hi:[1,0,1]
	v_mul_f32_e32 v67, v32, v9
	v_mul_f32_e32 v9, v33, v9
	v_fma_f32 v71, v30, v6, -v7
	v_fma_f32 v60, v36, v12, -v13
	v_add_f32_e32 v3, 0, v3
	v_add_f32_e32 v24, 0, v37
	v_pk_fma_f32 v[36:37], v[38:39], v[14:15], v[4:5] neg_lo:[0,0,1] neg_hi:[0,0,1]
	v_pk_fma_f32 v[4:5], v[38:39], v[14:15], v[4:5] op_sel_hi:[1,0,1]
	v_mul_f32_e32 v59, v34, v11
	v_mul_f32_e32 v11, v35, v11
	v_fmac_f32_e32 v67, v33, v8
	v_fma_f32 v75, v32, v8, -v9
	v_add_f32_e32 v3, v3, v63
	v_add_f32_e32 v4, v24, v71
	v_fmac_f32_e32 v59, v35, v10
	v_fma_f32 v58, v34, v10, -v11
	v_mov_b32_e32 v37, v5
	v_add_f32_e32 v5, v3, v67
	v_add_f32_e32 v4, v4, v75
	v_pk_mul_f32 v[64:65], v[40:41], v[16:17] op_sel:[1,1] op_sel_hi:[0,1]
	v_mov_b32_e32 v66, v19
	v_pk_add_f32 v[4:5], v[4:5], v[58:59]
	v_pk_fma_f32 v[6:7], v[40:41], v[16:17], v[64:65] neg_lo:[0,0,1] neg_hi:[0,0,1]
	v_pk_fma_f32 v[8:9], v[40:41], v[16:17], v[64:65] op_sel_hi:[1,0,1]
	v_pk_mul_f32 v[10:11], v[42:43], v[66:67] op_sel:[1,0] op_sel_hi:[0,0]
	v_pk_add_f32 v[4:5], v[4:5], v[60:61]
	v_pk_mul_f32 v[68:69], v[44:45], v[20:21] op_sel:[1,1] op_sel_hi:[0,1]
	v_mov_b32_e32 v70, v23
	v_mov_b32_e32 v7, v9
	v_pk_fma_f32 v[8:9], v[42:43], v[18:19], v[10:11] neg_lo:[0,0,1] neg_hi:[0,0,1]
	v_pk_fma_f32 v[10:11], v[42:43], v[18:19], v[10:11] op_sel_hi:[1,0,1]
	v_pk_add_f32 v[4:5], v[4:5], v[36:37]
	v_pk_fma_f32 v[12:13], v[44:45], v[20:21], v[68:69] neg_lo:[0,0,1] neg_hi:[0,0,1]
	v_pk_fma_f32 v[16:17], v[44:45], v[20:21], v[68:69] op_sel_hi:[1,0,1]
	v_pk_mul_f32 v[20:21], v[46:47], v[70:71] op_sel:[1,0] op_sel_hi:[0,0]
	v_mov_b32_e32 v9, v11
	v_pk_add_f32 v[4:5], v[4:5], v[6:7]
	v_mov_b32_e32 v74, v27
	v_mov_b32_e32 v13, v17
	v_pk_fma_f32 v[14:15], v[46:47], v[22:23], v[20:21] neg_lo:[0,0,1] neg_hi:[0,0,1]
	v_pk_fma_f32 v[16:17], v[46:47], v[22:23], v[20:21] op_sel_hi:[1,0,1]
	v_pk_add_f32 v[4:5], v[4:5], v[8:9]
	v_pk_mul_f32 v[30:31], v[50:51], v[74:75] op_sel:[1,0] op_sel_hi:[0,0]
	v_mov_b32_e32 v15, v17
	v_pk_add_f32 v[4:5], v[4:5], v[12:13]
	s_waitcnt vmcnt(1) lgkmcnt(0)
	v_pk_mul_f32 v[76:77], v[56:57], v[52:53] op_sel:[1,1] op_sel_hi:[0,1]
	v_mov_b32_e32 v29, v25
	v_pk_fma_f32 v[18:19], v[50:51], v[26:27], v[30:31] neg_lo:[0,0,1] neg_hi:[0,0,1]
	v_pk_fma_f32 v[20:21], v[50:51], v[26:27], v[30:31] op_sel_hi:[1,0,1]
	v_pk_add_f32 v[4:5], v[4:5], v[14:15]
	v_pk_fma_f32 v[32:33], v[56:57], v[52:53], v[76:77] neg_lo:[0,0,1] neg_hi:[0,0,1]
	v_pk_fma_f32 v[34:35], v[56:57], v[52:53], v[76:77] op_sel_hi:[1,0,1]
	v_mov_b32_e32 v19, v21
	v_pk_add_f32 v[4:5], v[4:5], v[28:29]
	v_mov_b32_e32 v33, v35
	v_pk_add_f32 v[4:5], v[4:5], v[18:19]
	s_nop 0
	v_pk_add_f32 v[4:5], v[4:5], v[32:33]
	s_waitcnt vmcnt(0)
	v_pk_add_f32 v[4:5], v[54:55], v[4:5] neg_lo:[0,1] neg_hi:[0,1]
	scratch_store_dwordx2 off, v[4:5], off offset:264
	s_and_saveexec_b64 s[0:1], vcc
	s_cbranch_execz .LBB46_231
; %bb.230:
	scratch_load_dwordx2 v[4:5], off, off offset:256
	v_mov_b32_e32 v3, v2
	scratch_store_dwordx2 off, v[2:3], off offset:256
	s_waitcnt vmcnt(1)
	ds_write_b64 v1, v[4:5]
.LBB46_231:
	s_or_b64 exec, exec, s[0:1]
	s_waitcnt lgkmcnt(0)
	; wave barrier
	scratch_load_dwordx4 v[8:11], off, off offset:264
	scratch_load_dwordx4 v[16:19], off, off offset:280
	ds_read2_b64 v[4:7], v2 offset0:81 offset1:82
	scratch_load_dwordx4 v[24:27], off, off offset:296
	v_cmp_lt_u32_e32 vcc, 31, v0
	s_waitcnt vmcnt(2) lgkmcnt(0)
	v_mul_f32_e32 v3, v4, v9
	v_fmac_f32_e32 v3, v5, v8
	v_mul_f32_e32 v12, v6, v11
	v_add_f32_e32 v3, 0, v3
	v_fmac_f32_e32 v12, v7, v10
	v_add_f32_e32 v3, v3, v12
	ds_read2_b64 v[12:15], v2 offset0:83 offset1:84
	s_waitcnt vmcnt(1) lgkmcnt(0)
	v_mul_f32_e32 v20, v12, v17
	v_fmac_f32_e32 v20, v13, v16
	v_add_f32_e32 v3, v3, v20
	v_mul_f32_e32 v20, v14, v19
	v_fmac_f32_e32 v20, v15, v18
	v_add_f32_e32 v45, v3, v20
	ds_read2_b64 v[20:23], v2 offset0:85 offset1:86
	scratch_load_dwordx4 v[28:31], off, off offset:312
	scratch_load_dwordx4 v[32:35], off, off offset:328
	;; [unrolled: 1-line block ×4, first 2 shown]
	v_mul_f32_e32 v3, v5, v9
	v_fma_f32 v3, v4, v8, -v3
	v_mul_f32_e32 v4, v7, v11
	v_add_f32_e32 v3, 0, v3
	v_fma_f32 v4, v6, v10, -v4
	v_add_f32_e32 v3, v3, v4
	v_mul_f32_e32 v4, v13, v17
	v_fma_f32 v4, v12, v16, -v4
	v_add_f32_e32 v3, v3, v4
	v_mul_f32_e32 v4, v15, v19
	v_fma_f32 v4, v14, v18, -v4
	v_add_f32_e32 v44, v3, v4
	ds_read2_b64 v[4:7], v2 offset0:87 offset1:88
	ds_read2_b64 v[8:11], v2 offset0:89 offset1:90
	;; [unrolled: 1-line block ×4, first 2 shown]
	s_waitcnt vmcnt(4) lgkmcnt(4)
	v_mul_f32_e32 v47, v20, v25
	v_mul_f32_e32 v3, v21, v25
	v_fmac_f32_e32 v47, v21, v24
	v_mul_f32_e32 v49, v22, v27
	v_fma_f32 v46, v20, v24, -v3
	v_mul_f32_e32 v3, v23, v27
	v_fmac_f32_e32 v49, v23, v26
	v_fma_f32 v48, v22, v26, -v3
	v_pk_add_f32 v[2:3], v[44:45], v[46:47]
	s_waitcnt vmcnt(3) lgkmcnt(3)
	v_pk_mul_f32 v[20:21], v[4:5], v[28:29] op_sel:[1,1] op_sel_hi:[0,1]
	v_pk_fma_f32 v[22:23], v[4:5], v[28:29], v[20:21] neg_lo:[0,0,1] neg_hi:[0,0,1]
	v_pk_fma_f32 v[4:5], v[4:5], v[28:29], v[20:21] op_sel_hi:[1,0,1]
	v_pk_add_f32 v[2:3], v[2:3], v[48:49]
	v_mov_b32_e32 v4, v31
	v_mov_b32_e32 v23, v5
	v_pk_mul_f32 v[4:5], v[6:7], v[4:5] op_sel:[1,0] op_sel_hi:[0,0]
	v_pk_fma_f32 v[20:21], v[6:7], v[30:31], v[4:5] neg_lo:[0,0,1] neg_hi:[0,0,1]
	v_pk_fma_f32 v[4:5], v[6:7], v[30:31], v[4:5] op_sel_hi:[1,0,1]
	v_pk_add_f32 v[2:3], v[2:3], v[22:23]
	v_mov_b32_e32 v21, v5
	s_waitcnt vmcnt(2) lgkmcnt(2)
	v_pk_mul_f32 v[4:5], v[8:9], v[32:33] op_sel:[1,1] op_sel_hi:[0,1]
	v_pk_fma_f32 v[6:7], v[8:9], v[32:33], v[4:5] neg_lo:[0,0,1] neg_hi:[0,0,1]
	v_pk_fma_f32 v[4:5], v[8:9], v[32:33], v[4:5] op_sel_hi:[1,0,1]
	v_pk_add_f32 v[2:3], v[2:3], v[20:21]
	v_mov_b32_e32 v4, v35
	v_mov_b32_e32 v7, v5
	v_pk_mul_f32 v[4:5], v[10:11], v[4:5] op_sel:[1,0] op_sel_hi:[0,0]
	v_pk_add_f32 v[2:3], v[2:3], v[6:7]
	v_pk_fma_f32 v[6:7], v[10:11], v[34:35], v[4:5] neg_lo:[0,0,1] neg_hi:[0,0,1]
	v_pk_fma_f32 v[4:5], v[10:11], v[34:35], v[4:5] op_sel_hi:[1,0,1]
	s_nop 0
	v_mov_b32_e32 v7, v5
	s_waitcnt vmcnt(1) lgkmcnt(1)
	v_pk_mul_f32 v[4:5], v[12:13], v[36:37] op_sel:[1,1] op_sel_hi:[0,1]
	v_pk_add_f32 v[2:3], v[2:3], v[6:7]
	v_pk_fma_f32 v[6:7], v[12:13], v[36:37], v[4:5] neg_lo:[0,0,1] neg_hi:[0,0,1]
	v_pk_fma_f32 v[4:5], v[12:13], v[36:37], v[4:5] op_sel_hi:[1,0,1]
	s_nop 0
	v_mov_b32_e32 v4, v39
	v_mov_b32_e32 v7, v5
	v_pk_mul_f32 v[4:5], v[14:15], v[4:5] op_sel:[1,0] op_sel_hi:[0,0]
	v_pk_add_f32 v[2:3], v[2:3], v[6:7]
	v_pk_fma_f32 v[6:7], v[14:15], v[38:39], v[4:5] neg_lo:[0,0,1] neg_hi:[0,0,1]
	v_pk_fma_f32 v[4:5], v[14:15], v[38:39], v[4:5] op_sel_hi:[1,0,1]
	s_nop 0
	v_mov_b32_e32 v7, v5
	s_waitcnt vmcnt(0) lgkmcnt(0)
	v_pk_mul_f32 v[4:5], v[16:17], v[40:41] op_sel:[1,1] op_sel_hi:[0,1]
	v_pk_add_f32 v[2:3], v[2:3], v[6:7]
	v_pk_fma_f32 v[6:7], v[16:17], v[40:41], v[4:5] neg_lo:[0,0,1] neg_hi:[0,0,1]
	v_pk_fma_f32 v[4:5], v[16:17], v[40:41], v[4:5] op_sel_hi:[1,0,1]
	s_nop 0
	v_mov_b32_e32 v4, v43
	v_mov_b32_e32 v7, v5
	v_pk_mul_f32 v[4:5], v[18:19], v[4:5] op_sel:[1,0] op_sel_hi:[0,0]
	v_pk_add_f32 v[2:3], v[2:3], v[6:7]
	v_pk_fma_f32 v[6:7], v[18:19], v[42:43], v[4:5] neg_lo:[0,0,1] neg_hi:[0,0,1]
	v_pk_fma_f32 v[4:5], v[18:19], v[42:43], v[4:5] op_sel_hi:[1,0,1]
	s_nop 0
	v_mov_b32_e32 v7, v5
	scratch_load_dwordx2 v[4:5], off, off offset:256
	v_pk_add_f32 v[2:3], v[2:3], v[6:7]
	s_waitcnt vmcnt(0)
	v_pk_add_f32 v[2:3], v[4:5], v[2:3] neg_lo:[0,1] neg_hi:[0,1]
	scratch_store_dwordx2 off, v[2:3], off offset:256
	s_and_saveexec_b64 s[0:1], vcc
	s_cbranch_execz .LBB46_233
; %bb.232:
	scratch_load_dwordx2 v[2:3], off, off offset:248
	v_mov_b32_e32 v4, 0
	v_mov_b32_e32 v5, v4
	scratch_store_dwordx2 off, v[4:5], off offset:248
	s_waitcnt vmcnt(1)
	ds_write_b64 v1, v[2:3]
.LBB46_233:
	s_or_b64 exec, exec, s[0:1]
	v_mov_b32_e32 v2, 0
	s_waitcnt lgkmcnt(0)
	; wave barrier
	ds_read_b128 v[4:7], v2 offset:640
	ds_read_b128 v[8:11], v2 offset:656
	;; [unrolled: 1-line block ×4, first 2 shown]
	scratch_load_dwordx4 v[20:23], off, off offset:256
	v_cmp_lt_u32_e32 vcc, 30, v0
	s_waitcnt vmcnt(0) lgkmcnt(3)
	v_mul_f32_e32 v3, v4, v21
	v_fmac_f32_e32 v3, v5, v20
	v_mul_f32_e32 v24, v6, v23
	v_add_f32_e32 v3, 0, v3
	v_fmac_f32_e32 v24, v7, v22
	v_add_f32_e32 v3, v3, v24
	scratch_load_dwordx4 v[24:27], off, off offset:272
	s_waitcnt vmcnt(0) lgkmcnt(2)
	v_mul_f32_e32 v28, v8, v25
	v_fmac_f32_e32 v28, v9, v24
	v_add_f32_e32 v3, v3, v28
	v_mul_f32_e32 v28, v10, v27
	v_fmac_f32_e32 v28, v11, v26
	v_add_f32_e32 v3, v3, v28
	scratch_load_dwordx4 v[28:31], off, off offset:288
	s_waitcnt vmcnt(0) lgkmcnt(1)
	v_mul_f32_e32 v32, v12, v29
	v_fmac_f32_e32 v32, v13, v28
	v_add_f32_e32 v49, v3, v32
	scratch_load_dwordx4 v[32:35], off, off offset:304
	scratch_load_dwordx4 v[36:39], off, off offset:320
	;; [unrolled: 1-line block ×4, first 2 shown]
	scratch_load_dwordx2 v[54:55], off, off offset:368
	v_mul_f32_e32 v3, v5, v21
	v_fma_f32 v3, v4, v20, -v3
	v_mul_f32_e32 v4, v7, v23
	v_add_f32_e32 v3, 0, v3
	v_fma_f32 v4, v6, v22, -v4
	v_add_f32_e32 v3, v3, v4
	v_mul_f32_e32 v4, v9, v25
	v_fma_f32 v4, v8, v24, -v4
	v_add_f32_e32 v3, v3, v4
	v_mul_f32_e32 v4, v11, v27
	;; [unrolled: 3-line block ×3, first 2 shown]
	v_fma_f32 v4, v12, v28, -v4
	v_mul_f32_e32 v51, v14, v31
	v_add_f32_e32 v48, v3, v4
	v_mul_f32_e32 v3, v15, v31
	v_fmac_f32_e32 v51, v15, v30
	v_fma_f32 v50, v14, v30, -v3
	v_pk_add_f32 v[20:21], v[48:49], v[50:51]
	s_waitcnt vmcnt(4)
	v_mov_b32_e32 v22, v35
	s_waitcnt lgkmcnt(0)
	v_mul_f32_e32 v53, v16, v33
	v_mul_f32_e32 v3, v17, v33
	v_pk_mul_f32 v[22:23], v[18:19], v[22:23] op_sel:[1,0] op_sel_hi:[0,0]
	v_fmac_f32_e32 v53, v17, v32
	v_fma_f32 v52, v16, v32, -v3
	ds_read_b128 v[4:7], v2 offset:704
	ds_read_b128 v[8:11], v2 offset:720
	;; [unrolled: 1-line block ×3, first 2 shown]
	ds_read_b64 v[16:17], v2 offset:752
	v_pk_fma_f32 v[24:25], v[18:19], v[34:35], v[22:23] neg_lo:[0,0,1] neg_hi:[0,0,1]
	v_pk_fma_f32 v[18:19], v[18:19], v[34:35], v[22:23] op_sel_hi:[1,0,1]
	v_pk_add_f32 v[20:21], v[20:21], v[52:53]
	v_mov_b32_e32 v25, v19
	v_pk_add_f32 v[18:19], v[20:21], v[24:25]
	s_waitcnt vmcnt(3) lgkmcnt(3)
	v_pk_mul_f32 v[20:21], v[4:5], v[36:37] op_sel:[1,1] op_sel_hi:[0,1]
	v_pk_fma_f32 v[22:23], v[4:5], v[36:37], v[20:21] neg_lo:[0,0,1] neg_hi:[0,0,1]
	v_pk_fma_f32 v[4:5], v[4:5], v[36:37], v[20:21] op_sel_hi:[1,0,1]
	s_nop 0
	v_mov_b32_e32 v23, v5
	v_pk_add_f32 v[4:5], v[18:19], v[22:23]
	v_mov_b32_e32 v18, v39
	v_pk_mul_f32 v[18:19], v[6:7], v[18:19] op_sel:[1,0] op_sel_hi:[0,0]
	v_pk_fma_f32 v[20:21], v[6:7], v[38:39], v[18:19] neg_lo:[0,0,1] neg_hi:[0,0,1]
	v_pk_fma_f32 v[6:7], v[6:7], v[38:39], v[18:19] op_sel_hi:[1,0,1]
	s_nop 0
	v_mov_b32_e32 v21, v7
	s_waitcnt vmcnt(2) lgkmcnt(2)
	v_pk_mul_f32 v[6:7], v[8:9], v[40:41] op_sel:[1,1] op_sel_hi:[0,1]
	v_pk_fma_f32 v[18:19], v[8:9], v[40:41], v[6:7] neg_lo:[0,0,1] neg_hi:[0,0,1]
	v_pk_fma_f32 v[6:7], v[8:9], v[40:41], v[6:7] op_sel_hi:[1,0,1]
	v_pk_add_f32 v[4:5], v[4:5], v[20:21]
	v_mov_b32_e32 v6, v43
	v_mov_b32_e32 v19, v7
	v_pk_mul_f32 v[6:7], v[10:11], v[6:7] op_sel:[1,0] op_sel_hi:[0,0]
	v_pk_fma_f32 v[8:9], v[10:11], v[42:43], v[6:7] neg_lo:[0,0,1] neg_hi:[0,0,1]
	v_pk_fma_f32 v[6:7], v[10:11], v[42:43], v[6:7] op_sel_hi:[1,0,1]
	v_pk_add_f32 v[4:5], v[4:5], v[18:19]
	v_mov_b32_e32 v9, v7
	s_waitcnt vmcnt(1) lgkmcnt(1)
	v_pk_mul_f32 v[6:7], v[12:13], v[44:45] op_sel:[1,1] op_sel_hi:[0,1]
	v_pk_add_f32 v[4:5], v[4:5], v[8:9]
	v_pk_fma_f32 v[8:9], v[12:13], v[44:45], v[6:7] neg_lo:[0,0,1] neg_hi:[0,0,1]
	v_pk_fma_f32 v[6:7], v[12:13], v[44:45], v[6:7] op_sel_hi:[1,0,1]
	s_nop 0
	v_mov_b32_e32 v6, v47
	v_mov_b32_e32 v9, v7
	v_pk_mul_f32 v[6:7], v[14:15], v[6:7] op_sel:[1,0] op_sel_hi:[0,0]
	v_pk_add_f32 v[4:5], v[4:5], v[8:9]
	v_pk_fma_f32 v[8:9], v[14:15], v[46:47], v[6:7] neg_lo:[0,0,1] neg_hi:[0,0,1]
	v_pk_fma_f32 v[6:7], v[14:15], v[46:47], v[6:7] op_sel_hi:[1,0,1]
	s_nop 0
	v_mov_b32_e32 v9, v7
	s_waitcnt vmcnt(0) lgkmcnt(0)
	v_pk_mul_f32 v[6:7], v[16:17], v[54:55] op_sel:[1,1] op_sel_hi:[0,1]
	v_pk_add_f32 v[4:5], v[4:5], v[8:9]
	v_pk_fma_f32 v[8:9], v[16:17], v[54:55], v[6:7] neg_lo:[0,0,1] neg_hi:[0,0,1]
	v_pk_fma_f32 v[6:7], v[16:17], v[54:55], v[6:7] op_sel_hi:[1,0,1]
	s_nop 0
	v_mov_b32_e32 v9, v7
	scratch_load_dwordx2 v[6:7], off, off offset:248
	v_pk_add_f32 v[4:5], v[4:5], v[8:9]
	s_waitcnt vmcnt(0)
	v_pk_add_f32 v[4:5], v[6:7], v[4:5] neg_lo:[0,1] neg_hi:[0,1]
	scratch_store_dwordx2 off, v[4:5], off offset:248
	s_and_saveexec_b64 s[0:1], vcc
	s_cbranch_execz .LBB46_235
; %bb.234:
	scratch_load_dwordx2 v[4:5], off, off offset:240
	v_mov_b32_e32 v3, v2
	scratch_store_dwordx2 off, v[2:3], off offset:240
	s_waitcnt vmcnt(1)
	ds_write_b64 v1, v[4:5]
.LBB46_235:
	s_or_b64 exec, exec, s[0:1]
	s_waitcnt lgkmcnt(0)
	; wave barrier
	scratch_load_dwordx4 v[8:11], off, off offset:248
	scratch_load_dwordx4 v[16:19], off, off offset:264
	;; [unrolled: 1-line block ×4, first 2 shown]
	ds_read2_b64 v[4:7], v2 offset0:79 offset1:80
	v_cmp_lt_u32_e32 vcc, 29, v0
	s_waitcnt vmcnt(3) lgkmcnt(0)
	v_mul_f32_e32 v3, v4, v9
	v_fmac_f32_e32 v3, v5, v8
	v_mul_f32_e32 v12, v6, v11
	v_add_f32_e32 v3, 0, v3
	v_fmac_f32_e32 v12, v7, v10
	v_add_f32_e32 v3, v3, v12
	ds_read2_b64 v[12:15], v2 offset0:81 offset1:82
	s_waitcnt vmcnt(2) lgkmcnt(0)
	v_mul_f32_e32 v20, v12, v17
	v_fmac_f32_e32 v20, v13, v16
	v_add_f32_e32 v3, v3, v20
	v_mul_f32_e32 v20, v14, v19
	v_fmac_f32_e32 v20, v15, v18
	v_add_f32_e32 v3, v3, v20
	ds_read2_b64 v[20:23], v2 offset0:83 offset1:84
	s_waitcnt vmcnt(1) lgkmcnt(0)
	v_mul_f32_e32 v28, v20, v25
	v_fmac_f32_e32 v28, v21, v24
	v_add_f32_e32 v3, v3, v28
	v_mul_f32_e32 v28, v22, v27
	v_fmac_f32_e32 v28, v23, v26
	v_add_f32_e32 v53, v3, v28
	ds_read2_b64 v[28:31], v2 offset0:85 offset1:86
	scratch_load_dwordx4 v[36:39], off, off offset:312
	scratch_load_dwordx4 v[40:43], off, off offset:328
	;; [unrolled: 1-line block ×4, first 2 shown]
	v_mul_f32_e32 v3, v5, v9
	v_fma_f32 v3, v4, v8, -v3
	v_mul_f32_e32 v4, v7, v11
	v_add_f32_e32 v3, 0, v3
	v_fma_f32 v4, v6, v10, -v4
	v_add_f32_e32 v3, v3, v4
	v_mul_f32_e32 v4, v13, v17
	v_fma_f32 v4, v12, v16, -v4
	v_add_f32_e32 v3, v3, v4
	v_mul_f32_e32 v4, v15, v19
	;; [unrolled: 3-line block ×4, first 2 shown]
	v_fma_f32 v4, v22, v26, -v4
	v_add_f32_e32 v52, v3, v4
	ds_read2_b64 v[4:7], v2 offset0:87 offset1:88
	ds_read2_b64 v[8:11], v2 offset0:89 offset1:90
	ds_read2_b64 v[12:15], v2 offset0:91 offset1:92
	ds_read2_b64 v[16:19], v2 offset0:93 offset1:94
	s_waitcnt vmcnt(4) lgkmcnt(4)
	v_mul_f32_e32 v55, v28, v33
	v_mul_f32_e32 v3, v29, v33
	v_fmac_f32_e32 v55, v29, v32
	v_mul_f32_e32 v57, v30, v35
	v_fma_f32 v54, v28, v32, -v3
	v_mul_f32_e32 v3, v31, v35
	v_fmac_f32_e32 v57, v31, v34
	v_fma_f32 v56, v30, v34, -v3
	v_pk_add_f32 v[2:3], v[52:53], v[54:55]
	s_waitcnt vmcnt(3) lgkmcnt(3)
	v_pk_mul_f32 v[20:21], v[4:5], v[36:37] op_sel:[1,1] op_sel_hi:[0,1]
	v_pk_fma_f32 v[22:23], v[4:5], v[36:37], v[20:21] neg_lo:[0,0,1] neg_hi:[0,0,1]
	v_pk_fma_f32 v[4:5], v[4:5], v[36:37], v[20:21] op_sel_hi:[1,0,1]
	v_pk_add_f32 v[2:3], v[2:3], v[56:57]
	v_mov_b32_e32 v4, v39
	v_mov_b32_e32 v23, v5
	v_pk_mul_f32 v[4:5], v[6:7], v[4:5] op_sel:[1,0] op_sel_hi:[0,0]
	v_pk_fma_f32 v[20:21], v[6:7], v[38:39], v[4:5] neg_lo:[0,0,1] neg_hi:[0,0,1]
	v_pk_fma_f32 v[4:5], v[6:7], v[38:39], v[4:5] op_sel_hi:[1,0,1]
	v_pk_add_f32 v[2:3], v[2:3], v[22:23]
	v_mov_b32_e32 v21, v5
	s_waitcnt vmcnt(2) lgkmcnt(2)
	v_pk_mul_f32 v[4:5], v[8:9], v[40:41] op_sel:[1,1] op_sel_hi:[0,1]
	v_pk_fma_f32 v[6:7], v[8:9], v[40:41], v[4:5] neg_lo:[0,0,1] neg_hi:[0,0,1]
	v_pk_fma_f32 v[4:5], v[8:9], v[40:41], v[4:5] op_sel_hi:[1,0,1]
	v_pk_add_f32 v[2:3], v[2:3], v[20:21]
	v_mov_b32_e32 v4, v43
	v_mov_b32_e32 v7, v5
	v_pk_mul_f32 v[4:5], v[10:11], v[4:5] op_sel:[1,0] op_sel_hi:[0,0]
	v_pk_add_f32 v[2:3], v[2:3], v[6:7]
	v_pk_fma_f32 v[6:7], v[10:11], v[42:43], v[4:5] neg_lo:[0,0,1] neg_hi:[0,0,1]
	v_pk_fma_f32 v[4:5], v[10:11], v[42:43], v[4:5] op_sel_hi:[1,0,1]
	s_nop 0
	v_mov_b32_e32 v7, v5
	s_waitcnt vmcnt(1) lgkmcnt(1)
	v_pk_mul_f32 v[4:5], v[12:13], v[44:45] op_sel:[1,1] op_sel_hi:[0,1]
	v_pk_add_f32 v[2:3], v[2:3], v[6:7]
	v_pk_fma_f32 v[6:7], v[12:13], v[44:45], v[4:5] neg_lo:[0,0,1] neg_hi:[0,0,1]
	v_pk_fma_f32 v[4:5], v[12:13], v[44:45], v[4:5] op_sel_hi:[1,0,1]
	s_nop 0
	v_mov_b32_e32 v4, v47
	v_mov_b32_e32 v7, v5
	v_pk_mul_f32 v[4:5], v[14:15], v[4:5] op_sel:[1,0] op_sel_hi:[0,0]
	v_pk_add_f32 v[2:3], v[2:3], v[6:7]
	v_pk_fma_f32 v[6:7], v[14:15], v[46:47], v[4:5] neg_lo:[0,0,1] neg_hi:[0,0,1]
	v_pk_fma_f32 v[4:5], v[14:15], v[46:47], v[4:5] op_sel_hi:[1,0,1]
	s_nop 0
	v_mov_b32_e32 v7, v5
	s_waitcnt vmcnt(0) lgkmcnt(0)
	v_pk_mul_f32 v[4:5], v[16:17], v[48:49] op_sel:[1,1] op_sel_hi:[0,1]
	v_pk_add_f32 v[2:3], v[2:3], v[6:7]
	v_pk_fma_f32 v[6:7], v[16:17], v[48:49], v[4:5] neg_lo:[0,0,1] neg_hi:[0,0,1]
	v_pk_fma_f32 v[4:5], v[16:17], v[48:49], v[4:5] op_sel_hi:[1,0,1]
	s_nop 0
	v_mov_b32_e32 v4, v51
	v_mov_b32_e32 v7, v5
	v_pk_mul_f32 v[4:5], v[18:19], v[4:5] op_sel:[1,0] op_sel_hi:[0,0]
	v_pk_add_f32 v[2:3], v[2:3], v[6:7]
	v_pk_fma_f32 v[6:7], v[18:19], v[50:51], v[4:5] neg_lo:[0,0,1] neg_hi:[0,0,1]
	v_pk_fma_f32 v[4:5], v[18:19], v[50:51], v[4:5] op_sel_hi:[1,0,1]
	s_nop 0
	v_mov_b32_e32 v7, v5
	scratch_load_dwordx2 v[4:5], off, off offset:240
	v_pk_add_f32 v[2:3], v[2:3], v[6:7]
	s_waitcnt vmcnt(0)
	v_pk_add_f32 v[2:3], v[4:5], v[2:3] neg_lo:[0,1] neg_hi:[0,1]
	scratch_store_dwordx2 off, v[2:3], off offset:240
	s_and_saveexec_b64 s[0:1], vcc
	s_cbranch_execz .LBB46_237
; %bb.236:
	scratch_load_dwordx2 v[2:3], off, off offset:232
	v_mov_b32_e32 v4, 0
	v_mov_b32_e32 v5, v4
	scratch_store_dwordx2 off, v[4:5], off offset:232
	s_waitcnt vmcnt(1)
	ds_write_b64 v1, v[2:3]
.LBB46_237:
	s_or_b64 exec, exec, s[0:1]
	v_mov_b32_e32 v2, 0
	s_waitcnt lgkmcnt(0)
	; wave barrier
	ds_read_b128 v[4:7], v2 offset:624
	ds_read_b128 v[8:11], v2 offset:640
	;; [unrolled: 1-line block ×4, first 2 shown]
	scratch_load_dwordx4 v[20:23], off, off offset:240
	scratch_load_dwordx4 v[40:43], off, off offset:304
	v_cmp_lt_u32_e32 vcc, 28, v0
	s_waitcnt vmcnt(1) lgkmcnt(3)
	v_mul_f32_e32 v3, v4, v21
	v_fmac_f32_e32 v3, v5, v20
	v_mul_f32_e32 v24, v6, v23
	v_add_f32_e32 v3, 0, v3
	v_fmac_f32_e32 v24, v7, v22
	v_add_f32_e32 v3, v3, v24
	scratch_load_dwordx4 v[24:27], off, off offset:256
	s_waitcnt vmcnt(0) lgkmcnt(2)
	v_mul_f32_e32 v28, v8, v25
	v_fmac_f32_e32 v28, v9, v24
	v_add_f32_e32 v3, v3, v28
	v_mul_f32_e32 v28, v10, v27
	v_fmac_f32_e32 v28, v11, v26
	v_add_f32_e32 v3, v3, v28
	scratch_load_dwordx4 v[28:31], off, off offset:272
	s_waitcnt vmcnt(0) lgkmcnt(1)
	v_mul_f32_e32 v32, v12, v29
	v_fmac_f32_e32 v32, v13, v28
	v_add_f32_e32 v3, v3, v32
	v_mul_f32_e32 v32, v14, v31
	v_fmac_f32_e32 v32, v15, v30
	v_add_f32_e32 v3, v3, v32
	scratch_load_dwordx4 v[32:35], off, off offset:288
	s_waitcnt vmcnt(0) lgkmcnt(0)
	v_mul_f32_e32 v36, v16, v33
	v_fmac_f32_e32 v36, v17, v32
	v_add_f32_e32 v57, v3, v36
	ds_read_b128 v[36:39], v2 offset:688
	scratch_load_dwordx4 v[44:47], off, off offset:320
	scratch_load_dwordx4 v[48:51], off, off offset:336
	;; [unrolled: 1-line block ×3, first 2 shown]
	scratch_load_dwordx2 v[62:63], off, off offset:368
	v_mul_f32_e32 v3, v5, v21
	v_fma_f32 v3, v4, v20, -v3
	v_mul_f32_e32 v4, v7, v23
	v_add_f32_e32 v3, 0, v3
	v_fma_f32 v4, v6, v22, -v4
	v_add_f32_e32 v3, v3, v4
	v_mul_f32_e32 v4, v9, v25
	v_fma_f32 v4, v8, v24, -v4
	v_add_f32_e32 v3, v3, v4
	v_mul_f32_e32 v4, v11, v27
	;; [unrolled: 3-line block ×5, first 2 shown]
	v_fma_f32 v4, v16, v32, -v4
	v_mul_f32_e32 v59, v18, v35
	v_add_f32_e32 v56, v3, v4
	v_mul_f32_e32 v3, v19, v35
	v_mov_b32_e32 v20, v43
	v_fmac_f32_e32 v59, v19, v34
	s_waitcnt lgkmcnt(0)
	v_mul_f32_e32 v61, v36, v41
	v_fma_f32 v58, v18, v34, -v3
	v_mul_f32_e32 v3, v37, v41
	ds_read_b128 v[4:7], v2 offset:704
	ds_read_b128 v[8:11], v2 offset:720
	;; [unrolled: 1-line block ×3, first 2 shown]
	ds_read_b64 v[16:17], v2 offset:752
	v_pk_mul_f32 v[20:21], v[38:39], v[20:21] op_sel:[1,0] op_sel_hi:[0,0]
	v_fmac_f32_e32 v61, v37, v40
	v_fma_f32 v60, v36, v40, -v3
	v_pk_add_f32 v[18:19], v[56:57], v[58:59]
	v_pk_fma_f32 v[22:23], v[38:39], v[42:43], v[20:21] neg_lo:[0,0,1] neg_hi:[0,0,1]
	v_pk_fma_f32 v[20:21], v[38:39], v[42:43], v[20:21] op_sel_hi:[1,0,1]
	v_pk_add_f32 v[18:19], v[18:19], v[60:61]
	v_mov_b32_e32 v23, v21
	v_pk_add_f32 v[18:19], v[18:19], v[22:23]
	s_waitcnt vmcnt(3) lgkmcnt(3)
	v_pk_mul_f32 v[20:21], v[4:5], v[44:45] op_sel:[1,1] op_sel_hi:[0,1]
	v_pk_fma_f32 v[22:23], v[4:5], v[44:45], v[20:21] neg_lo:[0,0,1] neg_hi:[0,0,1]
	v_pk_fma_f32 v[4:5], v[4:5], v[44:45], v[20:21] op_sel_hi:[1,0,1]
	s_nop 0
	v_mov_b32_e32 v23, v5
	v_pk_add_f32 v[4:5], v[18:19], v[22:23]
	v_mov_b32_e32 v18, v47
	v_pk_mul_f32 v[18:19], v[6:7], v[18:19] op_sel:[1,0] op_sel_hi:[0,0]
	v_pk_fma_f32 v[20:21], v[6:7], v[46:47], v[18:19] neg_lo:[0,0,1] neg_hi:[0,0,1]
	v_pk_fma_f32 v[6:7], v[6:7], v[46:47], v[18:19] op_sel_hi:[1,0,1]
	s_nop 0
	v_mov_b32_e32 v21, v7
	s_waitcnt vmcnt(2) lgkmcnt(2)
	v_pk_mul_f32 v[6:7], v[8:9], v[48:49] op_sel:[1,1] op_sel_hi:[0,1]
	v_pk_fma_f32 v[18:19], v[8:9], v[48:49], v[6:7] neg_lo:[0,0,1] neg_hi:[0,0,1]
	v_pk_fma_f32 v[6:7], v[8:9], v[48:49], v[6:7] op_sel_hi:[1,0,1]
	v_pk_add_f32 v[4:5], v[4:5], v[20:21]
	v_mov_b32_e32 v6, v51
	v_mov_b32_e32 v19, v7
	v_pk_mul_f32 v[6:7], v[10:11], v[6:7] op_sel:[1,0] op_sel_hi:[0,0]
	v_pk_fma_f32 v[8:9], v[10:11], v[50:51], v[6:7] neg_lo:[0,0,1] neg_hi:[0,0,1]
	v_pk_fma_f32 v[6:7], v[10:11], v[50:51], v[6:7] op_sel_hi:[1,0,1]
	v_pk_add_f32 v[4:5], v[4:5], v[18:19]
	v_mov_b32_e32 v9, v7
	s_waitcnt vmcnt(1) lgkmcnt(1)
	v_pk_mul_f32 v[6:7], v[12:13], v[52:53] op_sel:[1,1] op_sel_hi:[0,1]
	v_pk_add_f32 v[4:5], v[4:5], v[8:9]
	v_pk_fma_f32 v[8:9], v[12:13], v[52:53], v[6:7] neg_lo:[0,0,1] neg_hi:[0,0,1]
	v_pk_fma_f32 v[6:7], v[12:13], v[52:53], v[6:7] op_sel_hi:[1,0,1]
	s_nop 0
	v_mov_b32_e32 v6, v55
	v_mov_b32_e32 v9, v7
	v_pk_mul_f32 v[6:7], v[14:15], v[6:7] op_sel:[1,0] op_sel_hi:[0,0]
	v_pk_add_f32 v[4:5], v[4:5], v[8:9]
	v_pk_fma_f32 v[8:9], v[14:15], v[54:55], v[6:7] neg_lo:[0,0,1] neg_hi:[0,0,1]
	v_pk_fma_f32 v[6:7], v[14:15], v[54:55], v[6:7] op_sel_hi:[1,0,1]
	s_nop 0
	v_mov_b32_e32 v9, v7
	s_waitcnt vmcnt(0) lgkmcnt(0)
	v_pk_mul_f32 v[6:7], v[16:17], v[62:63] op_sel:[1,1] op_sel_hi:[0,1]
	v_pk_add_f32 v[4:5], v[4:5], v[8:9]
	v_pk_fma_f32 v[8:9], v[16:17], v[62:63], v[6:7] neg_lo:[0,0,1] neg_hi:[0,0,1]
	v_pk_fma_f32 v[6:7], v[16:17], v[62:63], v[6:7] op_sel_hi:[1,0,1]
	s_nop 0
	v_mov_b32_e32 v9, v7
	scratch_load_dwordx2 v[6:7], off, off offset:232
	v_pk_add_f32 v[4:5], v[4:5], v[8:9]
	s_waitcnt vmcnt(0)
	v_pk_add_f32 v[4:5], v[6:7], v[4:5] neg_lo:[0,1] neg_hi:[0,1]
	scratch_store_dwordx2 off, v[4:5], off offset:232
	s_and_saveexec_b64 s[0:1], vcc
	s_cbranch_execz .LBB46_239
; %bb.238:
	scratch_load_dwordx2 v[4:5], off, off offset:224
	v_mov_b32_e32 v3, v2
	scratch_store_dwordx2 off, v[2:3], off offset:224
	s_waitcnt vmcnt(1)
	ds_write_b64 v1, v[4:5]
.LBB46_239:
	s_or_b64 exec, exec, s[0:1]
	s_waitcnt lgkmcnt(0)
	; wave barrier
	scratch_load_dwordx4 v[8:11], off, off offset:232
	scratch_load_dwordx4 v[16:19], off, off offset:248
	;; [unrolled: 1-line block ×4, first 2 shown]
	ds_read2_b64 v[4:7], v2 offset0:77 offset1:78
	scratch_load_dwordx4 v[40:43], off, off offset:296
	v_cmp_lt_u32_e32 vcc, 27, v0
	s_waitcnt vmcnt(4) lgkmcnt(0)
	v_mul_f32_e32 v3, v4, v9
	v_fmac_f32_e32 v3, v5, v8
	v_mul_f32_e32 v12, v6, v11
	v_add_f32_e32 v3, 0, v3
	v_fmac_f32_e32 v12, v7, v10
	v_add_f32_e32 v3, v3, v12
	ds_read2_b64 v[12:15], v2 offset0:79 offset1:80
	s_waitcnt vmcnt(3) lgkmcnt(0)
	v_mul_f32_e32 v20, v12, v17
	v_fmac_f32_e32 v20, v13, v16
	v_add_f32_e32 v3, v3, v20
	v_mul_f32_e32 v20, v14, v19
	v_fmac_f32_e32 v20, v15, v18
	v_add_f32_e32 v3, v3, v20
	ds_read2_b64 v[20:23], v2 offset0:81 offset1:82
	s_waitcnt vmcnt(2) lgkmcnt(0)
	v_mul_f32_e32 v28, v20, v25
	v_fmac_f32_e32 v28, v21, v24
	v_add_f32_e32 v3, v3, v28
	v_mul_f32_e32 v28, v22, v27
	;; [unrolled: 8-line block ×3, first 2 shown]
	v_fmac_f32_e32 v36, v31, v34
	v_add_f32_e32 v61, v3, v36
	ds_read2_b64 v[36:39], v2 offset0:85 offset1:86
	scratch_load_dwordx4 v[44:47], off, off offset:312
	scratch_load_dwordx4 v[48:51], off, off offset:328
	;; [unrolled: 1-line block ×4, first 2 shown]
	v_mul_f32_e32 v3, v5, v9
	v_fma_f32 v3, v4, v8, -v3
	v_mul_f32_e32 v4, v7, v11
	v_add_f32_e32 v3, 0, v3
	v_fma_f32 v4, v6, v10, -v4
	v_add_f32_e32 v3, v3, v4
	v_mul_f32_e32 v4, v13, v17
	v_fma_f32 v4, v12, v16, -v4
	v_add_f32_e32 v3, v3, v4
	v_mul_f32_e32 v4, v15, v19
	v_fma_f32 v4, v14, v18, -v4
	v_add_f32_e32 v3, v3, v4
	v_mul_f32_e32 v4, v21, v25
	v_fma_f32 v4, v20, v24, -v4
	v_add_f32_e32 v3, v3, v4
	v_mul_f32_e32 v4, v23, v27
	v_fma_f32 v4, v22, v26, -v4
	v_add_f32_e32 v3, v3, v4
	v_mul_f32_e32 v4, v29, v33
	v_fma_f32 v4, v28, v32, -v4
	v_add_f32_e32 v3, v3, v4
	v_mul_f32_e32 v4, v31, v35
	v_fma_f32 v4, v30, v34, -v4
	v_add_f32_e32 v60, v3, v4
	ds_read2_b64 v[4:7], v2 offset0:87 offset1:88
	ds_read2_b64 v[8:11], v2 offset0:89 offset1:90
	;; [unrolled: 1-line block ×4, first 2 shown]
	s_waitcnt vmcnt(4) lgkmcnt(4)
	v_mul_f32_e32 v63, v36, v41
	v_mul_f32_e32 v3, v37, v41
	v_fmac_f32_e32 v63, v37, v40
	v_mul_f32_e32 v65, v38, v43
	v_fma_f32 v62, v36, v40, -v3
	v_mul_f32_e32 v3, v39, v43
	v_fmac_f32_e32 v65, v39, v42
	v_fma_f32 v64, v38, v42, -v3
	v_pk_add_f32 v[2:3], v[60:61], v[62:63]
	s_waitcnt vmcnt(3) lgkmcnt(3)
	v_pk_mul_f32 v[20:21], v[4:5], v[44:45] op_sel:[1,1] op_sel_hi:[0,1]
	v_pk_fma_f32 v[22:23], v[4:5], v[44:45], v[20:21] neg_lo:[0,0,1] neg_hi:[0,0,1]
	v_pk_fma_f32 v[4:5], v[4:5], v[44:45], v[20:21] op_sel_hi:[1,0,1]
	v_pk_add_f32 v[2:3], v[2:3], v[64:65]
	v_mov_b32_e32 v4, v47
	v_mov_b32_e32 v23, v5
	v_pk_mul_f32 v[4:5], v[6:7], v[4:5] op_sel:[1,0] op_sel_hi:[0,0]
	v_pk_fma_f32 v[20:21], v[6:7], v[46:47], v[4:5] neg_lo:[0,0,1] neg_hi:[0,0,1]
	v_pk_fma_f32 v[4:5], v[6:7], v[46:47], v[4:5] op_sel_hi:[1,0,1]
	v_pk_add_f32 v[2:3], v[2:3], v[22:23]
	v_mov_b32_e32 v21, v5
	s_waitcnt vmcnt(2) lgkmcnt(2)
	v_pk_mul_f32 v[4:5], v[8:9], v[48:49] op_sel:[1,1] op_sel_hi:[0,1]
	v_pk_fma_f32 v[6:7], v[8:9], v[48:49], v[4:5] neg_lo:[0,0,1] neg_hi:[0,0,1]
	v_pk_fma_f32 v[4:5], v[8:9], v[48:49], v[4:5] op_sel_hi:[1,0,1]
	v_pk_add_f32 v[2:3], v[2:3], v[20:21]
	v_mov_b32_e32 v4, v51
	v_mov_b32_e32 v7, v5
	v_pk_mul_f32 v[4:5], v[10:11], v[4:5] op_sel:[1,0] op_sel_hi:[0,0]
	v_pk_add_f32 v[2:3], v[2:3], v[6:7]
	v_pk_fma_f32 v[6:7], v[10:11], v[50:51], v[4:5] neg_lo:[0,0,1] neg_hi:[0,0,1]
	v_pk_fma_f32 v[4:5], v[10:11], v[50:51], v[4:5] op_sel_hi:[1,0,1]
	s_nop 0
	v_mov_b32_e32 v7, v5
	s_waitcnt vmcnt(1) lgkmcnt(1)
	v_pk_mul_f32 v[4:5], v[12:13], v[52:53] op_sel:[1,1] op_sel_hi:[0,1]
	v_pk_add_f32 v[2:3], v[2:3], v[6:7]
	v_pk_fma_f32 v[6:7], v[12:13], v[52:53], v[4:5] neg_lo:[0,0,1] neg_hi:[0,0,1]
	v_pk_fma_f32 v[4:5], v[12:13], v[52:53], v[4:5] op_sel_hi:[1,0,1]
	s_nop 0
	v_mov_b32_e32 v4, v55
	v_mov_b32_e32 v7, v5
	v_pk_mul_f32 v[4:5], v[14:15], v[4:5] op_sel:[1,0] op_sel_hi:[0,0]
	v_pk_add_f32 v[2:3], v[2:3], v[6:7]
	v_pk_fma_f32 v[6:7], v[14:15], v[54:55], v[4:5] neg_lo:[0,0,1] neg_hi:[0,0,1]
	v_pk_fma_f32 v[4:5], v[14:15], v[54:55], v[4:5] op_sel_hi:[1,0,1]
	s_nop 0
	v_mov_b32_e32 v7, v5
	s_waitcnt vmcnt(0) lgkmcnt(0)
	v_pk_mul_f32 v[4:5], v[16:17], v[56:57] op_sel:[1,1] op_sel_hi:[0,1]
	v_pk_add_f32 v[2:3], v[2:3], v[6:7]
	v_pk_fma_f32 v[6:7], v[16:17], v[56:57], v[4:5] neg_lo:[0,0,1] neg_hi:[0,0,1]
	v_pk_fma_f32 v[4:5], v[16:17], v[56:57], v[4:5] op_sel_hi:[1,0,1]
	s_nop 0
	v_mov_b32_e32 v4, v59
	v_mov_b32_e32 v7, v5
	v_pk_mul_f32 v[4:5], v[18:19], v[4:5] op_sel:[1,0] op_sel_hi:[0,0]
	v_pk_add_f32 v[2:3], v[2:3], v[6:7]
	v_pk_fma_f32 v[6:7], v[18:19], v[58:59], v[4:5] neg_lo:[0,0,1] neg_hi:[0,0,1]
	v_pk_fma_f32 v[4:5], v[18:19], v[58:59], v[4:5] op_sel_hi:[1,0,1]
	s_nop 0
	v_mov_b32_e32 v7, v5
	scratch_load_dwordx2 v[4:5], off, off offset:224
	v_pk_add_f32 v[2:3], v[2:3], v[6:7]
	s_waitcnt vmcnt(0)
	v_pk_add_f32 v[2:3], v[4:5], v[2:3] neg_lo:[0,1] neg_hi:[0,1]
	scratch_store_dwordx2 off, v[2:3], off offset:224
	s_and_saveexec_b64 s[0:1], vcc
	s_cbranch_execz .LBB46_241
; %bb.240:
	scratch_load_dwordx2 v[2:3], off, off offset:216
	v_mov_b32_e32 v4, 0
	v_mov_b32_e32 v5, v4
	scratch_store_dwordx2 off, v[4:5], off offset:216
	s_waitcnt vmcnt(1)
	ds_write_b64 v1, v[2:3]
.LBB46_241:
	s_or_b64 exec, exec, s[0:1]
	v_mov_b32_e32 v2, 0
	s_waitcnt lgkmcnt(0)
	; wave barrier
	ds_read_b128 v[4:7], v2 offset:608
	ds_read_b128 v[8:11], v2 offset:624
	;; [unrolled: 1-line block ×4, first 2 shown]
	scratch_load_dwordx4 v[20:23], off, off offset:224
	scratch_load_dwordx4 v[40:43], off, off offset:288
	v_cmp_lt_u32_e32 vcc, 26, v0
	scratch_load_dwordx4 v[48:51], off, off offset:304
	s_waitcnt vmcnt(2) lgkmcnt(3)
	v_mul_f32_e32 v3, v4, v21
	v_fmac_f32_e32 v3, v5, v20
	v_mul_f32_e32 v24, v6, v23
	v_add_f32_e32 v3, 0, v3
	v_fmac_f32_e32 v24, v7, v22
	v_add_f32_e32 v3, v3, v24
	scratch_load_dwordx4 v[24:27], off, off offset:240
	s_waitcnt vmcnt(0) lgkmcnt(2)
	v_mul_f32_e32 v28, v8, v25
	v_fmac_f32_e32 v28, v9, v24
	v_add_f32_e32 v3, v3, v28
	v_mul_f32_e32 v28, v10, v27
	v_fmac_f32_e32 v28, v11, v26
	v_add_f32_e32 v3, v3, v28
	scratch_load_dwordx4 v[28:31], off, off offset:256
	s_waitcnt vmcnt(0) lgkmcnt(1)
	v_mul_f32_e32 v32, v12, v29
	v_fmac_f32_e32 v32, v13, v28
	v_add_f32_e32 v3, v3, v32
	v_mul_f32_e32 v32, v14, v31
	;; [unrolled: 8-line block ×3, first 2 shown]
	v_fmac_f32_e32 v36, v19, v34
	v_add_f32_e32 v3, v3, v36
	ds_read_b128 v[36:39], v2 offset:672
	s_waitcnt lgkmcnt(0)
	v_mul_f32_e32 v44, v36, v41
	v_fmac_f32_e32 v44, v37, v40
	v_add_f32_e32 v65, v3, v44
	ds_read_b128 v[44:47], v2 offset:688
	scratch_load_dwordx4 v[52:55], off, off offset:320
	scratch_load_dwordx4 v[56:59], off, off offset:336
	;; [unrolled: 1-line block ×3, first 2 shown]
	scratch_load_dwordx2 v[70:71], off, off offset:368
	v_mul_f32_e32 v3, v5, v21
	v_fma_f32 v3, v4, v20, -v3
	v_mul_f32_e32 v4, v7, v23
	v_add_f32_e32 v3, 0, v3
	v_fma_f32 v4, v6, v22, -v4
	v_add_f32_e32 v3, v3, v4
	v_mul_f32_e32 v4, v9, v25
	v_fma_f32 v4, v8, v24, -v4
	v_add_f32_e32 v3, v3, v4
	v_mul_f32_e32 v4, v11, v27
	v_fma_f32 v4, v10, v26, -v4
	v_add_f32_e32 v3, v3, v4
	v_mul_f32_e32 v4, v13, v29
	v_fma_f32 v4, v12, v28, -v4
	v_add_f32_e32 v3, v3, v4
	v_mul_f32_e32 v4, v15, v31
	v_fma_f32 v4, v14, v30, -v4
	v_add_f32_e32 v3, v3, v4
	v_mul_f32_e32 v4, v17, v33
	v_fma_f32 v4, v16, v32, -v4
	v_add_f32_e32 v3, v3, v4
	v_mul_f32_e32 v4, v19, v35
	v_fma_f32 v4, v18, v34, -v4
	v_add_f32_e32 v3, v3, v4
	v_mul_f32_e32 v4, v37, v41
	v_fma_f32 v4, v36, v40, -v4
	v_mul_f32_e32 v67, v38, v43
	v_add_f32_e32 v64, v3, v4
	v_mul_f32_e32 v3, v39, v43
	v_mov_b32_e32 v20, v51
	v_fmac_f32_e32 v67, v39, v42
	s_waitcnt lgkmcnt(0)
	v_mul_f32_e32 v69, v44, v49
	v_fma_f32 v66, v38, v42, -v3
	v_mul_f32_e32 v3, v45, v49
	ds_read_b128 v[4:7], v2 offset:704
	ds_read_b128 v[8:11], v2 offset:720
	;; [unrolled: 1-line block ×3, first 2 shown]
	ds_read_b64 v[16:17], v2 offset:752
	v_pk_mul_f32 v[20:21], v[46:47], v[20:21] op_sel:[1,0] op_sel_hi:[0,0]
	v_fmac_f32_e32 v69, v45, v48
	v_fma_f32 v68, v44, v48, -v3
	v_pk_add_f32 v[18:19], v[64:65], v[66:67]
	v_pk_fma_f32 v[22:23], v[46:47], v[50:51], v[20:21] neg_lo:[0,0,1] neg_hi:[0,0,1]
	v_pk_fma_f32 v[20:21], v[46:47], v[50:51], v[20:21] op_sel_hi:[1,0,1]
	v_pk_add_f32 v[18:19], v[18:19], v[68:69]
	v_mov_b32_e32 v23, v21
	v_pk_add_f32 v[18:19], v[18:19], v[22:23]
	s_waitcnt vmcnt(3) lgkmcnt(3)
	v_pk_mul_f32 v[20:21], v[4:5], v[52:53] op_sel:[1,1] op_sel_hi:[0,1]
	v_pk_fma_f32 v[22:23], v[4:5], v[52:53], v[20:21] neg_lo:[0,0,1] neg_hi:[0,0,1]
	v_pk_fma_f32 v[4:5], v[4:5], v[52:53], v[20:21] op_sel_hi:[1,0,1]
	s_nop 0
	v_mov_b32_e32 v23, v5
	v_pk_add_f32 v[4:5], v[18:19], v[22:23]
	v_mov_b32_e32 v18, v55
	v_pk_mul_f32 v[18:19], v[6:7], v[18:19] op_sel:[1,0] op_sel_hi:[0,0]
	v_pk_fma_f32 v[20:21], v[6:7], v[54:55], v[18:19] neg_lo:[0,0,1] neg_hi:[0,0,1]
	v_pk_fma_f32 v[6:7], v[6:7], v[54:55], v[18:19] op_sel_hi:[1,0,1]
	s_nop 0
	v_mov_b32_e32 v21, v7
	s_waitcnt vmcnt(2) lgkmcnt(2)
	v_pk_mul_f32 v[6:7], v[8:9], v[56:57] op_sel:[1,1] op_sel_hi:[0,1]
	v_pk_fma_f32 v[18:19], v[8:9], v[56:57], v[6:7] neg_lo:[0,0,1] neg_hi:[0,0,1]
	v_pk_fma_f32 v[6:7], v[8:9], v[56:57], v[6:7] op_sel_hi:[1,0,1]
	v_pk_add_f32 v[4:5], v[4:5], v[20:21]
	v_mov_b32_e32 v6, v59
	v_mov_b32_e32 v19, v7
	v_pk_mul_f32 v[6:7], v[10:11], v[6:7] op_sel:[1,0] op_sel_hi:[0,0]
	v_pk_fma_f32 v[8:9], v[10:11], v[58:59], v[6:7] neg_lo:[0,0,1] neg_hi:[0,0,1]
	v_pk_fma_f32 v[6:7], v[10:11], v[58:59], v[6:7] op_sel_hi:[1,0,1]
	v_pk_add_f32 v[4:5], v[4:5], v[18:19]
	v_mov_b32_e32 v9, v7
	s_waitcnt vmcnt(1) lgkmcnt(1)
	v_pk_mul_f32 v[6:7], v[12:13], v[60:61] op_sel:[1,1] op_sel_hi:[0,1]
	v_pk_add_f32 v[4:5], v[4:5], v[8:9]
	v_pk_fma_f32 v[8:9], v[12:13], v[60:61], v[6:7] neg_lo:[0,0,1] neg_hi:[0,0,1]
	v_pk_fma_f32 v[6:7], v[12:13], v[60:61], v[6:7] op_sel_hi:[1,0,1]
	s_nop 0
	v_mov_b32_e32 v6, v63
	v_mov_b32_e32 v9, v7
	v_pk_mul_f32 v[6:7], v[14:15], v[6:7] op_sel:[1,0] op_sel_hi:[0,0]
	v_pk_add_f32 v[4:5], v[4:5], v[8:9]
	v_pk_fma_f32 v[8:9], v[14:15], v[62:63], v[6:7] neg_lo:[0,0,1] neg_hi:[0,0,1]
	v_pk_fma_f32 v[6:7], v[14:15], v[62:63], v[6:7] op_sel_hi:[1,0,1]
	s_nop 0
	v_mov_b32_e32 v9, v7
	s_waitcnt vmcnt(0) lgkmcnt(0)
	v_pk_mul_f32 v[6:7], v[16:17], v[70:71] op_sel:[1,1] op_sel_hi:[0,1]
	v_pk_add_f32 v[4:5], v[4:5], v[8:9]
	v_pk_fma_f32 v[8:9], v[16:17], v[70:71], v[6:7] neg_lo:[0,0,1] neg_hi:[0,0,1]
	v_pk_fma_f32 v[6:7], v[16:17], v[70:71], v[6:7] op_sel_hi:[1,0,1]
	s_nop 0
	v_mov_b32_e32 v9, v7
	scratch_load_dwordx2 v[6:7], off, off offset:216
	v_pk_add_f32 v[4:5], v[4:5], v[8:9]
	s_waitcnt vmcnt(0)
	v_pk_add_f32 v[4:5], v[6:7], v[4:5] neg_lo:[0,1] neg_hi:[0,1]
	scratch_store_dwordx2 off, v[4:5], off offset:216
	s_and_saveexec_b64 s[0:1], vcc
	s_cbranch_execz .LBB46_243
; %bb.242:
	scratch_load_dwordx2 v[4:5], off, off offset:208
	v_mov_b32_e32 v3, v2
	scratch_store_dwordx2 off, v[2:3], off offset:208
	s_waitcnt vmcnt(1)
	ds_write_b64 v1, v[4:5]
.LBB46_243:
	s_or_b64 exec, exec, s[0:1]
	s_waitcnt lgkmcnt(0)
	; wave barrier
	scratch_load_dwordx4 v[8:11], off, off offset:216
	scratch_load_dwordx4 v[16:19], off, off offset:232
	;; [unrolled: 1-line block ×6, first 2 shown]
	ds_read2_b64 v[4:7], v2 offset0:75 offset1:76
	v_cmp_lt_u32_e32 vcc, 25, v0
	s_waitcnt vmcnt(5) lgkmcnt(0)
	v_mul_f32_e32 v3, v4, v9
	v_fmac_f32_e32 v3, v5, v8
	v_mul_f32_e32 v12, v6, v11
	v_add_f32_e32 v3, 0, v3
	v_fmac_f32_e32 v12, v7, v10
	v_add_f32_e32 v3, v3, v12
	ds_read2_b64 v[12:15], v2 offset0:77 offset1:78
	s_waitcnt vmcnt(4) lgkmcnt(0)
	v_mul_f32_e32 v20, v12, v17
	v_fmac_f32_e32 v20, v13, v16
	v_add_f32_e32 v3, v3, v20
	v_mul_f32_e32 v20, v14, v19
	v_fmac_f32_e32 v20, v15, v18
	v_add_f32_e32 v3, v3, v20
	ds_read2_b64 v[20:23], v2 offset0:79 offset1:80
	s_waitcnt vmcnt(3) lgkmcnt(0)
	v_mul_f32_e32 v28, v20, v25
	v_fmac_f32_e32 v28, v21, v24
	v_add_f32_e32 v3, v3, v28
	v_mul_f32_e32 v28, v22, v27
	;; [unrolled: 8-line block ×4, first 2 shown]
	v_fmac_f32_e32 v44, v39, v42
	v_add_f32_e32 v69, v3, v44
	ds_read2_b64 v[44:47], v2 offset0:85 offset1:86
	scratch_load_dwordx4 v[52:55], off, off offset:312
	scratch_load_dwordx4 v[56:59], off, off offset:328
	scratch_load_dwordx4 v[60:63], off, off offset:344
	scratch_load_dwordx4 v[64:67], off, off offset:360
	v_mul_f32_e32 v3, v5, v9
	v_fma_f32 v3, v4, v8, -v3
	v_mul_f32_e32 v4, v7, v11
	v_add_f32_e32 v3, 0, v3
	v_fma_f32 v4, v6, v10, -v4
	v_add_f32_e32 v3, v3, v4
	v_mul_f32_e32 v4, v13, v17
	v_fma_f32 v4, v12, v16, -v4
	v_add_f32_e32 v3, v3, v4
	v_mul_f32_e32 v4, v15, v19
	;; [unrolled: 3-line block ×8, first 2 shown]
	v_fma_f32 v4, v38, v42, -v4
	v_add_f32_e32 v68, v3, v4
	ds_read2_b64 v[4:7], v2 offset0:87 offset1:88
	ds_read2_b64 v[8:11], v2 offset0:89 offset1:90
	;; [unrolled: 1-line block ×4, first 2 shown]
	s_waitcnt vmcnt(4) lgkmcnt(4)
	v_mul_f32_e32 v71, v44, v49
	v_mul_f32_e32 v3, v45, v49
	v_fmac_f32_e32 v71, v45, v48
	v_mul_f32_e32 v73, v46, v51
	v_fma_f32 v70, v44, v48, -v3
	v_mul_f32_e32 v3, v47, v51
	v_fmac_f32_e32 v73, v47, v50
	v_fma_f32 v72, v46, v50, -v3
	v_pk_add_f32 v[2:3], v[68:69], v[70:71]
	s_waitcnt vmcnt(3) lgkmcnt(3)
	v_pk_mul_f32 v[20:21], v[4:5], v[52:53] op_sel:[1,1] op_sel_hi:[0,1]
	v_pk_fma_f32 v[22:23], v[4:5], v[52:53], v[20:21] neg_lo:[0,0,1] neg_hi:[0,0,1]
	v_pk_fma_f32 v[4:5], v[4:5], v[52:53], v[20:21] op_sel_hi:[1,0,1]
	v_pk_add_f32 v[2:3], v[2:3], v[72:73]
	v_mov_b32_e32 v4, v55
	v_mov_b32_e32 v23, v5
	v_pk_mul_f32 v[4:5], v[6:7], v[4:5] op_sel:[1,0] op_sel_hi:[0,0]
	v_pk_fma_f32 v[20:21], v[6:7], v[54:55], v[4:5] neg_lo:[0,0,1] neg_hi:[0,0,1]
	v_pk_fma_f32 v[4:5], v[6:7], v[54:55], v[4:5] op_sel_hi:[1,0,1]
	v_pk_add_f32 v[2:3], v[2:3], v[22:23]
	v_mov_b32_e32 v21, v5
	s_waitcnt vmcnt(2) lgkmcnt(2)
	v_pk_mul_f32 v[4:5], v[8:9], v[56:57] op_sel:[1,1] op_sel_hi:[0,1]
	v_pk_fma_f32 v[6:7], v[8:9], v[56:57], v[4:5] neg_lo:[0,0,1] neg_hi:[0,0,1]
	v_pk_fma_f32 v[4:5], v[8:9], v[56:57], v[4:5] op_sel_hi:[1,0,1]
	v_pk_add_f32 v[2:3], v[2:3], v[20:21]
	v_mov_b32_e32 v4, v59
	v_mov_b32_e32 v7, v5
	v_pk_mul_f32 v[4:5], v[10:11], v[4:5] op_sel:[1,0] op_sel_hi:[0,0]
	v_pk_add_f32 v[2:3], v[2:3], v[6:7]
	v_pk_fma_f32 v[6:7], v[10:11], v[58:59], v[4:5] neg_lo:[0,0,1] neg_hi:[0,0,1]
	v_pk_fma_f32 v[4:5], v[10:11], v[58:59], v[4:5] op_sel_hi:[1,0,1]
	s_nop 0
	v_mov_b32_e32 v7, v5
	s_waitcnt vmcnt(1) lgkmcnt(1)
	v_pk_mul_f32 v[4:5], v[12:13], v[60:61] op_sel:[1,1] op_sel_hi:[0,1]
	v_pk_add_f32 v[2:3], v[2:3], v[6:7]
	v_pk_fma_f32 v[6:7], v[12:13], v[60:61], v[4:5] neg_lo:[0,0,1] neg_hi:[0,0,1]
	v_pk_fma_f32 v[4:5], v[12:13], v[60:61], v[4:5] op_sel_hi:[1,0,1]
	s_nop 0
	v_mov_b32_e32 v4, v63
	v_mov_b32_e32 v7, v5
	v_pk_mul_f32 v[4:5], v[14:15], v[4:5] op_sel:[1,0] op_sel_hi:[0,0]
	v_pk_add_f32 v[2:3], v[2:3], v[6:7]
	v_pk_fma_f32 v[6:7], v[14:15], v[62:63], v[4:5] neg_lo:[0,0,1] neg_hi:[0,0,1]
	v_pk_fma_f32 v[4:5], v[14:15], v[62:63], v[4:5] op_sel_hi:[1,0,1]
	s_nop 0
	v_mov_b32_e32 v7, v5
	s_waitcnt vmcnt(0) lgkmcnt(0)
	v_pk_mul_f32 v[4:5], v[16:17], v[64:65] op_sel:[1,1] op_sel_hi:[0,1]
	v_pk_add_f32 v[2:3], v[2:3], v[6:7]
	v_pk_fma_f32 v[6:7], v[16:17], v[64:65], v[4:5] neg_lo:[0,0,1] neg_hi:[0,0,1]
	v_pk_fma_f32 v[4:5], v[16:17], v[64:65], v[4:5] op_sel_hi:[1,0,1]
	s_nop 0
	v_mov_b32_e32 v4, v67
	v_mov_b32_e32 v7, v5
	v_pk_mul_f32 v[4:5], v[18:19], v[4:5] op_sel:[1,0] op_sel_hi:[0,0]
	v_pk_add_f32 v[2:3], v[2:3], v[6:7]
	v_pk_fma_f32 v[6:7], v[18:19], v[66:67], v[4:5] neg_lo:[0,0,1] neg_hi:[0,0,1]
	v_pk_fma_f32 v[4:5], v[18:19], v[66:67], v[4:5] op_sel_hi:[1,0,1]
	s_nop 0
	v_mov_b32_e32 v7, v5
	scratch_load_dwordx2 v[4:5], off, off offset:208
	v_pk_add_f32 v[2:3], v[2:3], v[6:7]
	s_waitcnt vmcnt(0)
	v_pk_add_f32 v[2:3], v[4:5], v[2:3] neg_lo:[0,1] neg_hi:[0,1]
	scratch_store_dwordx2 off, v[2:3], off offset:208
	s_and_saveexec_b64 s[0:1], vcc
	s_cbranch_execz .LBB46_245
; %bb.244:
	scratch_load_dwordx2 v[2:3], off, off offset:200
	v_mov_b32_e32 v4, 0
	v_mov_b32_e32 v5, v4
	scratch_store_dwordx2 off, v[4:5], off offset:200
	s_waitcnt vmcnt(1)
	ds_write_b64 v1, v[2:3]
.LBB46_245:
	s_or_b64 exec, exec, s[0:1]
	s_waitcnt lgkmcnt(0)
	; wave barrier
	scratch_load_dwordx4 v[2:5], off, off offset:208
	scratch_load_dwordx4 v[6:9], off, off offset:224
	;; [unrolled: 1-line block ×10, first 2 shown]
	scratch_load_dwordx2 v[76:77], off, off offset:368
	scratch_load_dwordx2 v[78:79], off, off offset:200
	v_mov_b32_e32 v10, 0
	ds_read_b128 v[44:47], v10 offset:592
	ds_read_b128 v[48:51], v10 offset:608
	;; [unrolled: 1-line block ×8, first 2 shown]
	v_cmp_lt_u32_e32 vcc, 24, v0
	s_waitcnt vmcnt(11) lgkmcnt(7)
	v_mul_f32_e32 v11, v44, v3
	v_mul_f32_e32 v3, v45, v3
	;; [unrolled: 1-line block ×4, first 2 shown]
	v_fmac_f32_e32 v11, v45, v2
	v_fma_f32 v2, v44, v2, -v3
	s_waitcnt vmcnt(10) lgkmcnt(6)
	v_mul_f32_e32 v82, v48, v7
	v_mul_f32_e32 v7, v49, v7
	v_fma_f32 v3, v46, v4, -v5
	v_add_f32_e32 v2, 0, v2
	v_mul_f32_e32 v84, v50, v9
	v_mul_f32_e32 v9, v51, v9
	v_fmac_f32_e32 v80, v47, v4
	v_fma_f32 v4, v48, v6, -v7
	v_add_f32_e32 v11, 0, v11
	v_add_f32_e32 v2, v2, v3
	s_waitcnt vmcnt(9) lgkmcnt(5)
	v_mul_f32_e32 v85, v52, v13
	v_mul_f32_e32 v13, v53, v13
	v_fmac_f32_e32 v82, v49, v6
	v_fma_f32 v5, v50, v8, -v9
	v_add_f32_e32 v11, v11, v80
	v_add_f32_e32 v2, v2, v4
	v_mul_f32_e32 v86, v54, v15
	v_mul_f32_e32 v15, v55, v15
	v_fmac_f32_e32 v84, v51, v8
	v_fma_f32 v6, v52, v12, -v13
	v_add_f32_e32 v3, v11, v82
	v_add_f32_e32 v2, v2, v5
	s_waitcnt vmcnt(8) lgkmcnt(4)
	v_mul_f32_e32 v87, v56, v17
	v_mul_f32_e32 v17, v57, v17
	v_fmac_f32_e32 v85, v53, v12
	v_fma_f32 v7, v54, v14, -v15
	v_add_f32_e32 v3, v3, v84
	;; [unrolled: 13-line block ×4, first 2 shown]
	v_add_f32_e32 v2, v2, v12
	v_fmac_f32_e32 v90, v63, v22
	v_fma_f32 v14, v64, v24, -v25
	v_add_f32_e32 v3, v3, v89
	v_add_f32_e32 v2, v2, v13
	v_mul_f32_e32 v81, v66, v27
	v_fmac_f32_e32 v91, v65, v24
	v_add_f32_e32 v3, v3, v90
	v_add_f32_e32 v12, v2, v14
	v_mul_f32_e32 v2, v67, v27
	s_waitcnt vmcnt(5)
	v_mov_b32_e32 v16, v31
	s_waitcnt lgkmcnt(1)
	v_mul_f32_e32 v83, v68, v29
	v_fmac_f32_e32 v81, v67, v26
	v_add_f32_e32 v13, v3, v91
	v_fma_f32 v80, v66, v26, -v2
	v_mul_f32_e32 v2, v69, v29
	v_pk_mul_f32 v[16:17], v[70:71], v[16:17] op_sel:[1,0] op_sel_hi:[0,0]
	v_fmac_f32_e32 v83, v69, v28
	v_fma_f32 v82, v68, v28, -v2
	v_pk_add_f32 v[12:13], v[12:13], v[80:81]
	v_pk_fma_f32 v[18:19], v[70:71], v[30:31], v[16:17] neg_lo:[0,0,1] neg_hi:[0,0,1]
	v_pk_fma_f32 v[16:17], v[70:71], v[30:31], v[16:17] op_sel_hi:[1,0,1]
	v_pk_add_f32 v[12:13], v[12:13], v[82:83]
	v_mov_b32_e32 v19, v17
	s_waitcnt vmcnt(4) lgkmcnt(0)
	v_pk_mul_f32 v[16:17], v[72:73], v[32:33] op_sel:[1,1] op_sel_hi:[0,1]
	v_pk_add_f32 v[12:13], v[12:13], v[18:19]
	v_pk_fma_f32 v[18:19], v[72:73], v[32:33], v[16:17] neg_lo:[0,0,1] neg_hi:[0,0,1]
	v_pk_fma_f32 v[16:17], v[72:73], v[32:33], v[16:17] op_sel_hi:[1,0,1]
	ds_read_b128 v[2:5], v10 offset:720
	ds_read_b128 v[6:9], v10 offset:736
	ds_read_b64 v[14:15], v10 offset:752
	v_mov_b32_e32 v16, v35
	v_mov_b32_e32 v19, v17
	v_pk_mul_f32 v[16:17], v[74:75], v[16:17] op_sel:[1,0] op_sel_hi:[0,0]
	v_pk_add_f32 v[12:13], v[12:13], v[18:19]
	v_pk_fma_f32 v[18:19], v[74:75], v[34:35], v[16:17] neg_lo:[0,0,1] neg_hi:[0,0,1]
	v_pk_fma_f32 v[16:17], v[74:75], v[34:35], v[16:17] op_sel_hi:[1,0,1]
	s_nop 0
	v_mov_b32_e32 v19, v17
	s_waitcnt vmcnt(3) lgkmcnt(2)
	v_pk_mul_f32 v[16:17], v[2:3], v[36:37] op_sel:[1,1] op_sel_hi:[0,1]
	v_pk_add_f32 v[12:13], v[12:13], v[18:19]
	v_pk_fma_f32 v[18:19], v[2:3], v[36:37], v[16:17] neg_lo:[0,0,1] neg_hi:[0,0,1]
	v_pk_fma_f32 v[2:3], v[2:3], v[36:37], v[16:17] op_sel_hi:[1,0,1]
	s_nop 0
	v_mov_b32_e32 v19, v3
	v_pk_add_f32 v[2:3], v[12:13], v[18:19]
	v_mov_b32_e32 v12, v39
	v_pk_mul_f32 v[12:13], v[4:5], v[12:13] op_sel:[1,0] op_sel_hi:[0,0]
	v_pk_fma_f32 v[16:17], v[4:5], v[38:39], v[12:13] neg_lo:[0,0,1] neg_hi:[0,0,1]
	v_pk_fma_f32 v[4:5], v[4:5], v[38:39], v[12:13] op_sel_hi:[1,0,1]
	s_nop 0
	v_mov_b32_e32 v17, v5
	s_waitcnt vmcnt(2) lgkmcnt(1)
	v_pk_mul_f32 v[4:5], v[6:7], v[40:41] op_sel:[1,1] op_sel_hi:[0,1]
	v_pk_fma_f32 v[12:13], v[6:7], v[40:41], v[4:5] neg_lo:[0,0,1] neg_hi:[0,0,1]
	v_pk_fma_f32 v[4:5], v[6:7], v[40:41], v[4:5] op_sel_hi:[1,0,1]
	v_pk_add_f32 v[2:3], v[2:3], v[16:17]
	v_mov_b32_e32 v4, v43
	v_mov_b32_e32 v13, v5
	v_pk_mul_f32 v[4:5], v[8:9], v[4:5] op_sel:[1,0] op_sel_hi:[0,0]
	v_pk_fma_f32 v[6:7], v[8:9], v[42:43], v[4:5] neg_lo:[0,0,1] neg_hi:[0,0,1]
	v_pk_fma_f32 v[4:5], v[8:9], v[42:43], v[4:5] op_sel_hi:[1,0,1]
	v_pk_add_f32 v[2:3], v[2:3], v[12:13]
	v_mov_b32_e32 v7, v5
	s_waitcnt vmcnt(1) lgkmcnt(0)
	v_pk_mul_f32 v[4:5], v[14:15], v[76:77] op_sel:[1,1] op_sel_hi:[0,1]
	v_pk_add_f32 v[2:3], v[2:3], v[6:7]
	v_pk_fma_f32 v[6:7], v[14:15], v[76:77], v[4:5] neg_lo:[0,0,1] neg_hi:[0,0,1]
	v_pk_fma_f32 v[4:5], v[14:15], v[76:77], v[4:5] op_sel_hi:[1,0,1]
	s_nop 0
	v_mov_b32_e32 v7, v5
	v_pk_add_f32 v[2:3], v[2:3], v[6:7]
	s_waitcnt vmcnt(0)
	v_pk_add_f32 v[2:3], v[78:79], v[2:3] neg_lo:[0,1] neg_hi:[0,1]
	scratch_store_dwordx2 off, v[2:3], off offset:200
	s_and_saveexec_b64 s[0:1], vcc
	s_cbranch_execz .LBB46_247
; %bb.246:
	scratch_load_dwordx2 v[2:3], off, off offset:192
	v_mov_b32_e32 v11, v10
	scratch_store_dwordx2 off, v[10:11], off offset:192
	s_waitcnt vmcnt(1)
	ds_write_b64 v1, v[2:3]
.LBB46_247:
	s_or_b64 exec, exec, s[0:1]
	s_waitcnt lgkmcnt(0)
	; wave barrier
	scratch_load_dwordx4 v[6:9], off, off offset:200
	scratch_load_dwordx4 v[12:15], off, off offset:216
	;; [unrolled: 1-line block ×7, first 2 shown]
	ds_read2_b64 v[36:39], v10 offset0:73 offset1:74
	ds_read2_b64 v[40:43], v10 offset0:75 offset1:76
	;; [unrolled: 1-line block ×6, first 2 shown]
	scratch_load_dwordx4 v[60:63], off, off offset:312
	scratch_load_dwordx4 v[64:67], off, off offset:328
	;; [unrolled: 1-line block ×4, first 2 shown]
	ds_read2_b64 v[72:75], v10 offset0:85 offset1:86
	ds_read2_b64 v[76:79], v10 offset0:87 offset1:88
	scratch_load_dwordx2 v[80:81], off, off offset:192
	v_cmp_lt_u32_e32 vcc, 23, v0
	s_waitcnt vmcnt(11) lgkmcnt(7)
	v_mul_f32_e32 v11, v36, v7
	v_mul_f32_e32 v82, v38, v9
	;; [unrolled: 1-line block ×3, first 2 shown]
	v_fmac_f32_e32 v11, v37, v6
	s_waitcnt vmcnt(10) lgkmcnt(6)
	v_mul_f32_e32 v84, v40, v13
	v_mul_f32_e32 v9, v39, v9
	v_fmac_f32_e32 v82, v39, v8
	v_fma_f32 v6, v36, v6, -v7
	v_add_f32_e32 v11, 0, v11
	v_mul_f32_e32 v86, v42, v15
	v_fmac_f32_e32 v84, v41, v12
	v_fma_f32 v7, v38, v8, -v9
	v_add_f32_e32 v6, 0, v6
	v_add_f32_e32 v11, v11, v82
	s_waitcnt vmcnt(9) lgkmcnt(5)
	v_mul_f32_e32 v87, v44, v17
	v_mul_f32_e32 v13, v41, v13
	v_fmac_f32_e32 v86, v43, v14
	v_add_f32_e32 v6, v6, v7
	v_add_f32_e32 v7, v11, v84
	v_mul_f32_e32 v88, v46, v19
	v_mul_f32_e32 v15, v43, v15
	v_fmac_f32_e32 v87, v45, v16
	v_fma_f32 v8, v40, v12, -v13
	v_add_f32_e32 v7, v7, v86
	s_waitcnt vmcnt(8) lgkmcnt(4)
	v_mul_f32_e32 v89, v48, v21
	v_mul_f32_e32 v17, v45, v17
	v_fmac_f32_e32 v88, v47, v18
	v_fma_f32 v9, v42, v14, -v15
	v_add_f32_e32 v6, v6, v8
	v_add_f32_e32 v7, v7, v87
	v_mul_f32_e32 v90, v50, v23
	v_mul_f32_e32 v19, v47, v19
	v_fmac_f32_e32 v89, v49, v20
	v_fma_f32 v12, v44, v16, -v17
	v_add_f32_e32 v6, v6, v9
	v_add_f32_e32 v7, v7, v88
	s_waitcnt vmcnt(7) lgkmcnt(3)
	v_mul_f32_e32 v91, v52, v25
	v_mul_f32_e32 v21, v49, v21
	v_fmac_f32_e32 v90, v51, v22
	v_fma_f32 v13, v46, v18, -v19
	v_add_f32_e32 v6, v6, v12
	v_add_f32_e32 v7, v7, v89
	v_mul_f32_e32 v92, v54, v27
	v_mul_f32_e32 v23, v51, v23
	v_fmac_f32_e32 v91, v53, v24
	v_fma_f32 v14, v48, v20, -v21
	v_add_f32_e32 v6, v6, v13
	;; [unrolled: 13-line block ×3, first 2 shown]
	v_add_f32_e32 v7, v7, v92
	v_mul_f32_e32 v29, v57, v29
	v_fmac_f32_e32 v94, v59, v30
	v_fma_f32 v17, v54, v26, -v27
	v_add_f32_e32 v6, v6, v16
	v_add_f32_e32 v7, v7, v93
	v_fma_f32 v18, v56, v28, -v29
	v_add_f32_e32 v6, v6, v17
	v_add_f32_e32 v21, v7, v94
	v_mul_f32_e32 v7, v59, v31
	v_add_f32_e32 v6, v6, v18
	v_fma_f32 v7, v58, v30, -v7
	s_waitcnt vmcnt(5) lgkmcnt(1)
	v_mul_f32_e32 v83, v72, v33
	v_add_f32_e32 v20, v6, v7
	v_mul_f32_e32 v6, v73, v33
	v_fmac_f32_e32 v83, v73, v32
	v_fma_f32 v82, v72, v32, -v6
	v_mul_f32_e32 v6, v75, v35
	v_fma_f32 v84, v74, v34, -v6
	ds_read2_b64 v[6:9], v10 offset0:89 offset1:90
	ds_read2_b64 v[12:15], v10 offset0:91 offset1:92
	;; [unrolled: 1-line block ×3, first 2 shown]
	v_pk_add_f32 v[10:11], v[20:21], v[82:83]
	s_waitcnt vmcnt(4) lgkmcnt(3)
	v_pk_mul_f32 v[20:21], v[76:77], v[60:61] op_sel:[1,1] op_sel_hi:[0,1]
	v_mul_f32_e32 v85, v74, v35
	v_pk_fma_f32 v[22:23], v[76:77], v[60:61], v[20:21] neg_lo:[0,0,1] neg_hi:[0,0,1]
	v_pk_fma_f32 v[20:21], v[76:77], v[60:61], v[20:21] op_sel_hi:[1,0,1]
	v_fmac_f32_e32 v85, v75, v34
	v_mov_b32_e32 v20, v63
	v_pk_add_f32 v[10:11], v[10:11], v[84:85]
	v_mov_b32_e32 v23, v21
	v_pk_mul_f32 v[20:21], v[78:79], v[20:21] op_sel:[1,0] op_sel_hi:[0,0]
	v_pk_add_f32 v[10:11], v[10:11], v[22:23]
	v_pk_fma_f32 v[22:23], v[78:79], v[62:63], v[20:21] neg_lo:[0,0,1] neg_hi:[0,0,1]
	v_pk_fma_f32 v[20:21], v[78:79], v[62:63], v[20:21] op_sel_hi:[1,0,1]
	s_nop 0
	v_mov_b32_e32 v23, v21
	s_waitcnt vmcnt(3) lgkmcnt(2)
	v_pk_mul_f32 v[20:21], v[6:7], v[64:65] op_sel:[1,1] op_sel_hi:[0,1]
	v_pk_add_f32 v[10:11], v[10:11], v[22:23]
	v_pk_fma_f32 v[22:23], v[6:7], v[64:65], v[20:21] neg_lo:[0,0,1] neg_hi:[0,0,1]
	v_pk_fma_f32 v[6:7], v[6:7], v[64:65], v[20:21] op_sel_hi:[1,0,1]
	s_nop 0
	v_mov_b32_e32 v23, v7
	v_pk_add_f32 v[6:7], v[10:11], v[22:23]
	v_mov_b32_e32 v10, v67
	v_pk_mul_f32 v[10:11], v[8:9], v[10:11] op_sel:[1,0] op_sel_hi:[0,0]
	v_pk_fma_f32 v[20:21], v[8:9], v[66:67], v[10:11] neg_lo:[0,0,1] neg_hi:[0,0,1]
	v_pk_fma_f32 v[8:9], v[8:9], v[66:67], v[10:11] op_sel_hi:[1,0,1]
	s_nop 0
	v_mov_b32_e32 v21, v9
	s_waitcnt vmcnt(2) lgkmcnt(1)
	v_pk_mul_f32 v[8:9], v[12:13], v[68:69] op_sel:[1,1] op_sel_hi:[0,1]
	v_pk_fma_f32 v[10:11], v[12:13], v[68:69], v[8:9] neg_lo:[0,0,1] neg_hi:[0,0,1]
	v_pk_fma_f32 v[8:9], v[12:13], v[68:69], v[8:9] op_sel_hi:[1,0,1]
	v_pk_add_f32 v[6:7], v[6:7], v[20:21]
	v_mov_b32_e32 v8, v71
	v_mov_b32_e32 v11, v9
	v_pk_mul_f32 v[8:9], v[14:15], v[8:9] op_sel:[1,0] op_sel_hi:[0,0]
	v_pk_add_f32 v[6:7], v[6:7], v[10:11]
	v_pk_fma_f32 v[10:11], v[14:15], v[70:71], v[8:9] neg_lo:[0,0,1] neg_hi:[0,0,1]
	v_pk_fma_f32 v[8:9], v[14:15], v[70:71], v[8:9] op_sel_hi:[1,0,1]
	s_nop 0
	v_mov_b32_e32 v11, v9
	s_waitcnt vmcnt(1) lgkmcnt(0)
	v_pk_mul_f32 v[8:9], v[16:17], v[2:3] op_sel:[1,1] op_sel_hi:[0,1]
	v_pk_add_f32 v[6:7], v[6:7], v[10:11]
	v_pk_fma_f32 v[10:11], v[16:17], v[2:3], v[8:9] neg_lo:[0,0,1] neg_hi:[0,0,1]
	v_pk_fma_f32 v[2:3], v[16:17], v[2:3], v[8:9] op_sel_hi:[1,0,1]
	s_nop 0
	v_mov_b32_e32 v11, v3
	v_pk_add_f32 v[2:3], v[6:7], v[10:11]
	v_mov_b32_e32 v6, v5
	v_pk_mul_f32 v[6:7], v[18:19], v[6:7] op_sel:[1,0] op_sel_hi:[0,0]
	v_pk_fma_f32 v[8:9], v[18:19], v[4:5], v[6:7] neg_lo:[0,0,1] neg_hi:[0,0,1]
	v_pk_fma_f32 v[4:5], v[18:19], v[4:5], v[6:7] op_sel_hi:[1,0,1]
	s_nop 0
	v_mov_b32_e32 v9, v5
	v_pk_add_f32 v[2:3], v[2:3], v[8:9]
	s_waitcnt vmcnt(0)
	v_pk_add_f32 v[2:3], v[80:81], v[2:3] neg_lo:[0,1] neg_hi:[0,1]
	scratch_store_dwordx2 off, v[2:3], off offset:192
	s_and_saveexec_b64 s[0:1], vcc
	s_cbranch_execz .LBB46_249
; %bb.248:
	scratch_load_dwordx2 v[2:3], off, off offset:184
	v_mov_b32_e32 v4, 0
	v_mov_b32_e32 v5, v4
	scratch_store_dwordx2 off, v[4:5], off offset:184
	s_waitcnt vmcnt(1)
	ds_write_b64 v1, v[2:3]
.LBB46_249:
	s_or_b64 exec, exec, s[0:1]
	s_waitcnt lgkmcnt(0)
	; wave barrier
	scratch_load_dwordx4 v[6:9], off, off offset:192
	scratch_load_dwordx4 v[14:17], off, off offset:208
	;; [unrolled: 1-line block ×11, first 2 shown]
	scratch_load_dwordx2 v[22:23], off, off offset:368
	scratch_load_dwordx2 v[36:37], off, off offset:184
	v_mov_b32_e32 v38, 0
	ds_read_b128 v[52:55], v38 offset:576
	ds_read_b128 v[56:59], v38 offset:592
	;; [unrolled: 1-line block ×8, first 2 shown]
	v_cmp_lt_u32_e32 vcc, 22, v0
	s_waitcnt vmcnt(12) lgkmcnt(7)
	v_mul_f32_e32 v39, v52, v7
	v_mul_f32_e32 v84, v54, v9
	;; [unrolled: 1-line block ×3, first 2 shown]
	v_fmac_f32_e32 v39, v53, v6
	s_waitcnt vmcnt(8) lgkmcnt(3)
	v_mul_f32_e32 v93, v68, v19
	v_mul_f32_e32 v19, v69, v19
	;; [unrolled: 1-line block ×4, first 2 shown]
	v_fmac_f32_e32 v84, v55, v8
	v_fmac_f32_e32 v93, v69, v18
	v_fma_f32 v6, v52, v6, -v7
	v_fma_f32 v18, v68, v18, -v19
	v_add_f32_e32 v19, 0, v39
	v_mul_f32_e32 v88, v58, v17
	v_fmac_f32_e32 v86, v57, v14
	v_fma_f32 v7, v54, v8, -v9
	v_add_f32_e32 v6, 0, v6
	v_add_f32_e32 v19, v19, v84
	v_mul_f32_e32 v89, v60, v25
	v_fmac_f32_e32 v88, v59, v16
	v_add_f32_e32 v6, v6, v7
	v_add_f32_e32 v7, v19, v86
	v_mul_f32_e32 v90, v62, v27
	v_fmac_f32_e32 v89, v61, v24
	v_add_f32_e32 v7, v7, v88
	v_mul_f32_e32 v91, v64, v29
	v_mul_f32_e32 v15, v57, v15
	v_fmac_f32_e32 v90, v63, v26
	v_add_f32_e32 v7, v7, v89
	v_mul_f32_e32 v92, v66, v31
	v_mul_f32_e32 v17, v59, v17
	v_fmac_f32_e32 v91, v65, v28
	v_fma_f32 v8, v56, v14, -v15
	v_add_f32_e32 v7, v7, v90
	v_mul_f32_e32 v25, v61, v25
	v_fmac_f32_e32 v92, v67, v30
	v_fma_f32 v9, v58, v16, -v17
	v_add_f32_e32 v6, v6, v8
	v_add_f32_e32 v7, v7, v91
	v_mul_f32_e32 v94, v70, v21
	v_mul_f32_e32 v27, v63, v27
	v_fma_f32 v14, v60, v24, -v25
	v_add_f32_e32 v6, v6, v9
	v_add_f32_e32 v7, v7, v92
	s_waitcnt vmcnt(7) lgkmcnt(2)
	v_mul_f32_e32 v95, v72, v33
	v_mul_f32_e32 v29, v65, v29
	v_fmac_f32_e32 v94, v71, v20
	v_fma_f32 v15, v62, v26, -v27
	v_add_f32_e32 v6, v6, v14
	v_add_f32_e32 v7, v7, v93
	v_mul_f32_e32 v96, v74, v35
	v_mul_f32_e32 v31, v67, v31
	v_fmac_f32_e32 v95, v73, v32
	v_fma_f32 v16, v64, v28, -v29
	v_add_f32_e32 v6, v6, v15
	v_add_f32_e32 v7, v7, v94
	s_waitcnt vmcnt(6) lgkmcnt(1)
	v_mul_f32_e32 v97, v76, v41
	v_fmac_f32_e32 v96, v75, v34
	v_fma_f32 v17, v66, v30, -v31
	v_add_f32_e32 v6, v6, v16
	v_add_f32_e32 v7, v7, v95
	v_mul_f32_e32 v21, v71, v21
	v_fmac_f32_e32 v97, v77, v40
	v_add_f32_e32 v6, v6, v17
	v_add_f32_e32 v7, v7, v96
	;; [unrolled: 1-line block ×4, first 2 shown]
	v_fma_f32 v7, v70, v20, -v21
	v_add_f32_e32 v6, v6, v7
	v_mul_f32_e32 v7, v73, v33
	v_fma_f32 v7, v72, v32, -v7
	v_add_f32_e32 v6, v6, v7
	v_mul_f32_e32 v7, v75, v35
	;; [unrolled: 3-line block ×4, first 2 shown]
	v_mul_f32_e32 v85, v78, v43
	v_fma_f32 v84, v78, v42, -v6
	s_waitcnt vmcnt(5) lgkmcnt(0)
	v_mul_f32_e32 v6, v81, v45
	v_mov_b32_e32 v28, v47
	v_mul_f32_e32 v87, v80, v45
	v_fmac_f32_e32 v85, v79, v42
	v_fma_f32 v86, v80, v44, -v6
	ds_read_b128 v[6:9], v38 offset:704
	ds_read_b128 v[14:17], v38 offset:720
	;; [unrolled: 1-line block ×3, first 2 shown]
	ds_read_b64 v[26:27], v38 offset:752
	v_pk_mul_f32 v[28:29], v[82:83], v[28:29] op_sel:[1,0] op_sel_hi:[0,0]
	v_fmac_f32_e32 v87, v81, v44
	v_pk_add_f32 v[24:25], v[24:25], v[84:85]
	v_pk_fma_f32 v[30:31], v[82:83], v[46:47], v[28:29] neg_lo:[0,0,1] neg_hi:[0,0,1]
	v_pk_fma_f32 v[28:29], v[82:83], v[46:47], v[28:29] op_sel_hi:[1,0,1]
	v_pk_add_f32 v[24:25], v[24:25], v[86:87]
	v_mov_b32_e32 v31, v29
	s_waitcnt vmcnt(4) lgkmcnt(3)
	v_pk_mul_f32 v[28:29], v[6:7], v[48:49] op_sel:[1,1] op_sel_hi:[0,1]
	v_pk_add_f32 v[24:25], v[24:25], v[30:31]
	v_pk_fma_f32 v[30:31], v[6:7], v[48:49], v[28:29] neg_lo:[0,0,1] neg_hi:[0,0,1]
	v_pk_fma_f32 v[6:7], v[6:7], v[48:49], v[28:29] op_sel_hi:[1,0,1]
	s_nop 0
	v_mov_b32_e32 v31, v7
	v_pk_add_f32 v[6:7], v[24:25], v[30:31]
	v_mov_b32_e32 v24, v51
	v_pk_mul_f32 v[24:25], v[8:9], v[24:25] op_sel:[1,0] op_sel_hi:[0,0]
	v_pk_fma_f32 v[28:29], v[8:9], v[50:51], v[24:25] neg_lo:[0,0,1] neg_hi:[0,0,1]
	v_pk_fma_f32 v[8:9], v[8:9], v[50:51], v[24:25] op_sel_hi:[1,0,1]
	s_nop 0
	v_mov_b32_e32 v29, v9
	s_waitcnt vmcnt(3) lgkmcnt(2)
	v_pk_mul_f32 v[8:9], v[14:15], v[10:11] op_sel:[1,1] op_sel_hi:[0,1]
	v_pk_fma_f32 v[24:25], v[14:15], v[10:11], v[8:9] neg_lo:[0,0,1] neg_hi:[0,0,1]
	v_pk_fma_f32 v[8:9], v[14:15], v[10:11], v[8:9] op_sel_hi:[1,0,1]
	v_pk_add_f32 v[6:7], v[6:7], v[28:29]
	v_mov_b32_e32 v8, v13
	v_mov_b32_e32 v25, v9
	v_pk_mul_f32 v[8:9], v[16:17], v[8:9] op_sel:[1,0] op_sel_hi:[0,0]
	v_pk_fma_f32 v[10:11], v[16:17], v[12:13], v[8:9] neg_lo:[0,0,1] neg_hi:[0,0,1]
	v_pk_fma_f32 v[8:9], v[16:17], v[12:13], v[8:9] op_sel_hi:[1,0,1]
	v_pk_add_f32 v[6:7], v[6:7], v[24:25]
	v_mov_b32_e32 v11, v9
	s_waitcnt vmcnt(2) lgkmcnt(1)
	v_pk_mul_f32 v[8:9], v[18:19], v[2:3] op_sel:[1,1] op_sel_hi:[0,1]
	v_pk_add_f32 v[6:7], v[6:7], v[10:11]
	v_pk_fma_f32 v[10:11], v[18:19], v[2:3], v[8:9] neg_lo:[0,0,1] neg_hi:[0,0,1]
	v_pk_fma_f32 v[2:3], v[18:19], v[2:3], v[8:9] op_sel_hi:[1,0,1]
	s_nop 0
	v_mov_b32_e32 v11, v3
	v_pk_add_f32 v[2:3], v[6:7], v[10:11]
	v_mov_b32_e32 v6, v5
	v_pk_mul_f32 v[6:7], v[20:21], v[6:7] op_sel:[1,0] op_sel_hi:[0,0]
	v_pk_fma_f32 v[8:9], v[20:21], v[4:5], v[6:7] neg_lo:[0,0,1] neg_hi:[0,0,1]
	v_pk_fma_f32 v[4:5], v[20:21], v[4:5], v[6:7] op_sel_hi:[1,0,1]
	s_nop 0
	v_mov_b32_e32 v9, v5
	s_waitcnt vmcnt(1) lgkmcnt(0)
	v_pk_mul_f32 v[4:5], v[26:27], v[22:23] op_sel:[1,1] op_sel_hi:[0,1]
	v_pk_fma_f32 v[6:7], v[26:27], v[22:23], v[4:5] neg_lo:[0,0,1] neg_hi:[0,0,1]
	v_pk_fma_f32 v[4:5], v[26:27], v[22:23], v[4:5] op_sel_hi:[1,0,1]
	v_pk_add_f32 v[2:3], v[2:3], v[8:9]
	v_mov_b32_e32 v7, v5
	v_pk_add_f32 v[2:3], v[2:3], v[6:7]
	s_waitcnt vmcnt(0)
	v_pk_add_f32 v[2:3], v[36:37], v[2:3] neg_lo:[0,1] neg_hi:[0,1]
	scratch_store_dwordx2 off, v[2:3], off offset:184
	s_and_saveexec_b64 s[0:1], vcc
	s_cbranch_execz .LBB46_251
; %bb.250:
	scratch_load_dwordx2 v[2:3], off, off offset:176
	v_mov_b32_e32 v39, v38
	scratch_store_dwordx2 off, v[38:39], off offset:176
	s_waitcnt vmcnt(1)
	ds_write_b64 v1, v[2:3]
.LBB46_251:
	s_or_b64 exec, exec, s[0:1]
	s_waitcnt lgkmcnt(0)
	; wave barrier
	scratch_load_dwordx4 v[2:5], off, off offset:184
	scratch_load_dwordx4 v[14:17], off, off offset:200
	;; [unrolled: 1-line block ×8, first 2 shown]
	ds_read2_b64 v[48:51], v38 offset0:71 offset1:72
	ds_read2_b64 v[52:55], v38 offset0:73 offset1:74
	;; [unrolled: 1-line block ×8, first 2 shown]
	scratch_load_dwordx4 v[80:83], off, off offset:312
	scratch_load_dwordx4 v[26:29], off, off offset:328
	;; [unrolled: 1-line block ×4, first 2 shown]
	scratch_load_dwordx2 v[84:85], off, off offset:176
	v_cmp_lt_u32_e32 vcc, 21, v0
	s_waitcnt vmcnt(12) lgkmcnt(7)
	v_mul_f32_e32 v39, v48, v3
	v_mul_f32_e32 v86, v50, v5
	;; [unrolled: 1-line block ×3, first 2 shown]
	v_fmac_f32_e32 v39, v49, v2
	s_waitcnt vmcnt(8) lgkmcnt(3)
	v_mul_f32_e32 v95, v64, v19
	v_mul_f32_e32 v19, v65, v19
	;; [unrolled: 1-line block ×4, first 2 shown]
	v_fmac_f32_e32 v86, v51, v4
	v_fmac_f32_e32 v95, v65, v18
	v_fma_f32 v2, v48, v2, -v3
	v_fma_f32 v18, v64, v18, -v19
	v_add_f32_e32 v19, 0, v39
	v_mul_f32_e32 v90, v54, v17
	v_fmac_f32_e32 v88, v53, v14
	v_fma_f32 v3, v50, v4, -v5
	v_add_f32_e32 v2, 0, v2
	v_add_f32_e32 v19, v19, v86
	v_mul_f32_e32 v91, v56, v31
	v_fmac_f32_e32 v90, v55, v16
	v_add_f32_e32 v2, v2, v3
	v_add_f32_e32 v3, v19, v88
	v_mul_f32_e32 v92, v58, v33
	v_fmac_f32_e32 v91, v57, v30
	v_add_f32_e32 v3, v3, v90
	v_mul_f32_e32 v93, v60, v41
	v_fmac_f32_e32 v92, v59, v32
	;; [unrolled: 3-line block ×4, first 2 shown]
	v_add_f32_e32 v3, v3, v93
	v_mul_f32_e32 v96, v66, v21
	v_mul_f32_e32 v17, v55, v17
	v_fma_f32 v4, v52, v14, -v15
	v_add_f32_e32 v3, v3, v94
	s_waitcnt vmcnt(7) lgkmcnt(2)
	v_mul_f32_e32 v97, v68, v23
	v_mul_f32_e32 v31, v57, v31
	v_fmac_f32_e32 v96, v67, v20
	v_fma_f32 v5, v54, v16, -v17
	v_add_f32_e32 v2, v2, v4
	v_add_f32_e32 v3, v3, v95
	v_mul_f32_e32 v98, v70, v25
	v_mul_f32_e32 v33, v59, v33
	v_fmac_f32_e32 v97, v69, v22
	v_fma_f32 v14, v56, v30, -v31
	v_add_f32_e32 v2, v2, v5
	v_add_f32_e32 v3, v3, v96
	s_waitcnt vmcnt(6) lgkmcnt(1)
	v_mul_f32_e32 v99, v72, v35
	v_mul_f32_e32 v41, v61, v41
	v_fmac_f32_e32 v98, v71, v24
	v_fma_f32 v15, v58, v32, -v33
	v_add_f32_e32 v2, v2, v14
	v_add_f32_e32 v3, v3, v97
	v_mul_f32_e32 v100, v74, v37
	v_mul_f32_e32 v43, v63, v43
	v_fmac_f32_e32 v99, v73, v34
	v_fma_f32 v16, v60, v40, -v41
	v_add_f32_e32 v2, v2, v15
	v_add_f32_e32 v3, v3, v98
	v_fmac_f32_e32 v100, v75, v36
	v_fma_f32 v17, v62, v42, -v43
	v_add_f32_e32 v2, v2, v16
	v_add_f32_e32 v3, v3, v99
	;; [unrolled: 1-line block ×4, first 2 shown]
	v_mul_f32_e32 v3, v67, v21
	v_add_f32_e32 v2, v2, v18
	v_fma_f32 v3, v66, v20, -v3
	v_add_f32_e32 v2, v2, v3
	v_mul_f32_e32 v3, v69, v23
	v_fma_f32 v3, v68, v22, -v3
	v_add_f32_e32 v2, v2, v3
	v_mul_f32_e32 v3, v71, v25
	;; [unrolled: 3-line block ×4, first 2 shown]
	v_fma_f32 v3, v74, v36, -v3
	v_add_f32_e32 v30, v2, v3
	s_waitcnt vmcnt(5) lgkmcnt(0)
	v_mul_f32_e32 v2, v77, v45
	v_fma_f32 v86, v76, v44, -v2
	v_mul_f32_e32 v2, v79, v47
	v_fma_f32 v88, v78, v46, -v2
	ds_read2_b64 v[2:5], v38 offset0:87 offset1:88
	ds_read2_b64 v[14:17], v38 offset0:89 offset1:90
	;; [unrolled: 1-line block ×4, first 2 shown]
	v_mul_f32_e32 v87, v76, v45
	v_mul_f32_e32 v89, v78, v47
	v_fmac_f32_e32 v87, v77, v44
	s_waitcnt vmcnt(4) lgkmcnt(3)
	v_pk_mul_f32 v[32:33], v[2:3], v[80:81] op_sel:[1,1] op_sel_hi:[0,1]
	v_fmac_f32_e32 v89, v79, v46
	v_pk_add_f32 v[30:31], v[30:31], v[86:87]
	v_pk_fma_f32 v[34:35], v[2:3], v[80:81], v[32:33] neg_lo:[0,0,1] neg_hi:[0,0,1]
	v_pk_fma_f32 v[2:3], v[2:3], v[80:81], v[32:33] op_sel_hi:[1,0,1]
	v_pk_add_f32 v[30:31], v[30:31], v[88:89]
	v_mov_b32_e32 v35, v3
	v_pk_add_f32 v[2:3], v[30:31], v[34:35]
	v_mov_b32_e32 v30, v83
	v_pk_mul_f32 v[30:31], v[4:5], v[30:31] op_sel:[1,0] op_sel_hi:[0,0]
	v_pk_fma_f32 v[32:33], v[4:5], v[82:83], v[30:31] neg_lo:[0,0,1] neg_hi:[0,0,1]
	v_pk_fma_f32 v[4:5], v[4:5], v[82:83], v[30:31] op_sel_hi:[1,0,1]
	s_nop 0
	v_mov_b32_e32 v33, v5
	s_waitcnt vmcnt(3) lgkmcnt(2)
	v_pk_mul_f32 v[4:5], v[14:15], v[26:27] op_sel:[1,1] op_sel_hi:[0,1]
	v_pk_fma_f32 v[30:31], v[14:15], v[26:27], v[4:5] neg_lo:[0,0,1] neg_hi:[0,0,1]
	v_pk_fma_f32 v[4:5], v[14:15], v[26:27], v[4:5] op_sel_hi:[1,0,1]
	v_pk_add_f32 v[2:3], v[2:3], v[32:33]
	v_mov_b32_e32 v4, v29
	v_mov_b32_e32 v31, v5
	v_pk_mul_f32 v[4:5], v[16:17], v[4:5] op_sel:[1,0] op_sel_hi:[0,0]
	v_pk_fma_f32 v[14:15], v[16:17], v[28:29], v[4:5] neg_lo:[0,0,1] neg_hi:[0,0,1]
	v_pk_fma_f32 v[4:5], v[16:17], v[28:29], v[4:5] op_sel_hi:[1,0,1]
	v_pk_add_f32 v[2:3], v[2:3], v[30:31]
	v_mov_b32_e32 v15, v5
	s_waitcnt vmcnt(2) lgkmcnt(1)
	v_pk_mul_f32 v[4:5], v[18:19], v[10:11] op_sel:[1,1] op_sel_hi:[0,1]
	v_pk_add_f32 v[2:3], v[2:3], v[14:15]
	v_pk_fma_f32 v[14:15], v[18:19], v[10:11], v[4:5] neg_lo:[0,0,1] neg_hi:[0,0,1]
	v_pk_fma_f32 v[4:5], v[18:19], v[10:11], v[4:5] op_sel_hi:[1,0,1]
	s_nop 0
	v_mov_b32_e32 v4, v13
	v_mov_b32_e32 v15, v5
	v_pk_mul_f32 v[4:5], v[20:21], v[4:5] op_sel:[1,0] op_sel_hi:[0,0]
	v_pk_fma_f32 v[10:11], v[20:21], v[12:13], v[4:5] neg_lo:[0,0,1] neg_hi:[0,0,1]
	v_pk_fma_f32 v[4:5], v[20:21], v[12:13], v[4:5] op_sel_hi:[1,0,1]
	v_pk_add_f32 v[2:3], v[2:3], v[14:15]
	v_mov_b32_e32 v11, v5
	s_waitcnt vmcnt(1) lgkmcnt(0)
	v_pk_mul_f32 v[4:5], v[22:23], v[6:7] op_sel:[1,1] op_sel_hi:[0,1]
	v_pk_add_f32 v[2:3], v[2:3], v[10:11]
	v_pk_fma_f32 v[10:11], v[22:23], v[6:7], v[4:5] neg_lo:[0,0,1] neg_hi:[0,0,1]
	v_pk_fma_f32 v[4:5], v[22:23], v[6:7], v[4:5] op_sel_hi:[1,0,1]
	s_nop 0
	v_mov_b32_e32 v4, v9
	v_mov_b32_e32 v11, v5
	v_pk_mul_f32 v[4:5], v[24:25], v[4:5] op_sel:[1,0] op_sel_hi:[0,0]
	v_pk_fma_f32 v[6:7], v[24:25], v[8:9], v[4:5] neg_lo:[0,0,1] neg_hi:[0,0,1]
	v_pk_fma_f32 v[4:5], v[24:25], v[8:9], v[4:5] op_sel_hi:[1,0,1]
	v_pk_add_f32 v[2:3], v[2:3], v[10:11]
	v_mov_b32_e32 v7, v5
	v_pk_add_f32 v[2:3], v[2:3], v[6:7]
	s_waitcnt vmcnt(0)
	v_pk_add_f32 v[2:3], v[84:85], v[2:3] neg_lo:[0,1] neg_hi:[0,1]
	scratch_store_dwordx2 off, v[2:3], off offset:176
	s_and_saveexec_b64 s[0:1], vcc
	s_cbranch_execz .LBB46_253
; %bb.252:
	scratch_load_dwordx2 v[2:3], off, off offset:168
	v_mov_b32_e32 v4, 0
	v_mov_b32_e32 v5, v4
	scratch_store_dwordx2 off, v[4:5], off offset:168
	s_waitcnt vmcnt(1)
	ds_write_b64 v1, v[2:3]
.LBB46_253:
	s_or_b64 exec, exec, s[0:1]
	s_waitcnt lgkmcnt(0)
	; wave barrier
	scratch_load_dwordx4 v[10:13], off, off offset:176
	scratch_load_dwordx4 v[26:29], off, off offset:192
	;; [unrolled: 1-line block ×12, first 2 shown]
	scratch_load_dwordx2 v[50:51], off, off offset:368
	scratch_load_dwordx2 v[56:57], off, off offset:168
	v_mov_b32_e32 v58, 0
	ds_read_b128 v[52:55], v58 offset:560
	ds_read_b128 v[60:63], v58 offset:576
	;; [unrolled: 1-line block ×10, first 2 shown]
	v_cmp_lt_u32_e32 vcc, 20, v0
	s_waitcnt vmcnt(13) lgkmcnt(9)
	v_mul_f32_e32 v59, v52, v11
	v_mul_f32_e32 v96, v54, v13
	v_fmac_f32_e32 v59, v53, v10
	s_waitcnt vmcnt(10) lgkmcnt(6)
	v_mul_f32_e32 v103, v68, v7
	v_mul_f32_e32 v7, v69, v7
	;; [unrolled: 1-line block ×3, first 2 shown]
	v_fmac_f32_e32 v96, v55, v12
	v_fmac_f32_e32 v103, v69, v6
	v_fma_f32 v6, v68, v6, -v7
	v_add_f32_e32 v7, 0, v59
	v_mul_f32_e32 v100, v62, v29
	v_fmac_f32_e32 v98, v61, v26
	v_add_f32_e32 v7, v7, v96
	v_mul_f32_e32 v101, v64, v39
	v_fmac_f32_e32 v100, v63, v28
	;; [unrolled: 3-line block ×3, first 2 shown]
	v_add_f32_e32 v7, v7, v100
	v_fmac_f32_e32 v102, v67, v40
	v_add_f32_e32 v7, v7, v101
	v_mul_f32_e32 v104, v70, v9
	v_add_f32_e32 v7, v7, v102
	s_waitcnt vmcnt(9) lgkmcnt(5)
	v_mul_f32_e32 v105, v72, v15
	v_fmac_f32_e32 v104, v71, v8
	v_add_f32_e32 v7, v7, v103
	v_mul_f32_e32 v106, v74, v17
	v_mul_f32_e32 v11, v53, v11
	v_fmac_f32_e32 v105, v73, v14
	v_add_f32_e32 v7, v7, v104
	s_waitcnt vmcnt(8) lgkmcnt(4)
	v_mul_f32_e32 v107, v76, v23
	v_mul_f32_e32 v13, v55, v13
	v_fmac_f32_e32 v106, v75, v16
	v_fma_f32 v10, v52, v10, -v11
	v_add_f32_e32 v7, v7, v105
	v_mul_f32_e32 v108, v78, v25
	v_mul_f32_e32 v27, v61, v27
	v_fmac_f32_e32 v107, v77, v22
	v_fma_f32 v11, v54, v12, -v13
	v_add_f32_e32 v10, 0, v10
	v_add_f32_e32 v7, v7, v106
	s_waitcnt vmcnt(7) lgkmcnt(3)
	v_mul_f32_e32 v109, v80, v31
	v_mul_f32_e32 v29, v63, v29
	v_fmac_f32_e32 v108, v79, v24
	v_fma_f32 v12, v60, v26, -v27
	v_add_f32_e32 v10, v10, v11
	v_add_f32_e32 v7, v7, v107
	v_mul_f32_e32 v110, v82, v33
	v_mul_f32_e32 v39, v65, v39
	v_fmac_f32_e32 v109, v81, v30
	v_fma_f32 v13, v62, v28, -v29
	v_add_f32_e32 v10, v10, v12
	v_add_f32_e32 v7, v7, v108
	s_waitcnt vmcnt(6) lgkmcnt(2)
	v_mul_f32_e32 v111, v84, v43
	v_mul_f32_e32 v41, v67, v41
	v_fmac_f32_e32 v110, v83, v32
	v_fma_f32 v26, v64, v38, -v39
	v_add_f32_e32 v10, v10, v13
	v_add_f32_e32 v7, v7, v109
	v_fmac_f32_e32 v111, v85, v42
	v_fma_f32 v27, v66, v40, -v41
	v_add_f32_e32 v10, v10, v26
	v_add_f32_e32 v7, v7, v110
	;; [unrolled: 1-line block ×4, first 2 shown]
	v_mul_f32_e32 v7, v71, v9
	v_add_f32_e32 v6, v10, v6
	v_fma_f32 v7, v70, v8, -v7
	v_add_f32_e32 v6, v6, v7
	v_mul_f32_e32 v7, v73, v15
	v_fma_f32 v7, v72, v14, -v7
	v_add_f32_e32 v6, v6, v7
	v_mul_f32_e32 v7, v75, v17
	v_fma_f32 v7, v74, v16, -v7
	v_add_f32_e32 v6, v6, v7
	v_mul_f32_e32 v7, v77, v23
	v_fma_f32 v7, v76, v22, -v7
	v_add_f32_e32 v6, v6, v7
	v_mul_f32_e32 v7, v79, v25
	v_fma_f32 v7, v78, v24, -v7
	v_add_f32_e32 v6, v6, v7
	v_mul_f32_e32 v7, v81, v31
	v_fma_f32 v7, v80, v30, -v7
	v_add_f32_e32 v6, v6, v7
	v_mul_f32_e32 v7, v83, v33
	v_fma_f32 v7, v82, v32, -v7
	v_add_f32_e32 v6, v6, v7
	v_mul_f32_e32 v7, v85, v43
	v_fma_f32 v7, v84, v42, -v7
	v_mul_f32_e32 v97, v86, v45
	v_add_f32_e32 v26, v6, v7
	v_mul_f32_e32 v6, v87, v45
	s_waitcnt vmcnt(5)
	v_mov_b32_e32 v22, v49
	s_waitcnt lgkmcnt(1)
	v_mul_f32_e32 v99, v88, v47
	v_fmac_f32_e32 v97, v87, v44
	v_fma_f32 v96, v86, v44, -v6
	v_mul_f32_e32 v6, v89, v47
	v_pk_mul_f32 v[22:23], v[90:91], v[22:23] op_sel:[1,0] op_sel_hi:[0,0]
	v_fmac_f32_e32 v99, v89, v46
	v_fma_f32 v98, v88, v46, -v6
	v_pk_add_f32 v[16:17], v[26:27], v[96:97]
	v_pk_fma_f32 v[24:25], v[90:91], v[48:49], v[22:23] neg_lo:[0,0,1] neg_hi:[0,0,1]
	v_pk_fma_f32 v[22:23], v[90:91], v[48:49], v[22:23] op_sel_hi:[1,0,1]
	v_pk_add_f32 v[16:17], v[16:17], v[98:99]
	v_mov_b32_e32 v25, v23
	s_waitcnt vmcnt(4) lgkmcnt(0)
	v_pk_mul_f32 v[22:23], v[92:93], v[34:35] op_sel:[1,1] op_sel_hi:[0,1]
	v_pk_add_f32 v[16:17], v[16:17], v[24:25]
	v_pk_fma_f32 v[24:25], v[92:93], v[34:35], v[22:23] neg_lo:[0,0,1] neg_hi:[0,0,1]
	v_pk_fma_f32 v[22:23], v[92:93], v[34:35], v[22:23] op_sel_hi:[1,0,1]
	ds_read_b128 v[6:9], v58 offset:720
	ds_read_b128 v[10:13], v58 offset:736
	ds_read_b64 v[14:15], v58 offset:752
	v_mov_b32_e32 v22, v37
	v_mov_b32_e32 v25, v23
	v_pk_mul_f32 v[22:23], v[94:95], v[22:23] op_sel:[1,0] op_sel_hi:[0,0]
	v_pk_add_f32 v[16:17], v[16:17], v[24:25]
	v_pk_fma_f32 v[24:25], v[94:95], v[36:37], v[22:23] neg_lo:[0,0,1] neg_hi:[0,0,1]
	v_pk_fma_f32 v[22:23], v[94:95], v[36:37], v[22:23] op_sel_hi:[1,0,1]
	s_nop 0
	v_mov_b32_e32 v25, v23
	s_waitcnt vmcnt(3) lgkmcnt(2)
	v_pk_mul_f32 v[22:23], v[6:7], v[18:19] op_sel:[1,1] op_sel_hi:[0,1]
	v_pk_add_f32 v[16:17], v[16:17], v[24:25]
	v_pk_fma_f32 v[24:25], v[6:7], v[18:19], v[22:23] neg_lo:[0,0,1] neg_hi:[0,0,1]
	v_pk_fma_f32 v[6:7], v[6:7], v[18:19], v[22:23] op_sel_hi:[1,0,1]
	s_nop 0
	v_mov_b32_e32 v25, v7
	v_pk_add_f32 v[6:7], v[16:17], v[24:25]
	v_mov_b32_e32 v16, v21
	v_pk_mul_f32 v[16:17], v[8:9], v[16:17] op_sel:[1,0] op_sel_hi:[0,0]
	v_pk_fma_f32 v[18:19], v[8:9], v[20:21], v[16:17] neg_lo:[0,0,1] neg_hi:[0,0,1]
	v_pk_fma_f32 v[8:9], v[8:9], v[20:21], v[16:17] op_sel_hi:[1,0,1]
	s_nop 0
	v_mov_b32_e32 v19, v9
	s_waitcnt vmcnt(2) lgkmcnt(1)
	v_pk_mul_f32 v[8:9], v[10:11], v[2:3] op_sel:[1,1] op_sel_hi:[0,1]
	v_pk_fma_f32 v[16:17], v[10:11], v[2:3], v[8:9] neg_lo:[0,0,1] neg_hi:[0,0,1]
	v_pk_fma_f32 v[2:3], v[10:11], v[2:3], v[8:9] op_sel_hi:[1,0,1]
	v_pk_add_f32 v[6:7], v[6:7], v[18:19]
	v_mov_b32_e32 v17, v3
	v_pk_add_f32 v[2:3], v[6:7], v[16:17]
	v_mov_b32_e32 v6, v5
	v_pk_mul_f32 v[6:7], v[12:13], v[6:7] op_sel:[1,0] op_sel_hi:[0,0]
	v_pk_fma_f32 v[8:9], v[12:13], v[4:5], v[6:7] neg_lo:[0,0,1] neg_hi:[0,0,1]
	v_pk_fma_f32 v[4:5], v[12:13], v[4:5], v[6:7] op_sel_hi:[1,0,1]
	s_nop 0
	v_mov_b32_e32 v9, v5
	s_waitcnt vmcnt(1) lgkmcnt(0)
	v_pk_mul_f32 v[4:5], v[14:15], v[50:51] op_sel:[1,1] op_sel_hi:[0,1]
	v_pk_fma_f32 v[6:7], v[14:15], v[50:51], v[4:5] neg_lo:[0,0,1] neg_hi:[0,0,1]
	v_pk_fma_f32 v[4:5], v[14:15], v[50:51], v[4:5] op_sel_hi:[1,0,1]
	v_pk_add_f32 v[2:3], v[2:3], v[8:9]
	v_mov_b32_e32 v7, v5
	v_pk_add_f32 v[2:3], v[2:3], v[6:7]
	s_waitcnt vmcnt(0)
	v_pk_add_f32 v[2:3], v[56:57], v[2:3] neg_lo:[0,1] neg_hi:[0,1]
	scratch_store_dwordx2 off, v[2:3], off offset:168
	s_and_saveexec_b64 s[0:1], vcc
	s_cbranch_execz .LBB46_255
; %bb.254:
	scratch_load_dwordx2 v[2:3], off, off offset:160
	v_mov_b32_e32 v59, v58
	scratch_store_dwordx2 off, v[58:59], off offset:160
	s_waitcnt vmcnt(1)
	ds_write_b64 v1, v[2:3]
.LBB46_255:
	s_or_b64 exec, exec, s[0:1]
	s_waitcnt lgkmcnt(0)
	; wave barrier
	scratch_load_dwordx4 v[2:5], off, off offset:168
	scratch_load_dwordx4 v[18:21], off, off offset:184
	;; [unrolled: 1-line block ×9, first 2 shown]
	ds_read2_b64 v[60:63], v58 offset0:69 offset1:70
	ds_read2_b64 v[64:67], v58 offset0:71 offset1:72
	;; [unrolled: 1-line block ×8, first 2 shown]
	scratch_load_dwordx4 v[50:53], off, off offset:312
	scratch_load_dwordx4 v[34:37], off, off offset:328
	scratch_load_dwordx4 v[26:29], off, off offset:344
	scratch_load_dwordx4 v[10:13], off, off offset:360
	ds_read2_b64 v[88:91], v58 offset0:85 offset1:86
	ds_read2_b64 v[92:95], v58 offset0:87 offset1:88
	scratch_load_dwordx2 v[96:97], off, off offset:160
	v_cmp_lt_u32_e32 vcc, 19, v0
	s_waitcnt vmcnt(13) lgkmcnt(9)
	v_mul_f32_e32 v59, v60, v3
	v_mul_f32_e32 v98, v62, v5
	;; [unrolled: 1-line block ×3, first 2 shown]
	s_waitcnt vmcnt(10) lgkmcnt(6)
	v_mul_f32_e32 v105, v72, v7
	v_mul_f32_e32 v7, v73, v7
	v_fmac_f32_e32 v59, v61, v2
	v_mul_f32_e32 v100, v64, v19
	v_mul_f32_e32 v5, v63, v5
	v_fmac_f32_e32 v98, v63, v4
	v_fmac_f32_e32 v105, v73, v6
	v_fma_f32 v2, v60, v2, -v3
	v_fma_f32 v6, v72, v6, -v7
	v_add_f32_e32 v7, 0, v59
	v_mul_f32_e32 v102, v66, v21
	v_fmac_f32_e32 v100, v65, v18
	v_fma_f32 v3, v62, v4, -v5
	v_add_f32_e32 v2, 0, v2
	v_add_f32_e32 v7, v7, v98
	v_mul_f32_e32 v103, v68, v39
	v_fmac_f32_e32 v102, v67, v20
	v_add_f32_e32 v2, v2, v3
	v_add_f32_e32 v3, v7, v100
	v_mul_f32_e32 v104, v70, v41
	v_fmac_f32_e32 v103, v69, v38
	v_add_f32_e32 v3, v3, v102
	v_fmac_f32_e32 v104, v71, v40
	v_add_f32_e32 v3, v3, v103
	v_mul_f32_e32 v106, v74, v9
	v_add_f32_e32 v3, v3, v104
	s_waitcnt vmcnt(9) lgkmcnt(5)
	v_mul_f32_e32 v107, v76, v15
	v_fmac_f32_e32 v106, v75, v8
	v_add_f32_e32 v3, v3, v105
	v_mul_f32_e32 v108, v78, v17
	v_fmac_f32_e32 v107, v77, v14
	v_add_f32_e32 v3, v3, v106
	s_waitcnt vmcnt(8) lgkmcnt(4)
	v_mul_f32_e32 v109, v80, v23
	v_fmac_f32_e32 v108, v79, v16
	v_add_f32_e32 v3, v3, v107
	v_mul_f32_e32 v110, v82, v25
	v_fmac_f32_e32 v109, v81, v22
	v_add_f32_e32 v3, v3, v108
	s_waitcnt vmcnt(7) lgkmcnt(3)
	v_mul_f32_e32 v111, v84, v31
	v_mul_f32_e32 v19, v65, v19
	v_fmac_f32_e32 v110, v83, v24
	v_add_f32_e32 v3, v3, v109
	v_mul_f32_e32 v112, v86, v33
	v_mul_f32_e32 v21, v67, v21
	v_fmac_f32_e32 v111, v85, v30
	v_fma_f32 v4, v64, v18, -v19
	v_add_f32_e32 v3, v3, v110
	s_waitcnt vmcnt(6) lgkmcnt(2)
	v_mul_f32_e32 v113, v54, v43
	v_mul_f32_e32 v39, v69, v39
	v_fmac_f32_e32 v112, v87, v32
	v_fma_f32 v5, v66, v20, -v21
	v_add_f32_e32 v2, v2, v4
	v_add_f32_e32 v3, v3, v111
	v_mul_f32_e32 v114, v56, v45
	v_mul_f32_e32 v41, v71, v41
	v_fmac_f32_e32 v113, v55, v42
	v_fma_f32 v18, v68, v38, -v39
	v_add_f32_e32 v2, v2, v5
	v_add_f32_e32 v3, v3, v112
	v_fmac_f32_e32 v114, v57, v44
	v_fma_f32 v19, v70, v40, -v41
	v_add_f32_e32 v2, v2, v18
	v_add_f32_e32 v3, v3, v113
	;; [unrolled: 1-line block ×4, first 2 shown]
	v_mul_f32_e32 v3, v75, v9
	v_add_f32_e32 v2, v2, v6
	v_fma_f32 v3, v74, v8, -v3
	v_add_f32_e32 v2, v2, v3
	v_mul_f32_e32 v3, v77, v15
	v_fma_f32 v3, v76, v14, -v3
	v_add_f32_e32 v2, v2, v3
	v_mul_f32_e32 v3, v79, v17
	;; [unrolled: 3-line block ×8, first 2 shown]
	v_fma_f32 v3, v56, v44, -v3
	s_waitcnt vmcnt(5) lgkmcnt(1)
	v_mul_f32_e32 v99, v88, v47
	v_add_f32_e32 v18, v2, v3
	v_mul_f32_e32 v2, v89, v47
	s_waitcnt vmcnt(4) lgkmcnt(0)
	v_pk_mul_f32 v[20:21], v[92:93], v[50:51] op_sel:[1,1] op_sel_hi:[0,1]
	v_mul_f32_e32 v101, v90, v49
	v_fmac_f32_e32 v99, v89, v46
	v_fma_f32 v98, v88, v46, -v2
	v_mul_f32_e32 v2, v91, v49
	v_pk_fma_f32 v[22:23], v[92:93], v[50:51], v[20:21] neg_lo:[0,0,1] neg_hi:[0,0,1]
	v_pk_fma_f32 v[20:21], v[92:93], v[50:51], v[20:21] op_sel_hi:[1,0,1]
	v_fmac_f32_e32 v101, v91, v48
	v_fma_f32 v100, v90, v48, -v2
	ds_read2_b64 v[2:5], v58 offset0:89 offset1:90
	ds_read2_b64 v[6:9], v58 offset0:91 offset1:92
	;; [unrolled: 1-line block ×3, first 2 shown]
	v_pk_add_f32 v[18:19], v[18:19], v[98:99]
	v_mov_b32_e32 v20, v53
	v_pk_add_f32 v[18:19], v[18:19], v[100:101]
	v_mov_b32_e32 v23, v21
	v_pk_mul_f32 v[20:21], v[94:95], v[20:21] op_sel:[1,0] op_sel_hi:[0,0]
	v_pk_add_f32 v[18:19], v[18:19], v[22:23]
	v_pk_fma_f32 v[22:23], v[94:95], v[52:53], v[20:21] neg_lo:[0,0,1] neg_hi:[0,0,1]
	v_pk_fma_f32 v[20:21], v[94:95], v[52:53], v[20:21] op_sel_hi:[1,0,1]
	s_nop 0
	v_mov_b32_e32 v23, v21
	s_waitcnt vmcnt(3) lgkmcnt(2)
	v_pk_mul_f32 v[20:21], v[2:3], v[34:35] op_sel:[1,1] op_sel_hi:[0,1]
	v_pk_add_f32 v[18:19], v[18:19], v[22:23]
	v_pk_fma_f32 v[22:23], v[2:3], v[34:35], v[20:21] neg_lo:[0,0,1] neg_hi:[0,0,1]
	v_pk_fma_f32 v[2:3], v[2:3], v[34:35], v[20:21] op_sel_hi:[1,0,1]
	s_nop 0
	v_mov_b32_e32 v23, v3
	v_pk_add_f32 v[2:3], v[18:19], v[22:23]
	v_mov_b32_e32 v18, v37
	v_pk_mul_f32 v[18:19], v[4:5], v[18:19] op_sel:[1,0] op_sel_hi:[0,0]
	v_pk_fma_f32 v[20:21], v[4:5], v[36:37], v[18:19] neg_lo:[0,0,1] neg_hi:[0,0,1]
	v_pk_fma_f32 v[4:5], v[4:5], v[36:37], v[18:19] op_sel_hi:[1,0,1]
	s_nop 0
	v_mov_b32_e32 v21, v5
	s_waitcnt vmcnt(2) lgkmcnt(1)
	v_pk_mul_f32 v[4:5], v[6:7], v[26:27] op_sel:[1,1] op_sel_hi:[0,1]
	v_pk_fma_f32 v[18:19], v[6:7], v[26:27], v[4:5] neg_lo:[0,0,1] neg_hi:[0,0,1]
	v_pk_fma_f32 v[4:5], v[6:7], v[26:27], v[4:5] op_sel_hi:[1,0,1]
	v_pk_add_f32 v[2:3], v[2:3], v[20:21]
	v_mov_b32_e32 v4, v29
	v_mov_b32_e32 v19, v5
	v_pk_mul_f32 v[4:5], v[8:9], v[4:5] op_sel:[1,0] op_sel_hi:[0,0]
	v_pk_fma_f32 v[6:7], v[8:9], v[28:29], v[4:5] neg_lo:[0,0,1] neg_hi:[0,0,1]
	v_pk_fma_f32 v[4:5], v[8:9], v[28:29], v[4:5] op_sel_hi:[1,0,1]
	v_pk_add_f32 v[2:3], v[2:3], v[18:19]
	v_mov_b32_e32 v7, v5
	s_waitcnt vmcnt(1) lgkmcnt(0)
	v_pk_mul_f32 v[4:5], v[14:15], v[10:11] op_sel:[1,1] op_sel_hi:[0,1]
	v_pk_add_f32 v[2:3], v[2:3], v[6:7]
	v_pk_fma_f32 v[6:7], v[14:15], v[10:11], v[4:5] neg_lo:[0,0,1] neg_hi:[0,0,1]
	v_pk_fma_f32 v[4:5], v[14:15], v[10:11], v[4:5] op_sel_hi:[1,0,1]
	s_nop 0
	v_mov_b32_e32 v4, v13
	v_mov_b32_e32 v7, v5
	v_pk_mul_f32 v[4:5], v[16:17], v[4:5] op_sel:[1,0] op_sel_hi:[0,0]
	v_pk_add_f32 v[2:3], v[2:3], v[6:7]
	v_pk_fma_f32 v[6:7], v[16:17], v[12:13], v[4:5] neg_lo:[0,0,1] neg_hi:[0,0,1]
	v_pk_fma_f32 v[4:5], v[16:17], v[12:13], v[4:5] op_sel_hi:[1,0,1]
	s_nop 0
	v_mov_b32_e32 v7, v5
	v_pk_add_f32 v[2:3], v[2:3], v[6:7]
	s_waitcnt vmcnt(0)
	v_pk_add_f32 v[2:3], v[96:97], v[2:3] neg_lo:[0,1] neg_hi:[0,1]
	scratch_store_dwordx2 off, v[2:3], off offset:160
	s_and_saveexec_b64 s[0:1], vcc
	s_cbranch_execz .LBB46_257
; %bb.256:
	scratch_load_dwordx2 v[2:3], off, off offset:152
	v_mov_b32_e32 v4, 0
	v_mov_b32_e32 v5, v4
	scratch_store_dwordx2 off, v[4:5], off offset:152
	s_waitcnt vmcnt(1)
	ds_write_b64 v1, v[2:3]
.LBB46_257:
	s_or_b64 exec, exec, s[0:1]
	s_waitcnt lgkmcnt(0)
	; wave barrier
	scratch_load_dwordx4 v[18:21], off, off offset:160
	scratch_load_dwordx4 v[30:33], off, off offset:176
	;; [unrolled: 1-line block ×13, first 2 shown]
	scratch_load_dwordx2 v[54:55], off, off offset:368
	scratch_load_dwordx2 v[80:81], off, off offset:152
	v_mov_b32_e32 v82, 0
	ds_read_b128 v[56:59], v82 offset:544
	ds_read_b128 v[60:63], v82 offset:560
	;; [unrolled: 1-line block ×10, first 2 shown]
	v_cmp_lt_u32_e32 vcc, 18, v0
	s_waitcnt vmcnt(14) lgkmcnt(9)
	v_mul_f32_e32 v83, v56, v19
	v_mul_f32_e32 v100, v58, v21
	s_waitcnt vmcnt(12) lgkmcnt(7)
	v_mul_f32_e32 v105, v64, v3
	v_mul_f32_e32 v3, v65, v3
	v_fmac_f32_e32 v83, v57, v18
	v_mul_f32_e32 v102, v60, v31
	v_fmac_f32_e32 v100, v59, v20
	v_fmac_f32_e32 v105, v65, v2
	v_fma_f32 v2, v64, v2, -v3
	v_add_f32_e32 v3, 0, v83
	v_mul_f32_e32 v104, v62, v33
	v_fmac_f32_e32 v102, v61, v30
	v_add_f32_e32 v3, v3, v100
	v_fmac_f32_e32 v104, v63, v32
	v_add_f32_e32 v3, v3, v102
	v_mul_f32_e32 v106, v66, v5
	v_add_f32_e32 v3, v3, v104
	s_waitcnt vmcnt(11) lgkmcnt(6)
	v_mul_f32_e32 v107, v68, v7
	v_fmac_f32_e32 v106, v67, v4
	v_add_f32_e32 v3, v3, v105
	v_mul_f32_e32 v108, v70, v9
	v_fmac_f32_e32 v107, v69, v6
	v_add_f32_e32 v3, v3, v106
	s_waitcnt vmcnt(10) lgkmcnt(5)
	v_mul_f32_e32 v109, v72, v15
	v_fmac_f32_e32 v108, v71, v8
	v_add_f32_e32 v3, v3, v107
	v_mul_f32_e32 v110, v74, v17
	v_fmac_f32_e32 v109, v73, v14
	;; [unrolled: 7-line block ×3, first 2 shown]
	v_add_f32_e32 v3, v3, v110
	s_waitcnt vmcnt(8) lgkmcnt(3)
	v_mul_f32_e32 v113, v84, v35
	v_mul_f32_e32 v19, v57, v19
	v_fmac_f32_e32 v112, v79, v24
	v_add_f32_e32 v3, v3, v111
	v_mul_f32_e32 v114, v86, v37
	v_mul_f32_e32 v21, v59, v21
	v_fmac_f32_e32 v113, v85, v34
	v_fma_f32 v18, v56, v18, -v19
	v_add_f32_e32 v3, v3, v112
	s_waitcnt vmcnt(7) lgkmcnt(2)
	v_mul_f32_e32 v115, v88, v39
	v_mul_f32_e32 v31, v61, v31
	v_fmac_f32_e32 v114, v87, v36
	v_fma_f32 v19, v58, v20, -v21
	v_add_f32_e32 v18, 0, v18
	v_add_f32_e32 v3, v3, v113
	v_mul_f32_e32 v116, v90, v41
	v_mul_f32_e32 v33, v63, v33
	v_fmac_f32_e32 v115, v89, v38
	v_fma_f32 v20, v60, v30, -v31
	v_add_f32_e32 v18, v18, v19
	v_add_f32_e32 v3, v3, v114
	s_waitcnt vmcnt(6) lgkmcnt(1)
	v_mul_f32_e32 v117, v92, v51
	v_fmac_f32_e32 v116, v91, v40
	v_fma_f32 v21, v62, v32, -v33
	v_add_f32_e32 v18, v18, v20
	v_add_f32_e32 v3, v3, v115
	v_mul_f32_e32 v5, v67, v5
	v_fmac_f32_e32 v117, v93, v50
	v_add_f32_e32 v18, v18, v21
	v_add_f32_e32 v3, v3, v116
	;; [unrolled: 1-line block ×4, first 2 shown]
	v_fma_f32 v3, v66, v4, -v5
	v_add_f32_e32 v2, v2, v3
	v_mul_f32_e32 v3, v69, v7
	v_fma_f32 v3, v68, v6, -v3
	v_add_f32_e32 v2, v2, v3
	v_mul_f32_e32 v3, v71, v9
	;; [unrolled: 3-line block ×12, first 2 shown]
	v_mul_f32_e32 v101, v94, v53
	v_fma_f32 v100, v94, v52, -v2
	s_waitcnt vmcnt(5) lgkmcnt(0)
	v_mul_f32_e32 v2, v97, v47
	v_mov_b32_e32 v22, v49
	v_mul_f32_e32 v103, v96, v47
	v_fmac_f32_e32 v101, v95, v52
	v_fma_f32 v102, v96, v46, -v2
	ds_read_b128 v[2:5], v82 offset:704
	ds_read_b128 v[6:9], v82 offset:720
	;; [unrolled: 1-line block ×3, first 2 shown]
	ds_read_b64 v[20:21], v82 offset:752
	v_pk_mul_f32 v[22:23], v[98:99], v[22:23] op_sel:[1,0] op_sel_hi:[0,0]
	v_fmac_f32_e32 v103, v97, v46
	v_pk_add_f32 v[18:19], v[18:19], v[100:101]
	v_pk_fma_f32 v[24:25], v[98:99], v[48:49], v[22:23] neg_lo:[0,0,1] neg_hi:[0,0,1]
	v_pk_fma_f32 v[22:23], v[98:99], v[48:49], v[22:23] op_sel_hi:[1,0,1]
	v_pk_add_f32 v[18:19], v[18:19], v[102:103]
	v_mov_b32_e32 v25, v23
	s_waitcnt vmcnt(4) lgkmcnt(3)
	v_pk_mul_f32 v[22:23], v[2:3], v[42:43] op_sel:[1,1] op_sel_hi:[0,1]
	v_pk_add_f32 v[18:19], v[18:19], v[24:25]
	v_pk_fma_f32 v[24:25], v[2:3], v[42:43], v[22:23] neg_lo:[0,0,1] neg_hi:[0,0,1]
	v_pk_fma_f32 v[2:3], v[2:3], v[42:43], v[22:23] op_sel_hi:[1,0,1]
	s_nop 0
	v_mov_b32_e32 v25, v3
	v_pk_add_f32 v[2:3], v[18:19], v[24:25]
	v_mov_b32_e32 v18, v45
	v_pk_mul_f32 v[18:19], v[4:5], v[18:19] op_sel:[1,0] op_sel_hi:[0,0]
	v_pk_fma_f32 v[22:23], v[4:5], v[44:45], v[18:19] neg_lo:[0,0,1] neg_hi:[0,0,1]
	v_pk_fma_f32 v[4:5], v[4:5], v[44:45], v[18:19] op_sel_hi:[1,0,1]
	s_nop 0
	v_mov_b32_e32 v23, v5
	s_waitcnt vmcnt(3) lgkmcnt(2)
	v_pk_mul_f32 v[4:5], v[6:7], v[26:27] op_sel:[1,1] op_sel_hi:[0,1]
	v_pk_fma_f32 v[18:19], v[6:7], v[26:27], v[4:5] neg_lo:[0,0,1] neg_hi:[0,0,1]
	v_pk_fma_f32 v[4:5], v[6:7], v[26:27], v[4:5] op_sel_hi:[1,0,1]
	v_pk_add_f32 v[2:3], v[2:3], v[22:23]
	v_mov_b32_e32 v4, v29
	v_mov_b32_e32 v19, v5
	v_pk_mul_f32 v[4:5], v[8:9], v[4:5] op_sel:[1,0] op_sel_hi:[0,0]
	v_pk_fma_f32 v[6:7], v[8:9], v[28:29], v[4:5] neg_lo:[0,0,1] neg_hi:[0,0,1]
	v_pk_fma_f32 v[4:5], v[8:9], v[28:29], v[4:5] op_sel_hi:[1,0,1]
	v_pk_add_f32 v[2:3], v[2:3], v[18:19]
	v_mov_b32_e32 v7, v5
	s_waitcnt vmcnt(2) lgkmcnt(1)
	v_pk_mul_f32 v[4:5], v[14:15], v[10:11] op_sel:[1,1] op_sel_hi:[0,1]
	v_pk_add_f32 v[2:3], v[2:3], v[6:7]
	v_pk_fma_f32 v[6:7], v[14:15], v[10:11], v[4:5] neg_lo:[0,0,1] neg_hi:[0,0,1]
	v_pk_fma_f32 v[4:5], v[14:15], v[10:11], v[4:5] op_sel_hi:[1,0,1]
	s_nop 0
	v_mov_b32_e32 v4, v13
	v_mov_b32_e32 v7, v5
	v_pk_mul_f32 v[4:5], v[16:17], v[4:5] op_sel:[1,0] op_sel_hi:[0,0]
	v_pk_add_f32 v[2:3], v[2:3], v[6:7]
	v_pk_fma_f32 v[6:7], v[16:17], v[12:13], v[4:5] neg_lo:[0,0,1] neg_hi:[0,0,1]
	v_pk_fma_f32 v[4:5], v[16:17], v[12:13], v[4:5] op_sel_hi:[1,0,1]
	s_nop 0
	v_mov_b32_e32 v7, v5
	s_waitcnt vmcnt(1) lgkmcnt(0)
	v_pk_mul_f32 v[4:5], v[20:21], v[54:55] op_sel:[1,1] op_sel_hi:[0,1]
	v_pk_add_f32 v[2:3], v[2:3], v[6:7]
	v_pk_fma_f32 v[6:7], v[20:21], v[54:55], v[4:5] neg_lo:[0,0,1] neg_hi:[0,0,1]
	v_pk_fma_f32 v[4:5], v[20:21], v[54:55], v[4:5] op_sel_hi:[1,0,1]
	s_nop 0
	v_mov_b32_e32 v7, v5
	v_pk_add_f32 v[2:3], v[2:3], v[6:7]
	s_waitcnt vmcnt(0)
	v_pk_add_f32 v[2:3], v[80:81], v[2:3] neg_lo:[0,1] neg_hi:[0,1]
	scratch_store_dwordx2 off, v[2:3], off offset:152
	s_and_saveexec_b64 s[0:1], vcc
	s_cbranch_execz .LBB46_259
; %bb.258:
	scratch_load_dwordx2 v[2:3], off, off offset:144
	v_mov_b32_e32 v83, v82
	scratch_store_dwordx2 off, v[82:83], off offset:144
	s_waitcnt vmcnt(1)
	ds_write_b64 v1, v[2:3]
.LBB46_259:
	s_or_b64 exec, exec, s[0:1]
	s_waitcnt lgkmcnt(0)
	; wave barrier
	scratch_load_dwordx4 v[10:13], off, off offset:152
	scratch_load_dwordx4 v[26:29], off, off offset:168
	;; [unrolled: 1-line block ×10, first 2 shown]
	ds_read2_b64 v[84:87], v82 offset0:67 offset1:68
	ds_read2_b64 v[88:91], v82 offset0:69 offset1:70
	;; [unrolled: 1-line block ×10, first 2 shown]
	scratch_load_dwordx4 v[54:57], off, off offset:312
	scratch_load_dwordx4 v[46:49], off, off offset:328
	;; [unrolled: 1-line block ×4, first 2 shown]
	scratch_load_dwordx2 v[100:101], off, off offset:144
	v_cmp_lt_u32_e32 vcc, 17, v0
	s_waitcnt vmcnt(14) lgkmcnt(9)
	v_mul_f32_e32 v83, v84, v11
	v_mul_f32_e32 v102, v86, v13
	s_waitcnt vmcnt(12) lgkmcnt(7)
	v_mul_f32_e32 v107, v92, v3
	v_mul_f32_e32 v3, v93, v3
	v_fmac_f32_e32 v83, v85, v10
	v_mul_f32_e32 v104, v88, v27
	v_fmac_f32_e32 v102, v87, v12
	v_fmac_f32_e32 v107, v93, v2
	v_fma_f32 v2, v92, v2, -v3
	v_add_f32_e32 v3, 0, v83
	v_mul_f32_e32 v106, v90, v29
	v_fmac_f32_e32 v104, v89, v26
	v_add_f32_e32 v3, v3, v102
	v_fmac_f32_e32 v106, v91, v28
	v_add_f32_e32 v3, v3, v104
	v_mul_f32_e32 v108, v94, v5
	v_add_f32_e32 v3, v3, v106
	s_waitcnt vmcnt(11) lgkmcnt(6)
	v_mul_f32_e32 v109, v96, v7
	v_fmac_f32_e32 v108, v95, v4
	v_add_f32_e32 v3, v3, v107
	v_mul_f32_e32 v110, v98, v9
	v_fmac_f32_e32 v109, v97, v6
	v_add_f32_e32 v3, v3, v108
	s_waitcnt vmcnt(10) lgkmcnt(5)
	v_mul_f32_e32 v111, v78, v15
	v_fmac_f32_e32 v110, v99, v8
	v_add_f32_e32 v3, v3, v109
	v_mul_f32_e32 v112, v80, v17
	v_fmac_f32_e32 v111, v79, v14
	;; [unrolled: 7-line block ×4, first 2 shown]
	v_add_f32_e32 v3, v3, v114
	s_waitcnt vmcnt(7) lgkmcnt(2)
	v_mul_f32_e32 v117, v66, v39
	v_mul_f32_e32 v11, v85, v11
	v_fmac_f32_e32 v116, v73, v32
	v_add_f32_e32 v3, v3, v115
	v_mul_f32_e32 v118, v68, v41
	v_mul_f32_e32 v13, v87, v13
	v_fmac_f32_e32 v117, v67, v38
	v_fma_f32 v10, v84, v10, -v11
	v_add_f32_e32 v3, v3, v116
	s_waitcnt vmcnt(6) lgkmcnt(1)
	v_mul_f32_e32 v119, v62, v43
	v_mul_f32_e32 v27, v89, v27
	v_fmac_f32_e32 v118, v69, v40
	v_fma_f32 v11, v86, v12, -v13
	v_add_f32_e32 v10, 0, v10
	v_add_f32_e32 v3, v3, v117
	v_mul_f32_e32 v120, v64, v45
	v_mul_f32_e32 v29, v91, v29
	v_fmac_f32_e32 v119, v63, v42
	v_fma_f32 v12, v88, v26, -v27
	v_add_f32_e32 v10, v10, v11
	v_add_f32_e32 v3, v3, v118
	v_fmac_f32_e32 v120, v65, v44
	v_fma_f32 v13, v90, v28, -v29
	v_add_f32_e32 v10, v10, v12
	v_add_f32_e32 v3, v3, v119
	;; [unrolled: 1-line block ×4, first 2 shown]
	v_mul_f32_e32 v3, v95, v5
	v_add_f32_e32 v2, v10, v2
	v_fma_f32 v3, v94, v4, -v3
	v_add_f32_e32 v2, v2, v3
	v_mul_f32_e32 v3, v97, v7
	v_fma_f32 v3, v96, v6, -v3
	v_add_f32_e32 v2, v2, v3
	v_mul_f32_e32 v3, v99, v9
	;; [unrolled: 3-line block ×12, first 2 shown]
	v_fma_f32 v3, v64, v44, -v3
	v_add_f32_e32 v26, v2, v3
	s_waitcnt vmcnt(5) lgkmcnt(0)
	v_mul_f32_e32 v2, v59, v51
	v_fma_f32 v102, v58, v50, -v2
	v_mul_f32_e32 v2, v61, v53
	v_fma_f32 v104, v60, v52, -v2
	ds_read2_b64 v[2:5], v82 offset0:87 offset1:88
	ds_read2_b64 v[6:9], v82 offset0:89 offset1:90
	;; [unrolled: 1-line block ×4, first 2 shown]
	v_mul_f32_e32 v103, v58, v51
	v_mul_f32_e32 v105, v60, v53
	v_fmac_f32_e32 v103, v59, v50
	s_waitcnt vmcnt(4) lgkmcnt(3)
	v_pk_mul_f32 v[24:25], v[2:3], v[54:55] op_sel:[1,1] op_sel_hi:[0,1]
	v_fmac_f32_e32 v105, v61, v52
	v_pk_add_f32 v[22:23], v[26:27], v[102:103]
	v_pk_fma_f32 v[26:27], v[2:3], v[54:55], v[24:25] neg_lo:[0,0,1] neg_hi:[0,0,1]
	v_pk_fma_f32 v[2:3], v[2:3], v[54:55], v[24:25] op_sel_hi:[1,0,1]
	v_pk_add_f32 v[22:23], v[22:23], v[104:105]
	v_mov_b32_e32 v27, v3
	v_pk_add_f32 v[2:3], v[22:23], v[26:27]
	v_mov_b32_e32 v22, v57
	v_pk_mul_f32 v[22:23], v[4:5], v[22:23] op_sel:[1,0] op_sel_hi:[0,0]
	v_pk_fma_f32 v[24:25], v[4:5], v[56:57], v[22:23] neg_lo:[0,0,1] neg_hi:[0,0,1]
	v_pk_fma_f32 v[4:5], v[4:5], v[56:57], v[22:23] op_sel_hi:[1,0,1]
	s_nop 0
	v_mov_b32_e32 v25, v5
	s_waitcnt vmcnt(3) lgkmcnt(2)
	v_pk_mul_f32 v[4:5], v[6:7], v[46:47] op_sel:[1,1] op_sel_hi:[0,1]
	v_pk_fma_f32 v[22:23], v[6:7], v[46:47], v[4:5] neg_lo:[0,0,1] neg_hi:[0,0,1]
	v_pk_fma_f32 v[4:5], v[6:7], v[46:47], v[4:5] op_sel_hi:[1,0,1]
	v_pk_add_f32 v[2:3], v[2:3], v[24:25]
	v_mov_b32_e32 v4, v49
	v_mov_b32_e32 v23, v5
	v_pk_mul_f32 v[4:5], v[8:9], v[4:5] op_sel:[1,0] op_sel_hi:[0,0]
	v_pk_fma_f32 v[6:7], v[8:9], v[48:49], v[4:5] neg_lo:[0,0,1] neg_hi:[0,0,1]
	v_pk_fma_f32 v[4:5], v[8:9], v[48:49], v[4:5] op_sel_hi:[1,0,1]
	v_pk_add_f32 v[2:3], v[2:3], v[22:23]
	v_mov_b32_e32 v7, v5
	s_waitcnt vmcnt(2) lgkmcnt(1)
	v_pk_mul_f32 v[4:5], v[10:11], v[34:35] op_sel:[1,1] op_sel_hi:[0,1]
	v_pk_add_f32 v[2:3], v[2:3], v[6:7]
	v_pk_fma_f32 v[6:7], v[10:11], v[34:35], v[4:5] neg_lo:[0,0,1] neg_hi:[0,0,1]
	v_pk_fma_f32 v[4:5], v[10:11], v[34:35], v[4:5] op_sel_hi:[1,0,1]
	s_nop 0
	v_mov_b32_e32 v4, v37
	v_mov_b32_e32 v7, v5
	v_pk_mul_f32 v[4:5], v[12:13], v[4:5] op_sel:[1,0] op_sel_hi:[0,0]
	v_pk_add_f32 v[2:3], v[2:3], v[6:7]
	v_pk_fma_f32 v[6:7], v[12:13], v[36:37], v[4:5] neg_lo:[0,0,1] neg_hi:[0,0,1]
	v_pk_fma_f32 v[4:5], v[12:13], v[36:37], v[4:5] op_sel_hi:[1,0,1]
	s_nop 0
	v_mov_b32_e32 v7, v5
	s_waitcnt vmcnt(1) lgkmcnt(0)
	v_pk_mul_f32 v[4:5], v[14:15], v[18:19] op_sel:[1,1] op_sel_hi:[0,1]
	v_pk_add_f32 v[2:3], v[2:3], v[6:7]
	v_pk_fma_f32 v[6:7], v[14:15], v[18:19], v[4:5] neg_lo:[0,0,1] neg_hi:[0,0,1]
	v_pk_fma_f32 v[4:5], v[14:15], v[18:19], v[4:5] op_sel_hi:[1,0,1]
	s_nop 0
	v_mov_b32_e32 v4, v21
	v_mov_b32_e32 v7, v5
	v_pk_mul_f32 v[4:5], v[16:17], v[4:5] op_sel:[1,0] op_sel_hi:[0,0]
	v_pk_add_f32 v[2:3], v[2:3], v[6:7]
	v_pk_fma_f32 v[6:7], v[16:17], v[20:21], v[4:5] neg_lo:[0,0,1] neg_hi:[0,0,1]
	v_pk_fma_f32 v[4:5], v[16:17], v[20:21], v[4:5] op_sel_hi:[1,0,1]
	s_nop 0
	v_mov_b32_e32 v7, v5
	v_pk_add_f32 v[2:3], v[2:3], v[6:7]
	s_waitcnt vmcnt(0)
	v_pk_add_f32 v[2:3], v[100:101], v[2:3] neg_lo:[0,1] neg_hi:[0,1]
	scratch_store_dwordx2 off, v[2:3], off offset:144
	s_and_saveexec_b64 s[0:1], vcc
	s_cbranch_execz .LBB46_261
; %bb.260:
	scratch_load_dwordx2 v[2:3], off, off offset:136
	v_mov_b32_e32 v4, 0
	v_mov_b32_e32 v5, v4
	scratch_store_dwordx2 off, v[4:5], off offset:136
	s_waitcnt vmcnt(1)
	ds_write_b64 v1, v[2:3]
.LBB46_261:
	s_or_b64 exec, exec, s[0:1]
	s_waitcnt lgkmcnt(0)
	; wave barrier
	scratch_load_dwordx4 v[26:29], off, off offset:144
	scratch_load_dwordx4 v[2:5], off, off offset:160
	scratch_load_dwordx4 v[6:9], off, off offset:176
	scratch_load_dwordx4 v[10:13], off, off offset:192
	scratch_load_dwordx4 v[14:17], off, off offset:208
	scratch_load_dwordx4 v[22:25], off, off offset:224
	scratch_load_dwordx4 v[30:33], off, off offset:240
	scratch_load_dwordx4 v[38:41], off, off offset:256
	scratch_load_dwordx4 v[42:45], off, off offset:272
	scratch_load_dwordx4 v[50:53], off, off offset:288
	scratch_load_dwordx4 v[54:57], off, off offset:304
	scratch_load_dwordx4 v[46:49], off, off offset:320
	scratch_load_dwordx4 v[34:37], off, off offset:336
	scratch_load_dwordx4 v[18:21], off, off offset:352
	scratch_load_dwordx2 v[58:59], off, off offset:368
	scratch_load_dwordx2 v[100:101], off, off offset:136
	v_mov_b32_e32 v102, 0
	ds_read_b128 v[60:63], v102 offset:528
	ds_read_b128 v[64:67], v102 offset:544
	;; [unrolled: 1-line block ×12, first 2 shown]
	v_cmp_lt_u32_e32 vcc, 16, v0
	s_waitcnt vmcnt(15) lgkmcnt(11)
	v_mul_f32_e32 v103, v60, v27
	v_mul_f32_e32 v112, v62, v29
	s_waitcnt vmcnt(14) lgkmcnt(10)
	v_mul_f32_e32 v114, v64, v3
	v_mul_f32_e32 v3, v65, v3
	v_fmac_f32_e32 v103, v61, v26
	v_fmac_f32_e32 v112, v63, v28
	;; [unrolled: 1-line block ×3, first 2 shown]
	v_fma_f32 v2, v64, v2, -v3
	v_add_f32_e32 v3, 0, v103
	v_mul_f32_e32 v116, v66, v5
	v_add_f32_e32 v3, v3, v112
	s_waitcnt vmcnt(13) lgkmcnt(9)
	v_mul_f32_e32 v117, v68, v7
	v_fmac_f32_e32 v116, v67, v4
	v_add_f32_e32 v3, v3, v114
	v_mul_f32_e32 v118, v70, v9
	v_fmac_f32_e32 v117, v69, v6
	v_add_f32_e32 v3, v3, v116
	s_waitcnt vmcnt(12) lgkmcnt(8)
	v_mul_f32_e32 v119, v72, v11
	v_fmac_f32_e32 v118, v71, v8
	v_add_f32_e32 v3, v3, v117
	v_mul_f32_e32 v120, v74, v13
	v_fmac_f32_e32 v119, v73, v10
	;; [unrolled: 7-line block ×6, first 2 shown]
	v_add_f32_e32 v3, v3, v126
	s_waitcnt vmcnt(7) lgkmcnt(3)
	v_mul_f32_e32 v129, v92, v43
	v_fmac_f32_e32 v128, v91, v40
	v_add_f32_e32 v3, v3, v127
	v_mul_f32_e32 v130, v94, v45
	v_mul_f32_e32 v27, v61, v27
	v_fmac_f32_e32 v129, v93, v42
	v_add_f32_e32 v3, v3, v128
	s_waitcnt vmcnt(6) lgkmcnt(2)
	v_mul_f32_e32 v131, v96, v51
	v_mul_f32_e32 v29, v63, v29
	v_fmac_f32_e32 v130, v95, v44
	v_fma_f32 v26, v60, v26, -v27
	v_add_f32_e32 v3, v3, v129
	v_fmac_f32_e32 v131, v97, v50
	v_fma_f32 v27, v62, v28, -v29
	v_add_f32_e32 v26, 0, v26
	v_add_f32_e32 v3, v3, v130
	;; [unrolled: 1-line block ×4, first 2 shown]
	v_mul_f32_e32 v3, v67, v5
	v_add_f32_e32 v2, v26, v2
	v_fma_f32 v3, v66, v4, -v3
	v_add_f32_e32 v2, v2, v3
	v_mul_f32_e32 v3, v69, v7
	v_fma_f32 v3, v68, v6, -v3
	v_add_f32_e32 v2, v2, v3
	v_mul_f32_e32 v3, v71, v9
	;; [unrolled: 3-line block ×15, first 2 shown]
	v_fma_f32 v3, v96, v50, -v3
	v_mul_f32_e32 v113, v98, v53
	v_add_f32_e32 v26, v2, v3
	v_mul_f32_e32 v2, v99, v53
	s_waitcnt vmcnt(5)
	v_mov_b32_e32 v14, v57
	s_waitcnt lgkmcnt(1)
	v_mul_f32_e32 v115, v104, v55
	v_fmac_f32_e32 v113, v99, v52
	v_fma_f32 v112, v98, v52, -v2
	v_mul_f32_e32 v2, v105, v55
	v_pk_mul_f32 v[14:15], v[106:107], v[14:15] op_sel:[1,0] op_sel_hi:[0,0]
	v_fmac_f32_e32 v115, v105, v54
	v_fma_f32 v114, v104, v54, -v2
	v_pk_add_f32 v[12:13], v[26:27], v[112:113]
	v_pk_fma_f32 v[16:17], v[106:107], v[56:57], v[14:15] neg_lo:[0,0,1] neg_hi:[0,0,1]
	v_pk_fma_f32 v[14:15], v[106:107], v[56:57], v[14:15] op_sel_hi:[1,0,1]
	v_pk_add_f32 v[12:13], v[12:13], v[114:115]
	v_mov_b32_e32 v17, v15
	s_waitcnt vmcnt(4) lgkmcnt(0)
	v_pk_mul_f32 v[14:15], v[108:109], v[46:47] op_sel:[1,1] op_sel_hi:[0,1]
	v_pk_add_f32 v[12:13], v[12:13], v[16:17]
	v_pk_fma_f32 v[16:17], v[108:109], v[46:47], v[14:15] neg_lo:[0,0,1] neg_hi:[0,0,1]
	v_pk_fma_f32 v[14:15], v[108:109], v[46:47], v[14:15] op_sel_hi:[1,0,1]
	ds_read_b128 v[2:5], v102 offset:720
	ds_read_b128 v[6:9], v102 offset:736
	ds_read_b64 v[10:11], v102 offset:752
	v_mov_b32_e32 v14, v49
	v_mov_b32_e32 v17, v15
	v_pk_mul_f32 v[14:15], v[110:111], v[14:15] op_sel:[1,0] op_sel_hi:[0,0]
	v_pk_add_f32 v[12:13], v[12:13], v[16:17]
	v_pk_fma_f32 v[16:17], v[110:111], v[48:49], v[14:15] neg_lo:[0,0,1] neg_hi:[0,0,1]
	v_pk_fma_f32 v[14:15], v[110:111], v[48:49], v[14:15] op_sel_hi:[1,0,1]
	s_nop 0
	v_mov_b32_e32 v17, v15
	s_waitcnt vmcnt(3) lgkmcnt(2)
	v_pk_mul_f32 v[14:15], v[2:3], v[34:35] op_sel:[1,1] op_sel_hi:[0,1]
	v_pk_add_f32 v[12:13], v[12:13], v[16:17]
	v_pk_fma_f32 v[16:17], v[2:3], v[34:35], v[14:15] neg_lo:[0,0,1] neg_hi:[0,0,1]
	v_pk_fma_f32 v[2:3], v[2:3], v[34:35], v[14:15] op_sel_hi:[1,0,1]
	s_nop 0
	v_mov_b32_e32 v17, v3
	v_pk_add_f32 v[2:3], v[12:13], v[16:17]
	v_mov_b32_e32 v12, v37
	v_pk_mul_f32 v[12:13], v[4:5], v[12:13] op_sel:[1,0] op_sel_hi:[0,0]
	v_pk_fma_f32 v[14:15], v[4:5], v[36:37], v[12:13] neg_lo:[0,0,1] neg_hi:[0,0,1]
	v_pk_fma_f32 v[4:5], v[4:5], v[36:37], v[12:13] op_sel_hi:[1,0,1]
	s_nop 0
	v_mov_b32_e32 v15, v5
	s_waitcnt vmcnt(2) lgkmcnt(1)
	v_pk_mul_f32 v[4:5], v[6:7], v[18:19] op_sel:[1,1] op_sel_hi:[0,1]
	v_pk_fma_f32 v[12:13], v[6:7], v[18:19], v[4:5] neg_lo:[0,0,1] neg_hi:[0,0,1]
	v_pk_fma_f32 v[4:5], v[6:7], v[18:19], v[4:5] op_sel_hi:[1,0,1]
	v_pk_add_f32 v[2:3], v[2:3], v[14:15]
	v_mov_b32_e32 v4, v21
	v_mov_b32_e32 v13, v5
	v_pk_mul_f32 v[4:5], v[8:9], v[4:5] op_sel:[1,0] op_sel_hi:[0,0]
	v_pk_fma_f32 v[6:7], v[8:9], v[20:21], v[4:5] neg_lo:[0,0,1] neg_hi:[0,0,1]
	v_pk_fma_f32 v[4:5], v[8:9], v[20:21], v[4:5] op_sel_hi:[1,0,1]
	v_pk_add_f32 v[2:3], v[2:3], v[12:13]
	v_mov_b32_e32 v7, v5
	s_waitcnt vmcnt(1) lgkmcnt(0)
	v_pk_mul_f32 v[4:5], v[10:11], v[58:59] op_sel:[1,1] op_sel_hi:[0,1]
	v_pk_add_f32 v[2:3], v[2:3], v[6:7]
	v_pk_fma_f32 v[6:7], v[10:11], v[58:59], v[4:5] neg_lo:[0,0,1] neg_hi:[0,0,1]
	v_pk_fma_f32 v[4:5], v[10:11], v[58:59], v[4:5] op_sel_hi:[1,0,1]
	s_nop 0
	v_mov_b32_e32 v7, v5
	v_pk_add_f32 v[2:3], v[2:3], v[6:7]
	s_waitcnt vmcnt(0)
	v_pk_add_f32 v[2:3], v[100:101], v[2:3] neg_lo:[0,1] neg_hi:[0,1]
	scratch_store_dwordx2 off, v[2:3], off offset:136
	s_and_saveexec_b64 s[0:1], vcc
	s_cbranch_execz .LBB46_263
; %bb.262:
	scratch_load_dwordx2 v[2:3], off, off offset:128
	v_mov_b32_e32 v103, v102
	scratch_store_dwordx2 off, v[102:103], off offset:128
	s_waitcnt vmcnt(1)
	ds_write_b64 v1, v[2:3]
.LBB46_263:
	s_or_b64 exec, exec, s[0:1]
	s_waitcnt lgkmcnt(0)
	; wave barrier
	scratch_load_dwordx4 v[18:21], off, off offset:136
	scratch_load_dwordx4 v[2:5], off, off offset:152
	;; [unrolled: 1-line block ×11, first 2 shown]
	ds_read2_b64 v[104:107], v102 offset0:65 offset1:66
	ds_read2_b64 v[98:101], v102 offset0:67 offset1:68
	;; [unrolled: 1-line block ×10, first 2 shown]
	scratch_load_dwordx4 v[58:61], off, off offset:312
	scratch_load_dwordx4 v[50:53], off, off offset:328
	;; [unrolled: 1-line block ×4, first 2 shown]
	ds_read2_b64 v[78:81], v102 offset0:85 offset1:86
	ds_read2_b64 v[108:111], v102 offset0:87 offset1:88
	scratch_load_dwordx2 v[112:113], off, off offset:128
	v_cmp_lt_u32_e32 vcc, 15, v0
	s_waitcnt vmcnt(15) lgkmcnt(11)
	v_mul_f32_e32 v103, v104, v19
	v_mul_f32_e32 v114, v106, v21
	s_waitcnt vmcnt(14) lgkmcnt(10)
	v_mul_f32_e32 v116, v98, v3
	v_mul_f32_e32 v3, v99, v3
	v_fmac_f32_e32 v103, v105, v18
	v_fmac_f32_e32 v114, v107, v20
	;; [unrolled: 1-line block ×3, first 2 shown]
	v_fma_f32 v2, v98, v2, -v3
	v_add_f32_e32 v3, 0, v103
	v_mul_f32_e32 v118, v100, v5
	v_add_f32_e32 v3, v3, v114
	s_waitcnt vmcnt(13) lgkmcnt(9)
	v_mul_f32_e32 v119, v94, v7
	v_fmac_f32_e32 v118, v101, v4
	v_add_f32_e32 v3, v3, v116
	v_mul_f32_e32 v120, v96, v9
	v_fmac_f32_e32 v119, v95, v6
	v_add_f32_e32 v3, v3, v118
	s_waitcnt vmcnt(12) lgkmcnt(8)
	v_mul_f32_e32 v121, v90, v11
	v_fmac_f32_e32 v120, v97, v8
	v_add_f32_e32 v3, v3, v119
	v_mul_f32_e32 v122, v92, v13
	v_fmac_f32_e32 v121, v91, v10
	;; [unrolled: 7-line block ×7, first 2 shown]
	v_add_f32_e32 v3, v3, v130
	s_waitcnt vmcnt(6) lgkmcnt(2)
	v_mul_f32_e32 v133, v62, v47
	v_mul_f32_e32 v19, v105, v19
	v_fmac_f32_e32 v132, v69, v44
	v_add_f32_e32 v3, v3, v131
	v_mul_f32_e32 v134, v64, v49
	v_mul_f32_e32 v21, v107, v21
	v_fmac_f32_e32 v133, v63, v46
	v_fma_f32 v18, v104, v18, -v19
	v_add_f32_e32 v3, v3, v132
	v_fmac_f32_e32 v134, v65, v48
	v_fma_f32 v19, v106, v20, -v21
	v_add_f32_e32 v18, 0, v18
	v_add_f32_e32 v3, v3, v133
	;; [unrolled: 1-line block ×4, first 2 shown]
	v_mul_f32_e32 v3, v101, v5
	v_add_f32_e32 v2, v18, v2
	v_fma_f32 v3, v100, v4, -v3
	v_add_f32_e32 v2, v2, v3
	v_mul_f32_e32 v3, v95, v7
	v_fma_f32 v3, v94, v6, -v3
	v_add_f32_e32 v2, v2, v3
	v_mul_f32_e32 v3, v97, v9
	;; [unrolled: 3-line block ×16, first 2 shown]
	v_fma_f32 v3, v64, v48, -v3
	s_waitcnt vmcnt(5) lgkmcnt(1)
	v_mul_f32_e32 v115, v78, v55
	v_add_f32_e32 v18, v2, v3
	v_mul_f32_e32 v2, v79, v55
	v_fmac_f32_e32 v115, v79, v54
	v_fma_f32 v114, v78, v54, -v2
	s_waitcnt vmcnt(4) lgkmcnt(0)
	v_pk_mul_f32 v[16:17], v[108:109], v[58:59] op_sel:[1,1] op_sel_hi:[0,1]
	v_mul_f32_e32 v117, v80, v57
	v_mul_f32_e32 v2, v81, v57
	v_pk_add_f32 v[14:15], v[18:19], v[114:115]
	v_pk_fma_f32 v[18:19], v[108:109], v[58:59], v[16:17] neg_lo:[0,0,1] neg_hi:[0,0,1]
	v_pk_fma_f32 v[16:17], v[108:109], v[58:59], v[16:17] op_sel_hi:[1,0,1]
	v_fmac_f32_e32 v117, v81, v56
	v_fma_f32 v116, v80, v56, -v2
	ds_read2_b64 v[2:5], v102 offset0:89 offset1:90
	ds_read2_b64 v[6:9], v102 offset0:91 offset1:92
	;; [unrolled: 1-line block ×3, first 2 shown]
	v_mov_b32_e32 v16, v61
	v_pk_add_f32 v[14:15], v[14:15], v[116:117]
	v_mov_b32_e32 v19, v17
	v_pk_mul_f32 v[16:17], v[110:111], v[16:17] op_sel:[1,0] op_sel_hi:[0,0]
	v_pk_add_f32 v[14:15], v[14:15], v[18:19]
	v_pk_fma_f32 v[18:19], v[110:111], v[60:61], v[16:17] neg_lo:[0,0,1] neg_hi:[0,0,1]
	v_pk_fma_f32 v[16:17], v[110:111], v[60:61], v[16:17] op_sel_hi:[1,0,1]
	s_nop 0
	v_mov_b32_e32 v19, v17
	s_waitcnt vmcnt(3) lgkmcnt(2)
	v_pk_mul_f32 v[16:17], v[2:3], v[50:51] op_sel:[1,1] op_sel_hi:[0,1]
	v_pk_add_f32 v[14:15], v[14:15], v[18:19]
	v_pk_fma_f32 v[18:19], v[2:3], v[50:51], v[16:17] neg_lo:[0,0,1] neg_hi:[0,0,1]
	v_pk_fma_f32 v[2:3], v[2:3], v[50:51], v[16:17] op_sel_hi:[1,0,1]
	s_nop 0
	v_mov_b32_e32 v19, v3
	v_pk_add_f32 v[2:3], v[14:15], v[18:19]
	v_mov_b32_e32 v14, v53
	v_pk_mul_f32 v[14:15], v[4:5], v[14:15] op_sel:[1,0] op_sel_hi:[0,0]
	v_pk_fma_f32 v[16:17], v[4:5], v[52:53], v[14:15] neg_lo:[0,0,1] neg_hi:[0,0,1]
	v_pk_fma_f32 v[4:5], v[4:5], v[52:53], v[14:15] op_sel_hi:[1,0,1]
	s_nop 0
	v_mov_b32_e32 v17, v5
	s_waitcnt vmcnt(2) lgkmcnt(1)
	v_pk_mul_f32 v[4:5], v[6:7], v[38:39] op_sel:[1,1] op_sel_hi:[0,1]
	v_pk_fma_f32 v[14:15], v[6:7], v[38:39], v[4:5] neg_lo:[0,0,1] neg_hi:[0,0,1]
	v_pk_fma_f32 v[4:5], v[6:7], v[38:39], v[4:5] op_sel_hi:[1,0,1]
	v_pk_add_f32 v[2:3], v[2:3], v[16:17]
	v_mov_b32_e32 v4, v41
	v_mov_b32_e32 v15, v5
	v_pk_mul_f32 v[4:5], v[8:9], v[4:5] op_sel:[1,0] op_sel_hi:[0,0]
	v_pk_fma_f32 v[6:7], v[8:9], v[40:41], v[4:5] neg_lo:[0,0,1] neg_hi:[0,0,1]
	v_pk_fma_f32 v[4:5], v[8:9], v[40:41], v[4:5] op_sel_hi:[1,0,1]
	v_pk_add_f32 v[2:3], v[2:3], v[14:15]
	v_mov_b32_e32 v7, v5
	s_waitcnt vmcnt(1) lgkmcnt(0)
	v_pk_mul_f32 v[4:5], v[10:11], v[26:27] op_sel:[1,1] op_sel_hi:[0,1]
	v_pk_add_f32 v[2:3], v[2:3], v[6:7]
	v_pk_fma_f32 v[6:7], v[10:11], v[26:27], v[4:5] neg_lo:[0,0,1] neg_hi:[0,0,1]
	v_pk_fma_f32 v[4:5], v[10:11], v[26:27], v[4:5] op_sel_hi:[1,0,1]
	s_nop 0
	v_mov_b32_e32 v4, v29
	v_mov_b32_e32 v7, v5
	v_pk_mul_f32 v[4:5], v[12:13], v[4:5] op_sel:[1,0] op_sel_hi:[0,0]
	v_pk_add_f32 v[2:3], v[2:3], v[6:7]
	v_pk_fma_f32 v[6:7], v[12:13], v[28:29], v[4:5] neg_lo:[0,0,1] neg_hi:[0,0,1]
	v_pk_fma_f32 v[4:5], v[12:13], v[28:29], v[4:5] op_sel_hi:[1,0,1]
	s_nop 0
	v_mov_b32_e32 v7, v5
	v_pk_add_f32 v[2:3], v[2:3], v[6:7]
	s_waitcnt vmcnt(0)
	v_pk_add_f32 v[2:3], v[112:113], v[2:3] neg_lo:[0,1] neg_hi:[0,1]
	scratch_store_dwordx2 off, v[2:3], off offset:128
	s_and_saveexec_b64 s[0:1], vcc
	s_cbranch_execz .LBB46_265
; %bb.264:
	scratch_load_dwordx2 v[2:3], off, off offset:120
	v_mov_b32_e32 v4, 0
	v_mov_b32_e32 v5, v4
	scratch_store_dwordx2 off, v[4:5], off offset:120
	s_waitcnt vmcnt(1)
	ds_write_b64 v1, v[2:3]
.LBB46_265:
	s_or_b64 exec, exec, s[0:1]
	s_waitcnt lgkmcnt(0)
	; wave barrier
	scratch_load_dwordx4 v[2:5], off, off offset:128
	scratch_load_dwordx4 v[6:9], off, off offset:144
	;; [unrolled: 1-line block ×15, first 2 shown]
	scratch_load_dwordx2 v[62:63], off, off offset:368
	scratch_load_dwordx2 v[112:113], off, off offset:120
	v_mov_b32_e32 v114, 0
	ds_read_b128 v[64:67], v114 offset:512
	ds_read_b128 v[68:71], v114 offset:528
	;; [unrolled: 1-line block ×12, first 2 shown]
	v_cmp_lt_u32_e32 vcc, 14, v0
	s_waitcnt vmcnt(16) lgkmcnt(11)
	v_mul_f32_e32 v115, v64, v3
	v_mul_f32_e32 v116, v66, v5
	;; [unrolled: 1-line block ×3, first 2 shown]
	v_fmac_f32_e32 v115, v65, v2
	s_waitcnt vmcnt(15) lgkmcnt(10)
	v_mul_f32_e32 v118, v68, v7
	v_fmac_f32_e32 v116, v67, v4
	v_fma_f32 v2, v64, v2, -v3
	v_add_f32_e32 v3, 0, v115
	v_mul_f32_e32 v120, v70, v9
	v_fmac_f32_e32 v118, v69, v6
	v_add_f32_e32 v3, v3, v116
	s_waitcnt vmcnt(14) lgkmcnt(9)
	v_mul_f32_e32 v121, v72, v11
	v_fmac_f32_e32 v120, v71, v8
	v_add_f32_e32 v3, v3, v118
	v_mul_f32_e32 v122, v74, v13
	v_fmac_f32_e32 v121, v73, v10
	v_add_f32_e32 v3, v3, v120
	s_waitcnt vmcnt(13) lgkmcnt(8)
	v_mul_f32_e32 v123, v76, v15
	v_fmac_f32_e32 v122, v75, v12
	;; [unrolled: 7-line block ×9, first 2 shown]
	v_add_f32_e32 v3, v3, v135
	v_mul_f32_e32 v5, v67, v5
	v_fmac_f32_e32 v137, v105, v58
	v_add_f32_e32 v3, v3, v136
	v_add_f32_e32 v2, 0, v2
	;; [unrolled: 1-line block ×3, first 2 shown]
	v_fma_f32 v3, v66, v4, -v5
	v_add_f32_e32 v2, v2, v3
	v_mul_f32_e32 v3, v69, v7
	v_fma_f32 v3, v68, v6, -v3
	v_add_f32_e32 v2, v2, v3
	v_mul_f32_e32 v3, v71, v9
	;; [unrolled: 3-line block ×20, first 2 shown]
	v_mul_f32_e32 v117, v106, v61
	v_fma_f32 v116, v106, v60, -v2
	s_waitcnt vmcnt(5) lgkmcnt(0)
	v_mul_f32_e32 v2, v109, v55
	v_mov_b32_e32 v18, v57
	v_mul_f32_e32 v119, v108, v55
	v_fmac_f32_e32 v117, v107, v60
	v_fma_f32 v118, v108, v54, -v2
	ds_read_b128 v[2:5], v114 offset:704
	ds_read_b128 v[6:9], v114 offset:720
	;; [unrolled: 1-line block ×3, first 2 shown]
	ds_read_b64 v[14:15], v114 offset:752
	v_pk_mul_f32 v[18:19], v[110:111], v[18:19] op_sel:[1,0] op_sel_hi:[0,0]
	v_fmac_f32_e32 v119, v109, v54
	v_pk_add_f32 v[16:17], v[64:65], v[116:117]
	v_pk_fma_f32 v[20:21], v[110:111], v[56:57], v[18:19] neg_lo:[0,0,1] neg_hi:[0,0,1]
	v_pk_fma_f32 v[18:19], v[110:111], v[56:57], v[18:19] op_sel_hi:[1,0,1]
	v_pk_add_f32 v[16:17], v[16:17], v[118:119]
	v_mov_b32_e32 v21, v19
	s_waitcnt vmcnt(4) lgkmcnt(3)
	v_pk_mul_f32 v[18:19], v[2:3], v[50:51] op_sel:[1,1] op_sel_hi:[0,1]
	v_pk_add_f32 v[16:17], v[16:17], v[20:21]
	v_pk_fma_f32 v[20:21], v[2:3], v[50:51], v[18:19] neg_lo:[0,0,1] neg_hi:[0,0,1]
	v_pk_fma_f32 v[2:3], v[2:3], v[50:51], v[18:19] op_sel_hi:[1,0,1]
	s_nop 0
	v_mov_b32_e32 v21, v3
	v_pk_add_f32 v[2:3], v[16:17], v[20:21]
	v_mov_b32_e32 v16, v53
	v_pk_mul_f32 v[16:17], v[4:5], v[16:17] op_sel:[1,0] op_sel_hi:[0,0]
	v_pk_fma_f32 v[18:19], v[4:5], v[52:53], v[16:17] neg_lo:[0,0,1] neg_hi:[0,0,1]
	v_pk_fma_f32 v[4:5], v[4:5], v[52:53], v[16:17] op_sel_hi:[1,0,1]
	s_nop 0
	v_mov_b32_e32 v19, v5
	s_waitcnt vmcnt(3) lgkmcnt(2)
	v_pk_mul_f32 v[4:5], v[6:7], v[38:39] op_sel:[1,1] op_sel_hi:[0,1]
	v_pk_fma_f32 v[16:17], v[6:7], v[38:39], v[4:5] neg_lo:[0,0,1] neg_hi:[0,0,1]
	v_pk_fma_f32 v[4:5], v[6:7], v[38:39], v[4:5] op_sel_hi:[1,0,1]
	v_pk_add_f32 v[2:3], v[2:3], v[18:19]
	v_mov_b32_e32 v4, v41
	v_mov_b32_e32 v17, v5
	v_pk_mul_f32 v[4:5], v[8:9], v[4:5] op_sel:[1,0] op_sel_hi:[0,0]
	v_pk_fma_f32 v[6:7], v[8:9], v[40:41], v[4:5] neg_lo:[0,0,1] neg_hi:[0,0,1]
	v_pk_fma_f32 v[4:5], v[8:9], v[40:41], v[4:5] op_sel_hi:[1,0,1]
	v_pk_add_f32 v[2:3], v[2:3], v[16:17]
	v_mov_b32_e32 v7, v5
	s_waitcnt vmcnt(2) lgkmcnt(1)
	v_pk_mul_f32 v[4:5], v[10:11], v[26:27] op_sel:[1,1] op_sel_hi:[0,1]
	v_pk_add_f32 v[2:3], v[2:3], v[6:7]
	v_pk_fma_f32 v[6:7], v[10:11], v[26:27], v[4:5] neg_lo:[0,0,1] neg_hi:[0,0,1]
	v_pk_fma_f32 v[4:5], v[10:11], v[26:27], v[4:5] op_sel_hi:[1,0,1]
	s_nop 0
	v_mov_b32_e32 v4, v29
	v_mov_b32_e32 v7, v5
	v_pk_mul_f32 v[4:5], v[12:13], v[4:5] op_sel:[1,0] op_sel_hi:[0,0]
	v_pk_add_f32 v[2:3], v[2:3], v[6:7]
	v_pk_fma_f32 v[6:7], v[12:13], v[28:29], v[4:5] neg_lo:[0,0,1] neg_hi:[0,0,1]
	v_pk_fma_f32 v[4:5], v[12:13], v[28:29], v[4:5] op_sel_hi:[1,0,1]
	s_nop 0
	v_mov_b32_e32 v7, v5
	s_waitcnt vmcnt(1) lgkmcnt(0)
	v_pk_mul_f32 v[4:5], v[14:15], v[62:63] op_sel:[1,1] op_sel_hi:[0,1]
	v_pk_add_f32 v[2:3], v[2:3], v[6:7]
	v_pk_fma_f32 v[6:7], v[14:15], v[62:63], v[4:5] neg_lo:[0,0,1] neg_hi:[0,0,1]
	v_pk_fma_f32 v[4:5], v[14:15], v[62:63], v[4:5] op_sel_hi:[1,0,1]
	s_nop 0
	v_mov_b32_e32 v7, v5
	v_pk_add_f32 v[2:3], v[2:3], v[6:7]
	s_waitcnt vmcnt(0)
	v_pk_add_f32 v[2:3], v[112:113], v[2:3] neg_lo:[0,1] neg_hi:[0,1]
	scratch_store_dwordx2 off, v[2:3], off offset:120
	s_and_saveexec_b64 s[0:1], vcc
	s_cbranch_execz .LBB46_267
; %bb.266:
	scratch_load_dwordx2 v[2:3], off, off offset:112
	v_mov_b32_e32 v115, v114
	scratch_store_dwordx2 off, v[114:115], off offset:112
	s_waitcnt vmcnt(1)
	ds_write_b64 v1, v[2:3]
.LBB46_267:
	s_or_b64 exec, exec, s[0:1]
	s_waitcnt lgkmcnt(0)
	; wave barrier
	scratch_load_dwordx4 v[2:5], off, off offset:120
	scratch_load_dwordx4 v[6:9], off, off offset:136
	;; [unrolled: 1-line block ×12, first 2 shown]
	ds_read2_b64 v[110:113], v114 offset0:63 offset1:64
	ds_read2_b64 v[106:109], v114 offset0:65 offset1:66
	;; [unrolled: 1-line block ×12, first 2 shown]
	scratch_load_dwordx4 v[62:65], off, off offset:312
	scratch_load_dwordx4 v[54:57], off, off offset:328
	;; [unrolled: 1-line block ×4, first 2 shown]
	scratch_load_dwordx2 v[116:117], off, off offset:112
	v_cmp_lt_u32_e32 vcc, 13, v0
	s_waitcnt vmcnt(16) lgkmcnt(11)
	v_mul_f32_e32 v115, v110, v3
	v_mul_f32_e32 v118, v112, v5
	;; [unrolled: 1-line block ×3, first 2 shown]
	v_fmac_f32_e32 v115, v111, v2
	s_waitcnt vmcnt(15) lgkmcnt(10)
	v_mul_f32_e32 v120, v106, v7
	v_fmac_f32_e32 v118, v113, v4
	v_fma_f32 v2, v110, v2, -v3
	v_add_f32_e32 v3, 0, v115
	v_mul_f32_e32 v122, v108, v9
	v_fmac_f32_e32 v120, v107, v6
	v_add_f32_e32 v3, v3, v118
	s_waitcnt vmcnt(14) lgkmcnt(9)
	v_mul_f32_e32 v123, v102, v11
	v_fmac_f32_e32 v122, v109, v8
	v_add_f32_e32 v3, v3, v120
	v_mul_f32_e32 v124, v104, v13
	v_fmac_f32_e32 v123, v103, v10
	v_add_f32_e32 v3, v3, v122
	s_waitcnt vmcnt(13) lgkmcnt(8)
	v_mul_f32_e32 v125, v98, v15
	v_fmac_f32_e32 v124, v105, v12
	;; [unrolled: 7-line block ×9, first 2 shown]
	v_add_f32_e32 v3, v3, v137
	v_mul_f32_e32 v140, v72, v53
	v_fmac_f32_e32 v139, v71, v50
	v_add_f32_e32 v3, v3, v138
	v_fmac_f32_e32 v140, v73, v52
	v_add_f32_e32 v3, v3, v139
	v_add_f32_e32 v111, v3, v140
	v_mul_f32_e32 v3, v113, v5
	v_add_f32_e32 v2, 0, v2
	v_fma_f32 v3, v112, v4, -v3
	v_add_f32_e32 v2, v2, v3
	v_mul_f32_e32 v3, v107, v7
	v_fma_f32 v3, v106, v6, -v3
	v_add_f32_e32 v2, v2, v3
	v_mul_f32_e32 v3, v109, v9
	;; [unrolled: 3-line block ×20, first 2 shown]
	v_fma_f32 v3, v72, v52, -v3
	v_add_f32_e32 v110, v2, v3
	s_waitcnt vmcnt(5) lgkmcnt(0)
	v_mul_f32_e32 v2, v67, v59
	v_fma_f32 v118, v66, v58, -v2
	v_mul_f32_e32 v2, v69, v61
	v_fma_f32 v120, v68, v60, -v2
	ds_read2_b64 v[2:5], v114 offset0:87 offset1:88
	ds_read2_b64 v[6:9], v114 offset0:89 offset1:90
	;; [unrolled: 1-line block ×4, first 2 shown]
	v_mul_f32_e32 v119, v66, v59
	v_mul_f32_e32 v121, v68, v61
	v_fmac_f32_e32 v119, v67, v58
	s_waitcnt vmcnt(4) lgkmcnt(3)
	v_pk_mul_f32 v[20:21], v[2:3], v[62:63] op_sel:[1,1] op_sel_hi:[0,1]
	v_fmac_f32_e32 v121, v69, v60
	v_pk_add_f32 v[18:19], v[110:111], v[118:119]
	v_pk_fma_f32 v[22:23], v[2:3], v[62:63], v[20:21] neg_lo:[0,0,1] neg_hi:[0,0,1]
	v_pk_fma_f32 v[2:3], v[2:3], v[62:63], v[20:21] op_sel_hi:[1,0,1]
	v_pk_add_f32 v[18:19], v[18:19], v[120:121]
	v_mov_b32_e32 v23, v3
	v_pk_add_f32 v[2:3], v[18:19], v[22:23]
	v_mov_b32_e32 v18, v65
	v_pk_mul_f32 v[18:19], v[4:5], v[18:19] op_sel:[1,0] op_sel_hi:[0,0]
	v_pk_fma_f32 v[20:21], v[4:5], v[64:65], v[18:19] neg_lo:[0,0,1] neg_hi:[0,0,1]
	v_pk_fma_f32 v[4:5], v[4:5], v[64:65], v[18:19] op_sel_hi:[1,0,1]
	s_nop 0
	v_mov_b32_e32 v21, v5
	s_waitcnt vmcnt(3) lgkmcnt(2)
	v_pk_mul_f32 v[4:5], v[6:7], v[54:55] op_sel:[1,1] op_sel_hi:[0,1]
	v_pk_fma_f32 v[18:19], v[6:7], v[54:55], v[4:5] neg_lo:[0,0,1] neg_hi:[0,0,1]
	v_pk_fma_f32 v[4:5], v[6:7], v[54:55], v[4:5] op_sel_hi:[1,0,1]
	v_pk_add_f32 v[2:3], v[2:3], v[20:21]
	v_mov_b32_e32 v4, v57
	v_mov_b32_e32 v19, v5
	v_pk_mul_f32 v[4:5], v[8:9], v[4:5] op_sel:[1,0] op_sel_hi:[0,0]
	v_pk_fma_f32 v[6:7], v[8:9], v[56:57], v[4:5] neg_lo:[0,0,1] neg_hi:[0,0,1]
	v_pk_fma_f32 v[4:5], v[8:9], v[56:57], v[4:5] op_sel_hi:[1,0,1]
	v_pk_add_f32 v[2:3], v[2:3], v[18:19]
	v_mov_b32_e32 v7, v5
	s_waitcnt vmcnt(2) lgkmcnt(1)
	v_pk_mul_f32 v[4:5], v[10:11], v[42:43] op_sel:[1,1] op_sel_hi:[0,1]
	v_pk_add_f32 v[2:3], v[2:3], v[6:7]
	v_pk_fma_f32 v[6:7], v[10:11], v[42:43], v[4:5] neg_lo:[0,0,1] neg_hi:[0,0,1]
	v_pk_fma_f32 v[4:5], v[10:11], v[42:43], v[4:5] op_sel_hi:[1,0,1]
	s_nop 0
	v_mov_b32_e32 v4, v45
	v_mov_b32_e32 v7, v5
	v_pk_mul_f32 v[4:5], v[12:13], v[4:5] op_sel:[1,0] op_sel_hi:[0,0]
	v_pk_add_f32 v[2:3], v[2:3], v[6:7]
	v_pk_fma_f32 v[6:7], v[12:13], v[44:45], v[4:5] neg_lo:[0,0,1] neg_hi:[0,0,1]
	v_pk_fma_f32 v[4:5], v[12:13], v[44:45], v[4:5] op_sel_hi:[1,0,1]
	s_nop 0
	v_mov_b32_e32 v7, v5
	s_waitcnt vmcnt(1) lgkmcnt(0)
	v_pk_mul_f32 v[4:5], v[14:15], v[34:35] op_sel:[1,1] op_sel_hi:[0,1]
	v_pk_add_f32 v[2:3], v[2:3], v[6:7]
	v_pk_fma_f32 v[6:7], v[14:15], v[34:35], v[4:5] neg_lo:[0,0,1] neg_hi:[0,0,1]
	v_pk_fma_f32 v[4:5], v[14:15], v[34:35], v[4:5] op_sel_hi:[1,0,1]
	s_nop 0
	v_mov_b32_e32 v4, v37
	v_mov_b32_e32 v7, v5
	v_pk_mul_f32 v[4:5], v[16:17], v[4:5] op_sel:[1,0] op_sel_hi:[0,0]
	v_pk_add_f32 v[2:3], v[2:3], v[6:7]
	v_pk_fma_f32 v[6:7], v[16:17], v[36:37], v[4:5] neg_lo:[0,0,1] neg_hi:[0,0,1]
	v_pk_fma_f32 v[4:5], v[16:17], v[36:37], v[4:5] op_sel_hi:[1,0,1]
	s_nop 0
	v_mov_b32_e32 v7, v5
	v_pk_add_f32 v[2:3], v[2:3], v[6:7]
	s_waitcnt vmcnt(0)
	v_pk_add_f32 v[2:3], v[116:117], v[2:3] neg_lo:[0,1] neg_hi:[0,1]
	scratch_store_dwordx2 off, v[2:3], off offset:112
	s_and_saveexec_b64 s[0:1], vcc
	s_cbranch_execz .LBB46_269
; %bb.268:
	scratch_load_dwordx2 v[2:3], off, off offset:104
	v_mov_b32_e32 v4, 0
	v_mov_b32_e32 v5, v4
	scratch_store_dwordx2 off, v[4:5], off offset:104
	s_waitcnt vmcnt(1)
	ds_write_b64 v1, v[2:3]
.LBB46_269:
	s_or_b64 exec, exec, s[0:1]
	s_waitcnt lgkmcnt(0)
	; wave barrier
	scratch_load_dwordx4 v[2:5], off, off offset:112
	scratch_load_dwordx4 v[6:9], off, off offset:128
	;; [unrolled: 1-line block ×13, first 2 shown]
	v_mov_b32_e32 v106, 0
	scratch_load_dwordx2 v[124:125], off, off offset:104
	ds_read_b128 v[54:57], v106 offset:496
	ds_read_b128 v[58:61], v106 offset:512
	;; [unrolled: 1-line block ×14, first 2 shown]
	v_cmp_lt_u32_e32 vcc, 12, v0
	s_waitcnt vmcnt(13) lgkmcnt(13)
	v_mul_f32_e32 v107, v54, v3
	v_mul_f32_e32 v112, v56, v5
	v_fmac_f32_e32 v107, v55, v2
	s_waitcnt vmcnt(12) lgkmcnt(12)
	v_mul_f32_e32 v113, v58, v7
	v_fmac_f32_e32 v112, v57, v4
	v_add_f32_e32 v107, 0, v107
	v_mul_f32_e32 v114, v60, v9
	v_fmac_f32_e32 v113, v59, v6
	v_add_f32_e32 v107, v107, v112
	s_waitcnt vmcnt(11) lgkmcnt(11)
	v_mul_f32_e32 v115, v62, v11
	v_fmac_f32_e32 v114, v61, v8
	v_add_f32_e32 v107, v107, v113
	v_mul_f32_e32 v116, v64, v13
	v_fmac_f32_e32 v115, v63, v10
	v_add_f32_e32 v107, v107, v114
	;; [unrolled: 7-line block ×8, first 2 shown]
	s_waitcnt vmcnt(4) lgkmcnt(4)
	v_mul_f32_e32 v133, v90, v39
	v_fmac_f32_e32 v132, v89, v36
	v_add_f32_e32 v107, v107, v131
	v_fmac_f32_e32 v133, v91, v38
	v_add_f32_e32 v107, v107, v132
	v_add_f32_e32 v107, v107, v133
	scratch_load_dwordx4 v[112:115], off, off offset:320
	scratch_load_dwordx4 v[116:119], off, off offset:336
	;; [unrolled: 1-line block ×3, first 2 shown]
	scratch_load_dwordx2 v[132:133], off, off offset:368
	v_mul_f32_e32 v3, v55, v3
	v_fma_f32 v2, v54, v2, -v3
	v_mul_f32_e32 v3, v57, v5
	v_add_f32_e32 v2, 0, v2
	v_fma_f32 v3, v56, v4, -v3
	v_add_f32_e32 v2, v2, v3
	v_mul_f32_e32 v3, v59, v7
	v_fma_f32 v3, v58, v6, -v3
	v_add_f32_e32 v2, v2, v3
	v_mul_f32_e32 v3, v61, v9
	;; [unrolled: 3-line block ×18, first 2 shown]
	v_fma_f32 v3, v92, v40, -v3
	v_add_f32_e32 v2, v2, v3
	s_waitcnt vmcnt(7) lgkmcnt(3)
	v_mul_f32_e32 v3, v95, v43
	v_fma_f32 v3, v94, v42, -v3
	v_mul_f32_e32 v134, v92, v41
	v_add_f32_e32 v2, v2, v3
	v_mul_f32_e32 v3, v97, v45
	v_mul_f32_e32 v135, v94, v43
	v_fmac_f32_e32 v134, v93, v40
	v_fma_f32 v3, v96, v44, -v3
	v_mul_f32_e32 v136, v96, v45
	v_fmac_f32_e32 v135, v95, v42
	v_add_f32_e32 v107, v107, v134
	v_add_f32_e32 v2, v2, v3
	s_waitcnt vmcnt(6) lgkmcnt(2)
	v_mul_f32_e32 v3, v99, v47
	v_mul_f32_e32 v137, v98, v47
	v_fmac_f32_e32 v136, v97, v44
	v_add_f32_e32 v107, v107, v135
	v_fma_f32 v3, v98, v46, -v3
	v_mul_f32_e32 v127, v100, v49
	v_fmac_f32_e32 v137, v99, v46
	v_add_f32_e32 v107, v107, v136
	v_add_f32_e32 v130, v2, v3
	v_mul_f32_e32 v2, v101, v49
	s_waitcnt vmcnt(5)
	v_mov_b32_e32 v14, v53
	s_waitcnt lgkmcnt(1)
	v_mul_f32_e32 v129, v102, v51
	v_fmac_f32_e32 v127, v101, v48
	v_add_f32_e32 v131, v107, v137
	v_fma_f32 v126, v100, v48, -v2
	v_mul_f32_e32 v2, v103, v51
	v_pk_mul_f32 v[14:15], v[104:105], v[14:15] op_sel:[1,0] op_sel_hi:[0,0]
	v_fmac_f32_e32 v129, v103, v50
	v_fma_f32 v128, v102, v50, -v2
	v_pk_add_f32 v[12:13], v[130:131], v[126:127]
	v_pk_fma_f32 v[16:17], v[104:105], v[52:53], v[14:15] neg_lo:[0,0,1] neg_hi:[0,0,1]
	v_pk_fma_f32 v[14:15], v[104:105], v[52:53], v[14:15] op_sel_hi:[1,0,1]
	v_pk_add_f32 v[12:13], v[12:13], v[128:129]
	v_mov_b32_e32 v17, v15
	s_waitcnt vmcnt(3) lgkmcnt(0)
	v_pk_mul_f32 v[14:15], v[108:109], v[112:113] op_sel:[1,1] op_sel_hi:[0,1]
	v_pk_add_f32 v[12:13], v[12:13], v[16:17]
	v_pk_fma_f32 v[16:17], v[108:109], v[112:113], v[14:15] neg_lo:[0,0,1] neg_hi:[0,0,1]
	v_pk_fma_f32 v[14:15], v[108:109], v[112:113], v[14:15] op_sel_hi:[1,0,1]
	ds_read_b128 v[2:5], v106 offset:720
	ds_read_b128 v[6:9], v106 offset:736
	ds_read_b64 v[10:11], v106 offset:752
	v_mov_b32_e32 v14, v115
	v_mov_b32_e32 v17, v15
	v_pk_mul_f32 v[14:15], v[110:111], v[14:15] op_sel:[1,0] op_sel_hi:[0,0]
	v_pk_add_f32 v[12:13], v[12:13], v[16:17]
	v_pk_fma_f32 v[16:17], v[110:111], v[114:115], v[14:15] neg_lo:[0,0,1] neg_hi:[0,0,1]
	v_pk_fma_f32 v[14:15], v[110:111], v[114:115], v[14:15] op_sel_hi:[1,0,1]
	s_nop 0
	v_mov_b32_e32 v17, v15
	s_waitcnt vmcnt(2) lgkmcnt(2)
	v_pk_mul_f32 v[14:15], v[2:3], v[116:117] op_sel:[1,1] op_sel_hi:[0,1]
	v_pk_add_f32 v[12:13], v[12:13], v[16:17]
	v_pk_fma_f32 v[16:17], v[2:3], v[116:117], v[14:15] neg_lo:[0,0,1] neg_hi:[0,0,1]
	v_pk_fma_f32 v[2:3], v[2:3], v[116:117], v[14:15] op_sel_hi:[1,0,1]
	s_nop 0
	v_mov_b32_e32 v17, v3
	v_pk_add_f32 v[2:3], v[12:13], v[16:17]
	v_mov_b32_e32 v12, v119
	v_pk_mul_f32 v[12:13], v[4:5], v[12:13] op_sel:[1,0] op_sel_hi:[0,0]
	v_pk_fma_f32 v[14:15], v[4:5], v[118:119], v[12:13] neg_lo:[0,0,1] neg_hi:[0,0,1]
	v_pk_fma_f32 v[4:5], v[4:5], v[118:119], v[12:13] op_sel_hi:[1,0,1]
	s_nop 0
	v_mov_b32_e32 v15, v5
	s_waitcnt vmcnt(1) lgkmcnt(1)
	v_pk_mul_f32 v[4:5], v[6:7], v[120:121] op_sel:[1,1] op_sel_hi:[0,1]
	v_pk_fma_f32 v[12:13], v[6:7], v[120:121], v[4:5] neg_lo:[0,0,1] neg_hi:[0,0,1]
	v_pk_fma_f32 v[4:5], v[6:7], v[120:121], v[4:5] op_sel_hi:[1,0,1]
	v_pk_add_f32 v[2:3], v[2:3], v[14:15]
	v_mov_b32_e32 v4, v123
	v_mov_b32_e32 v13, v5
	v_pk_mul_f32 v[4:5], v[8:9], v[4:5] op_sel:[1,0] op_sel_hi:[0,0]
	v_pk_fma_f32 v[6:7], v[8:9], v[122:123], v[4:5] neg_lo:[0,0,1] neg_hi:[0,0,1]
	v_pk_fma_f32 v[4:5], v[8:9], v[122:123], v[4:5] op_sel_hi:[1,0,1]
	v_pk_add_f32 v[2:3], v[2:3], v[12:13]
	v_mov_b32_e32 v7, v5
	s_waitcnt vmcnt(0) lgkmcnt(0)
	v_pk_mul_f32 v[4:5], v[10:11], v[132:133] op_sel:[1,1] op_sel_hi:[0,1]
	v_pk_add_f32 v[2:3], v[2:3], v[6:7]
	v_pk_fma_f32 v[6:7], v[10:11], v[132:133], v[4:5] neg_lo:[0,0,1] neg_hi:[0,0,1]
	v_pk_fma_f32 v[4:5], v[10:11], v[132:133], v[4:5] op_sel_hi:[1,0,1]
	s_nop 0
	v_mov_b32_e32 v7, v5
	v_pk_add_f32 v[2:3], v[2:3], v[6:7]
	s_nop 0
	v_pk_add_f32 v[2:3], v[124:125], v[2:3] neg_lo:[0,1] neg_hi:[0,1]
	scratch_store_dwordx2 off, v[2:3], off offset:104
	s_and_saveexec_b64 s[0:1], vcc
	s_cbranch_execz .LBB46_271
; %bb.270:
	scratch_load_dwordx2 v[2:3], off, off offset:96
	v_mov_b32_e32 v107, v106
	scratch_store_dwordx2 off, v[106:107], off offset:96
	s_waitcnt vmcnt(1)
	ds_write_b64 v1, v[2:3]
.LBB46_271:
	s_or_b64 exec, exec, s[0:1]
	s_waitcnt lgkmcnt(0)
	; wave barrier
	scratch_load_dwordx4 v[2:5], off, off offset:104
	scratch_load_dwordx4 v[6:9], off, off offset:120
	scratch_load_dwordx4 v[10:13], off, off offset:136
	scratch_load_dwordx4 v[14:17], off, off offset:152
	scratch_load_dwordx4 v[18:21], off, off offset:168
	scratch_load_dwordx4 v[22:25], off, off offset:184
	scratch_load_dwordx4 v[26:29], off, off offset:200
	scratch_load_dwordx4 v[30:33], off, off offset:216
	scratch_load_dwordx4 v[34:37], off, off offset:232
	scratch_load_dwordx4 v[38:41], off, off offset:248
	scratch_load_dwordx4 v[42:45], off, off offset:264
	scratch_load_dwordx4 v[46:49], off, off offset:280
	scratch_load_dwordx4 v[50:53], off, off offset:296
	ds_read2_b64 v[102:105], v106 offset0:61 offset1:62
	ds_read2_b64 v[98:101], v106 offset0:63 offset1:64
	;; [unrolled: 1-line block ×14, first 2 shown]
	scratch_load_dwordx2 v[128:129], off, off offset:96
	v_cmp_lt_u32_e32 vcc, 11, v0
	s_waitcnt vmcnt(13) lgkmcnt(13)
	v_mul_f32_e32 v107, v102, v3
	v_mul_f32_e32 v112, v104, v5
	v_fmac_f32_e32 v107, v103, v2
	s_waitcnt vmcnt(12) lgkmcnt(12)
	v_mul_f32_e32 v113, v98, v7
	v_fmac_f32_e32 v112, v105, v4
	v_add_f32_e32 v107, 0, v107
	v_mul_f32_e32 v114, v100, v9
	v_fmac_f32_e32 v113, v99, v6
	v_add_f32_e32 v107, v107, v112
	s_waitcnt vmcnt(11) lgkmcnt(11)
	v_mul_f32_e32 v115, v94, v11
	v_fmac_f32_e32 v114, v101, v8
	v_add_f32_e32 v107, v107, v113
	v_mul_f32_e32 v116, v96, v13
	v_fmac_f32_e32 v115, v95, v10
	v_add_f32_e32 v107, v107, v114
	;; [unrolled: 7-line block ×7, first 2 shown]
	s_waitcnt vmcnt(5) lgkmcnt(5)
	v_mul_f32_e32 v127, v70, v35
	v_fmac_f32_e32 v126, v77, v32
	v_add_f32_e32 v107, v107, v125
	v_fmac_f32_e32 v127, v71, v34
	v_add_f32_e32 v107, v107, v126
	v_add_f32_e32 v107, v107, v127
	scratch_load_dwordx4 v[112:115], off, off offset:312
	scratch_load_dwordx4 v[116:119], off, off offset:328
	;; [unrolled: 1-line block ×4, first 2 shown]
	v_mul_f32_e32 v3, v103, v3
	v_fma_f32 v2, v102, v2, -v3
	v_mul_f32_e32 v3, v105, v5
	v_add_f32_e32 v2, 0, v2
	v_fma_f32 v3, v104, v4, -v3
	v_add_f32_e32 v2, v2, v3
	v_mul_f32_e32 v3, v99, v7
	v_fma_f32 v3, v98, v6, -v3
	v_add_f32_e32 v2, v2, v3
	v_mul_f32_e32 v3, v101, v9
	;; [unrolled: 3-line block ×16, first 2 shown]
	v_fma_f32 v3, v72, v36, -v3
	v_add_f32_e32 v2, v2, v3
	s_waitcnt vmcnt(8) lgkmcnt(4)
	v_mul_f32_e32 v3, v67, v39
	v_fma_f32 v3, v66, v38, -v3
	v_add_f32_e32 v2, v2, v3
	v_mul_f32_e32 v3, v69, v41
	v_fma_f32 v3, v68, v40, -v3
	v_add_f32_e32 v2, v2, v3
	s_waitcnt vmcnt(7) lgkmcnt(3)
	v_mul_f32_e32 v3, v63, v43
	v_mul_f32_e32 v130, v72, v37
	v_fma_f32 v3, v62, v42, -v3
	v_mul_f32_e32 v132, v66, v39
	v_fmac_f32_e32 v130, v73, v36
	v_add_f32_e32 v2, v2, v3
	v_mul_f32_e32 v3, v65, v45
	v_mul_f32_e32 v134, v68, v41
	v_fmac_f32_e32 v132, v67, v38
	v_add_f32_e32 v107, v107, v130
	v_fma_f32 v3, v64, v44, -v3
	v_mul_f32_e32 v135, v62, v43
	v_fmac_f32_e32 v134, v69, v40
	v_add_f32_e32 v107, v107, v132
	v_add_f32_e32 v2, v2, v3
	s_waitcnt vmcnt(6) lgkmcnt(2)
	v_mul_f32_e32 v3, v59, v47
	v_mul_f32_e32 v136, v64, v45
	v_fmac_f32_e32 v135, v63, v42
	v_add_f32_e32 v107, v107, v134
	v_fma_f32 v3, v58, v46, -v3
	v_mul_f32_e32 v137, v58, v47
	v_fmac_f32_e32 v136, v65, v44
	v_add_f32_e32 v107, v107, v135
	v_add_f32_e32 v2, v2, v3
	v_mul_f32_e32 v3, v61, v49
	v_mul_f32_e32 v138, v60, v49
	v_fmac_f32_e32 v137, v59, v46
	v_add_f32_e32 v107, v107, v136
	v_fma_f32 v3, v60, v48, -v3
	s_waitcnt vmcnt(5) lgkmcnt(1)
	v_mul_f32_e32 v131, v54, v51
	v_fmac_f32_e32 v138, v61, v48
	v_add_f32_e32 v107, v107, v137
	v_add_f32_e32 v134, v2, v3
	v_mul_f32_e32 v2, v55, v51
	s_waitcnt vmcnt(3) lgkmcnt(0)
	v_pk_mul_f32 v[16:17], v[108:109], v[112:113] op_sel:[1,1] op_sel_hi:[0,1]
	v_mul_f32_e32 v133, v56, v53
	v_fmac_f32_e32 v131, v55, v50
	v_add_f32_e32 v135, v107, v138
	v_fma_f32 v130, v54, v50, -v2
	v_mul_f32_e32 v2, v57, v53
	v_pk_fma_f32 v[18:19], v[108:109], v[112:113], v[16:17] neg_lo:[0,0,1] neg_hi:[0,0,1]
	v_pk_fma_f32 v[16:17], v[108:109], v[112:113], v[16:17] op_sel_hi:[1,0,1]
	v_fmac_f32_e32 v133, v57, v52
	v_fma_f32 v132, v56, v52, -v2
	ds_read2_b64 v[2:5], v106 offset0:89 offset1:90
	ds_read2_b64 v[6:9], v106 offset0:91 offset1:92
	;; [unrolled: 1-line block ×3, first 2 shown]
	v_pk_add_f32 v[14:15], v[134:135], v[130:131]
	v_mov_b32_e32 v16, v115
	v_pk_add_f32 v[14:15], v[14:15], v[132:133]
	v_mov_b32_e32 v19, v17
	v_pk_mul_f32 v[16:17], v[110:111], v[16:17] op_sel:[1,0] op_sel_hi:[0,0]
	v_pk_add_f32 v[14:15], v[14:15], v[18:19]
	v_pk_fma_f32 v[18:19], v[110:111], v[114:115], v[16:17] neg_lo:[0,0,1] neg_hi:[0,0,1]
	v_pk_fma_f32 v[16:17], v[110:111], v[114:115], v[16:17] op_sel_hi:[1,0,1]
	s_nop 0
	v_mov_b32_e32 v19, v17
	s_waitcnt vmcnt(2) lgkmcnt(2)
	v_pk_mul_f32 v[16:17], v[2:3], v[116:117] op_sel:[1,1] op_sel_hi:[0,1]
	v_pk_add_f32 v[14:15], v[14:15], v[18:19]
	v_pk_fma_f32 v[18:19], v[2:3], v[116:117], v[16:17] neg_lo:[0,0,1] neg_hi:[0,0,1]
	v_pk_fma_f32 v[2:3], v[2:3], v[116:117], v[16:17] op_sel_hi:[1,0,1]
	s_nop 0
	v_mov_b32_e32 v19, v3
	v_pk_add_f32 v[2:3], v[14:15], v[18:19]
	v_mov_b32_e32 v14, v119
	v_pk_mul_f32 v[14:15], v[4:5], v[14:15] op_sel:[1,0] op_sel_hi:[0,0]
	v_pk_fma_f32 v[16:17], v[4:5], v[118:119], v[14:15] neg_lo:[0,0,1] neg_hi:[0,0,1]
	v_pk_fma_f32 v[4:5], v[4:5], v[118:119], v[14:15] op_sel_hi:[1,0,1]
	s_nop 0
	v_mov_b32_e32 v17, v5
	s_waitcnt vmcnt(1) lgkmcnt(1)
	v_pk_mul_f32 v[4:5], v[6:7], v[120:121] op_sel:[1,1] op_sel_hi:[0,1]
	v_pk_fma_f32 v[14:15], v[6:7], v[120:121], v[4:5] neg_lo:[0,0,1] neg_hi:[0,0,1]
	v_pk_fma_f32 v[4:5], v[6:7], v[120:121], v[4:5] op_sel_hi:[1,0,1]
	v_pk_add_f32 v[2:3], v[2:3], v[16:17]
	v_mov_b32_e32 v4, v123
	v_mov_b32_e32 v15, v5
	v_pk_mul_f32 v[4:5], v[8:9], v[4:5] op_sel:[1,0] op_sel_hi:[0,0]
	v_pk_fma_f32 v[6:7], v[8:9], v[122:123], v[4:5] neg_lo:[0,0,1] neg_hi:[0,0,1]
	v_pk_fma_f32 v[4:5], v[8:9], v[122:123], v[4:5] op_sel_hi:[1,0,1]
	v_pk_add_f32 v[2:3], v[2:3], v[14:15]
	v_mov_b32_e32 v7, v5
	s_waitcnt vmcnt(0) lgkmcnt(0)
	v_pk_mul_f32 v[4:5], v[10:11], v[124:125] op_sel:[1,1] op_sel_hi:[0,1]
	v_pk_add_f32 v[2:3], v[2:3], v[6:7]
	v_pk_fma_f32 v[6:7], v[10:11], v[124:125], v[4:5] neg_lo:[0,0,1] neg_hi:[0,0,1]
	v_pk_fma_f32 v[4:5], v[10:11], v[124:125], v[4:5] op_sel_hi:[1,0,1]
	s_nop 0
	v_mov_b32_e32 v4, v127
	v_mov_b32_e32 v7, v5
	v_pk_mul_f32 v[4:5], v[12:13], v[4:5] op_sel:[1,0] op_sel_hi:[0,0]
	v_pk_add_f32 v[2:3], v[2:3], v[6:7]
	v_pk_fma_f32 v[6:7], v[12:13], v[126:127], v[4:5] neg_lo:[0,0,1] neg_hi:[0,0,1]
	v_pk_fma_f32 v[4:5], v[12:13], v[126:127], v[4:5] op_sel_hi:[1,0,1]
	s_nop 0
	v_mov_b32_e32 v7, v5
	v_pk_add_f32 v[2:3], v[2:3], v[6:7]
	s_nop 0
	v_pk_add_f32 v[2:3], v[128:129], v[2:3] neg_lo:[0,1] neg_hi:[0,1]
	scratch_store_dwordx2 off, v[2:3], off offset:96
	s_and_saveexec_b64 s[0:1], vcc
	s_cbranch_execz .LBB46_273
; %bb.272:
	scratch_load_dwordx2 v[2:3], off, off offset:88
	v_mov_b32_e32 v4, 0
	v_mov_b32_e32 v5, v4
	scratch_store_dwordx2 off, v[4:5], off offset:88
	s_waitcnt vmcnt(1)
	ds_write_b64 v1, v[2:3]
.LBB46_273:
	s_or_b64 exec, exec, s[0:1]
	s_waitcnt lgkmcnt(0)
	; wave barrier
	scratch_load_dwordx4 v[2:5], off, off offset:96
	scratch_load_dwordx4 v[6:9], off, off offset:112
	scratch_load_dwordx4 v[10:13], off, off offset:128
	scratch_load_dwordx4 v[14:17], off, off offset:144
	scratch_load_dwordx4 v[18:21], off, off offset:160
	scratch_load_dwordx4 v[22:25], off, off offset:176
	scratch_load_dwordx4 v[26:29], off, off offset:192
	scratch_load_dwordx4 v[30:33], off, off offset:208
	scratch_load_dwordx4 v[34:37], off, off offset:224
	scratch_load_dwordx4 v[38:41], off, off offset:240
	scratch_load_dwordx4 v[42:45], off, off offset:256
	scratch_load_dwordx4 v[46:49], off, off offset:272
	scratch_load_dwordx4 v[50:53], off, off offset:288
	v_mov_b32_e32 v114, 0
	scratch_load_dwordx4 v[54:57], off, off offset:304
	scratch_load_dwordx2 v[128:129], off, off offset:88
	ds_read_b128 v[58:61], v114 offset:480
	ds_read_b128 v[62:65], v114 offset:496
	ds_read_b128 v[66:69], v114 offset:512
	ds_read_b128 v[70:73], v114 offset:528
	ds_read_b128 v[74:77], v114 offset:544
	ds_read_b128 v[78:81], v114 offset:560
	ds_read_b128 v[82:85], v114 offset:576
	ds_read_b128 v[86:89], v114 offset:592
	ds_read_b128 v[90:93], v114 offset:608
	ds_read_b128 v[94:97], v114 offset:624
	ds_read_b128 v[98:101], v114 offset:640
	ds_read_b128 v[102:105], v114 offset:656
	ds_read_b128 v[106:109], v114 offset:672
	ds_read_b128 v[110:113], v114 offset:688
	v_cmp_lt_u32_e32 vcc, 10, v0
	s_waitcnt vmcnt(14) lgkmcnt(13)
	v_mul_f32_e32 v115, v58, v3
	v_mul_f32_e32 v116, v60, v5
	v_fmac_f32_e32 v115, v59, v2
	s_waitcnt vmcnt(13) lgkmcnt(12)
	v_mul_f32_e32 v117, v62, v7
	v_fmac_f32_e32 v116, v61, v4
	v_add_f32_e32 v115, 0, v115
	v_mul_f32_e32 v118, v64, v9
	v_fmac_f32_e32 v117, v63, v6
	v_add_f32_e32 v115, v115, v116
	s_waitcnt vmcnt(12) lgkmcnt(11)
	v_mul_f32_e32 v119, v66, v11
	v_fmac_f32_e32 v118, v65, v8
	v_add_f32_e32 v115, v115, v117
	v_mul_f32_e32 v120, v68, v13
	v_fmac_f32_e32 v119, v67, v10
	v_add_f32_e32 v115, v115, v118
	;; [unrolled: 7-line block ×6, first 2 shown]
	s_waitcnt vmcnt(7) lgkmcnt(6)
	v_mul_f32_e32 v131, v86, v31
	v_fmac_f32_e32 v130, v85, v28
	v_add_f32_e32 v115, v115, v127
	scratch_load_dwordx4 v[116:119], off, off offset:320
	v_mul_f32_e32 v132, v88, v33
	v_fmac_f32_e32 v131, v87, v30
	v_add_f32_e32 v115, v115, v130
	s_waitcnt vmcnt(7) lgkmcnt(5)
	v_mul_f32_e32 v133, v90, v35
	v_fmac_f32_e32 v132, v89, v32
	v_add_f32_e32 v115, v115, v131
	v_mul_f32_e32 v134, v92, v37
	v_fmac_f32_e32 v133, v91, v34
	v_add_f32_e32 v115, v115, v132
	s_waitcnt vmcnt(6) lgkmcnt(4)
	v_mul_f32_e32 v135, v94, v39
	v_fmac_f32_e32 v134, v93, v36
	v_add_f32_e32 v115, v115, v133
	;; [unrolled: 7-line block ×3, first 2 shown]
	v_fmac_f32_e32 v137, v99, v42
	v_add_f32_e32 v115, v115, v136
	v_add_f32_e32 v115, v115, v137
	scratch_load_dwordx4 v[120:123], off, off offset:336
	scratch_load_dwordx4 v[124:127], off, off offset:352
	scratch_load_dwordx2 v[136:137], off, off offset:368
	v_mul_f32_e32 v3, v59, v3
	v_fma_f32 v2, v58, v2, -v3
	v_mul_f32_e32 v3, v61, v5
	v_add_f32_e32 v2, 0, v2
	v_fma_f32 v3, v60, v4, -v3
	v_add_f32_e32 v2, v2, v3
	v_mul_f32_e32 v3, v63, v7
	v_fma_f32 v3, v62, v6, -v3
	v_add_f32_e32 v2, v2, v3
	v_mul_f32_e32 v3, v65, v9
	;; [unrolled: 3-line block ×20, first 2 shown]
	v_fma_f32 v3, v100, v44, -v3
	v_add_f32_e32 v2, v2, v3
	s_waitcnt vmcnt(7) lgkmcnt(2)
	v_mul_f32_e32 v3, v103, v47
	v_fma_f32 v3, v102, v46, -v3
	v_add_f32_e32 v2, v2, v3
	v_mul_f32_e32 v3, v105, v49
	v_mul_f32_e32 v138, v100, v45
	v_fma_f32 v3, v104, v48, -v3
	v_mul_f32_e32 v139, v102, v47
	v_fmac_f32_e32 v138, v101, v44
	v_add_f32_e32 v2, v2, v3
	s_waitcnt vmcnt(6) lgkmcnt(1)
	v_mul_f32_e32 v3, v107, v51
	v_mul_f32_e32 v140, v104, v49
	v_fmac_f32_e32 v139, v103, v46
	v_add_f32_e32 v115, v115, v138
	v_fma_f32 v3, v106, v50, -v3
	v_mul_f32_e32 v141, v106, v51
	v_fmac_f32_e32 v140, v105, v48
	v_add_f32_e32 v115, v115, v139
	v_add_f32_e32 v130, v2, v3
	v_mul_f32_e32 v2, v109, v53
	v_fmac_f32_e32 v141, v107, v50
	v_add_f32_e32 v115, v115, v140
	v_mul_f32_e32 v133, v108, v53
	v_fma_f32 v132, v108, v52, -v2
	s_waitcnt vmcnt(5) lgkmcnt(0)
	v_mul_f32_e32 v2, v111, v55
	v_mov_b32_e32 v18, v57
	v_add_f32_e32 v131, v115, v141
	v_fmac_f32_e32 v133, v109, v52
	v_mul_f32_e32 v135, v110, v55
	v_fma_f32 v134, v110, v54, -v2
	ds_read_b128 v[2:5], v114 offset:704
	ds_read_b128 v[6:9], v114 offset:720
	ds_read_b128 v[10:13], v114 offset:736
	ds_read_b64 v[14:15], v114 offset:752
	v_pk_mul_f32 v[18:19], v[112:113], v[18:19] op_sel:[1,0] op_sel_hi:[0,0]
	v_fmac_f32_e32 v135, v111, v54
	v_pk_add_f32 v[16:17], v[130:131], v[132:133]
	v_pk_fma_f32 v[20:21], v[112:113], v[56:57], v[18:19] neg_lo:[0,0,1] neg_hi:[0,0,1]
	v_pk_fma_f32 v[18:19], v[112:113], v[56:57], v[18:19] op_sel_hi:[1,0,1]
	v_pk_add_f32 v[16:17], v[16:17], v[134:135]
	v_mov_b32_e32 v21, v19
	s_waitcnt vmcnt(3) lgkmcnt(3)
	v_pk_mul_f32 v[18:19], v[2:3], v[116:117] op_sel:[1,1] op_sel_hi:[0,1]
	v_pk_add_f32 v[16:17], v[16:17], v[20:21]
	v_pk_fma_f32 v[20:21], v[2:3], v[116:117], v[18:19] neg_lo:[0,0,1] neg_hi:[0,0,1]
	v_pk_fma_f32 v[2:3], v[2:3], v[116:117], v[18:19] op_sel_hi:[1,0,1]
	s_nop 0
	v_mov_b32_e32 v21, v3
	v_pk_add_f32 v[2:3], v[16:17], v[20:21]
	v_mov_b32_e32 v16, v119
	v_pk_mul_f32 v[16:17], v[4:5], v[16:17] op_sel:[1,0] op_sel_hi:[0,0]
	v_pk_fma_f32 v[18:19], v[4:5], v[118:119], v[16:17] neg_lo:[0,0,1] neg_hi:[0,0,1]
	v_pk_fma_f32 v[4:5], v[4:5], v[118:119], v[16:17] op_sel_hi:[1,0,1]
	s_nop 0
	v_mov_b32_e32 v19, v5
	s_waitcnt vmcnt(2) lgkmcnt(2)
	v_pk_mul_f32 v[4:5], v[6:7], v[120:121] op_sel:[1,1] op_sel_hi:[0,1]
	v_pk_fma_f32 v[16:17], v[6:7], v[120:121], v[4:5] neg_lo:[0,0,1] neg_hi:[0,0,1]
	v_pk_fma_f32 v[4:5], v[6:7], v[120:121], v[4:5] op_sel_hi:[1,0,1]
	v_pk_add_f32 v[2:3], v[2:3], v[18:19]
	v_mov_b32_e32 v4, v123
	v_mov_b32_e32 v17, v5
	v_pk_mul_f32 v[4:5], v[8:9], v[4:5] op_sel:[1,0] op_sel_hi:[0,0]
	v_pk_fma_f32 v[6:7], v[8:9], v[122:123], v[4:5] neg_lo:[0,0,1] neg_hi:[0,0,1]
	v_pk_fma_f32 v[4:5], v[8:9], v[122:123], v[4:5] op_sel_hi:[1,0,1]
	v_pk_add_f32 v[2:3], v[2:3], v[16:17]
	v_mov_b32_e32 v7, v5
	s_waitcnt vmcnt(1) lgkmcnt(1)
	v_pk_mul_f32 v[4:5], v[10:11], v[124:125] op_sel:[1,1] op_sel_hi:[0,1]
	v_pk_add_f32 v[2:3], v[2:3], v[6:7]
	v_pk_fma_f32 v[6:7], v[10:11], v[124:125], v[4:5] neg_lo:[0,0,1] neg_hi:[0,0,1]
	v_pk_fma_f32 v[4:5], v[10:11], v[124:125], v[4:5] op_sel_hi:[1,0,1]
	s_nop 0
	v_mov_b32_e32 v4, v127
	v_mov_b32_e32 v7, v5
	v_pk_mul_f32 v[4:5], v[12:13], v[4:5] op_sel:[1,0] op_sel_hi:[0,0]
	v_pk_add_f32 v[2:3], v[2:3], v[6:7]
	v_pk_fma_f32 v[6:7], v[12:13], v[126:127], v[4:5] neg_lo:[0,0,1] neg_hi:[0,0,1]
	v_pk_fma_f32 v[4:5], v[12:13], v[126:127], v[4:5] op_sel_hi:[1,0,1]
	s_nop 0
	v_mov_b32_e32 v7, v5
	s_waitcnt vmcnt(0) lgkmcnt(0)
	v_pk_mul_f32 v[4:5], v[14:15], v[136:137] op_sel:[1,1] op_sel_hi:[0,1]
	v_pk_add_f32 v[2:3], v[2:3], v[6:7]
	v_pk_fma_f32 v[6:7], v[14:15], v[136:137], v[4:5] neg_lo:[0,0,1] neg_hi:[0,0,1]
	v_pk_fma_f32 v[4:5], v[14:15], v[136:137], v[4:5] op_sel_hi:[1,0,1]
	s_nop 0
	v_mov_b32_e32 v7, v5
	v_pk_add_f32 v[2:3], v[2:3], v[6:7]
	s_nop 0
	v_pk_add_f32 v[2:3], v[128:129], v[2:3] neg_lo:[0,1] neg_hi:[0,1]
	scratch_store_dwordx2 off, v[2:3], off offset:88
	s_and_saveexec_b64 s[0:1], vcc
	s_cbranch_execz .LBB46_275
; %bb.274:
	scratch_load_dwordx2 v[2:3], off, off offset:80
	v_mov_b32_e32 v115, v114
	scratch_store_dwordx2 off, v[114:115], off offset:80
	s_waitcnt vmcnt(1)
	ds_write_b64 v1, v[2:3]
.LBB46_275:
	s_or_b64 exec, exec, s[0:1]
	s_waitcnt lgkmcnt(0)
	; wave barrier
	scratch_load_dwordx4 v[2:5], off, off offset:88
	scratch_load_dwordx4 v[6:9], off, off offset:104
	;; [unrolled: 1-line block ×13, first 2 shown]
	ds_read2_b64 v[110:113], v114 offset0:59 offset1:60
	ds_read2_b64 v[106:109], v114 offset0:61 offset1:62
	;; [unrolled: 1-line block ×14, first 2 shown]
	scratch_load_dwordx4 v[66:69], off, off offset:296
	scratch_load_dwordx2 v[132:133], off, off offset:80
	v_cmp_lt_u32_e32 vcc, 9, v0
	s_waitcnt vmcnt(14) lgkmcnt(13)
	v_mul_f32_e32 v115, v110, v3
	v_mul_f32_e32 v116, v112, v5
	v_fmac_f32_e32 v115, v111, v2
	s_waitcnt vmcnt(13) lgkmcnt(12)
	v_mul_f32_e32 v117, v106, v7
	v_fmac_f32_e32 v116, v113, v4
	v_add_f32_e32 v115, 0, v115
	v_mul_f32_e32 v118, v108, v9
	v_fmac_f32_e32 v117, v107, v6
	v_add_f32_e32 v115, v115, v116
	s_waitcnt vmcnt(12) lgkmcnt(11)
	v_mul_f32_e32 v119, v102, v11
	v_fmac_f32_e32 v118, v109, v8
	v_add_f32_e32 v115, v115, v117
	v_mul_f32_e32 v120, v104, v13
	v_fmac_f32_e32 v119, v103, v10
	v_add_f32_e32 v115, v115, v118
	;; [unrolled: 7-line block ×4, first 2 shown]
	s_waitcnt vmcnt(9) lgkmcnt(8)
	v_mul_f32_e32 v125, v90, v23
	v_fmac_f32_e32 v124, v97, v20
	v_add_f32_e32 v115, v115, v123
	scratch_load_dwordx4 v[116:119], off, off offset:312
	v_mul_f32_e32 v126, v92, v25
	v_fmac_f32_e32 v125, v91, v22
	v_add_f32_e32 v115, v115, v124
	s_waitcnt vmcnt(9) lgkmcnt(7)
	v_mul_f32_e32 v127, v86, v27
	v_fmac_f32_e32 v126, v93, v24
	v_add_f32_e32 v115, v115, v125
	v_mul_f32_e32 v128, v88, v29
	v_fmac_f32_e32 v127, v87, v26
	v_add_f32_e32 v115, v115, v126
	s_waitcnt vmcnt(8) lgkmcnt(6)
	v_mul_f32_e32 v129, v82, v31
	v_fmac_f32_e32 v128, v89, v28
	v_add_f32_e32 v115, v115, v127
	;; [unrolled: 7-line block ×3, first 2 shown]
	v_fmac_f32_e32 v131, v79, v34
	v_add_f32_e32 v115, v115, v130
	v_add_f32_e32 v115, v115, v131
	scratch_load_dwordx4 v[120:123], off, off offset:328
	scratch_load_dwordx4 v[124:127], off, off offset:344
	;; [unrolled: 1-line block ×3, first 2 shown]
	v_mul_f32_e32 v3, v111, v3
	v_fma_f32 v2, v110, v2, -v3
	v_mul_f32_e32 v3, v113, v5
	v_add_f32_e32 v2, 0, v2
	v_fma_f32 v3, v112, v4, -v3
	v_add_f32_e32 v2, v2, v3
	v_mul_f32_e32 v3, v107, v7
	v_fma_f32 v3, v106, v6, -v3
	v_add_f32_e32 v2, v2, v3
	v_mul_f32_e32 v3, v109, v9
	;; [unrolled: 3-line block ×16, first 2 shown]
	v_fma_f32 v3, v80, v36, -v3
	v_add_f32_e32 v2, v2, v3
	s_waitcnt vmcnt(9) lgkmcnt(4)
	v_mul_f32_e32 v3, v75, v39
	v_fma_f32 v3, v74, v38, -v3
	v_add_f32_e32 v2, v2, v3
	v_mul_f32_e32 v3, v77, v41
	v_fma_f32 v3, v76, v40, -v3
	v_add_f32_e32 v2, v2, v3
	s_waitcnt vmcnt(8) lgkmcnt(3)
	v_mul_f32_e32 v3, v71, v43
	v_fma_f32 v3, v70, v42, -v3
	v_add_f32_e32 v2, v2, v3
	v_mul_f32_e32 v3, v73, v45
	v_fma_f32 v3, v72, v44, -v3
	v_add_f32_e32 v2, v2, v3
	s_waitcnt vmcnt(7) lgkmcnt(2)
	v_mul_f32_e32 v3, v63, v47
	v_fma_f32 v3, v62, v46, -v3
	v_mul_f32_e32 v134, v80, v37
	v_add_f32_e32 v2, v2, v3
	v_mul_f32_e32 v3, v65, v49
	v_mul_f32_e32 v135, v74, v39
	v_fmac_f32_e32 v134, v81, v36
	v_fma_f32 v3, v64, v48, -v3
	v_mul_f32_e32 v136, v76, v41
	v_fmac_f32_e32 v135, v75, v38
	v_add_f32_e32 v115, v115, v134
	v_add_f32_e32 v2, v2, v3
	s_waitcnt vmcnt(6) lgkmcnt(1)
	v_mul_f32_e32 v3, v55, v51
	v_mul_f32_e32 v137, v70, v43
	v_fmac_f32_e32 v136, v77, v40
	v_add_f32_e32 v115, v115, v135
	v_fma_f32 v3, v54, v50, -v3
	v_mul_f32_e32 v138, v72, v45
	v_fmac_f32_e32 v137, v71, v42
	v_add_f32_e32 v115, v115, v136
	v_add_f32_e32 v2, v2, v3
	v_mul_f32_e32 v3, v57, v53
	v_mul_f32_e32 v139, v62, v47
	v_fmac_f32_e32 v138, v73, v44
	v_add_f32_e32 v115, v115, v137
	v_fma_f32 v3, v56, v52, -v3
	v_mul_f32_e32 v140, v64, v49
	v_fmac_f32_e32 v139, v63, v46
	v_add_f32_e32 v115, v115, v138
	v_add_f32_e32 v134, v2, v3
	s_waitcnt vmcnt(5) lgkmcnt(0)
	v_mul_f32_e32 v2, v59, v67
	v_mul_f32_e32 v141, v54, v51
	v_fmac_f32_e32 v140, v65, v48
	v_add_f32_e32 v115, v115, v139
	v_fma_f32 v136, v58, v66, -v2
	v_mul_f32_e32 v2, v61, v69
	v_mul_f32_e32 v142, v56, v53
	v_fmac_f32_e32 v141, v55, v50
	v_add_f32_e32 v115, v115, v140
	v_fma_f32 v138, v60, v68, -v2
	ds_read2_b64 v[2:5], v114 offset0:87 offset1:88
	ds_read2_b64 v[6:9], v114 offset0:89 offset1:90
	;; [unrolled: 1-line block ×4, first 2 shown]
	v_add_f32_e32 v115, v115, v141
	v_fmac_f32_e32 v142, v57, v52
	v_mul_f32_e32 v137, v58, v67
	v_add_f32_e32 v135, v115, v142
	v_fmac_f32_e32 v137, v59, v66
	v_mul_f32_e32 v139, v60, v69
	s_waitcnt vmcnt(3) lgkmcnt(3)
	v_pk_mul_f32 v[20:21], v[2:3], v[116:117] op_sel:[1,1] op_sel_hi:[0,1]
	v_fmac_f32_e32 v139, v61, v68
	v_pk_add_f32 v[18:19], v[134:135], v[136:137]
	v_pk_fma_f32 v[22:23], v[2:3], v[116:117], v[20:21] neg_lo:[0,0,1] neg_hi:[0,0,1]
	v_pk_fma_f32 v[2:3], v[2:3], v[116:117], v[20:21] op_sel_hi:[1,0,1]
	v_pk_add_f32 v[18:19], v[18:19], v[138:139]
	v_mov_b32_e32 v23, v3
	v_pk_add_f32 v[2:3], v[18:19], v[22:23]
	v_mov_b32_e32 v18, v119
	v_pk_mul_f32 v[18:19], v[4:5], v[18:19] op_sel:[1,0] op_sel_hi:[0,0]
	v_pk_fma_f32 v[20:21], v[4:5], v[118:119], v[18:19] neg_lo:[0,0,1] neg_hi:[0,0,1]
	v_pk_fma_f32 v[4:5], v[4:5], v[118:119], v[18:19] op_sel_hi:[1,0,1]
	s_nop 0
	v_mov_b32_e32 v21, v5
	s_waitcnt vmcnt(2) lgkmcnt(2)
	v_pk_mul_f32 v[4:5], v[6:7], v[120:121] op_sel:[1,1] op_sel_hi:[0,1]
	v_pk_fma_f32 v[18:19], v[6:7], v[120:121], v[4:5] neg_lo:[0,0,1] neg_hi:[0,0,1]
	v_pk_fma_f32 v[4:5], v[6:7], v[120:121], v[4:5] op_sel_hi:[1,0,1]
	v_pk_add_f32 v[2:3], v[2:3], v[20:21]
	v_mov_b32_e32 v4, v123
	v_mov_b32_e32 v19, v5
	v_pk_mul_f32 v[4:5], v[8:9], v[4:5] op_sel:[1,0] op_sel_hi:[0,0]
	v_pk_fma_f32 v[6:7], v[8:9], v[122:123], v[4:5] neg_lo:[0,0,1] neg_hi:[0,0,1]
	v_pk_fma_f32 v[4:5], v[8:9], v[122:123], v[4:5] op_sel_hi:[1,0,1]
	v_pk_add_f32 v[2:3], v[2:3], v[18:19]
	v_mov_b32_e32 v7, v5
	s_waitcnt vmcnt(1) lgkmcnt(1)
	v_pk_mul_f32 v[4:5], v[10:11], v[124:125] op_sel:[1,1] op_sel_hi:[0,1]
	v_pk_add_f32 v[2:3], v[2:3], v[6:7]
	v_pk_fma_f32 v[6:7], v[10:11], v[124:125], v[4:5] neg_lo:[0,0,1] neg_hi:[0,0,1]
	v_pk_fma_f32 v[4:5], v[10:11], v[124:125], v[4:5] op_sel_hi:[1,0,1]
	s_nop 0
	v_mov_b32_e32 v4, v127
	v_mov_b32_e32 v7, v5
	v_pk_mul_f32 v[4:5], v[12:13], v[4:5] op_sel:[1,0] op_sel_hi:[0,0]
	v_pk_add_f32 v[2:3], v[2:3], v[6:7]
	v_pk_fma_f32 v[6:7], v[12:13], v[126:127], v[4:5] neg_lo:[0,0,1] neg_hi:[0,0,1]
	v_pk_fma_f32 v[4:5], v[12:13], v[126:127], v[4:5] op_sel_hi:[1,0,1]
	s_nop 0
	v_mov_b32_e32 v7, v5
	s_waitcnt vmcnt(0) lgkmcnt(0)
	v_pk_mul_f32 v[4:5], v[14:15], v[128:129] op_sel:[1,1] op_sel_hi:[0,1]
	v_pk_add_f32 v[2:3], v[2:3], v[6:7]
	v_pk_fma_f32 v[6:7], v[14:15], v[128:129], v[4:5] neg_lo:[0,0,1] neg_hi:[0,0,1]
	v_pk_fma_f32 v[4:5], v[14:15], v[128:129], v[4:5] op_sel_hi:[1,0,1]
	s_nop 0
	v_mov_b32_e32 v4, v131
	v_mov_b32_e32 v7, v5
	v_pk_mul_f32 v[4:5], v[16:17], v[4:5] op_sel:[1,0] op_sel_hi:[0,0]
	v_pk_add_f32 v[2:3], v[2:3], v[6:7]
	v_pk_fma_f32 v[6:7], v[16:17], v[130:131], v[4:5] neg_lo:[0,0,1] neg_hi:[0,0,1]
	v_pk_fma_f32 v[4:5], v[16:17], v[130:131], v[4:5] op_sel_hi:[1,0,1]
	s_nop 0
	v_mov_b32_e32 v7, v5
	v_pk_add_f32 v[2:3], v[2:3], v[6:7]
	s_nop 0
	v_pk_add_f32 v[2:3], v[132:133], v[2:3] neg_lo:[0,1] neg_hi:[0,1]
	scratch_store_dwordx2 off, v[2:3], off offset:80
	s_and_saveexec_b64 s[0:1], vcc
	s_cbranch_execz .LBB46_277
; %bb.276:
	scratch_load_dwordx2 v[2:3], off, off offset:72
	v_mov_b32_e32 v4, 0
	v_mov_b32_e32 v5, v4
	scratch_store_dwordx2 off, v[4:5], off offset:72
	s_waitcnt vmcnt(1)
	ds_write_b64 v1, v[2:3]
.LBB46_277:
	s_or_b64 exec, exec, s[0:1]
	s_waitcnt lgkmcnt(0)
	; wave barrier
	scratch_load_dwordx4 v[2:5], off, off offset:80
	scratch_load_dwordx4 v[6:9], off, off offset:96
	;; [unrolled: 1-line block ×15, first 2 shown]
	scratch_load_dwordx2 v[140:141], off, off offset:72
	v_mov_b32_e32 v118, 0
	ds_read_b128 v[62:65], v118 offset:464
	ds_read_b128 v[66:69], v118 offset:480
	;; [unrolled: 1-line block ×14, first 2 shown]
	v_cmp_lt_u32_e32 vcc, 8, v0
	s_waitcnt vmcnt(15) lgkmcnt(13)
	v_mul_f32_e32 v119, v62, v3
	v_mul_f32_e32 v120, v64, v5
	v_fmac_f32_e32 v119, v63, v2
	s_waitcnt vmcnt(14) lgkmcnt(12)
	v_mul_f32_e32 v121, v66, v7
	v_fmac_f32_e32 v120, v65, v4
	v_add_f32_e32 v119, 0, v119
	v_mul_f32_e32 v122, v68, v9
	v_fmac_f32_e32 v121, v67, v6
	v_add_f32_e32 v119, v119, v120
	s_waitcnt vmcnt(13) lgkmcnt(11)
	v_mul_f32_e32 v123, v70, v11
	v_fmac_f32_e32 v122, v69, v8
	v_add_f32_e32 v119, v119, v121
	v_mul_f32_e32 v124, v72, v13
	v_fmac_f32_e32 v123, v71, v10
	v_add_f32_e32 v119, v119, v122
	;; [unrolled: 7-line block ×11, first 2 shown]
	s_waitcnt vmcnt(3) lgkmcnt(1)
	v_mul_f32_e32 v145, v110, v51
	v_fmac_f32_e32 v144, v109, v48
	v_add_f32_e32 v119, v119, v143
	v_add_f32_e32 v119, v119, v144
	v_fmac_f32_e32 v145, v111, v50
	v_mul_f32_e32 v120, v112, v53
	v_add_f32_e32 v119, v119, v145
	v_fmac_f32_e32 v120, v113, v52
	s_waitcnt vmcnt(2) lgkmcnt(0)
	v_mul_f32_e32 v124, v114, v55
	v_add_f32_e32 v119, v119, v120
	v_fmac_f32_e32 v124, v115, v54
	ds_read_b128 v[120:123], v118 offset:688
	v_add_f32_e32 v143, v119, v124
	ds_read_b128 v[124:127], v118 offset:704
	scratch_load_dwordx4 v[128:131], off, off offset:320
	scratch_load_dwordx4 v[132:135], off, off offset:336
	;; [unrolled: 1-line block ×3, first 2 shown]
	scratch_load_dwordx2 v[148:149], off, off offset:368
	v_mul_f32_e32 v3, v63, v3
	v_fma_f32 v2, v62, v2, -v3
	v_mul_f32_e32 v3, v65, v5
	v_add_f32_e32 v2, 0, v2
	v_fma_f32 v3, v64, v4, -v3
	v_add_f32_e32 v2, v2, v3
	v_mul_f32_e32 v3, v67, v7
	v_fma_f32 v3, v66, v6, -v3
	v_add_f32_e32 v2, v2, v3
	v_mul_f32_e32 v3, v69, v9
	;; [unrolled: 3-line block ×25, first 2 shown]
	v_fma_f32 v3, v114, v54, -v3
	v_mul_f32_e32 v145, v116, v57
	v_add_f32_e32 v142, v2, v3
	v_mul_f32_e32 v2, v117, v57
	s_waitcnt vmcnt(5)
	v_mov_b32_e32 v14, v61
	v_fmac_f32_e32 v145, v117, v56
	s_waitcnt lgkmcnt(1)
	v_mul_f32_e32 v147, v120, v59
	v_fma_f32 v144, v116, v56, -v2
	v_mul_f32_e32 v2, v121, v59
	v_pk_mul_f32 v[14:15], v[122:123], v[14:15] op_sel:[1,0] op_sel_hi:[0,0]
	v_fmac_f32_e32 v147, v121, v58
	v_fma_f32 v146, v120, v58, -v2
	v_pk_add_f32 v[12:13], v[142:143], v[144:145]
	v_pk_fma_f32 v[16:17], v[122:123], v[60:61], v[14:15] neg_lo:[0,0,1] neg_hi:[0,0,1]
	v_pk_fma_f32 v[14:15], v[122:123], v[60:61], v[14:15] op_sel_hi:[1,0,1]
	v_pk_add_f32 v[12:13], v[12:13], v[146:147]
	v_mov_b32_e32 v17, v15
	s_waitcnt vmcnt(3) lgkmcnt(0)
	v_pk_mul_f32 v[14:15], v[124:125], v[128:129] op_sel:[1,1] op_sel_hi:[0,1]
	v_pk_add_f32 v[12:13], v[12:13], v[16:17]
	v_pk_fma_f32 v[16:17], v[124:125], v[128:129], v[14:15] neg_lo:[0,0,1] neg_hi:[0,0,1]
	v_pk_fma_f32 v[14:15], v[124:125], v[128:129], v[14:15] op_sel_hi:[1,0,1]
	ds_read_b128 v[2:5], v118 offset:720
	ds_read_b128 v[6:9], v118 offset:736
	ds_read_b64 v[10:11], v118 offset:752
	v_mov_b32_e32 v14, v131
	v_mov_b32_e32 v17, v15
	v_pk_mul_f32 v[14:15], v[126:127], v[14:15] op_sel:[1,0] op_sel_hi:[0,0]
	v_pk_add_f32 v[12:13], v[12:13], v[16:17]
	v_pk_fma_f32 v[16:17], v[126:127], v[130:131], v[14:15] neg_lo:[0,0,1] neg_hi:[0,0,1]
	v_pk_fma_f32 v[14:15], v[126:127], v[130:131], v[14:15] op_sel_hi:[1,0,1]
	s_nop 0
	v_mov_b32_e32 v17, v15
	s_waitcnt vmcnt(2) lgkmcnt(2)
	v_pk_mul_f32 v[14:15], v[2:3], v[132:133] op_sel:[1,1] op_sel_hi:[0,1]
	v_pk_add_f32 v[12:13], v[12:13], v[16:17]
	v_pk_fma_f32 v[16:17], v[2:3], v[132:133], v[14:15] neg_lo:[0,0,1] neg_hi:[0,0,1]
	v_pk_fma_f32 v[2:3], v[2:3], v[132:133], v[14:15] op_sel_hi:[1,0,1]
	s_nop 0
	v_mov_b32_e32 v17, v3
	v_pk_add_f32 v[2:3], v[12:13], v[16:17]
	v_mov_b32_e32 v12, v135
	v_pk_mul_f32 v[12:13], v[4:5], v[12:13] op_sel:[1,0] op_sel_hi:[0,0]
	v_pk_fma_f32 v[14:15], v[4:5], v[134:135], v[12:13] neg_lo:[0,0,1] neg_hi:[0,0,1]
	v_pk_fma_f32 v[4:5], v[4:5], v[134:135], v[12:13] op_sel_hi:[1,0,1]
	s_nop 0
	v_mov_b32_e32 v15, v5
	s_waitcnt vmcnt(1) lgkmcnt(1)
	v_pk_mul_f32 v[4:5], v[6:7], v[136:137] op_sel:[1,1] op_sel_hi:[0,1]
	v_pk_fma_f32 v[12:13], v[6:7], v[136:137], v[4:5] neg_lo:[0,0,1] neg_hi:[0,0,1]
	v_pk_fma_f32 v[4:5], v[6:7], v[136:137], v[4:5] op_sel_hi:[1,0,1]
	v_pk_add_f32 v[2:3], v[2:3], v[14:15]
	v_mov_b32_e32 v4, v139
	v_mov_b32_e32 v13, v5
	v_pk_mul_f32 v[4:5], v[8:9], v[4:5] op_sel:[1,0] op_sel_hi:[0,0]
	v_pk_fma_f32 v[6:7], v[8:9], v[138:139], v[4:5] neg_lo:[0,0,1] neg_hi:[0,0,1]
	v_pk_fma_f32 v[4:5], v[8:9], v[138:139], v[4:5] op_sel_hi:[1,0,1]
	v_pk_add_f32 v[2:3], v[2:3], v[12:13]
	v_mov_b32_e32 v7, v5
	s_waitcnt vmcnt(0) lgkmcnt(0)
	v_pk_mul_f32 v[4:5], v[10:11], v[148:149] op_sel:[1,1] op_sel_hi:[0,1]
	v_pk_add_f32 v[2:3], v[2:3], v[6:7]
	v_pk_fma_f32 v[6:7], v[10:11], v[148:149], v[4:5] neg_lo:[0,0,1] neg_hi:[0,0,1]
	v_pk_fma_f32 v[4:5], v[10:11], v[148:149], v[4:5] op_sel_hi:[1,0,1]
	s_nop 0
	v_mov_b32_e32 v7, v5
	v_pk_add_f32 v[2:3], v[2:3], v[6:7]
	s_nop 0
	v_pk_add_f32 v[2:3], v[140:141], v[2:3] neg_lo:[0,1] neg_hi:[0,1]
	scratch_store_dwordx2 off, v[2:3], off offset:72
	s_and_saveexec_b64 s[0:1], vcc
	s_cbranch_execz .LBB46_279
; %bb.278:
	scratch_load_dwordx2 v[2:3], off, off offset:64
	v_mov_b32_e32 v119, v118
	scratch_store_dwordx2 off, v[118:119], off offset:64
	s_waitcnt vmcnt(1)
	ds_write_b64 v1, v[2:3]
.LBB46_279:
	s_or_b64 exec, exec, s[0:1]
	s_waitcnt lgkmcnt(0)
	; wave barrier
	scratch_load_dwordx4 v[2:5], off, off offset:72
	scratch_load_dwordx4 v[6:9], off, off offset:88
	scratch_load_dwordx4 v[10:13], off, off offset:104
	scratch_load_dwordx4 v[14:17], off, off offset:120
	scratch_load_dwordx4 v[18:21], off, off offset:136
	scratch_load_dwordx4 v[22:25], off, off offset:152
	scratch_load_dwordx4 v[26:29], off, off offset:168
	scratch_load_dwordx4 v[30:33], off, off offset:184
	scratch_load_dwordx4 v[34:37], off, off offset:200
	scratch_load_dwordx4 v[38:41], off, off offset:216
	scratch_load_dwordx4 v[42:45], off, off offset:232
	scratch_load_dwordx4 v[46:49], off, off offset:248
	scratch_load_dwordx4 v[50:53], off, off offset:264
	ds_read2_b64 v[114:117], v118 offset0:57 offset1:58
	ds_read2_b64 v[110:113], v118 offset0:59 offset1:60
	;; [unrolled: 1-line block ×14, first 2 shown]
	scratch_load_dwordx4 v[62:65], off, off offset:280
	scratch_load_dwordx4 v[70:73], off, off offset:296
	scratch_load_dwordx2 v[144:145], off, off offset:64
	v_cmp_lt_u32_e32 vcc, 7, v0
	s_waitcnt vmcnt(15) lgkmcnt(13)
	v_mul_f32_e32 v119, v114, v3
	v_mul_f32_e32 v120, v116, v5
	v_fmac_f32_e32 v119, v115, v2
	s_waitcnt vmcnt(14) lgkmcnt(12)
	v_mul_f32_e32 v121, v110, v7
	v_fmac_f32_e32 v120, v117, v4
	v_add_f32_e32 v119, 0, v119
	v_mul_f32_e32 v122, v112, v9
	v_fmac_f32_e32 v121, v111, v6
	v_add_f32_e32 v119, v119, v120
	s_waitcnt vmcnt(13) lgkmcnt(11)
	v_mul_f32_e32 v123, v106, v11
	v_fmac_f32_e32 v122, v113, v8
	v_add_f32_e32 v119, v119, v121
	v_mul_f32_e32 v124, v108, v13
	v_fmac_f32_e32 v123, v107, v10
	v_add_f32_e32 v119, v119, v122
	;; [unrolled: 7-line block ×11, first 2 shown]
	s_waitcnt vmcnt(3) lgkmcnt(1)
	v_mul_f32_e32 v143, v54, v51
	v_fmac_f32_e32 v142, v69, v48
	v_add_f32_e32 v119, v119, v141
	v_fmac_f32_e32 v143, v55, v50
	v_add_f32_e32 v119, v119, v142
	v_mul_f32_e32 v120, v56, v53
	v_add_f32_e32 v119, v119, v143
	v_fmac_f32_e32 v120, v57, v52
	v_add_f32_e32 v119, v119, v120
	s_waitcnt vmcnt(2) lgkmcnt(0)
	v_mul_f32_e32 v120, v58, v63
	v_fmac_f32_e32 v120, v59, v62
	v_mul_f32_e32 v124, v60, v65
	v_add_f32_e32 v119, v119, v120
	v_fmac_f32_e32 v124, v61, v64
	ds_read2_b64 v[120:123], v118 offset0:85 offset1:86
	v_add_f32_e32 v147, v119, v124
	ds_read2_b64 v[124:127], v118 offset0:87 offset1:88
	scratch_load_dwordx4 v[128:131], off, off offset:312
	scratch_load_dwordx4 v[132:135], off, off offset:328
	scratch_load_dwordx4 v[136:139], off, off offset:344
	scratch_load_dwordx4 v[140:143], off, off offset:360
	v_mul_f32_e32 v3, v115, v3
	v_fma_f32 v2, v114, v2, -v3
	v_mul_f32_e32 v3, v117, v5
	v_add_f32_e32 v2, 0, v2
	v_fma_f32 v3, v116, v4, -v3
	v_add_f32_e32 v2, v2, v3
	v_mul_f32_e32 v3, v111, v7
	v_fma_f32 v3, v110, v6, -v3
	v_add_f32_e32 v2, v2, v3
	v_mul_f32_e32 v3, v113, v9
	;; [unrolled: 3-line block ×26, first 2 shown]
	v_fma_f32 v3, v60, v64, -v3
	s_waitcnt vmcnt(5) lgkmcnt(1)
	v_mul_f32_e32 v149, v120, v71
	v_add_f32_e32 v146, v2, v3
	v_mul_f32_e32 v2, v121, v71
	s_waitcnt vmcnt(3) lgkmcnt(0)
	v_pk_mul_f32 v[16:17], v[124:125], v[128:129] op_sel:[1,1] op_sel_hi:[0,1]
	v_fmac_f32_e32 v149, v121, v70
	v_mul_f32_e32 v151, v122, v73
	v_fma_f32 v148, v120, v70, -v2
	v_mul_f32_e32 v2, v123, v73
	v_pk_fma_f32 v[18:19], v[124:125], v[128:129], v[16:17] neg_lo:[0,0,1] neg_hi:[0,0,1]
	v_pk_fma_f32 v[16:17], v[124:125], v[128:129], v[16:17] op_sel_hi:[1,0,1]
	v_fmac_f32_e32 v151, v123, v72
	v_fma_f32 v150, v122, v72, -v2
	ds_read2_b64 v[2:5], v118 offset0:89 offset1:90
	ds_read2_b64 v[6:9], v118 offset0:91 offset1:92
	;; [unrolled: 1-line block ×3, first 2 shown]
	v_pk_add_f32 v[14:15], v[146:147], v[148:149]
	v_mov_b32_e32 v16, v131
	v_pk_add_f32 v[14:15], v[14:15], v[150:151]
	v_mov_b32_e32 v19, v17
	v_pk_mul_f32 v[16:17], v[126:127], v[16:17] op_sel:[1,0] op_sel_hi:[0,0]
	v_pk_add_f32 v[14:15], v[14:15], v[18:19]
	v_pk_fma_f32 v[18:19], v[126:127], v[130:131], v[16:17] neg_lo:[0,0,1] neg_hi:[0,0,1]
	v_pk_fma_f32 v[16:17], v[126:127], v[130:131], v[16:17] op_sel_hi:[1,0,1]
	s_nop 0
	v_mov_b32_e32 v19, v17
	s_waitcnt vmcnt(2) lgkmcnt(2)
	v_pk_mul_f32 v[16:17], v[2:3], v[132:133] op_sel:[1,1] op_sel_hi:[0,1]
	v_pk_add_f32 v[14:15], v[14:15], v[18:19]
	v_pk_fma_f32 v[18:19], v[2:3], v[132:133], v[16:17] neg_lo:[0,0,1] neg_hi:[0,0,1]
	v_pk_fma_f32 v[2:3], v[2:3], v[132:133], v[16:17] op_sel_hi:[1,0,1]
	s_nop 0
	v_mov_b32_e32 v19, v3
	v_pk_add_f32 v[2:3], v[14:15], v[18:19]
	v_mov_b32_e32 v14, v135
	v_pk_mul_f32 v[14:15], v[4:5], v[14:15] op_sel:[1,0] op_sel_hi:[0,0]
	v_pk_fma_f32 v[16:17], v[4:5], v[134:135], v[14:15] neg_lo:[0,0,1] neg_hi:[0,0,1]
	v_pk_fma_f32 v[4:5], v[4:5], v[134:135], v[14:15] op_sel_hi:[1,0,1]
	s_nop 0
	v_mov_b32_e32 v17, v5
	s_waitcnt vmcnt(1) lgkmcnt(1)
	v_pk_mul_f32 v[4:5], v[6:7], v[136:137] op_sel:[1,1] op_sel_hi:[0,1]
	v_pk_fma_f32 v[14:15], v[6:7], v[136:137], v[4:5] neg_lo:[0,0,1] neg_hi:[0,0,1]
	v_pk_fma_f32 v[4:5], v[6:7], v[136:137], v[4:5] op_sel_hi:[1,0,1]
	v_pk_add_f32 v[2:3], v[2:3], v[16:17]
	v_mov_b32_e32 v4, v139
	v_mov_b32_e32 v15, v5
	v_pk_mul_f32 v[4:5], v[8:9], v[4:5] op_sel:[1,0] op_sel_hi:[0,0]
	v_pk_fma_f32 v[6:7], v[8:9], v[138:139], v[4:5] neg_lo:[0,0,1] neg_hi:[0,0,1]
	v_pk_fma_f32 v[4:5], v[8:9], v[138:139], v[4:5] op_sel_hi:[1,0,1]
	v_pk_add_f32 v[2:3], v[2:3], v[14:15]
	v_mov_b32_e32 v7, v5
	s_waitcnt vmcnt(0) lgkmcnt(0)
	v_pk_mul_f32 v[4:5], v[10:11], v[140:141] op_sel:[1,1] op_sel_hi:[0,1]
	v_pk_add_f32 v[2:3], v[2:3], v[6:7]
	v_pk_fma_f32 v[6:7], v[10:11], v[140:141], v[4:5] neg_lo:[0,0,1] neg_hi:[0,0,1]
	v_pk_fma_f32 v[4:5], v[10:11], v[140:141], v[4:5] op_sel_hi:[1,0,1]
	s_nop 0
	v_mov_b32_e32 v4, v143
	v_mov_b32_e32 v7, v5
	v_pk_mul_f32 v[4:5], v[12:13], v[4:5] op_sel:[1,0] op_sel_hi:[0,0]
	v_pk_add_f32 v[2:3], v[2:3], v[6:7]
	v_pk_fma_f32 v[6:7], v[12:13], v[142:143], v[4:5] neg_lo:[0,0,1] neg_hi:[0,0,1]
	v_pk_fma_f32 v[4:5], v[12:13], v[142:143], v[4:5] op_sel_hi:[1,0,1]
	s_nop 0
	v_mov_b32_e32 v7, v5
	v_pk_add_f32 v[2:3], v[2:3], v[6:7]
	s_nop 0
	v_pk_add_f32 v[2:3], v[144:145], v[2:3] neg_lo:[0,1] neg_hi:[0,1]
	scratch_store_dwordx2 off, v[2:3], off offset:64
	s_and_saveexec_b64 s[0:1], vcc
	s_cbranch_execz .LBB46_281
; %bb.280:
	scratch_load_dwordx2 v[2:3], off, off offset:56
	v_mov_b32_e32 v4, 0
	v_mov_b32_e32 v5, v4
	scratch_store_dwordx2 off, v[4:5], off offset:56
	s_waitcnt vmcnt(1)
	ds_write_b64 v1, v[2:3]
.LBB46_281:
	s_or_b64 exec, exec, s[0:1]
	s_waitcnt lgkmcnt(0)
	; wave barrier
	scratch_load_dwordx4 v[2:5], off, off offset:64
	scratch_load_dwordx4 v[6:9], off, off offset:80
	;; [unrolled: 1-line block ×16, first 2 shown]
	scratch_load_dwordx2 v[144:145], off, off offset:56
	v_mov_b32_e32 v122, 0
	ds_read_b128 v[66:69], v122 offset:448
	ds_read_b128 v[70:73], v122 offset:464
	;; [unrolled: 1-line block ×14, first 2 shown]
	v_cmp_lt_u32_e32 vcc, 6, v0
	s_waitcnt vmcnt(16) lgkmcnt(13)
	v_mul_f32_e32 v123, v66, v3
	v_mul_f32_e32 v124, v68, v5
	v_fmac_f32_e32 v123, v67, v2
	s_waitcnt vmcnt(15) lgkmcnt(12)
	v_mul_f32_e32 v125, v70, v7
	v_fmac_f32_e32 v124, v69, v4
	v_add_f32_e32 v123, 0, v123
	v_mul_f32_e32 v126, v72, v9
	v_fmac_f32_e32 v125, v71, v6
	v_add_f32_e32 v123, v123, v124
	s_waitcnt vmcnt(14) lgkmcnt(11)
	v_mul_f32_e32 v127, v74, v11
	v_fmac_f32_e32 v126, v73, v8
	v_add_f32_e32 v123, v123, v125
	v_mul_f32_e32 v128, v76, v13
	v_fmac_f32_e32 v127, v75, v10
	v_add_f32_e32 v123, v123, v126
	;; [unrolled: 7-line block ×11, first 2 shown]
	v_fmac_f32_e32 v148, v113, v48
	v_add_f32_e32 v123, v123, v147
	s_waitcnt vmcnt(4) lgkmcnt(1)
	v_mul_f32_e32 v124, v114, v51
	v_add_f32_e32 v123, v123, v148
	v_fmac_f32_e32 v124, v115, v50
	v_add_f32_e32 v123, v123, v124
	v_mul_f32_e32 v124, v116, v53
	v_fmac_f32_e32 v124, v117, v52
	v_add_f32_e32 v123, v123, v124
	s_waitcnt vmcnt(3) lgkmcnt(0)
	v_mul_f32_e32 v124, v118, v55
	v_fmac_f32_e32 v124, v119, v54
	v_add_f32_e32 v123, v123, v124
	ds_read_b128 v[124:127], v122 offset:672
	v_mul_f32_e32 v128, v120, v57
	v_fmac_f32_e32 v128, v121, v56
	v_add_f32_e32 v123, v123, v128
	ds_read_b128 v[128:131], v122 offset:688
	s_waitcnt vmcnt(2) lgkmcnt(1)
	v_mul_f32_e32 v132, v124, v63
	v_fmac_f32_e32 v132, v125, v62
	v_add_f32_e32 v147, v123, v132
	scratch_load_dwordx4 v[132:135], off, off offset:320
	scratch_load_dwordx4 v[136:139], off, off offset:336
	;; [unrolled: 1-line block ×3, first 2 shown]
	scratch_load_dwordx2 v[152:153], off, off offset:368
	v_mul_f32_e32 v3, v67, v3
	v_fma_f32 v2, v66, v2, -v3
	v_mul_f32_e32 v3, v69, v5
	v_add_f32_e32 v2, 0, v2
	v_fma_f32 v3, v68, v4, -v3
	v_add_f32_e32 v2, v2, v3
	v_mul_f32_e32 v3, v71, v7
	v_fma_f32 v3, v70, v6, -v3
	v_add_f32_e32 v2, v2, v3
	v_mul_f32_e32 v3, v73, v9
	;; [unrolled: 3-line block ×28, first 2 shown]
	v_mul_f32_e32 v149, v126, v65
	v_fma_f32 v148, v126, v64, -v2
	s_waitcnt vmcnt(5) lgkmcnt(0)
	v_mul_f32_e32 v2, v129, v59
	v_mov_b32_e32 v18, v61
	v_fmac_f32_e32 v149, v127, v64
	v_mul_f32_e32 v151, v128, v59
	v_fma_f32 v150, v128, v58, -v2
	ds_read_b128 v[2:5], v122 offset:704
	ds_read_b128 v[6:9], v122 offset:720
	;; [unrolled: 1-line block ×3, first 2 shown]
	ds_read_b64 v[14:15], v122 offset:752
	v_pk_mul_f32 v[18:19], v[130:131], v[18:19] op_sel:[1,0] op_sel_hi:[0,0]
	v_fmac_f32_e32 v151, v129, v58
	v_pk_add_f32 v[16:17], v[146:147], v[148:149]
	v_pk_fma_f32 v[20:21], v[130:131], v[60:61], v[18:19] neg_lo:[0,0,1] neg_hi:[0,0,1]
	v_pk_fma_f32 v[18:19], v[130:131], v[60:61], v[18:19] op_sel_hi:[1,0,1]
	v_pk_add_f32 v[16:17], v[16:17], v[150:151]
	v_mov_b32_e32 v21, v19
	s_waitcnt vmcnt(3) lgkmcnt(3)
	v_pk_mul_f32 v[18:19], v[2:3], v[132:133] op_sel:[1,1] op_sel_hi:[0,1]
	v_pk_add_f32 v[16:17], v[16:17], v[20:21]
	v_pk_fma_f32 v[20:21], v[2:3], v[132:133], v[18:19] neg_lo:[0,0,1] neg_hi:[0,0,1]
	v_pk_fma_f32 v[2:3], v[2:3], v[132:133], v[18:19] op_sel_hi:[1,0,1]
	s_nop 0
	v_mov_b32_e32 v21, v3
	v_pk_add_f32 v[2:3], v[16:17], v[20:21]
	v_mov_b32_e32 v16, v135
	v_pk_mul_f32 v[16:17], v[4:5], v[16:17] op_sel:[1,0] op_sel_hi:[0,0]
	v_pk_fma_f32 v[18:19], v[4:5], v[134:135], v[16:17] neg_lo:[0,0,1] neg_hi:[0,0,1]
	v_pk_fma_f32 v[4:5], v[4:5], v[134:135], v[16:17] op_sel_hi:[1,0,1]
	s_nop 0
	v_mov_b32_e32 v19, v5
	s_waitcnt vmcnt(2) lgkmcnt(2)
	v_pk_mul_f32 v[4:5], v[6:7], v[136:137] op_sel:[1,1] op_sel_hi:[0,1]
	v_pk_fma_f32 v[16:17], v[6:7], v[136:137], v[4:5] neg_lo:[0,0,1] neg_hi:[0,0,1]
	v_pk_fma_f32 v[4:5], v[6:7], v[136:137], v[4:5] op_sel_hi:[1,0,1]
	v_pk_add_f32 v[2:3], v[2:3], v[18:19]
	v_mov_b32_e32 v4, v139
	v_mov_b32_e32 v17, v5
	v_pk_mul_f32 v[4:5], v[8:9], v[4:5] op_sel:[1,0] op_sel_hi:[0,0]
	v_pk_fma_f32 v[6:7], v[8:9], v[138:139], v[4:5] neg_lo:[0,0,1] neg_hi:[0,0,1]
	v_pk_fma_f32 v[4:5], v[8:9], v[138:139], v[4:5] op_sel_hi:[1,0,1]
	v_pk_add_f32 v[2:3], v[2:3], v[16:17]
	v_mov_b32_e32 v7, v5
	s_waitcnt vmcnt(1) lgkmcnt(1)
	v_pk_mul_f32 v[4:5], v[10:11], v[140:141] op_sel:[1,1] op_sel_hi:[0,1]
	v_pk_add_f32 v[2:3], v[2:3], v[6:7]
	v_pk_fma_f32 v[6:7], v[10:11], v[140:141], v[4:5] neg_lo:[0,0,1] neg_hi:[0,0,1]
	v_pk_fma_f32 v[4:5], v[10:11], v[140:141], v[4:5] op_sel_hi:[1,0,1]
	s_nop 0
	v_mov_b32_e32 v4, v143
	v_mov_b32_e32 v7, v5
	v_pk_mul_f32 v[4:5], v[12:13], v[4:5] op_sel:[1,0] op_sel_hi:[0,0]
	v_pk_add_f32 v[2:3], v[2:3], v[6:7]
	v_pk_fma_f32 v[6:7], v[12:13], v[142:143], v[4:5] neg_lo:[0,0,1] neg_hi:[0,0,1]
	v_pk_fma_f32 v[4:5], v[12:13], v[142:143], v[4:5] op_sel_hi:[1,0,1]
	s_nop 0
	v_mov_b32_e32 v7, v5
	s_waitcnt vmcnt(0) lgkmcnt(0)
	v_pk_mul_f32 v[4:5], v[14:15], v[152:153] op_sel:[1,1] op_sel_hi:[0,1]
	v_pk_add_f32 v[2:3], v[2:3], v[6:7]
	v_pk_fma_f32 v[6:7], v[14:15], v[152:153], v[4:5] neg_lo:[0,0,1] neg_hi:[0,0,1]
	v_pk_fma_f32 v[4:5], v[14:15], v[152:153], v[4:5] op_sel_hi:[1,0,1]
	s_nop 0
	v_mov_b32_e32 v7, v5
	v_pk_add_f32 v[2:3], v[2:3], v[6:7]
	s_nop 0
	v_pk_add_f32 v[2:3], v[144:145], v[2:3] neg_lo:[0,1] neg_hi:[0,1]
	scratch_store_dwordx2 off, v[2:3], off offset:56
	s_and_saveexec_b64 s[0:1], vcc
	s_cbranch_execz .LBB46_283
; %bb.282:
	scratch_load_dwordx2 v[2:3], off, off offset:48
	v_mov_b32_e32 v123, v122
	scratch_store_dwordx2 off, v[122:123], off offset:48
	s_waitcnt vmcnt(1)
	ds_write_b64 v1, v[2:3]
.LBB46_283:
	s_or_b64 exec, exec, s[0:1]
	s_waitcnt lgkmcnt(0)
	; wave barrier
	scratch_load_dwordx4 v[2:5], off, off offset:56
	scratch_load_dwordx4 v[6:9], off, off offset:72
	;; [unrolled: 1-line block ×13, first 2 shown]
	ds_read2_b64 v[118:121], v122 offset0:55 offset1:56
	ds_read2_b64 v[114:117], v122 offset0:57 offset1:58
	;; [unrolled: 1-line block ×14, first 2 shown]
	scratch_load_dwordx4 v[62:65], off, off offset:264
	scratch_load_dwordx4 v[70:73], off, off offset:280
	;; [unrolled: 1-line block ×3, first 2 shown]
	scratch_load_dwordx2 v[148:149], off, off offset:48
	v_cmp_lt_u32_e32 vcc, 5, v0
	s_waitcnt vmcnt(16) lgkmcnt(13)
	v_mul_f32_e32 v123, v118, v3
	v_mul_f32_e32 v124, v120, v5
	v_fmac_f32_e32 v123, v119, v2
	s_waitcnt vmcnt(15) lgkmcnt(12)
	v_mul_f32_e32 v125, v114, v7
	v_fmac_f32_e32 v124, v121, v4
	v_add_f32_e32 v123, 0, v123
	v_mul_f32_e32 v126, v116, v9
	v_fmac_f32_e32 v125, v115, v6
	v_add_f32_e32 v123, v123, v124
	s_waitcnt vmcnt(14) lgkmcnt(11)
	v_mul_f32_e32 v127, v110, v11
	v_fmac_f32_e32 v126, v117, v8
	v_add_f32_e32 v123, v123, v125
	v_mul_f32_e32 v128, v112, v13
	v_fmac_f32_e32 v127, v111, v10
	v_add_f32_e32 v123, v123, v126
	;; [unrolled: 7-line block ×11, first 2 shown]
	s_waitcnt vmcnt(4) lgkmcnt(1)
	v_mul_f32_e32 v147, v54, v51
	v_fmac_f32_e32 v146, v69, v48
	v_add_f32_e32 v123, v123, v145
	v_add_f32_e32 v123, v123, v146
	v_fmac_f32_e32 v147, v55, v50
	v_mul_f32_e32 v124, v56, v53
	v_add_f32_e32 v123, v123, v147
	v_fmac_f32_e32 v124, v57, v52
	v_add_f32_e32 v123, v123, v124
	s_waitcnt vmcnt(3) lgkmcnt(0)
	v_mul_f32_e32 v124, v58, v63
	v_fmac_f32_e32 v124, v59, v62
	v_add_f32_e32 v123, v123, v124
	ds_read2_b64 v[124:127], v122 offset0:83 offset1:84
	v_mul_f32_e32 v128, v60, v65
	v_fmac_f32_e32 v128, v61, v64
	v_add_f32_e32 v123, v123, v128
	ds_read2_b64 v[128:131], v122 offset0:85 offset1:86
	s_waitcnt vmcnt(2) lgkmcnt(1)
	v_mul_f32_e32 v132, v124, v71
	v_fmac_f32_e32 v132, v125, v70
	v_add_f32_e32 v123, v123, v132
	v_mul_f32_e32 v132, v126, v73
	v_fmac_f32_e32 v132, v127, v72
	v_add_f32_e32 v151, v123, v132
	scratch_load_dwordx4 v[132:135], off, off offset:312
	scratch_load_dwordx4 v[136:139], off, off offset:328
	;; [unrolled: 1-line block ×4, first 2 shown]
	v_mul_f32_e32 v3, v119, v3
	v_fma_f32 v2, v118, v2, -v3
	v_mul_f32_e32 v3, v121, v5
	v_add_f32_e32 v2, 0, v2
	v_fma_f32 v3, v120, v4, -v3
	v_add_f32_e32 v2, v2, v3
	v_mul_f32_e32 v3, v115, v7
	v_fma_f32 v3, v114, v6, -v3
	v_add_f32_e32 v2, v2, v3
	v_mul_f32_e32 v3, v117, v9
	;; [unrolled: 3-line block ×28, first 2 shown]
	v_fma_f32 v3, v126, v72, -v3
	v_add_f32_e32 v150, v2, v3
	s_waitcnt vmcnt(5) lgkmcnt(0)
	v_mul_f32_e32 v2, v129, v79
	v_fma_f32 v152, v128, v78, -v2
	v_mul_f32_e32 v2, v131, v81
	v_fma_f32 v154, v130, v80, -v2
	ds_read2_b64 v[2:5], v122 offset0:87 offset1:88
	ds_read2_b64 v[6:9], v122 offset0:89 offset1:90
	;; [unrolled: 1-line block ×4, first 2 shown]
	v_mul_f32_e32 v153, v128, v79
	v_fmac_f32_e32 v153, v129, v78
	v_mul_f32_e32 v155, v130, v81
	s_waitcnt vmcnt(3) lgkmcnt(3)
	v_pk_mul_f32 v[20:21], v[2:3], v[132:133] op_sel:[1,1] op_sel_hi:[0,1]
	v_fmac_f32_e32 v155, v131, v80
	v_pk_add_f32 v[18:19], v[150:151], v[152:153]
	v_pk_fma_f32 v[22:23], v[2:3], v[132:133], v[20:21] neg_lo:[0,0,1] neg_hi:[0,0,1]
	v_pk_fma_f32 v[2:3], v[2:3], v[132:133], v[20:21] op_sel_hi:[1,0,1]
	v_pk_add_f32 v[18:19], v[18:19], v[154:155]
	v_mov_b32_e32 v23, v3
	v_pk_add_f32 v[2:3], v[18:19], v[22:23]
	v_mov_b32_e32 v18, v135
	v_pk_mul_f32 v[18:19], v[4:5], v[18:19] op_sel:[1,0] op_sel_hi:[0,0]
	v_pk_fma_f32 v[20:21], v[4:5], v[134:135], v[18:19] neg_lo:[0,0,1] neg_hi:[0,0,1]
	v_pk_fma_f32 v[4:5], v[4:5], v[134:135], v[18:19] op_sel_hi:[1,0,1]
	s_nop 0
	v_mov_b32_e32 v21, v5
	s_waitcnt vmcnt(2) lgkmcnt(2)
	v_pk_mul_f32 v[4:5], v[6:7], v[136:137] op_sel:[1,1] op_sel_hi:[0,1]
	v_pk_fma_f32 v[18:19], v[6:7], v[136:137], v[4:5] neg_lo:[0,0,1] neg_hi:[0,0,1]
	v_pk_fma_f32 v[4:5], v[6:7], v[136:137], v[4:5] op_sel_hi:[1,0,1]
	v_pk_add_f32 v[2:3], v[2:3], v[20:21]
	v_mov_b32_e32 v4, v139
	v_mov_b32_e32 v19, v5
	v_pk_mul_f32 v[4:5], v[8:9], v[4:5] op_sel:[1,0] op_sel_hi:[0,0]
	v_pk_fma_f32 v[6:7], v[8:9], v[138:139], v[4:5] neg_lo:[0,0,1] neg_hi:[0,0,1]
	v_pk_fma_f32 v[4:5], v[8:9], v[138:139], v[4:5] op_sel_hi:[1,0,1]
	v_pk_add_f32 v[2:3], v[2:3], v[18:19]
	v_mov_b32_e32 v7, v5
	s_waitcnt vmcnt(1) lgkmcnt(1)
	v_pk_mul_f32 v[4:5], v[10:11], v[140:141] op_sel:[1,1] op_sel_hi:[0,1]
	v_pk_add_f32 v[2:3], v[2:3], v[6:7]
	v_pk_fma_f32 v[6:7], v[10:11], v[140:141], v[4:5] neg_lo:[0,0,1] neg_hi:[0,0,1]
	v_pk_fma_f32 v[4:5], v[10:11], v[140:141], v[4:5] op_sel_hi:[1,0,1]
	s_nop 0
	v_mov_b32_e32 v4, v143
	v_mov_b32_e32 v7, v5
	v_pk_mul_f32 v[4:5], v[12:13], v[4:5] op_sel:[1,0] op_sel_hi:[0,0]
	v_pk_add_f32 v[2:3], v[2:3], v[6:7]
	v_pk_fma_f32 v[6:7], v[12:13], v[142:143], v[4:5] neg_lo:[0,0,1] neg_hi:[0,0,1]
	v_pk_fma_f32 v[4:5], v[12:13], v[142:143], v[4:5] op_sel_hi:[1,0,1]
	s_nop 0
	v_mov_b32_e32 v7, v5
	s_waitcnt vmcnt(0) lgkmcnt(0)
	v_pk_mul_f32 v[4:5], v[14:15], v[144:145] op_sel:[1,1] op_sel_hi:[0,1]
	v_pk_add_f32 v[2:3], v[2:3], v[6:7]
	v_pk_fma_f32 v[6:7], v[14:15], v[144:145], v[4:5] neg_lo:[0,0,1] neg_hi:[0,0,1]
	v_pk_fma_f32 v[4:5], v[14:15], v[144:145], v[4:5] op_sel_hi:[1,0,1]
	s_nop 0
	v_mov_b32_e32 v4, v147
	v_mov_b32_e32 v7, v5
	v_pk_mul_f32 v[4:5], v[16:17], v[4:5] op_sel:[1,0] op_sel_hi:[0,0]
	v_pk_add_f32 v[2:3], v[2:3], v[6:7]
	v_pk_fma_f32 v[6:7], v[16:17], v[146:147], v[4:5] neg_lo:[0,0,1] neg_hi:[0,0,1]
	v_pk_fma_f32 v[4:5], v[16:17], v[146:147], v[4:5] op_sel_hi:[1,0,1]
	s_nop 0
	v_mov_b32_e32 v7, v5
	v_pk_add_f32 v[2:3], v[2:3], v[6:7]
	s_nop 0
	v_pk_add_f32 v[2:3], v[148:149], v[2:3] neg_lo:[0,1] neg_hi:[0,1]
	scratch_store_dwordx2 off, v[2:3], off offset:48
	s_and_saveexec_b64 s[0:1], vcc
	s_cbranch_execz .LBB46_285
; %bb.284:
	scratch_load_dwordx2 v[2:3], off, off offset:40
	v_mov_b32_e32 v4, 0
	v_mov_b32_e32 v5, v4
	scratch_store_dwordx2 off, v[4:5], off offset:40
	s_waitcnt vmcnt(1)
	ds_write_b64 v1, v[2:3]
.LBB46_285:
	s_or_b64 exec, exec, s[0:1]
	s_waitcnt lgkmcnt(0)
	; wave barrier
	scratch_load_dwordx4 v[62:65], off, off offset:48
	scratch_load_dwordx4 v[66:69], off, off offset:64
	;; [unrolled: 1-line block ×17, first 2 shown]
	v_mov_b32_e32 v248, 0
	ds_read_b128 v[114:117], v248 offset:432
	ds_read_b128 v[118:121], v248 offset:448
	;; [unrolled: 1-line block ×13, first 2 shown]
	v_cmp_lt_u32_e32 vcc, 4, v0
	s_waitcnt vmcnt(16) lgkmcnt(12)
	v_mul_f32_e32 v6, v114, v63
	v_mul_f32_e32 v7, v116, v65
	v_fmac_f32_e32 v6, v115, v62
	s_waitcnt vmcnt(15) lgkmcnt(11)
	v_mul_f32_e32 v8, v118, v67
	v_fmac_f32_e32 v7, v117, v64
	v_add_f32_e32 v6, 0, v6
	v_mul_f32_e32 v9, v120, v69
	v_fmac_f32_e32 v8, v119, v66
	v_add_f32_e32 v6, v6, v7
	s_waitcnt vmcnt(14) lgkmcnt(10)
	v_mul_f32_e32 v10, v122, v71
	v_fmac_f32_e32 v9, v121, v68
	v_add_f32_e32 v6, v6, v8
	v_mul_f32_e32 v11, v124, v73
	v_fmac_f32_e32 v10, v123, v70
	v_add_f32_e32 v6, v6, v9
	;; [unrolled: 7-line block ×10, first 2 shown]
	s_waitcnt vmcnt(5) lgkmcnt(1)
	v_mul_f32_e32 v56, v46, v23
	v_fmac_f32_e32 v55, v253, v104
	v_add_f32_e32 v6, v6, v54
	ds_read_b128 v[50:53], v248 offset:640
	v_mul_f32_e32 v57, v48, v25
	v_fmac_f32_e32 v56, v47, v22
	v_add_f32_e32 v6, v6, v55
	s_waitcnt vmcnt(4) lgkmcnt(1)
	v_mul_f32_e32 v58, v42, v27
	v_fmac_f32_e32 v57, v49, v24
	v_add_f32_e32 v6, v6, v56
	v_add_f32_e32 v6, v6, v57
	v_fmac_f32_e32 v58, v43, v26
	v_mul_f32_e32 v7, v44, v29
	v_add_f32_e32 v6, v6, v58
	v_fmac_f32_e32 v7, v45, v28
	ds_read_b128 v[54:57], v248 offset:656
	v_add_f32_e32 v6, v6, v7
	s_waitcnt vmcnt(3) lgkmcnt(1)
	v_mul_f32_e32 v7, v50, v31
	v_fmac_f32_e32 v7, v51, v30
	v_add_f32_e32 v6, v6, v7
	v_mul_f32_e32 v7, v52, v33
	v_fmac_f32_e32 v7, v53, v32
	ds_read_b128 v[58:61], v248 offset:672
	ds_read_b128 v[18:21], v248 offset:688
	v_add_f32_e32 v6, v6, v7
	s_waitcnt vmcnt(2) lgkmcnt(2)
	v_mul_f32_e32 v7, v54, v35
	v_fmac_f32_e32 v7, v55, v34
	v_add_f32_e32 v6, v6, v7
	v_mul_f32_e32 v7, v56, v37
	v_fmac_f32_e32 v7, v57, v36
	v_add_f32_e32 v6, v6, v7
	s_waitcnt vmcnt(1) lgkmcnt(1)
	v_mul_f32_e32 v7, v58, v39
	v_fmac_f32_e32 v7, v59, v38
	v_add_f32_e32 v109, v6, v7
	scratch_load_dwordx4 v[14:17], off, off offset:320
	scratch_load_dwordx4 v[10:13], off, off offset:336
	;; [unrolled: 1-line block ×3, first 2 shown]
	scratch_load_dwordx2 v[106:107], off, off offset:368
	v_mul_f32_e32 v63, v115, v63
	v_mul_f32_e32 v23, v47, v23
	v_fma_f32 v62, v114, v62, -v63
	v_mul_f32_e32 v63, v117, v65
	v_fma_f32 v46, v46, v22, -v23
	scratch_load_dwordx2 v[22:23], off, off offset:40
	v_add_f32_e32 v62, 0, v62
	v_fma_f32 v63, v116, v64, -v63
	v_add_f32_e32 v62, v62, v63
	v_mul_f32_e32 v63, v119, v67
	v_fma_f32 v63, v118, v66, -v63
	v_add_f32_e32 v62, v62, v63
	v_mul_f32_e32 v63, v121, v69
	;; [unrolled: 3-line block ×21, first 2 shown]
	v_add_f32_e32 v46, v62, v46
	v_fma_f32 v24, v48, v24, -v25
	v_mul_f32_e32 v25, v43, v27
	v_add_f32_e32 v24, v46, v24
	v_fma_f32 v25, v42, v26, -v25
	v_add_f32_e32 v24, v24, v25
	v_mul_f32_e32 v25, v45, v29
	v_fma_f32 v25, v44, v28, -v25
	v_add_f32_e32 v24, v24, v25
	v_mul_f32_e32 v25, v51, v31
	;; [unrolled: 3-line block ×6, first 2 shown]
	v_fma_f32 v25, v58, v38, -v25
	v_mul_f32_e32 v111, v60, v41
	v_add_f32_e32 v108, v24, v25
	v_mul_f32_e32 v24, v61, v41
	s_waitcnt vmcnt(5)
	v_mov_b32_e32 v36, v5
	v_fmac_f32_e32 v111, v61, v40
	s_waitcnt lgkmcnt(0)
	v_mul_f32_e32 v113, v18, v3
	v_fma_f32 v110, v60, v40, -v24
	v_mul_f32_e32 v3, v19, v3
	v_pk_mul_f32 v[36:37], v[20:21], v[36:37] op_sel:[1,0] op_sel_hi:[0,0]
	v_fmac_f32_e32 v113, v19, v2
	v_fma_f32 v112, v18, v2, -v3
	ds_read_b128 v[24:27], v248 offset:704
	ds_read_b128 v[28:31], v248 offset:720
	;; [unrolled: 1-line block ×3, first 2 shown]
	ds_read_b64 v[2:3], v248 offset:752
	v_pk_add_f32 v[18:19], v[108:109], v[110:111]
	v_pk_fma_f32 v[38:39], v[20:21], v[4:5], v[36:37] neg_lo:[0,0,1] neg_hi:[0,0,1]
	v_pk_fma_f32 v[4:5], v[20:21], v[4:5], v[36:37] op_sel_hi:[1,0,1]
	v_pk_add_f32 v[18:19], v[18:19], v[112:113]
	v_mov_b32_e32 v39, v5
	v_pk_add_f32 v[4:5], v[18:19], v[38:39]
	s_waitcnt vmcnt(4) lgkmcnt(3)
	v_pk_mul_f32 v[18:19], v[24:25], v[14:15] op_sel:[1,1] op_sel_hi:[0,1]
	v_pk_fma_f32 v[20:21], v[24:25], v[14:15], v[18:19] neg_lo:[0,0,1] neg_hi:[0,0,1]
	v_pk_fma_f32 v[14:15], v[24:25], v[14:15], v[18:19] op_sel_hi:[1,0,1]
	s_nop 0
	v_mov_b32_e32 v14, v17
	v_mov_b32_e32 v21, v15
	v_pk_mul_f32 v[14:15], v[26:27], v[14:15] op_sel:[1,0] op_sel_hi:[0,0]
	v_pk_fma_f32 v[18:19], v[26:27], v[16:17], v[14:15] neg_lo:[0,0,1] neg_hi:[0,0,1]
	v_pk_fma_f32 v[14:15], v[26:27], v[16:17], v[14:15] op_sel_hi:[1,0,1]
	v_pk_add_f32 v[4:5], v[4:5], v[20:21]
	v_mov_b32_e32 v19, v15
	s_waitcnt vmcnt(3) lgkmcnt(2)
	v_pk_mul_f32 v[14:15], v[28:29], v[10:11] op_sel:[1,1] op_sel_hi:[0,1]
	v_pk_fma_f32 v[16:17], v[28:29], v[10:11], v[14:15] neg_lo:[0,0,1] neg_hi:[0,0,1]
	v_pk_fma_f32 v[10:11], v[28:29], v[10:11], v[14:15] op_sel_hi:[1,0,1]
	v_pk_add_f32 v[4:5], v[4:5], v[18:19]
	v_mov_b32_e32 v10, v13
	v_mov_b32_e32 v17, v11
	v_pk_mul_f32 v[10:11], v[30:31], v[10:11] op_sel:[1,0] op_sel_hi:[0,0]
	v_pk_fma_f32 v[14:15], v[30:31], v[12:13], v[10:11] neg_lo:[0,0,1] neg_hi:[0,0,1]
	v_pk_fma_f32 v[10:11], v[30:31], v[12:13], v[10:11] op_sel_hi:[1,0,1]
	v_pk_add_f32 v[4:5], v[4:5], v[16:17]
	v_mov_b32_e32 v15, v11
	s_waitcnt vmcnt(2) lgkmcnt(1)
	v_pk_mul_f32 v[10:11], v[32:33], v[6:7] op_sel:[1,1] op_sel_hi:[0,1]
	v_pk_fma_f32 v[12:13], v[32:33], v[6:7], v[10:11] neg_lo:[0,0,1] neg_hi:[0,0,1]
	v_pk_fma_f32 v[6:7], v[32:33], v[6:7], v[10:11] op_sel_hi:[1,0,1]
	v_pk_add_f32 v[4:5], v[4:5], v[14:15]
	;; [unrolled: 12-line block ×3, first 2 shown]
	v_mov_b32_e32 v9, v3
	v_pk_add_f32 v[2:3], v[4:5], v[8:9]
	s_waitcnt vmcnt(0)
	v_pk_add_f32 v[2:3], v[22:23], v[2:3] neg_lo:[0,1] neg_hi:[0,1]
	scratch_store_dwordx2 off, v[2:3], off offset:40
	s_and_saveexec_b64 s[0:1], vcc
	s_cbranch_execz .LBB46_287
; %bb.286:
	scratch_load_dwordx2 v[2:3], off, off offset:32
	v_mov_b32_e32 v249, v248
	scratch_store_dwordx2 off, v[248:249], off offset:32
	s_waitcnt vmcnt(1)
	ds_write_b64 v1, v[2:3]
.LBB46_287:
	s_or_b64 exec, exec, s[0:1]
	s_waitcnt lgkmcnt(0)
	; wave barrier
	scratch_load_dwordx4 v[58:61], off, off offset:40
	scratch_load_dwordx4 v[62:65], off, off offset:56
	;; [unrolled: 1-line block ×13, first 2 shown]
	ds_read2_b64 v[150:153], v248 offset0:53 offset1:54
	ds_read2_b64 v[146:149], v248 offset0:55 offset1:56
	;; [unrolled: 1-line block ×13, first 2 shown]
	scratch_load_dwordx4 v[26:29], off, off offset:248
	scratch_load_dwordx4 v[30:33], off, off offset:264
	;; [unrolled: 1-line block ×4, first 2 shown]
	v_cmp_lt_u32_e32 vcc, 3, v0
	ds_read2_b64 v[54:57], v248 offset0:85 offset1:86
	s_waitcnt vmcnt(16) lgkmcnt(13)
	v_mul_f32_e32 v2, v150, v59
	v_mul_f32_e32 v3, v152, v61
	v_fmac_f32_e32 v2, v151, v58
	s_waitcnt vmcnt(15) lgkmcnt(12)
	v_mul_f32_e32 v4, v146, v63
	v_fmac_f32_e32 v3, v153, v60
	v_add_f32_e32 v2, 0, v2
	v_mul_f32_e32 v5, v148, v65
	v_fmac_f32_e32 v4, v147, v62
	v_add_f32_e32 v2, v2, v3
	s_waitcnt vmcnt(14) lgkmcnt(11)
	v_mul_f32_e32 v6, v142, v67
	v_fmac_f32_e32 v5, v149, v64
	v_add_f32_e32 v2, v2, v4
	v_mul_f32_e32 v7, v144, v69
	v_fmac_f32_e32 v6, v143, v66
	v_add_f32_e32 v2, v2, v5
	;; [unrolled: 7-line block ×6, first 2 shown]
	s_waitcnt vmcnt(9) lgkmcnt(6)
	v_mul_f32_e32 v16, v122, v87
	v_fmac_f32_e32 v15, v129, v84
	v_add_f32_e32 v2, v2, v14
	v_mul_f32_e32 v59, v151, v59
	v_mul_f32_e32 v17, v124, v89
	v_fmac_f32_e32 v16, v123, v86
	v_add_f32_e32 v2, v2, v15
	v_fma_f32 v58, v150, v58, -v59
	v_mul_f32_e32 v59, v153, v61
	s_waitcnt vmcnt(8) lgkmcnt(5)
	v_mul_f32_e32 v42, v118, v91
	v_fmac_f32_e32 v17, v125, v88
	v_add_f32_e32 v2, v2, v16
	v_add_f32_e32 v58, 0, v58
	v_fma_f32 v59, v152, v60, -v59
	v_mul_f32_e32 v43, v120, v93
	v_fmac_f32_e32 v42, v119, v90
	v_add_f32_e32 v2, v2, v17
	v_add_f32_e32 v58, v58, v59
	v_mul_f32_e32 v59, v147, v63
	s_waitcnt vmcnt(7) lgkmcnt(4)
	v_mul_f32_e32 v44, v114, v95
	v_fmac_f32_e32 v43, v121, v92
	v_add_f32_e32 v2, v2, v42
	v_fma_f32 v59, v146, v62, -v59
	v_mul_f32_e32 v45, v116, v97
	v_fmac_f32_e32 v44, v115, v94
	v_add_f32_e32 v2, v2, v43
	v_add_f32_e32 v58, v58, v59
	v_mul_f32_e32 v59, v149, v65
	s_waitcnt vmcnt(6) lgkmcnt(3)
	v_mul_f32_e32 v46, v110, v99
	v_fmac_f32_e32 v45, v117, v96
	;; [unrolled: 10-line block ×3, first 2 shown]
	v_add_f32_e32 v2, v2, v46
	ds_read2_b64 v[42:45], v248 offset0:79 offset1:80
	v_fma_f32 v59, v142, v66, -v59
	v_mul_f32_e32 v49, v108, v105
	v_fmac_f32_e32 v48, v107, v102
	v_add_f32_e32 v2, v2, v47
	v_add_f32_e32 v58, v58, v59
	v_mul_f32_e32 v59, v145, v69
	s_waitcnt vmcnt(4) lgkmcnt(2)
	v_mul_f32_e32 v50, v22, v19
	v_fmac_f32_e32 v49, v109, v104
	v_add_f32_e32 v2, v2, v48
	v_fma_f32 v59, v144, v68, -v59
	v_fmac_f32_e32 v50, v23, v18
	v_add_f32_e32 v2, v2, v49
	v_mul_f32_e32 v3, v24, v21
	v_add_f32_e32 v58, v58, v59
	v_mul_f32_e32 v59, v139, v71
	v_add_f32_e32 v2, v2, v50
	v_fmac_f32_e32 v3, v25, v20
	ds_read2_b64 v[46:49], v248 offset0:81 offset1:82
	v_fma_f32 v59, v138, v70, -v59
	v_add_f32_e32 v2, v2, v3
	s_waitcnt vmcnt(3) lgkmcnt(1)
	v_mul_f32_e32 v3, v42, v27
	v_add_f32_e32 v58, v58, v59
	v_mul_f32_e32 v59, v141, v73
	v_fmac_f32_e32 v3, v43, v26
	v_fma_f32 v59, v140, v72, -v59
	v_add_f32_e32 v2, v2, v3
	v_mul_f32_e32 v3, v44, v29
	v_add_f32_e32 v58, v58, v59
	v_mul_f32_e32 v59, v135, v75
	v_fmac_f32_e32 v3, v45, v28
	ds_read2_b64 v[50:53], v248 offset0:83 offset1:84
	v_fma_f32 v59, v134, v74, -v59
	v_add_f32_e32 v2, v2, v3
	s_waitcnt vmcnt(2) lgkmcnt(1)
	v_mul_f32_e32 v3, v46, v31
	v_add_f32_e32 v58, v58, v59
	v_mul_f32_e32 v59, v137, v77
	v_fmac_f32_e32 v3, v47, v30
	v_fma_f32 v59, v136, v76, -v59
	v_add_f32_e32 v2, v2, v3
	v_mul_f32_e32 v3, v48, v33
	v_add_f32_e32 v58, v58, v59
	v_mul_f32_e32 v59, v131, v79
	v_fmac_f32_e32 v3, v49, v32
	v_fma_f32 v59, v130, v78, -v59
	v_add_f32_e32 v2, v2, v3
	s_waitcnt vmcnt(1) lgkmcnt(0)
	v_mul_f32_e32 v3, v50, v35
	v_add_f32_e32 v58, v58, v59
	v_mul_f32_e32 v59, v133, v81
	v_fmac_f32_e32 v3, v51, v34
	v_fma_f32 v59, v132, v80, -v59
	v_add_f32_e32 v2, v2, v3
	v_mul_f32_e32 v3, v52, v37
	v_add_f32_e32 v58, v58, v59
	v_mul_f32_e32 v59, v127, v83
	v_fmac_f32_e32 v3, v53, v36
	v_fma_f32 v59, v126, v82, -v59
	v_add_f32_e32 v251, v2, v3
	scratch_load_dwordx4 v[14:17], off, off offset:312
	scratch_load_dwordx4 v[10:13], off, off offset:328
	;; [unrolled: 1-line block ×4, first 2 shown]
	v_add_f32_e32 v58, v58, v59
	v_mul_f32_e32 v59, v129, v85
	v_fma_f32 v59, v128, v84, -v59
	v_add_f32_e32 v58, v58, v59
	v_mul_f32_e32 v59, v123, v87
	v_fma_f32 v59, v122, v86, -v59
	;; [unrolled: 3-line block ×11, first 2 shown]
	scratch_load_dwordx2 v[58:59], off, off offset:32
	v_mul_f32_e32 v19, v23, v19
	v_add_f32_e32 v60, v60, v61
	v_fma_f32 v18, v22, v18, -v19
	v_mul_f32_e32 v19, v25, v21
	v_add_f32_e32 v18, v60, v18
	v_fma_f32 v19, v24, v20, -v19
	v_add_f32_e32 v18, v18, v19
	v_mul_f32_e32 v19, v43, v27
	v_fma_f32 v19, v42, v26, -v19
	v_add_f32_e32 v18, v18, v19
	v_mul_f32_e32 v19, v45, v29
	;; [unrolled: 3-line block ×6, first 2 shown]
	v_fma_f32 v19, v52, v36, -v19
	v_add_f32_e32 v250, v18, v19
	s_waitcnt vmcnt(5)
	v_mul_f32_e32 v18, v55, v39
	v_fma_f32 v252, v54, v38, -v18
	v_mul_f32_e32 v18, v57, v41
	v_fma_f32 v254, v56, v40, -v18
	ds_read2_b64 v[18:21], v248 offset0:87 offset1:88
	ds_read2_b64 v[22:25], v248 offset0:89 offset1:90
	;; [unrolled: 1-line block ×4, first 2 shown]
	v_mul_f32_e32 v253, v54, v39
	v_fmac_f32_e32 v253, v55, v38
	v_mul_f32_e32 v255, v56, v41
	v_fmac_f32_e32 v255, v57, v40
	v_pk_add_f32 v[34:35], v[250:251], v[252:253]
	s_waitcnt vmcnt(4) lgkmcnt(3)
	v_pk_mul_f32 v[36:37], v[18:19], v[14:15] op_sel:[1,1] op_sel_hi:[0,1]
	v_pk_fma_f32 v[38:39], v[18:19], v[14:15], v[36:37] neg_lo:[0,0,1] neg_hi:[0,0,1]
	v_pk_fma_f32 v[14:15], v[18:19], v[14:15], v[36:37] op_sel_hi:[1,0,1]
	v_mov_b32_e32 v18, v17
	v_pk_add_f32 v[34:35], v[34:35], v[254:255]
	v_mov_b32_e32 v39, v15
	v_pk_mul_f32 v[18:19], v[20:21], v[18:19] op_sel:[1,0] op_sel_hi:[0,0]
	v_pk_add_f32 v[14:15], v[34:35], v[38:39]
	v_pk_fma_f32 v[34:35], v[20:21], v[16:17], v[18:19] neg_lo:[0,0,1] neg_hi:[0,0,1]
	v_pk_fma_f32 v[16:17], v[20:21], v[16:17], v[18:19] op_sel_hi:[1,0,1]
	s_nop 0
	v_mov_b32_e32 v35, v17
	s_waitcnt vmcnt(3) lgkmcnt(2)
	v_pk_mul_f32 v[16:17], v[22:23], v[10:11] op_sel:[1,1] op_sel_hi:[0,1]
	v_pk_fma_f32 v[18:19], v[22:23], v[10:11], v[16:17] neg_lo:[0,0,1] neg_hi:[0,0,1]
	v_pk_fma_f32 v[10:11], v[22:23], v[10:11], v[16:17] op_sel_hi:[1,0,1]
	v_pk_add_f32 v[14:15], v[14:15], v[34:35]
	v_mov_b32_e32 v19, v11
	v_pk_add_f32 v[10:11], v[14:15], v[18:19]
	v_mov_b32_e32 v14, v13
	v_pk_mul_f32 v[14:15], v[24:25], v[14:15] op_sel:[1,0] op_sel_hi:[0,0]
	v_pk_fma_f32 v[16:17], v[24:25], v[12:13], v[14:15] neg_lo:[0,0,1] neg_hi:[0,0,1]
	v_pk_fma_f32 v[12:13], v[24:25], v[12:13], v[14:15] op_sel_hi:[1,0,1]
	s_nop 0
	v_mov_b32_e32 v17, v13
	s_waitcnt vmcnt(2) lgkmcnt(1)
	v_pk_mul_f32 v[12:13], v[26:27], v[6:7] op_sel:[1,1] op_sel_hi:[0,1]
	v_pk_fma_f32 v[14:15], v[26:27], v[6:7], v[12:13] neg_lo:[0,0,1] neg_hi:[0,0,1]
	v_pk_fma_f32 v[6:7], v[26:27], v[6:7], v[12:13] op_sel_hi:[1,0,1]
	v_pk_add_f32 v[10:11], v[10:11], v[16:17]
	v_mov_b32_e32 v15, v7
	v_pk_add_f32 v[6:7], v[10:11], v[14:15]
	v_mov_b32_e32 v10, v9
	v_pk_mul_f32 v[10:11], v[28:29], v[10:11] op_sel:[1,0] op_sel_hi:[0,0]
	;; [unrolled: 13-line block ×3, first 2 shown]
	v_pk_fma_f32 v[8:9], v[32:33], v[4:5], v[6:7] neg_lo:[0,0,1] neg_hi:[0,0,1]
	v_pk_fma_f32 v[4:5], v[32:33], v[4:5], v[6:7] op_sel_hi:[1,0,1]
	s_nop 0
	v_mov_b32_e32 v9, v5
	v_pk_add_f32 v[2:3], v[2:3], v[8:9]
	s_waitcnt vmcnt(0)
	v_pk_add_f32 v[2:3], v[58:59], v[2:3] neg_lo:[0,1] neg_hi:[0,1]
	scratch_store_dwordx2 off, v[2:3], off offset:32
	s_and_saveexec_b64 s[0:1], vcc
	s_cbranch_execz .LBB46_289
; %bb.288:
	scratch_load_dwordx2 v[2:3], off, off offset:24
	v_mov_b32_e32 v4, 0
	v_mov_b32_e32 v5, v4
	scratch_store_dwordx2 off, v[4:5], off offset:24
	s_waitcnt vmcnt(1)
	ds_write_b64 v1, v[2:3]
.LBB46_289:
	s_or_b64 exec, exec, s[0:1]
	v_mov_b32_e32 v102, 0
	s_waitcnt lgkmcnt(0)
	; wave barrier
	ds_read_b128 v[14:17], v102 offset:416
	ds_read_b128 v[10:13], v102 offset:432
	;; [unrolled: 1-line block ×4, first 2 shown]
	scratch_load_dwordx4 v[18:21], off, off offset:32
	scratch_load_dwordx4 v[38:41], off, off offset:96
	;; [unrolled: 1-line block ×12, first 2 shown]
	v_cmp_lt_u32_e32 vcc, 2, v0
	scratch_load_dwordx4 v[46:49], off, off offset:112
	scratch_load_dwordx4 v[54:57], off, off offset:128
	;; [unrolled: 1-line block ×3, first 2 shown]
	s_waitcnt vmcnt(14) lgkmcnt(3)
	v_mul_f32_e32 v22, v14, v19
	v_fmac_f32_e32 v22, v15, v18
	v_mul_f32_e32 v23, v16, v21
	v_add_f32_e32 v22, 0, v22
	v_fmac_f32_e32 v23, v17, v20
	v_add_f32_e32 v26, v22, v23
	scratch_load_dwordx4 v[22:25], off, off offset:48
	v_mul_f32_e32 v15, v15, v19
	v_fma_f32 v14, v14, v18, -v15
	v_mul_f32_e32 v15, v17, v21
	v_add_f32_e32 v14, 0, v14
	v_fma_f32 v15, v16, v20, -v15
	v_add_f32_e32 v14, v14, v15
	s_waitcnt vmcnt(4)
	v_mov_b32_e32 v18, v147
	s_waitcnt vmcnt(0) lgkmcnt(2)
	v_mul_f32_e32 v27, v10, v23
	v_fmac_f32_e32 v27, v11, v22
	v_add_f32_e32 v26, v26, v27
	v_mul_f32_e32 v27, v12, v25
	v_fmac_f32_e32 v27, v13, v24
	v_add_f32_e32 v30, v26, v27
	scratch_load_dwordx4 v[26:29], off, off offset:64
	v_mul_f32_e32 v11, v11, v23
	v_fma_f32 v10, v10, v22, -v11
	v_mul_f32_e32 v11, v13, v25
	v_add_f32_e32 v10, v14, v10
	v_fma_f32 v11, v12, v24, -v11
	v_add_f32_e32 v10, v10, v11
	s_waitcnt vmcnt(0) lgkmcnt(1)
	v_mul_f32_e32 v31, v6, v27
	v_fmac_f32_e32 v31, v7, v26
	v_add_f32_e32 v30, v30, v31
	v_mul_f32_e32 v31, v8, v29
	v_fmac_f32_e32 v31, v9, v28
	v_add_f32_e32 v34, v30, v31
	scratch_load_dwordx4 v[30:33], off, off offset:80
	v_mul_f32_e32 v7, v7, v27
	v_fma_f32 v6, v6, v26, -v7
	v_mul_f32_e32 v7, v9, v29
	v_add_f32_e32 v6, v10, v6
	v_fma_f32 v7, v8, v28, -v7
	v_add_f32_e32 v6, v6, v7
	s_waitcnt vmcnt(0) lgkmcnt(0)
	v_mul_f32_e32 v35, v2, v31
	v_fmac_f32_e32 v35, v3, v30
	v_add_f32_e32 v34, v34, v35
	v_mul_f32_e32 v35, v4, v33
	v_fmac_f32_e32 v35, v5, v32
	v_add_f32_e32 v42, v34, v35
	ds_read_b128 v[34:37], v102 offset:480
	v_mul_f32_e32 v3, v3, v31
	v_fma_f32 v2, v2, v30, -v3
	v_mul_f32_e32 v3, v5, v33
	v_add_f32_e32 v2, v6, v2
	s_waitcnt lgkmcnt(0)
	v_mul_f32_e32 v43, v34, v39
	v_fmac_f32_e32 v43, v35, v38
	v_add_f32_e32 v42, v42, v43
	v_mul_f32_e32 v43, v36, v41
	v_fmac_f32_e32 v43, v37, v40
	v_add_f32_e32 v50, v42, v43
	ds_read_b128 v[42:45], v102 offset:496
	v_fma_f32 v3, v4, v32, -v3
	v_add_f32_e32 v2, v2, v3
	v_mul_f32_e32 v3, v35, v39
	v_fma_f32 v3, v34, v38, -v3
	s_waitcnt lgkmcnt(0)
	v_mul_f32_e32 v51, v42, v47
	v_fmac_f32_e32 v51, v43, v46
	v_add_f32_e32 v50, v50, v51
	v_mul_f32_e32 v51, v44, v49
	v_fmac_f32_e32 v51, v45, v48
	v_add_f32_e32 v58, v50, v51
	ds_read_b128 v[50:53], v102 offset:512
	v_add_f32_e32 v2, v2, v3
	v_mul_f32_e32 v3, v37, v41
	v_fma_f32 v3, v36, v40, -v3
	v_add_f32_e32 v2, v2, v3
	s_waitcnt lgkmcnt(0)
	v_mul_f32_e32 v59, v50, v55
	v_fmac_f32_e32 v59, v51, v54
	v_add_f32_e32 v58, v58, v59
	v_mul_f32_e32 v59, v52, v57
	v_fmac_f32_e32 v59, v53, v56
	v_add_f32_e32 v66, v58, v59
	ds_read_b128 v[58:61], v102 offset:528
	v_mul_f32_e32 v3, v43, v47
	v_fma_f32 v3, v42, v46, -v3
	v_add_f32_e32 v2, v2, v3
	v_mul_f32_e32 v3, v45, v49
	s_waitcnt lgkmcnt(0)
	v_mul_f32_e32 v67, v58, v63
	v_fmac_f32_e32 v67, v59, v62
	v_add_f32_e32 v66, v66, v67
	v_mul_f32_e32 v67, v60, v65
	v_fmac_f32_e32 v67, v61, v64
	v_add_f32_e32 v74, v66, v67
	ds_read_b128 v[66:69], v102 offset:544
	v_fma_f32 v3, v44, v48, -v3
	v_add_f32_e32 v2, v2, v3
	v_mul_f32_e32 v3, v51, v55
	v_fma_f32 v3, v50, v54, -v3
	s_waitcnt lgkmcnt(0)
	v_mul_f32_e32 v75, v66, v71
	v_fmac_f32_e32 v75, v67, v70
	v_add_f32_e32 v74, v74, v75
	v_mul_f32_e32 v75, v68, v73
	v_fmac_f32_e32 v75, v69, v72
	v_add_f32_e32 v82, v74, v75
	ds_read_b128 v[74:77], v102 offset:560
	v_add_f32_e32 v2, v2, v3
	v_mul_f32_e32 v3, v53, v57
	v_fma_f32 v3, v52, v56, -v3
	v_add_f32_e32 v2, v2, v3
	s_waitcnt lgkmcnt(0)
	v_mul_f32_e32 v83, v74, v79
	v_fmac_f32_e32 v83, v75, v78
	v_add_f32_e32 v82, v82, v83
	v_mul_f32_e32 v83, v76, v81
	v_fmac_f32_e32 v83, v77, v80
	v_add_f32_e32 v90, v82, v83
	ds_read_b128 v[82:85], v102 offset:576
	v_mul_f32_e32 v3, v59, v63
	v_fma_f32 v3, v58, v62, -v3
	v_add_f32_e32 v2, v2, v3
	v_mul_f32_e32 v3, v61, v65
	;; [unrolled: 36-line block ×4, first 2 shown]
	s_waitcnt lgkmcnt(0)
	v_mul_f32_e32 v140, v132, v137
	v_fmac_f32_e32 v140, v133, v136
	v_add_f32_e32 v153, v103, v140
	ds_read_b128 v[140:143], v102 offset:688
	scratch_load_dwordx4 v[148:151], off, off offset:320
	scratch_load_dwordx4 v[248:251], off, off offset:336
	;; [unrolled: 1-line block ×3, first 2 shown]
	scratch_load_dwordx2 v[158:159], off, off offset:368
	v_fma_f32 v3, v92, v96, -v3
	v_add_f32_e32 v2, v2, v3
	v_mul_f32_e32 v3, v99, v105
	v_fma_f32 v3, v98, v104, -v3
	v_add_f32_e32 v2, v2, v3
	v_mul_f32_e32 v3, v101, v107
	;; [unrolled: 3-line block ×10, first 2 shown]
	v_mul_f32_e32 v155, v134, v139
	v_fma_f32 v154, v134, v138, -v2
	s_waitcnt lgkmcnt(0)
	v_mul_f32_e32 v2, v141, v145
	v_fmac_f32_e32 v155, v135, v138
	v_mul_f32_e32 v157, v140, v145
	v_fma_f32 v156, v140, v144, -v2
	ds_read_b128 v[2:5], v102 offset:704
	ds_read_b128 v[6:9], v102 offset:720
	;; [unrolled: 1-line block ×3, first 2 shown]
	ds_read_b64 v[14:15], v102 offset:752
	v_pk_mul_f32 v[18:19], v[142:143], v[18:19] op_sel:[1,0] op_sel_hi:[0,0]
	v_fmac_f32_e32 v157, v141, v144
	v_pk_add_f32 v[16:17], v[152:153], v[154:155]
	v_pk_fma_f32 v[20:21], v[142:143], v[146:147], v[18:19] neg_lo:[0,0,1] neg_hi:[0,0,1]
	v_pk_fma_f32 v[18:19], v[142:143], v[146:147], v[18:19] op_sel_hi:[1,0,1]
	v_pk_add_f32 v[16:17], v[16:17], v[156:157]
	v_mov_b32_e32 v21, v19
	v_pk_add_f32 v[16:17], v[16:17], v[20:21]
	s_waitcnt vmcnt(3) lgkmcnt(3)
	v_pk_mul_f32 v[18:19], v[2:3], v[148:149] op_sel:[1,1] op_sel_hi:[0,1]
	v_pk_fma_f32 v[20:21], v[2:3], v[148:149], v[18:19] neg_lo:[0,0,1] neg_hi:[0,0,1]
	v_pk_fma_f32 v[2:3], v[2:3], v[148:149], v[18:19] op_sel_hi:[1,0,1]
	s_nop 0
	v_mov_b32_e32 v21, v3
	v_pk_add_f32 v[2:3], v[16:17], v[20:21]
	v_mov_b32_e32 v16, v151
	v_pk_mul_f32 v[16:17], v[4:5], v[16:17] op_sel:[1,0] op_sel_hi:[0,0]
	v_pk_fma_f32 v[18:19], v[4:5], v[150:151], v[16:17] neg_lo:[0,0,1] neg_hi:[0,0,1]
	v_pk_fma_f32 v[4:5], v[4:5], v[150:151], v[16:17] op_sel_hi:[1,0,1]
	s_nop 0
	v_mov_b32_e32 v19, v5
	s_waitcnt vmcnt(2) lgkmcnt(2)
	v_pk_mul_f32 v[4:5], v[6:7], v[248:249] op_sel:[1,1] op_sel_hi:[0,1]
	v_pk_fma_f32 v[16:17], v[6:7], v[248:249], v[4:5] neg_lo:[0,0,1] neg_hi:[0,0,1]
	v_pk_fma_f32 v[4:5], v[6:7], v[248:249], v[4:5] op_sel_hi:[1,0,1]
	v_pk_add_f32 v[2:3], v[2:3], v[18:19]
	v_mov_b32_e32 v4, v251
	v_mov_b32_e32 v17, v5
	v_pk_mul_f32 v[4:5], v[8:9], v[4:5] op_sel:[1,0] op_sel_hi:[0,0]
	v_pk_fma_f32 v[6:7], v[8:9], v[250:251], v[4:5] neg_lo:[0,0,1] neg_hi:[0,0,1]
	v_pk_fma_f32 v[4:5], v[8:9], v[250:251], v[4:5] op_sel_hi:[1,0,1]
	v_pk_add_f32 v[2:3], v[2:3], v[16:17]
	v_mov_b32_e32 v7, v5
	s_waitcnt vmcnt(1) lgkmcnt(1)
	v_pk_mul_f32 v[4:5], v[10:11], v[252:253] op_sel:[1,1] op_sel_hi:[0,1]
	v_pk_add_f32 v[2:3], v[2:3], v[6:7]
	v_pk_fma_f32 v[6:7], v[10:11], v[252:253], v[4:5] neg_lo:[0,0,1] neg_hi:[0,0,1]
	v_pk_fma_f32 v[4:5], v[10:11], v[252:253], v[4:5] op_sel_hi:[1,0,1]
	s_nop 0
	v_mov_b32_e32 v4, v255
	v_mov_b32_e32 v7, v5
	v_pk_mul_f32 v[4:5], v[12:13], v[4:5] op_sel:[1,0] op_sel_hi:[0,0]
	v_pk_add_f32 v[2:3], v[2:3], v[6:7]
	v_pk_fma_f32 v[6:7], v[12:13], v[254:255], v[4:5] neg_lo:[0,0,1] neg_hi:[0,0,1]
	v_pk_fma_f32 v[4:5], v[12:13], v[254:255], v[4:5] op_sel_hi:[1,0,1]
	s_nop 0
	v_mov_b32_e32 v7, v5
	s_waitcnt vmcnt(0) lgkmcnt(0)
	v_pk_mul_f32 v[4:5], v[14:15], v[158:159] op_sel:[1,1] op_sel_hi:[0,1]
	v_pk_add_f32 v[2:3], v[2:3], v[6:7]
	v_pk_fma_f32 v[6:7], v[14:15], v[158:159], v[4:5] neg_lo:[0,0,1] neg_hi:[0,0,1]
	v_pk_fma_f32 v[4:5], v[14:15], v[158:159], v[4:5] op_sel_hi:[1,0,1]
	s_nop 0
	v_mov_b32_e32 v7, v5
	scratch_load_dwordx2 v[4:5], off, off offset:24
	v_pk_add_f32 v[2:3], v[2:3], v[6:7]
	s_waitcnt vmcnt(0)
	v_pk_add_f32 v[2:3], v[4:5], v[2:3] neg_lo:[0,1] neg_hi:[0,1]
	scratch_store_dwordx2 off, v[2:3], off offset:24
	s_and_saveexec_b64 s[0:1], vcc
	s_cbranch_execz .LBB46_291
; %bb.290:
	scratch_load_dwordx2 v[2:3], off, off offset:16
	v_mov_b32_e32 v103, v102
	scratch_store_dwordx2 off, v[102:103], off offset:16
	s_waitcnt vmcnt(1)
	ds_write_b64 v1, v[2:3]
.LBB46_291:
	s_or_b64 exec, exec, s[0:1]
	s_waitcnt lgkmcnt(0)
	; wave barrier
	scratch_load_dwordx4 v[6:9], off, off offset:24
	scratch_load_dwordx4 v[14:17], off, off offset:40
	;; [unrolled: 1-line block ×10, first 2 shown]
	ds_read2_b64 v[2:5], v102 offset0:51 offset1:52
	scratch_load_dwordx4 v[86:89], off, off offset:184
	scratch_load_dwordx4 v[94:97], off, off offset:200
	;; [unrolled: 1-line block ×8, first 2 shown]
	v_cmp_lt_u32_e32 vcc, 1, v0
	s_waitcnt vmcnt(17) lgkmcnt(0)
	v_mul_f32_e32 v10, v2, v7
	v_fmac_f32_e32 v10, v3, v6
	v_mul_f32_e32 v11, v4, v9
	v_add_f32_e32 v10, 0, v10
	v_fmac_f32_e32 v11, v5, v8
	v_add_f32_e32 v18, v10, v11
	ds_read2_b64 v[10:13], v102 offset0:53 offset1:54
	v_mul_f32_e32 v3, v3, v7
	v_fma_f32 v2, v2, v6, -v3
	v_mul_f32_e32 v3, v5, v9
	v_add_f32_e32 v2, 0, v2
	s_waitcnt vmcnt(16) lgkmcnt(0)
	v_mul_f32_e32 v19, v10, v15
	v_fmac_f32_e32 v19, v11, v14
	v_add_f32_e32 v18, v18, v19
	v_mul_f32_e32 v19, v12, v17
	v_fmac_f32_e32 v19, v13, v16
	v_add_f32_e32 v26, v18, v19
	ds_read2_b64 v[18:21], v102 offset0:55 offset1:56
	v_fma_f32 v3, v4, v8, -v3
	v_add_f32_e32 v2, v2, v3
	v_mul_f32_e32 v3, v11, v15
	v_fma_f32 v3, v10, v14, -v3
	s_waitcnt vmcnt(15) lgkmcnt(0)
	v_mul_f32_e32 v27, v18, v23
	v_fmac_f32_e32 v27, v19, v22
	v_add_f32_e32 v26, v26, v27
	v_mul_f32_e32 v27, v20, v25
	v_fmac_f32_e32 v27, v21, v24
	v_add_f32_e32 v34, v26, v27
	ds_read2_b64 v[26:29], v102 offset0:57 offset1:58
	v_add_f32_e32 v2, v2, v3
	v_mul_f32_e32 v3, v13, v17
	v_fma_f32 v3, v12, v16, -v3
	v_add_f32_e32 v2, v2, v3
	s_waitcnt vmcnt(14) lgkmcnt(0)
	v_mul_f32_e32 v35, v26, v31
	v_fmac_f32_e32 v35, v27, v30
	v_add_f32_e32 v34, v34, v35
	v_mul_f32_e32 v35, v28, v33
	v_fmac_f32_e32 v35, v29, v32
	v_add_f32_e32 v42, v34, v35
	ds_read2_b64 v[34:37], v102 offset0:59 offset1:60
	v_mul_f32_e32 v3, v19, v23
	v_fma_f32 v3, v18, v22, -v3
	v_add_f32_e32 v2, v2, v3
	v_mul_f32_e32 v3, v21, v25
	s_waitcnt vmcnt(13) lgkmcnt(0)
	v_mul_f32_e32 v43, v34, v39
	v_fmac_f32_e32 v43, v35, v38
	v_add_f32_e32 v42, v42, v43
	v_mul_f32_e32 v43, v36, v41
	v_fmac_f32_e32 v43, v37, v40
	v_add_f32_e32 v50, v42, v43
	ds_read2_b64 v[42:45], v102 offset0:61 offset1:62
	v_fma_f32 v3, v20, v24, -v3
	v_add_f32_e32 v2, v2, v3
	v_mul_f32_e32 v3, v27, v31
	v_fma_f32 v3, v26, v30, -v3
	s_waitcnt vmcnt(12) lgkmcnt(0)
	v_mul_f32_e32 v51, v42, v47
	v_fmac_f32_e32 v51, v43, v46
	v_add_f32_e32 v50, v50, v51
	v_mul_f32_e32 v51, v44, v49
	v_fmac_f32_e32 v51, v45, v48
	v_add_f32_e32 v58, v50, v51
	ds_read2_b64 v[50:53], v102 offset0:63 offset1:64
	v_add_f32_e32 v2, v2, v3
	v_mul_f32_e32 v3, v29, v33
	v_fma_f32 v3, v28, v32, -v3
	v_add_f32_e32 v2, v2, v3
	s_waitcnt vmcnt(11) lgkmcnt(0)
	v_mul_f32_e32 v59, v50, v55
	v_fmac_f32_e32 v59, v51, v54
	v_add_f32_e32 v58, v58, v59
	v_mul_f32_e32 v59, v52, v57
	v_fmac_f32_e32 v59, v53, v56
	v_add_f32_e32 v66, v58, v59
	ds_read2_b64 v[58:61], v102 offset0:65 offset1:66
	v_mul_f32_e32 v3, v35, v39
	v_fma_f32 v3, v34, v38, -v3
	v_add_f32_e32 v2, v2, v3
	v_mul_f32_e32 v3, v37, v41
	;; [unrolled: 36-line block ×5, first 2 shown]
	s_waitcnt vmcnt(1) lgkmcnt(0)
	v_mul_f32_e32 v140, v132, v137
	v_fmac_f32_e32 v140, v133, v136
	v_add_f32_e32 v103, v103, v140
	v_mul_f32_e32 v140, v134, v139
	v_fmac_f32_e32 v140, v135, v138
	v_add_f32_e32 v157, v103, v140
	ds_read2_b64 v[140:143], v102 offset0:85 offset1:86
	scratch_load_dwordx4 v[148:151], off, off offset:312
	scratch_load_dwordx4 v[248:251], off, off offset:328
	;; [unrolled: 1-line block ×4, first 2 shown]
	v_fma_f32 v3, v84, v88, -v3
	v_add_f32_e32 v2, v2, v3
	v_mul_f32_e32 v3, v91, v95
	v_fma_f32 v3, v90, v94, -v3
	v_add_f32_e32 v2, v2, v3
	v_mul_f32_e32 v3, v93, v97
	;; [unrolled: 3-line block ×12, first 2 shown]
	v_fma_f32 v3, v134, v138, -v3
	v_add_f32_e32 v156, v2, v3
	s_waitcnt vmcnt(4) lgkmcnt(0)
	v_mul_f32_e32 v2, v141, v145
	v_fma_f32 v158, v140, v144, -v2
	v_mul_f32_e32 v2, v143, v147
	v_fma_f32 v160, v142, v146, -v2
	ds_read2_b64 v[2:5], v102 offset0:87 offset1:88
	ds_read2_b64 v[6:9], v102 offset0:89 offset1:90
	ds_read2_b64 v[10:13], v102 offset0:91 offset1:92
	ds_read2_b64 v[14:17], v102 offset0:93 offset1:94
	v_mul_f32_e32 v159, v140, v145
	v_fmac_f32_e32 v159, v141, v144
	v_mul_f32_e32 v161, v142, v147
	v_fmac_f32_e32 v161, v143, v146
	v_pk_add_f32 v[18:19], v[156:157], v[158:159]
	s_waitcnt vmcnt(3) lgkmcnt(3)
	v_pk_mul_f32 v[20:21], v[2:3], v[148:149] op_sel:[1,1] op_sel_hi:[0,1]
	v_pk_fma_f32 v[22:23], v[2:3], v[148:149], v[20:21] neg_lo:[0,0,1] neg_hi:[0,0,1]
	v_pk_fma_f32 v[2:3], v[2:3], v[148:149], v[20:21] op_sel_hi:[1,0,1]
	v_pk_add_f32 v[18:19], v[18:19], v[160:161]
	v_mov_b32_e32 v23, v3
	v_pk_add_f32 v[2:3], v[18:19], v[22:23]
	v_mov_b32_e32 v18, v151
	v_pk_mul_f32 v[18:19], v[4:5], v[18:19] op_sel:[1,0] op_sel_hi:[0,0]
	v_pk_fma_f32 v[20:21], v[4:5], v[150:151], v[18:19] neg_lo:[0,0,1] neg_hi:[0,0,1]
	v_pk_fma_f32 v[4:5], v[4:5], v[150:151], v[18:19] op_sel_hi:[1,0,1]
	s_nop 0
	v_mov_b32_e32 v21, v5
	s_waitcnt vmcnt(2) lgkmcnt(2)
	v_pk_mul_f32 v[4:5], v[6:7], v[248:249] op_sel:[1,1] op_sel_hi:[0,1]
	v_pk_fma_f32 v[18:19], v[6:7], v[248:249], v[4:5] neg_lo:[0,0,1] neg_hi:[0,0,1]
	v_pk_fma_f32 v[4:5], v[6:7], v[248:249], v[4:5] op_sel_hi:[1,0,1]
	v_pk_add_f32 v[2:3], v[2:3], v[20:21]
	v_mov_b32_e32 v4, v251
	v_mov_b32_e32 v19, v5
	v_pk_mul_f32 v[4:5], v[8:9], v[4:5] op_sel:[1,0] op_sel_hi:[0,0]
	v_pk_fma_f32 v[6:7], v[8:9], v[250:251], v[4:5] neg_lo:[0,0,1] neg_hi:[0,0,1]
	v_pk_fma_f32 v[4:5], v[8:9], v[250:251], v[4:5] op_sel_hi:[1,0,1]
	v_pk_add_f32 v[2:3], v[2:3], v[18:19]
	v_mov_b32_e32 v7, v5
	s_waitcnt vmcnt(1) lgkmcnt(1)
	v_pk_mul_f32 v[4:5], v[10:11], v[252:253] op_sel:[1,1] op_sel_hi:[0,1]
	v_pk_add_f32 v[2:3], v[2:3], v[6:7]
	v_pk_fma_f32 v[6:7], v[10:11], v[252:253], v[4:5] neg_lo:[0,0,1] neg_hi:[0,0,1]
	v_pk_fma_f32 v[4:5], v[10:11], v[252:253], v[4:5] op_sel_hi:[1,0,1]
	s_nop 0
	v_mov_b32_e32 v4, v255
	v_mov_b32_e32 v7, v5
	v_pk_mul_f32 v[4:5], v[12:13], v[4:5] op_sel:[1,0] op_sel_hi:[0,0]
	v_pk_add_f32 v[2:3], v[2:3], v[6:7]
	v_pk_fma_f32 v[6:7], v[12:13], v[254:255], v[4:5] neg_lo:[0,0,1] neg_hi:[0,0,1]
	v_pk_fma_f32 v[4:5], v[12:13], v[254:255], v[4:5] op_sel_hi:[1,0,1]
	s_nop 0
	v_mov_b32_e32 v7, v5
	s_waitcnt vmcnt(0) lgkmcnt(0)
	v_pk_mul_f32 v[4:5], v[14:15], v[152:153] op_sel:[1,1] op_sel_hi:[0,1]
	v_pk_add_f32 v[2:3], v[2:3], v[6:7]
	v_pk_fma_f32 v[6:7], v[14:15], v[152:153], v[4:5] neg_lo:[0,0,1] neg_hi:[0,0,1]
	v_pk_fma_f32 v[4:5], v[14:15], v[152:153], v[4:5] op_sel_hi:[1,0,1]
	s_nop 0
	v_mov_b32_e32 v4, v155
	v_mov_b32_e32 v7, v5
	v_pk_mul_f32 v[4:5], v[16:17], v[4:5] op_sel:[1,0] op_sel_hi:[0,0]
	v_pk_add_f32 v[2:3], v[2:3], v[6:7]
	v_pk_fma_f32 v[6:7], v[16:17], v[154:155], v[4:5] neg_lo:[0,0,1] neg_hi:[0,0,1]
	v_pk_fma_f32 v[4:5], v[16:17], v[154:155], v[4:5] op_sel_hi:[1,0,1]
	s_nop 0
	v_mov_b32_e32 v7, v5
	scratch_load_dwordx2 v[4:5], off, off offset:16
	v_pk_add_f32 v[2:3], v[2:3], v[6:7]
	s_waitcnt vmcnt(0)
	v_pk_add_f32 v[2:3], v[4:5], v[2:3] neg_lo:[0,1] neg_hi:[0,1]
	scratch_store_dwordx2 off, v[2:3], off offset:16
	s_and_saveexec_b64 s[0:1], vcc
	s_cbranch_execz .LBB46_293
; %bb.292:
	scratch_load_dwordx2 v[2:3], off, off offset:8
	v_mov_b32_e32 v4, 0
	v_mov_b32_e32 v5, v4
	scratch_store_dwordx2 off, v[4:5], off offset:8
	s_waitcnt vmcnt(1)
	ds_write_b64 v1, v[2:3]
.LBB46_293:
	s_or_b64 exec, exec, s[0:1]
	v_mov_b32_e32 v110, 0
	s_waitcnt lgkmcnt(0)
	; wave barrier
	ds_read_b128 v[14:17], v110 offset:400
	ds_read_b128 v[10:13], v110 offset:416
	;; [unrolled: 1-line block ×4, first 2 shown]
	scratch_load_dwordx4 v[18:21], off, off offset:16
	scratch_load_dwordx4 v[38:41], off, off offset:80
	;; [unrolled: 1-line block ×13, first 2 shown]
	v_cmp_ne_u32_e32 vcc, 0, v0
	scratch_load_dwordx4 v[46:49], off, off offset:96
	scratch_load_dwordx4 v[54:57], off, off offset:112
	;; [unrolled: 1-line block ×3, first 2 shown]
	s_waitcnt vmcnt(15) lgkmcnt(3)
	v_mul_f32_e32 v22, v14, v19
	v_fmac_f32_e32 v22, v15, v18
	v_mul_f32_e32 v23, v16, v21
	v_add_f32_e32 v22, 0, v22
	v_fmac_f32_e32 v23, v17, v20
	v_add_f32_e32 v26, v22, v23
	scratch_load_dwordx4 v[22:25], off, off offset:32
	v_mul_f32_e32 v15, v15, v19
	v_fma_f32 v14, v14, v18, -v15
	v_mul_f32_e32 v15, v17, v21
	v_add_f32_e32 v14, 0, v14
	v_fma_f32 v15, v16, v20, -v15
	v_add_f32_e32 v14, v14, v15
	s_waitcnt vmcnt(4)
	v_mov_b32_e32 v18, v155
	s_waitcnt vmcnt(0) lgkmcnt(2)
	v_mul_f32_e32 v27, v10, v23
	v_fmac_f32_e32 v27, v11, v22
	v_add_f32_e32 v26, v26, v27
	v_mul_f32_e32 v27, v12, v25
	v_fmac_f32_e32 v27, v13, v24
	v_add_f32_e32 v30, v26, v27
	scratch_load_dwordx4 v[26:29], off, off offset:48
	v_mul_f32_e32 v11, v11, v23
	v_fma_f32 v10, v10, v22, -v11
	v_mul_f32_e32 v11, v13, v25
	v_add_f32_e32 v10, v14, v10
	v_fma_f32 v11, v12, v24, -v11
	v_add_f32_e32 v10, v10, v11
	s_waitcnt vmcnt(0) lgkmcnt(1)
	v_mul_f32_e32 v31, v6, v27
	v_fmac_f32_e32 v31, v7, v26
	v_add_f32_e32 v30, v30, v31
	v_mul_f32_e32 v31, v8, v29
	v_fmac_f32_e32 v31, v9, v28
	v_add_f32_e32 v34, v30, v31
	scratch_load_dwordx4 v[30:33], off, off offset:64
	v_mul_f32_e32 v7, v7, v27
	v_fma_f32 v6, v6, v26, -v7
	v_mul_f32_e32 v7, v9, v29
	v_add_f32_e32 v6, v10, v6
	v_fma_f32 v7, v8, v28, -v7
	v_add_f32_e32 v6, v6, v7
	s_waitcnt vmcnt(0) lgkmcnt(0)
	v_mul_f32_e32 v35, v2, v31
	v_fmac_f32_e32 v35, v3, v30
	v_add_f32_e32 v34, v34, v35
	v_mul_f32_e32 v35, v4, v33
	v_fmac_f32_e32 v35, v5, v32
	v_add_f32_e32 v42, v34, v35
	ds_read_b128 v[34:37], v110 offset:464
	v_mul_f32_e32 v3, v3, v31
	v_fma_f32 v2, v2, v30, -v3
	v_mul_f32_e32 v3, v5, v33
	v_add_f32_e32 v2, v6, v2
	s_waitcnt lgkmcnt(0)
	v_mul_f32_e32 v43, v34, v39
	v_fmac_f32_e32 v43, v35, v38
	v_add_f32_e32 v42, v42, v43
	v_mul_f32_e32 v43, v36, v41
	v_fmac_f32_e32 v43, v37, v40
	v_add_f32_e32 v50, v42, v43
	ds_read_b128 v[42:45], v110 offset:480
	v_fma_f32 v3, v4, v32, -v3
	v_add_f32_e32 v2, v2, v3
	v_mul_f32_e32 v3, v35, v39
	v_fma_f32 v3, v34, v38, -v3
	s_waitcnt lgkmcnt(0)
	v_mul_f32_e32 v51, v42, v47
	v_fmac_f32_e32 v51, v43, v46
	v_add_f32_e32 v50, v50, v51
	v_mul_f32_e32 v51, v44, v49
	v_fmac_f32_e32 v51, v45, v48
	v_add_f32_e32 v58, v50, v51
	ds_read_b128 v[50:53], v110 offset:496
	v_add_f32_e32 v2, v2, v3
	v_mul_f32_e32 v3, v37, v41
	v_fma_f32 v3, v36, v40, -v3
	v_add_f32_e32 v2, v2, v3
	s_waitcnt lgkmcnt(0)
	v_mul_f32_e32 v59, v50, v55
	v_fmac_f32_e32 v59, v51, v54
	v_add_f32_e32 v58, v58, v59
	v_mul_f32_e32 v59, v52, v57
	v_fmac_f32_e32 v59, v53, v56
	v_add_f32_e32 v66, v58, v59
	ds_read_b128 v[58:61], v110 offset:512
	v_mul_f32_e32 v3, v43, v47
	v_fma_f32 v3, v42, v46, -v3
	v_add_f32_e32 v2, v2, v3
	v_mul_f32_e32 v3, v45, v49
	s_waitcnt lgkmcnt(0)
	v_mul_f32_e32 v67, v58, v63
	v_fmac_f32_e32 v67, v59, v62
	v_add_f32_e32 v66, v66, v67
	v_mul_f32_e32 v67, v60, v65
	v_fmac_f32_e32 v67, v61, v64
	v_add_f32_e32 v74, v66, v67
	ds_read_b128 v[66:69], v110 offset:528
	v_fma_f32 v3, v44, v48, -v3
	v_add_f32_e32 v2, v2, v3
	v_mul_f32_e32 v3, v51, v55
	v_fma_f32 v3, v50, v54, -v3
	s_waitcnt lgkmcnt(0)
	v_mul_f32_e32 v75, v66, v71
	v_fmac_f32_e32 v75, v67, v70
	v_add_f32_e32 v74, v74, v75
	v_mul_f32_e32 v75, v68, v73
	v_fmac_f32_e32 v75, v69, v72
	v_add_f32_e32 v82, v74, v75
	ds_read_b128 v[74:77], v110 offset:544
	v_add_f32_e32 v2, v2, v3
	v_mul_f32_e32 v3, v53, v57
	v_fma_f32 v3, v52, v56, -v3
	v_add_f32_e32 v2, v2, v3
	s_waitcnt lgkmcnt(0)
	v_mul_f32_e32 v83, v74, v79
	v_fmac_f32_e32 v83, v75, v78
	v_add_f32_e32 v82, v82, v83
	v_mul_f32_e32 v83, v76, v81
	v_fmac_f32_e32 v83, v77, v80
	v_add_f32_e32 v90, v82, v83
	ds_read_b128 v[82:85], v110 offset:560
	v_mul_f32_e32 v3, v59, v63
	v_fma_f32 v3, v58, v62, -v3
	v_add_f32_e32 v2, v2, v3
	v_mul_f32_e32 v3, v61, v65
	;; [unrolled: 36-line block ×4, first 2 shown]
	s_waitcnt lgkmcnt(0)
	v_mul_f32_e32 v140, v132, v137
	v_fmac_f32_e32 v140, v133, v136
	v_add_f32_e32 v111, v111, v140
	v_mul_f32_e32 v140, v134, v139
	v_fmac_f32_e32 v140, v135, v138
	v_add_f32_e32 v111, v111, v140
	ds_read_b128 v[140:143], v110 offset:672
	v_fma_f32 v3, v92, v96, -v3
	v_add_f32_e32 v2, v2, v3
	v_mul_f32_e32 v3, v99, v103
	v_fma_f32 v3, v98, v102, -v3
	s_waitcnt lgkmcnt(0)
	v_mul_f32_e32 v148, v140, v145
	v_fmac_f32_e32 v148, v141, v144
	v_add_f32_e32 v161, v111, v148
	ds_read_b128 v[148:151], v110 offset:688
	scratch_load_dwordx4 v[248:251], off, off offset:320
	scratch_load_dwordx4 v[252:255], off, off offset:336
	;; [unrolled: 1-line block ×3, first 2 shown]
	scratch_load_dwordx2 v[166:167], off, off offset:368
	v_add_f32_e32 v2, v2, v3
	v_mul_f32_e32 v3, v101, v105
	v_fma_f32 v3, v100, v104, -v3
	v_add_f32_e32 v2, v2, v3
	v_mul_f32_e32 v3, v107, v113
	v_fma_f32 v3, v106, v112, -v3
	;; [unrolled: 3-line block ×10, first 2 shown]
	v_add_f32_e32 v160, v2, v3
	v_mul_f32_e32 v2, v143, v147
	v_mul_f32_e32 v163, v142, v147
	v_fma_f32 v162, v142, v146, -v2
	s_waitcnt lgkmcnt(0)
	v_mul_f32_e32 v2, v149, v153
	v_fmac_f32_e32 v163, v143, v146
	v_mul_f32_e32 v165, v148, v153
	v_fma_f32 v164, v148, v152, -v2
	ds_read_b128 v[2:5], v110 offset:704
	ds_read_b128 v[6:9], v110 offset:720
	;; [unrolled: 1-line block ×3, first 2 shown]
	ds_read_b64 v[14:15], v110 offset:752
	v_pk_mul_f32 v[18:19], v[150:151], v[18:19] op_sel:[1,0] op_sel_hi:[0,0]
	v_fmac_f32_e32 v165, v149, v152
	v_pk_add_f32 v[16:17], v[160:161], v[162:163]
	v_pk_fma_f32 v[20:21], v[150:151], v[154:155], v[18:19] neg_lo:[0,0,1] neg_hi:[0,0,1]
	v_pk_fma_f32 v[18:19], v[150:151], v[154:155], v[18:19] op_sel_hi:[1,0,1]
	v_pk_add_f32 v[16:17], v[16:17], v[164:165]
	v_mov_b32_e32 v21, v19
	v_pk_add_f32 v[16:17], v[16:17], v[20:21]
	s_waitcnt vmcnt(3) lgkmcnt(3)
	v_pk_mul_f32 v[18:19], v[2:3], v[248:249] op_sel:[1,1] op_sel_hi:[0,1]
	v_pk_fma_f32 v[20:21], v[2:3], v[248:249], v[18:19] neg_lo:[0,0,1] neg_hi:[0,0,1]
	v_pk_fma_f32 v[2:3], v[2:3], v[248:249], v[18:19] op_sel_hi:[1,0,1]
	s_nop 0
	v_mov_b32_e32 v21, v3
	v_pk_add_f32 v[2:3], v[16:17], v[20:21]
	v_mov_b32_e32 v16, v251
	v_pk_mul_f32 v[16:17], v[4:5], v[16:17] op_sel:[1,0] op_sel_hi:[0,0]
	v_pk_fma_f32 v[18:19], v[4:5], v[250:251], v[16:17] neg_lo:[0,0,1] neg_hi:[0,0,1]
	v_pk_fma_f32 v[4:5], v[4:5], v[250:251], v[16:17] op_sel_hi:[1,0,1]
	s_nop 0
	v_mov_b32_e32 v19, v5
	s_waitcnt vmcnt(2) lgkmcnt(2)
	v_pk_mul_f32 v[4:5], v[6:7], v[252:253] op_sel:[1,1] op_sel_hi:[0,1]
	v_pk_fma_f32 v[16:17], v[6:7], v[252:253], v[4:5] neg_lo:[0,0,1] neg_hi:[0,0,1]
	v_pk_fma_f32 v[4:5], v[6:7], v[252:253], v[4:5] op_sel_hi:[1,0,1]
	v_pk_add_f32 v[2:3], v[2:3], v[18:19]
	v_mov_b32_e32 v4, v255
	v_mov_b32_e32 v17, v5
	v_pk_mul_f32 v[4:5], v[8:9], v[4:5] op_sel:[1,0] op_sel_hi:[0,0]
	v_pk_fma_f32 v[6:7], v[8:9], v[254:255], v[4:5] neg_lo:[0,0,1] neg_hi:[0,0,1]
	v_pk_fma_f32 v[4:5], v[8:9], v[254:255], v[4:5] op_sel_hi:[1,0,1]
	v_pk_add_f32 v[2:3], v[2:3], v[16:17]
	v_mov_b32_e32 v7, v5
	s_waitcnt vmcnt(1) lgkmcnt(1)
	v_pk_mul_f32 v[4:5], v[10:11], v[156:157] op_sel:[1,1] op_sel_hi:[0,1]
	v_pk_add_f32 v[2:3], v[2:3], v[6:7]
	v_pk_fma_f32 v[6:7], v[10:11], v[156:157], v[4:5] neg_lo:[0,0,1] neg_hi:[0,0,1]
	v_pk_fma_f32 v[4:5], v[10:11], v[156:157], v[4:5] op_sel_hi:[1,0,1]
	s_nop 0
	v_mov_b32_e32 v4, v159
	v_mov_b32_e32 v7, v5
	v_pk_mul_f32 v[4:5], v[12:13], v[4:5] op_sel:[1,0] op_sel_hi:[0,0]
	v_pk_add_f32 v[2:3], v[2:3], v[6:7]
	v_pk_fma_f32 v[6:7], v[12:13], v[158:159], v[4:5] neg_lo:[0,0,1] neg_hi:[0,0,1]
	v_pk_fma_f32 v[4:5], v[12:13], v[158:159], v[4:5] op_sel_hi:[1,0,1]
	s_nop 0
	v_mov_b32_e32 v7, v5
	s_waitcnt vmcnt(0) lgkmcnt(0)
	v_pk_mul_f32 v[4:5], v[14:15], v[166:167] op_sel:[1,1] op_sel_hi:[0,1]
	v_pk_add_f32 v[2:3], v[2:3], v[6:7]
	v_pk_fma_f32 v[6:7], v[14:15], v[166:167], v[4:5] neg_lo:[0,0,1] neg_hi:[0,0,1]
	v_pk_fma_f32 v[4:5], v[14:15], v[166:167], v[4:5] op_sel_hi:[1,0,1]
	s_nop 0
	v_mov_b32_e32 v7, v5
	scratch_load_dwordx2 v[4:5], off, off offset:8
	v_pk_add_f32 v[2:3], v[2:3], v[6:7]
	s_waitcnt vmcnt(0)
	v_pk_add_f32 v[2:3], v[4:5], v[2:3] neg_lo:[0,1] neg_hi:[0,1]
	scratch_store_dwordx2 off, v[2:3], off offset:8
	s_and_saveexec_b64 s[0:1], vcc
	s_cbranch_execz .LBB46_295
; %bb.294:
	scratch_load_dwordx2 v[2:3], off, off
	v_mov_b32_e32 v111, v110
	scratch_store_dwordx2 off, v[110:111], off
	s_waitcnt vmcnt(1)
	ds_write_b64 v1, v[2:3]
.LBB46_295:
	s_or_b64 exec, exec, s[0:1]
	s_waitcnt lgkmcnt(0)
	; wave barrier
	scratch_load_dwordx4 v[4:7], off, off offset:8
	scratch_load_dwordx4 v[12:15], off, off offset:24
	;; [unrolled: 1-line block ×10, first 2 shown]
	ds_read2_b64 v[0:3], v110 offset0:49 offset1:50
	ds_read2_b64 v[116:119], v110 offset0:77 offset1:78
	scratch_load_dwordx4 v[84:87], off, off offset:168
	scratch_load_dwordx4 v[92:95], off, off offset:184
	;; [unrolled: 1-line block ×9, first 2 shown]
	s_and_b64 vcc, exec, s[18:19]
	ds_read2_b64 v[124:127], v110 offset0:79 offset1:80
	ds_read2_b64 v[132:135], v110 offset0:81 offset1:82
	;; [unrolled: 1-line block ×4, first 2 shown]
	s_waitcnt vmcnt(18) lgkmcnt(5)
	v_mul_f32_e32 v8, v0, v5
	v_fmac_f32_e32 v8, v1, v4
	v_mul_f32_e32 v9, v2, v7
	v_add_f32_e32 v8, 0, v8
	v_fmac_f32_e32 v9, v3, v6
	v_add_f32_e32 v16, v8, v9
	ds_read2_b64 v[8:11], v110 offset0:51 offset1:52
	v_mul_f32_e32 v1, v1, v5
	v_fma_f32 v0, v0, v4, -v1
	v_mul_f32_e32 v1, v3, v7
	v_add_f32_e32 v0, 0, v0
	s_waitcnt vmcnt(17) lgkmcnt(0)
	v_mul_f32_e32 v17, v8, v13
	v_fmac_f32_e32 v17, v9, v12
	v_add_f32_e32 v16, v16, v17
	v_mul_f32_e32 v17, v10, v15
	v_fmac_f32_e32 v17, v11, v14
	v_add_f32_e32 v24, v16, v17
	ds_read2_b64 v[16:19], v110 offset0:53 offset1:54
	v_fma_f32 v1, v2, v6, -v1
	v_add_f32_e32 v0, v0, v1
	v_mul_f32_e32 v1, v9, v13
	v_fma_f32 v1, v8, v12, -v1
	s_waitcnt vmcnt(16) lgkmcnt(0)
	v_mul_f32_e32 v25, v16, v21
	v_fmac_f32_e32 v25, v17, v20
	v_add_f32_e32 v24, v24, v25
	v_mul_f32_e32 v25, v18, v23
	v_fmac_f32_e32 v25, v19, v22
	v_add_f32_e32 v32, v24, v25
	ds_read2_b64 v[24:27], v110 offset0:55 offset1:56
	v_add_f32_e32 v0, v0, v1
	v_mul_f32_e32 v1, v11, v15
	v_fma_f32 v1, v10, v14, -v1
	v_add_f32_e32 v0, v0, v1
	s_waitcnt vmcnt(15) lgkmcnt(0)
	v_mul_f32_e32 v33, v24, v29
	v_fmac_f32_e32 v33, v25, v28
	v_add_f32_e32 v32, v32, v33
	v_mul_f32_e32 v33, v26, v31
	v_fmac_f32_e32 v33, v27, v30
	v_add_f32_e32 v40, v32, v33
	ds_read2_b64 v[32:35], v110 offset0:57 offset1:58
	v_mul_f32_e32 v1, v17, v21
	v_fma_f32 v1, v16, v20, -v1
	v_add_f32_e32 v0, v0, v1
	v_mul_f32_e32 v1, v19, v23
	s_waitcnt vmcnt(14) lgkmcnt(0)
	v_mul_f32_e32 v41, v32, v37
	v_fmac_f32_e32 v41, v33, v36
	v_add_f32_e32 v40, v40, v41
	v_mul_f32_e32 v41, v34, v39
	v_fmac_f32_e32 v41, v35, v38
	v_add_f32_e32 v48, v40, v41
	ds_read2_b64 v[40:43], v110 offset0:59 offset1:60
	v_fma_f32 v1, v18, v22, -v1
	v_add_f32_e32 v0, v0, v1
	v_mul_f32_e32 v1, v25, v29
	v_fma_f32 v1, v24, v28, -v1
	s_waitcnt vmcnt(13) lgkmcnt(0)
	v_mul_f32_e32 v49, v40, v45
	v_fmac_f32_e32 v49, v41, v44
	v_add_f32_e32 v48, v48, v49
	v_mul_f32_e32 v49, v42, v47
	v_fmac_f32_e32 v49, v43, v46
	v_add_f32_e32 v56, v48, v49
	ds_read2_b64 v[48:51], v110 offset0:61 offset1:62
	v_add_f32_e32 v0, v0, v1
	v_mul_f32_e32 v1, v27, v31
	v_fma_f32 v1, v26, v30, -v1
	v_add_f32_e32 v0, v0, v1
	s_waitcnt vmcnt(12) lgkmcnt(0)
	v_mul_f32_e32 v57, v48, v53
	v_fmac_f32_e32 v57, v49, v52
	v_add_f32_e32 v56, v56, v57
	v_mul_f32_e32 v57, v50, v55
	v_fmac_f32_e32 v57, v51, v54
	v_add_f32_e32 v64, v56, v57
	ds_read2_b64 v[56:59], v110 offset0:63 offset1:64
	v_mul_f32_e32 v1, v33, v37
	v_fma_f32 v1, v32, v36, -v1
	v_add_f32_e32 v0, v0, v1
	v_mul_f32_e32 v1, v35, v39
	;; [unrolled: 36-line block ×3, first 2 shown]
	s_waitcnt vmcnt(8) lgkmcnt(0)
	v_mul_f32_e32 v89, v80, v85
	v_fmac_f32_e32 v89, v81, v84
	v_add_f32_e32 v88, v88, v89
	v_mul_f32_e32 v89, v82, v87
	v_fmac_f32_e32 v89, v83, v86
	v_add_f32_e32 v96, v88, v89
	ds_read2_b64 v[88:91], v110 offset0:71 offset1:72
	v_fma_f32 v1, v50, v54, -v1
	v_add_f32_e32 v0, v0, v1
	v_mul_f32_e32 v1, v57, v61
	v_fma_f32 v1, v56, v60, -v1
	s_waitcnt vmcnt(7) lgkmcnt(0)
	v_mul_f32_e32 v97, v88, v93
	v_fmac_f32_e32 v97, v89, v92
	v_add_f32_e32 v96, v96, v97
	v_mul_f32_e32 v97, v90, v95
	v_fmac_f32_e32 v97, v91, v94
	v_add_f32_e32 v104, v96, v97
	ds_read2_b64 v[96:99], v110 offset0:73 offset1:74
	v_add_f32_e32 v0, v0, v1
	v_mul_f32_e32 v1, v59, v63
	v_fma_f32 v1, v58, v62, -v1
	v_add_f32_e32 v0, v0, v1
	s_waitcnt vmcnt(6) lgkmcnt(0)
	v_mul_f32_e32 v105, v96, v101
	v_fmac_f32_e32 v105, v97, v100
	v_add_f32_e32 v104, v104, v105
	v_mul_f32_e32 v105, v98, v103
	v_fmac_f32_e32 v105, v99, v102
	v_add_f32_e32 v108, v104, v105
	ds_read2_b64 v[104:107], v110 offset0:75 offset1:76
	scratch_load_dwordx4 v[156:159], off, off offset:312
	scratch_load_dwordx4 v[248:251], off, off offset:328
	;; [unrolled: 1-line block ×4, first 2 shown]
	v_mul_f32_e32 v1, v65, v69
	v_fma_f32 v1, v64, v68, -v1
	v_add_f32_e32 v0, v0, v1
	v_mul_f32_e32 v1, v67, v71
	v_fma_f32 v1, v66, v70, -v1
	v_add_f32_e32 v0, v0, v1
	;; [unrolled: 3-line block ×9, first 2 shown]
	v_mul_f32_e32 v1, v99, v103
	v_fma_f32 v1, v98, v102, -v1
	s_waitcnt vmcnt(9) lgkmcnt(0)
	v_mul_f32_e32 v109, v104, v113
	v_add_f32_e32 v0, v0, v1
	v_mul_f32_e32 v1, v105, v113
	v_fmac_f32_e32 v109, v105, v112
	v_fma_f32 v1, v104, v112, -v1
	v_add_f32_e32 v108, v108, v109
	v_mul_f32_e32 v109, v106, v115
	v_add_f32_e32 v0, v0, v1
	v_mul_f32_e32 v1, v107, v115
	v_fmac_f32_e32 v109, v107, v114
	v_fma_f32 v1, v106, v114, -v1
	v_add_f32_e32 v108, v108, v109
	s_waitcnt vmcnt(8)
	v_mul_f32_e32 v109, v116, v121
	v_add_f32_e32 v0, v0, v1
	v_mul_f32_e32 v1, v117, v121
	v_fmac_f32_e32 v109, v117, v120
	v_fma_f32 v1, v116, v120, -v1
	v_add_f32_e32 v108, v108, v109
	v_mul_f32_e32 v109, v118, v123
	v_add_f32_e32 v0, v0, v1
	v_mul_f32_e32 v1, v119, v123
	v_fmac_f32_e32 v109, v119, v122
	v_fma_f32 v1, v118, v122, -v1
	v_add_f32_e32 v108, v108, v109
	s_waitcnt vmcnt(7)
	v_mul_f32_e32 v109, v124, v129
	v_add_f32_e32 v0, v0, v1
	v_mul_f32_e32 v1, v125, v129
	v_fmac_f32_e32 v109, v125, v128
	v_fma_f32 v1, v124, v128, -v1
	v_add_f32_e32 v108, v108, v109
	v_mul_f32_e32 v109, v126, v131
	v_add_f32_e32 v0, v0, v1
	v_mul_f32_e32 v1, v127, v131
	v_fmac_f32_e32 v109, v127, v130
	v_fma_f32 v1, v126, v130, -v1
	v_add_f32_e32 v108, v108, v109
	s_waitcnt vmcnt(6)
	v_mul_f32_e32 v109, v132, v137
	v_add_f32_e32 v0, v0, v1
	v_mul_f32_e32 v1, v133, v137
	v_fmac_f32_e32 v109, v133, v136
	v_fma_f32 v1, v132, v136, -v1
	v_add_f32_e32 v108, v108, v109
	v_mul_f32_e32 v109, v134, v139
	v_add_f32_e32 v0, v0, v1
	v_mul_f32_e32 v1, v135, v139
	v_fmac_f32_e32 v109, v135, v138
	v_fma_f32 v1, v134, v138, -v1
	v_add_f32_e32 v108, v108, v109
	s_waitcnt vmcnt(5)
	v_mul_f32_e32 v109, v140, v145
	v_add_f32_e32 v0, v0, v1
	v_mul_f32_e32 v1, v141, v145
	v_fmac_f32_e32 v109, v141, v144
	v_fma_f32 v1, v140, v144, -v1
	v_add_f32_e32 v108, v108, v109
	v_mul_f32_e32 v109, v142, v147
	v_add_f32_e32 v0, v0, v1
	v_mul_f32_e32 v1, v143, v147
	v_fmac_f32_e32 v109, v143, v146
	v_fma_f32 v1, v142, v146, -v1
	v_add_f32_e32 v109, v108, v109
	v_add_f32_e32 v108, v0, v1
	s_waitcnt vmcnt(4)
	v_mul_f32_e32 v0, v149, v153
	v_fma_f32 v164, v148, v152, -v0
	v_mul_f32_e32 v0, v151, v155
	v_fma_f32 v166, v150, v154, -v0
	ds_read2_b64 v[0:3], v110 offset0:87 offset1:88
	ds_read2_b64 v[4:7], v110 offset0:89 offset1:90
	;; [unrolled: 1-line block ×4, first 2 shown]
	v_mul_f32_e32 v165, v148, v153
	v_fmac_f32_e32 v165, v149, v152
	v_mul_f32_e32 v167, v150, v155
	s_waitcnt vmcnt(3) lgkmcnt(3)
	v_pk_mul_f32 v[18:19], v[0:1], v[156:157] op_sel:[1,1] op_sel_hi:[0,1]
	v_fmac_f32_e32 v167, v151, v154
	v_pk_add_f32 v[16:17], v[108:109], v[164:165]
	v_pk_fma_f32 v[20:21], v[0:1], v[156:157], v[18:19] neg_lo:[0,0,1] neg_hi:[0,0,1]
	v_pk_fma_f32 v[0:1], v[0:1], v[156:157], v[18:19] op_sel_hi:[1,0,1]
	v_pk_add_f32 v[16:17], v[16:17], v[166:167]
	v_mov_b32_e32 v21, v1
	v_pk_add_f32 v[0:1], v[16:17], v[20:21]
	v_mov_b32_e32 v16, v159
	v_pk_mul_f32 v[16:17], v[2:3], v[16:17] op_sel:[1,0] op_sel_hi:[0,0]
	v_pk_fma_f32 v[18:19], v[2:3], v[158:159], v[16:17] neg_lo:[0,0,1] neg_hi:[0,0,1]
	v_pk_fma_f32 v[2:3], v[2:3], v[158:159], v[16:17] op_sel_hi:[1,0,1]
	s_nop 0
	v_mov_b32_e32 v19, v3
	s_waitcnt vmcnt(2) lgkmcnt(2)
	v_pk_mul_f32 v[2:3], v[4:5], v[248:249] op_sel:[1,1] op_sel_hi:[0,1]
	v_pk_fma_f32 v[16:17], v[4:5], v[248:249], v[2:3] neg_lo:[0,0,1] neg_hi:[0,0,1]
	v_pk_fma_f32 v[2:3], v[4:5], v[248:249], v[2:3] op_sel_hi:[1,0,1]
	v_pk_add_f32 v[0:1], v[0:1], v[18:19]
	v_mov_b32_e32 v2, v251
	v_mov_b32_e32 v17, v3
	v_pk_mul_f32 v[2:3], v[6:7], v[2:3] op_sel:[1,0] op_sel_hi:[0,0]
	v_pk_fma_f32 v[4:5], v[6:7], v[250:251], v[2:3] neg_lo:[0,0,1] neg_hi:[0,0,1]
	v_pk_fma_f32 v[2:3], v[6:7], v[250:251], v[2:3] op_sel_hi:[1,0,1]
	v_pk_add_f32 v[0:1], v[0:1], v[16:17]
	v_mov_b32_e32 v5, v3
	s_waitcnt vmcnt(1) lgkmcnt(1)
	v_pk_mul_f32 v[2:3], v[8:9], v[252:253] op_sel:[1,1] op_sel_hi:[0,1]
	v_pk_add_f32 v[0:1], v[0:1], v[4:5]
	v_pk_fma_f32 v[4:5], v[8:9], v[252:253], v[2:3] neg_lo:[0,0,1] neg_hi:[0,0,1]
	v_pk_fma_f32 v[2:3], v[8:9], v[252:253], v[2:3] op_sel_hi:[1,0,1]
	s_nop 0
	v_mov_b32_e32 v2, v255
	v_mov_b32_e32 v5, v3
	v_pk_mul_f32 v[2:3], v[10:11], v[2:3] op_sel:[1,0] op_sel_hi:[0,0]
	v_pk_add_f32 v[0:1], v[0:1], v[4:5]
	v_pk_fma_f32 v[4:5], v[10:11], v[254:255], v[2:3] neg_lo:[0,0,1] neg_hi:[0,0,1]
	v_pk_fma_f32 v[2:3], v[10:11], v[254:255], v[2:3] op_sel_hi:[1,0,1]
	s_nop 0
	v_mov_b32_e32 v5, v3
	s_waitcnt vmcnt(0) lgkmcnt(0)
	v_pk_mul_f32 v[2:3], v[12:13], v[160:161] op_sel:[1,1] op_sel_hi:[0,1]
	v_pk_add_f32 v[0:1], v[0:1], v[4:5]
	v_pk_fma_f32 v[4:5], v[12:13], v[160:161], v[2:3] neg_lo:[0,0,1] neg_hi:[0,0,1]
	v_pk_fma_f32 v[2:3], v[12:13], v[160:161], v[2:3] op_sel_hi:[1,0,1]
	s_nop 0
	v_mov_b32_e32 v2, v163
	v_mov_b32_e32 v5, v3
	v_pk_mul_f32 v[2:3], v[14:15], v[2:3] op_sel:[1,0] op_sel_hi:[0,0]
	v_pk_add_f32 v[0:1], v[0:1], v[4:5]
	v_pk_fma_f32 v[4:5], v[14:15], v[162:163], v[2:3] neg_lo:[0,0,1] neg_hi:[0,0,1]
	v_pk_fma_f32 v[2:3], v[14:15], v[162:163], v[2:3] op_sel_hi:[1,0,1]
	s_nop 0
	v_mov_b32_e32 v5, v3
	scratch_load_dwordx2 v[2:3], off, off
	v_pk_add_f32 v[0:1], v[0:1], v[4:5]
	s_waitcnt vmcnt(0)
	v_pk_add_f32 v[0:1], v[2:3], v[0:1] neg_lo:[0,1] neg_hi:[0,1]
	scratch_store_dwordx2 off, v[0:1], off
	s_cbranch_vccz .LBB46_388
; %bb.296:
	v_mov_b32_e32 v0, 0
	global_load_dword v1, v0, s[16:17] offset:180
	s_waitcnt vmcnt(0)
	v_readfirstlane_b32 s0, v1
	s_add_i32 s0, s0, -1
	s_cmp_lg_u32 s0, 45
	s_cbranch_scc0 .LBB46_298
; %bb.297:
	s_lshl_b32 s0, s0, 3
	s_nop 0
	scratch_load_dwordx2 v[2:3], off, s0
	scratch_load_dwordx2 v[4:5], off, off offset:360
	s_waitcnt vmcnt(1)
	scratch_store_dwordx2 off, v[2:3], off offset:360
	s_waitcnt vmcnt(1)
	scratch_store_dwordx2 off, v[4:5], s0
.LBB46_298:
	global_load_dword v0, v0, s[16:17] offset:176
	s_waitcnt vmcnt(0)
	v_readfirstlane_b32 s0, v0
	s_add_i32 s0, s0, -1
	s_cmp_eq_u32 s0, 44
	s_cbranch_scc1 .LBB46_300
; %bb.299:
	s_lshl_b32 s0, s0, 3
	s_nop 0
	scratch_load_dwordx2 v[0:1], off, s0
	scratch_load_dwordx2 v[2:3], off, off offset:352
	s_waitcnt vmcnt(1)
	scratch_store_dwordx2 off, v[0:1], off offset:352
	s_waitcnt vmcnt(1)
	scratch_store_dwordx2 off, v[2:3], s0
.LBB46_300:
	v_mov_b32_e32 v0, 0
	global_load_dword v1, v0, s[16:17] offset:172
	s_waitcnt vmcnt(0)
	v_readfirstlane_b32 s0, v1
	s_add_i32 s0, s0, -1
	s_cmp_eq_u32 s0, 43
	s_cbranch_scc1 .LBB46_302
; %bb.301:
	s_lshl_b32 s0, s0, 3
	s_nop 0
	scratch_load_dwordx2 v[2:3], off, s0
	scratch_load_dwordx2 v[4:5], off, off offset:344
	s_waitcnt vmcnt(1)
	scratch_store_dwordx2 off, v[2:3], off offset:344
	s_waitcnt vmcnt(1)
	scratch_store_dwordx2 off, v[4:5], s0
.LBB46_302:
	global_load_dword v0, v0, s[16:17] offset:168
	s_waitcnt vmcnt(0)
	v_readfirstlane_b32 s0, v0
	s_add_i32 s0, s0, -1
	s_cmp_eq_u32 s0, 42
	s_cbranch_scc1 .LBB46_304
; %bb.303:
	s_lshl_b32 s0, s0, 3
	s_nop 0
	scratch_load_dwordx2 v[0:1], off, s0
	scratch_load_dwordx2 v[2:3], off, off offset:336
	s_waitcnt vmcnt(1)
	scratch_store_dwordx2 off, v[0:1], off offset:336
	s_waitcnt vmcnt(1)
	scratch_store_dwordx2 off, v[2:3], s0
.LBB46_304:
	v_mov_b32_e32 v0, 0
	global_load_dword v1, v0, s[16:17] offset:164
	s_waitcnt vmcnt(0)
	v_readfirstlane_b32 s0, v1
	s_add_i32 s0, s0, -1
	s_cmp_eq_u32 s0, 41
	s_cbranch_scc1 .LBB46_306
; %bb.305:
	s_lshl_b32 s0, s0, 3
	s_nop 0
	scratch_load_dwordx2 v[2:3], off, s0
	scratch_load_dwordx2 v[4:5], off, off offset:328
	s_waitcnt vmcnt(1)
	scratch_store_dwordx2 off, v[2:3], off offset:328
	s_waitcnt vmcnt(1)
	scratch_store_dwordx2 off, v[4:5], s0
.LBB46_306:
	global_load_dword v0, v0, s[16:17] offset:160
	s_waitcnt vmcnt(0)
	v_readfirstlane_b32 s0, v0
	s_add_i32 s0, s0, -1
	s_cmp_eq_u32 s0, 40
	s_cbranch_scc1 .LBB46_308
; %bb.307:
	s_lshl_b32 s0, s0, 3
	s_nop 0
	scratch_load_dwordx2 v[0:1], off, s0
	scratch_load_dwordx2 v[2:3], off, off offset:320
	s_waitcnt vmcnt(1)
	scratch_store_dwordx2 off, v[0:1], off offset:320
	s_waitcnt vmcnt(1)
	scratch_store_dwordx2 off, v[2:3], s0
.LBB46_308:
	v_mov_b32_e32 v0, 0
	global_load_dword v1, v0, s[16:17] offset:156
	s_waitcnt vmcnt(0)
	v_readfirstlane_b32 s0, v1
	s_add_i32 s0, s0, -1
	s_cmp_eq_u32 s0, 39
	s_cbranch_scc1 .LBB46_310
; %bb.309:
	s_lshl_b32 s0, s0, 3
	s_nop 0
	scratch_load_dwordx2 v[2:3], off, s0
	scratch_load_dwordx2 v[4:5], off, off offset:312
	s_waitcnt vmcnt(1)
	scratch_store_dwordx2 off, v[2:3], off offset:312
	s_waitcnt vmcnt(1)
	scratch_store_dwordx2 off, v[4:5], s0
.LBB46_310:
	global_load_dword v0, v0, s[16:17] offset:152
	s_waitcnt vmcnt(0)
	v_readfirstlane_b32 s0, v0
	s_add_i32 s0, s0, -1
	s_cmp_eq_u32 s0, 38
	s_cbranch_scc1 .LBB46_312
; %bb.311:
	s_lshl_b32 s0, s0, 3
	s_nop 0
	scratch_load_dwordx2 v[0:1], off, s0
	scratch_load_dwordx2 v[2:3], off, off offset:304
	s_waitcnt vmcnt(1)
	scratch_store_dwordx2 off, v[0:1], off offset:304
	s_waitcnt vmcnt(1)
	scratch_store_dwordx2 off, v[2:3], s0
.LBB46_312:
	v_mov_b32_e32 v0, 0
	global_load_dword v1, v0, s[16:17] offset:148
	s_waitcnt vmcnt(0)
	v_readfirstlane_b32 s0, v1
	s_add_i32 s0, s0, -1
	s_cmp_eq_u32 s0, 37
	s_cbranch_scc1 .LBB46_314
; %bb.313:
	s_lshl_b32 s0, s0, 3
	s_nop 0
	scratch_load_dwordx2 v[2:3], off, s0
	scratch_load_dwordx2 v[4:5], off, off offset:296
	s_waitcnt vmcnt(1)
	scratch_store_dwordx2 off, v[2:3], off offset:296
	s_waitcnt vmcnt(1)
	scratch_store_dwordx2 off, v[4:5], s0
.LBB46_314:
	global_load_dword v0, v0, s[16:17] offset:144
	s_waitcnt vmcnt(0)
	v_readfirstlane_b32 s0, v0
	s_add_i32 s0, s0, -1
	s_cmp_eq_u32 s0, 36
	s_cbranch_scc1 .LBB46_316
; %bb.315:
	s_lshl_b32 s0, s0, 3
	s_nop 0
	scratch_load_dwordx2 v[0:1], off, s0
	scratch_load_dwordx2 v[2:3], off, off offset:288
	s_waitcnt vmcnt(1)
	scratch_store_dwordx2 off, v[0:1], off offset:288
	s_waitcnt vmcnt(1)
	scratch_store_dwordx2 off, v[2:3], s0
.LBB46_316:
	v_mov_b32_e32 v0, 0
	global_load_dword v1, v0, s[16:17] offset:140
	s_waitcnt vmcnt(0)
	v_readfirstlane_b32 s0, v1
	s_add_i32 s0, s0, -1
	s_cmp_eq_u32 s0, 35
	s_cbranch_scc1 .LBB46_318
; %bb.317:
	s_lshl_b32 s0, s0, 3
	s_nop 0
	scratch_load_dwordx2 v[2:3], off, s0
	scratch_load_dwordx2 v[4:5], off, off offset:280
	s_waitcnt vmcnt(1)
	scratch_store_dwordx2 off, v[2:3], off offset:280
	s_waitcnt vmcnt(1)
	scratch_store_dwordx2 off, v[4:5], s0
.LBB46_318:
	global_load_dword v0, v0, s[16:17] offset:136
	s_waitcnt vmcnt(0)
	v_readfirstlane_b32 s0, v0
	s_add_i32 s0, s0, -1
	s_cmp_eq_u32 s0, 34
	s_cbranch_scc1 .LBB46_320
; %bb.319:
	s_lshl_b32 s0, s0, 3
	s_nop 0
	scratch_load_dwordx2 v[0:1], off, s0
	scratch_load_dwordx2 v[2:3], off, off offset:272
	s_waitcnt vmcnt(1)
	scratch_store_dwordx2 off, v[0:1], off offset:272
	s_waitcnt vmcnt(1)
	scratch_store_dwordx2 off, v[2:3], s0
.LBB46_320:
	v_mov_b32_e32 v0, 0
	global_load_dword v1, v0, s[16:17] offset:132
	s_waitcnt vmcnt(0)
	v_readfirstlane_b32 s0, v1
	s_add_i32 s0, s0, -1
	s_cmp_eq_u32 s0, 33
	s_cbranch_scc1 .LBB46_322
; %bb.321:
	s_lshl_b32 s0, s0, 3
	s_nop 0
	scratch_load_dwordx2 v[2:3], off, s0
	scratch_load_dwordx2 v[4:5], off, off offset:264
	s_waitcnt vmcnt(1)
	scratch_store_dwordx2 off, v[2:3], off offset:264
	s_waitcnt vmcnt(1)
	scratch_store_dwordx2 off, v[4:5], s0
.LBB46_322:
	global_load_dword v0, v0, s[16:17] offset:128
	s_waitcnt vmcnt(0)
	v_readfirstlane_b32 s0, v0
	s_add_i32 s0, s0, -1
	s_cmp_eq_u32 s0, 32
	s_cbranch_scc1 .LBB46_324
; %bb.323:
	s_lshl_b32 s0, s0, 3
	s_nop 0
	scratch_load_dwordx2 v[0:1], off, s0
	scratch_load_dwordx2 v[2:3], off, off offset:256
	s_waitcnt vmcnt(1)
	scratch_store_dwordx2 off, v[0:1], off offset:256
	s_waitcnt vmcnt(1)
	scratch_store_dwordx2 off, v[2:3], s0
.LBB46_324:
	v_mov_b32_e32 v0, 0
	global_load_dword v1, v0, s[16:17] offset:124
	s_waitcnt vmcnt(0)
	v_readfirstlane_b32 s0, v1
	s_add_i32 s0, s0, -1
	s_cmp_eq_u32 s0, 31
	s_cbranch_scc1 .LBB46_326
; %bb.325:
	s_lshl_b32 s0, s0, 3
	s_nop 0
	scratch_load_dwordx2 v[2:3], off, s0
	scratch_load_dwordx2 v[4:5], off, off offset:248
	s_waitcnt vmcnt(1)
	scratch_store_dwordx2 off, v[2:3], off offset:248
	s_waitcnt vmcnt(1)
	scratch_store_dwordx2 off, v[4:5], s0
.LBB46_326:
	global_load_dword v0, v0, s[16:17] offset:120
	s_waitcnt vmcnt(0)
	v_readfirstlane_b32 s0, v0
	s_add_i32 s0, s0, -1
	s_cmp_eq_u32 s0, 30
	s_cbranch_scc1 .LBB46_328
; %bb.327:
	s_lshl_b32 s0, s0, 3
	s_nop 0
	scratch_load_dwordx2 v[0:1], off, s0
	scratch_load_dwordx2 v[2:3], off, off offset:240
	s_waitcnt vmcnt(1)
	scratch_store_dwordx2 off, v[0:1], off offset:240
	s_waitcnt vmcnt(1)
	scratch_store_dwordx2 off, v[2:3], s0
.LBB46_328:
	v_mov_b32_e32 v0, 0
	global_load_dword v1, v0, s[16:17] offset:116
	s_waitcnt vmcnt(0)
	v_readfirstlane_b32 s0, v1
	s_add_i32 s0, s0, -1
	s_cmp_eq_u32 s0, 29
	s_cbranch_scc1 .LBB46_330
; %bb.329:
	s_lshl_b32 s0, s0, 3
	s_nop 0
	scratch_load_dwordx2 v[2:3], off, s0
	scratch_load_dwordx2 v[4:5], off, off offset:232
	s_waitcnt vmcnt(1)
	scratch_store_dwordx2 off, v[2:3], off offset:232
	s_waitcnt vmcnt(1)
	scratch_store_dwordx2 off, v[4:5], s0
.LBB46_330:
	global_load_dword v0, v0, s[16:17] offset:112
	s_waitcnt vmcnt(0)
	v_readfirstlane_b32 s0, v0
	s_add_i32 s0, s0, -1
	s_cmp_eq_u32 s0, 28
	s_cbranch_scc1 .LBB46_332
; %bb.331:
	s_lshl_b32 s0, s0, 3
	s_nop 0
	scratch_load_dwordx2 v[0:1], off, s0
	scratch_load_dwordx2 v[2:3], off, off offset:224
	s_waitcnt vmcnt(1)
	scratch_store_dwordx2 off, v[0:1], off offset:224
	s_waitcnt vmcnt(1)
	scratch_store_dwordx2 off, v[2:3], s0
.LBB46_332:
	v_mov_b32_e32 v0, 0
	global_load_dword v1, v0, s[16:17] offset:108
	s_waitcnt vmcnt(0)
	v_readfirstlane_b32 s0, v1
	s_add_i32 s0, s0, -1
	s_cmp_eq_u32 s0, 27
	s_cbranch_scc1 .LBB46_334
; %bb.333:
	s_lshl_b32 s0, s0, 3
	s_nop 0
	scratch_load_dwordx2 v[2:3], off, s0
	scratch_load_dwordx2 v[4:5], off, off offset:216
	s_waitcnt vmcnt(1)
	scratch_store_dwordx2 off, v[2:3], off offset:216
	s_waitcnt vmcnt(1)
	scratch_store_dwordx2 off, v[4:5], s0
.LBB46_334:
	global_load_dword v0, v0, s[16:17] offset:104
	s_waitcnt vmcnt(0)
	v_readfirstlane_b32 s0, v0
	s_add_i32 s0, s0, -1
	s_cmp_eq_u32 s0, 26
	s_cbranch_scc1 .LBB46_336
; %bb.335:
	s_lshl_b32 s0, s0, 3
	s_nop 0
	scratch_load_dwordx2 v[0:1], off, s0
	scratch_load_dwordx2 v[2:3], off, off offset:208
	s_waitcnt vmcnt(1)
	scratch_store_dwordx2 off, v[0:1], off offset:208
	s_waitcnt vmcnt(1)
	scratch_store_dwordx2 off, v[2:3], s0
.LBB46_336:
	v_mov_b32_e32 v0, 0
	global_load_dword v1, v0, s[16:17] offset:100
	s_waitcnt vmcnt(0)
	v_readfirstlane_b32 s0, v1
	s_add_i32 s0, s0, -1
	s_cmp_eq_u32 s0, 25
	s_cbranch_scc1 .LBB46_338
; %bb.337:
	s_lshl_b32 s0, s0, 3
	s_nop 0
	scratch_load_dwordx2 v[2:3], off, s0
	scratch_load_dwordx2 v[4:5], off, off offset:200
	s_waitcnt vmcnt(1)
	scratch_store_dwordx2 off, v[2:3], off offset:200
	s_waitcnt vmcnt(1)
	scratch_store_dwordx2 off, v[4:5], s0
.LBB46_338:
	global_load_dword v0, v0, s[16:17] offset:96
	s_waitcnt vmcnt(0)
	v_readfirstlane_b32 s0, v0
	s_add_i32 s0, s0, -1
	s_cmp_eq_u32 s0, 24
	s_cbranch_scc1 .LBB46_340
; %bb.339:
	s_lshl_b32 s0, s0, 3
	s_nop 0
	scratch_load_dwordx2 v[0:1], off, s0
	scratch_load_dwordx2 v[2:3], off, off offset:192
	s_waitcnt vmcnt(1)
	scratch_store_dwordx2 off, v[0:1], off offset:192
	s_waitcnt vmcnt(1)
	scratch_store_dwordx2 off, v[2:3], s0
.LBB46_340:
	v_mov_b32_e32 v0, 0
	global_load_dword v1, v0, s[16:17] offset:92
	s_waitcnt vmcnt(0)
	v_readfirstlane_b32 s0, v1
	s_add_i32 s0, s0, -1
	s_cmp_eq_u32 s0, 23
	s_cbranch_scc1 .LBB46_342
; %bb.341:
	s_lshl_b32 s0, s0, 3
	s_nop 0
	scratch_load_dwordx2 v[2:3], off, s0
	scratch_load_dwordx2 v[4:5], off, off offset:184
	s_waitcnt vmcnt(1)
	scratch_store_dwordx2 off, v[2:3], off offset:184
	s_waitcnt vmcnt(1)
	scratch_store_dwordx2 off, v[4:5], s0
.LBB46_342:
	global_load_dword v0, v0, s[16:17] offset:88
	s_waitcnt vmcnt(0)
	v_readfirstlane_b32 s0, v0
	s_add_i32 s0, s0, -1
	s_cmp_eq_u32 s0, 22
	s_cbranch_scc1 .LBB46_344
; %bb.343:
	s_lshl_b32 s0, s0, 3
	s_nop 0
	scratch_load_dwordx2 v[0:1], off, s0
	scratch_load_dwordx2 v[2:3], off, off offset:176
	s_waitcnt vmcnt(1)
	scratch_store_dwordx2 off, v[0:1], off offset:176
	s_waitcnt vmcnt(1)
	scratch_store_dwordx2 off, v[2:3], s0
.LBB46_344:
	v_mov_b32_e32 v0, 0
	global_load_dword v1, v0, s[16:17] offset:84
	s_waitcnt vmcnt(0)
	v_readfirstlane_b32 s0, v1
	s_add_i32 s0, s0, -1
	s_cmp_eq_u32 s0, 21
	s_cbranch_scc1 .LBB46_346
; %bb.345:
	s_lshl_b32 s0, s0, 3
	s_nop 0
	scratch_load_dwordx2 v[2:3], off, s0
	scratch_load_dwordx2 v[4:5], off, off offset:168
	s_waitcnt vmcnt(1)
	scratch_store_dwordx2 off, v[2:3], off offset:168
	s_waitcnt vmcnt(1)
	scratch_store_dwordx2 off, v[4:5], s0
.LBB46_346:
	global_load_dword v0, v0, s[16:17] offset:80
	s_waitcnt vmcnt(0)
	v_readfirstlane_b32 s0, v0
	s_add_i32 s0, s0, -1
	s_cmp_eq_u32 s0, 20
	s_cbranch_scc1 .LBB46_348
; %bb.347:
	s_lshl_b32 s0, s0, 3
	s_nop 0
	scratch_load_dwordx2 v[0:1], off, s0
	scratch_load_dwordx2 v[2:3], off, off offset:160
	s_waitcnt vmcnt(1)
	scratch_store_dwordx2 off, v[0:1], off offset:160
	s_waitcnt vmcnt(1)
	scratch_store_dwordx2 off, v[2:3], s0
.LBB46_348:
	v_mov_b32_e32 v0, 0
	global_load_dword v1, v0, s[16:17] offset:76
	s_waitcnt vmcnt(0)
	v_readfirstlane_b32 s0, v1
	s_add_i32 s0, s0, -1
	s_cmp_eq_u32 s0, 19
	s_cbranch_scc1 .LBB46_350
; %bb.349:
	s_lshl_b32 s0, s0, 3
	s_nop 0
	scratch_load_dwordx2 v[2:3], off, s0
	scratch_load_dwordx2 v[4:5], off, off offset:152
	s_waitcnt vmcnt(1)
	scratch_store_dwordx2 off, v[2:3], off offset:152
	s_waitcnt vmcnt(1)
	scratch_store_dwordx2 off, v[4:5], s0
.LBB46_350:
	global_load_dword v0, v0, s[16:17] offset:72
	s_waitcnt vmcnt(0)
	v_readfirstlane_b32 s0, v0
	s_add_i32 s0, s0, -1
	s_cmp_eq_u32 s0, 18
	s_cbranch_scc1 .LBB46_352
; %bb.351:
	s_lshl_b32 s0, s0, 3
	s_nop 0
	scratch_load_dwordx2 v[0:1], off, s0
	scratch_load_dwordx2 v[2:3], off, off offset:144
	s_waitcnt vmcnt(1)
	scratch_store_dwordx2 off, v[0:1], off offset:144
	s_waitcnt vmcnt(1)
	scratch_store_dwordx2 off, v[2:3], s0
.LBB46_352:
	v_mov_b32_e32 v0, 0
	global_load_dword v1, v0, s[16:17] offset:68
	s_waitcnt vmcnt(0)
	v_readfirstlane_b32 s0, v1
	s_add_i32 s0, s0, -1
	s_cmp_eq_u32 s0, 17
	s_cbranch_scc1 .LBB46_354
; %bb.353:
	s_lshl_b32 s0, s0, 3
	s_nop 0
	scratch_load_dwordx2 v[2:3], off, s0
	scratch_load_dwordx2 v[4:5], off, off offset:136
	s_waitcnt vmcnt(1)
	scratch_store_dwordx2 off, v[2:3], off offset:136
	s_waitcnt vmcnt(1)
	scratch_store_dwordx2 off, v[4:5], s0
.LBB46_354:
	global_load_dword v0, v0, s[16:17] offset:64
	s_waitcnt vmcnt(0)
	v_readfirstlane_b32 s0, v0
	s_add_i32 s0, s0, -1
	s_cmp_eq_u32 s0, 16
	s_cbranch_scc1 .LBB46_356
; %bb.355:
	s_lshl_b32 s0, s0, 3
	s_nop 0
	scratch_load_dwordx2 v[0:1], off, s0
	scratch_load_dwordx2 v[2:3], off, off offset:128
	s_waitcnt vmcnt(1)
	scratch_store_dwordx2 off, v[0:1], off offset:128
	s_waitcnt vmcnt(1)
	scratch_store_dwordx2 off, v[2:3], s0
.LBB46_356:
	v_mov_b32_e32 v0, 0
	global_load_dword v1, v0, s[16:17] offset:60
	s_waitcnt vmcnt(0)
	v_readfirstlane_b32 s0, v1
	s_add_i32 s0, s0, -1
	s_cmp_eq_u32 s0, 15
	s_cbranch_scc1 .LBB46_358
; %bb.357:
	s_lshl_b32 s0, s0, 3
	s_nop 0
	scratch_load_dwordx2 v[2:3], off, s0
	scratch_load_dwordx2 v[4:5], off, off offset:120
	s_waitcnt vmcnt(1)
	scratch_store_dwordx2 off, v[2:3], off offset:120
	s_waitcnt vmcnt(1)
	scratch_store_dwordx2 off, v[4:5], s0
.LBB46_358:
	global_load_dword v0, v0, s[16:17] offset:56
	s_waitcnt vmcnt(0)
	v_readfirstlane_b32 s0, v0
	s_add_i32 s0, s0, -1
	s_cmp_eq_u32 s0, 14
	s_cbranch_scc1 .LBB46_360
; %bb.359:
	s_lshl_b32 s0, s0, 3
	s_nop 0
	scratch_load_dwordx2 v[0:1], off, s0
	scratch_load_dwordx2 v[2:3], off, off offset:112
	s_waitcnt vmcnt(1)
	scratch_store_dwordx2 off, v[0:1], off offset:112
	s_waitcnt vmcnt(1)
	scratch_store_dwordx2 off, v[2:3], s0
.LBB46_360:
	v_mov_b32_e32 v0, 0
	global_load_dword v1, v0, s[16:17] offset:52
	s_waitcnt vmcnt(0)
	v_readfirstlane_b32 s0, v1
	s_add_i32 s0, s0, -1
	s_cmp_eq_u32 s0, 13
	s_cbranch_scc1 .LBB46_362
; %bb.361:
	s_lshl_b32 s0, s0, 3
	s_nop 0
	scratch_load_dwordx2 v[2:3], off, s0
	scratch_load_dwordx2 v[4:5], off, off offset:104
	s_waitcnt vmcnt(1)
	scratch_store_dwordx2 off, v[2:3], off offset:104
	s_waitcnt vmcnt(1)
	scratch_store_dwordx2 off, v[4:5], s0
.LBB46_362:
	global_load_dword v0, v0, s[16:17] offset:48
	s_waitcnt vmcnt(0)
	v_readfirstlane_b32 s0, v0
	s_add_i32 s0, s0, -1
	s_cmp_eq_u32 s0, 12
	s_cbranch_scc1 .LBB46_364
; %bb.363:
	s_lshl_b32 s0, s0, 3
	s_nop 0
	scratch_load_dwordx2 v[0:1], off, s0
	scratch_load_dwordx2 v[2:3], off, off offset:96
	s_waitcnt vmcnt(1)
	scratch_store_dwordx2 off, v[0:1], off offset:96
	s_waitcnt vmcnt(1)
	scratch_store_dwordx2 off, v[2:3], s0
.LBB46_364:
	v_mov_b32_e32 v0, 0
	global_load_dword v1, v0, s[16:17] offset:44
	s_waitcnt vmcnt(0)
	v_readfirstlane_b32 s0, v1
	s_add_i32 s0, s0, -1
	s_cmp_eq_u32 s0, 11
	s_cbranch_scc1 .LBB46_366
; %bb.365:
	s_lshl_b32 s0, s0, 3
	s_nop 0
	scratch_load_dwordx2 v[2:3], off, s0
	scratch_load_dwordx2 v[4:5], off, off offset:88
	s_waitcnt vmcnt(1)
	scratch_store_dwordx2 off, v[2:3], off offset:88
	s_waitcnt vmcnt(1)
	scratch_store_dwordx2 off, v[4:5], s0
.LBB46_366:
	global_load_dword v0, v0, s[16:17] offset:40
	s_waitcnt vmcnt(0)
	v_readfirstlane_b32 s0, v0
	s_add_i32 s0, s0, -1
	s_cmp_eq_u32 s0, 10
	s_cbranch_scc1 .LBB46_368
; %bb.367:
	s_lshl_b32 s0, s0, 3
	s_nop 0
	scratch_load_dwordx2 v[0:1], off, s0
	scratch_load_dwordx2 v[2:3], off, off offset:80
	s_waitcnt vmcnt(1)
	scratch_store_dwordx2 off, v[0:1], off offset:80
	s_waitcnt vmcnt(1)
	scratch_store_dwordx2 off, v[2:3], s0
.LBB46_368:
	v_mov_b32_e32 v0, 0
	global_load_dword v1, v0, s[16:17] offset:36
	s_waitcnt vmcnt(0)
	v_readfirstlane_b32 s0, v1
	s_add_i32 s0, s0, -1
	s_cmp_eq_u32 s0, 9
	s_cbranch_scc1 .LBB46_370
; %bb.369:
	s_lshl_b32 s0, s0, 3
	s_nop 0
	scratch_load_dwordx2 v[2:3], off, s0
	scratch_load_dwordx2 v[4:5], off, off offset:72
	s_waitcnt vmcnt(1)
	scratch_store_dwordx2 off, v[2:3], off offset:72
	s_waitcnt vmcnt(1)
	scratch_store_dwordx2 off, v[4:5], s0
.LBB46_370:
	global_load_dword v0, v0, s[16:17] offset:32
	s_waitcnt vmcnt(0)
	v_readfirstlane_b32 s0, v0
	s_add_i32 s0, s0, -1
	s_cmp_eq_u32 s0, 8
	s_cbranch_scc1 .LBB46_372
; %bb.371:
	s_lshl_b32 s0, s0, 3
	s_nop 0
	scratch_load_dwordx2 v[0:1], off, s0
	scratch_load_dwordx2 v[2:3], off, off offset:64
	s_waitcnt vmcnt(1)
	scratch_store_dwordx2 off, v[0:1], off offset:64
	s_waitcnt vmcnt(1)
	scratch_store_dwordx2 off, v[2:3], s0
.LBB46_372:
	v_mov_b32_e32 v0, 0
	global_load_dword v1, v0, s[16:17] offset:28
	s_waitcnt vmcnt(0)
	v_readfirstlane_b32 s0, v1
	s_add_i32 s0, s0, -1
	s_cmp_eq_u32 s0, 7
	s_cbranch_scc1 .LBB46_374
; %bb.373:
	s_lshl_b32 s0, s0, 3
	s_nop 0
	scratch_load_dwordx2 v[2:3], off, s0
	scratch_load_dwordx2 v[4:5], off, off offset:56
	s_waitcnt vmcnt(1)
	scratch_store_dwordx2 off, v[2:3], off offset:56
	s_waitcnt vmcnt(1)
	scratch_store_dwordx2 off, v[4:5], s0
.LBB46_374:
	global_load_dword v0, v0, s[16:17] offset:24
	s_waitcnt vmcnt(0)
	v_readfirstlane_b32 s0, v0
	s_add_i32 s0, s0, -1
	s_cmp_eq_u32 s0, 6
	s_cbranch_scc1 .LBB46_376
; %bb.375:
	s_lshl_b32 s0, s0, 3
	s_nop 0
	scratch_load_dwordx2 v[0:1], off, s0
	scratch_load_dwordx2 v[2:3], off, off offset:48
	s_waitcnt vmcnt(1)
	scratch_store_dwordx2 off, v[0:1], off offset:48
	s_waitcnt vmcnt(1)
	scratch_store_dwordx2 off, v[2:3], s0
.LBB46_376:
	v_mov_b32_e32 v0, 0
	global_load_dword v1, v0, s[16:17] offset:20
	s_waitcnt vmcnt(0)
	v_readfirstlane_b32 s0, v1
	s_add_i32 s0, s0, -1
	s_cmp_eq_u32 s0, 5
	s_cbranch_scc1 .LBB46_378
; %bb.377:
	s_lshl_b32 s0, s0, 3
	s_nop 0
	scratch_load_dwordx2 v[2:3], off, s0
	scratch_load_dwordx2 v[4:5], off, off offset:40
	s_waitcnt vmcnt(1)
	scratch_store_dwordx2 off, v[2:3], off offset:40
	s_waitcnt vmcnt(1)
	scratch_store_dwordx2 off, v[4:5], s0
.LBB46_378:
	global_load_dword v0, v0, s[16:17] offset:16
	s_waitcnt vmcnt(0)
	v_readfirstlane_b32 s0, v0
	s_add_i32 s0, s0, -1
	s_cmp_eq_u32 s0, 4
	s_cbranch_scc1 .LBB46_380
; %bb.379:
	s_lshl_b32 s0, s0, 3
	s_nop 0
	scratch_load_dwordx2 v[0:1], off, s0
	scratch_load_dwordx2 v[2:3], off, off offset:32
	s_waitcnt vmcnt(1)
	scratch_store_dwordx2 off, v[0:1], off offset:32
	s_waitcnt vmcnt(1)
	scratch_store_dwordx2 off, v[2:3], s0
.LBB46_380:
	v_mov_b32_e32 v0, 0
	global_load_dword v1, v0, s[16:17] offset:12
	s_waitcnt vmcnt(0)
	v_readfirstlane_b32 s0, v1
	s_add_i32 s0, s0, -1
	s_cmp_eq_u32 s0, 3
	s_cbranch_scc1 .LBB46_382
; %bb.381:
	s_lshl_b32 s0, s0, 3
	s_nop 0
	scratch_load_dwordx2 v[2:3], off, s0
	scratch_load_dwordx2 v[4:5], off, off offset:24
	s_waitcnt vmcnt(1)
	scratch_store_dwordx2 off, v[2:3], off offset:24
	s_waitcnt vmcnt(1)
	scratch_store_dwordx2 off, v[4:5], s0
.LBB46_382:
	global_load_dword v0, v0, s[16:17] offset:8
	s_waitcnt vmcnt(0)
	v_readfirstlane_b32 s0, v0
	s_add_i32 s0, s0, -1
	s_cmp_eq_u32 s0, 2
	s_cbranch_scc1 .LBB46_384
; %bb.383:
	s_lshl_b32 s0, s0, 3
	s_nop 0
	scratch_load_dwordx2 v[0:1], off, s0
	scratch_load_dwordx2 v[2:3], off, off offset:16
	s_waitcnt vmcnt(1)
	scratch_store_dwordx2 off, v[0:1], off offset:16
	s_waitcnt vmcnt(1)
	scratch_store_dwordx2 off, v[2:3], s0
.LBB46_384:
	v_mov_b32_e32 v0, 0
	global_load_dword v1, v0, s[16:17] offset:4
	s_waitcnt vmcnt(0)
	v_readfirstlane_b32 s0, v1
	s_add_i32 s0, s0, -1
	s_cmp_eq_u32 s0, 1
	s_cbranch_scc1 .LBB46_386
; %bb.385:
	s_lshl_b32 s0, s0, 3
	s_nop 0
	scratch_load_dwordx2 v[2:3], off, s0
	scratch_load_dwordx2 v[4:5], off, off offset:8
	s_waitcnt vmcnt(1)
	scratch_store_dwordx2 off, v[2:3], off offset:8
	s_waitcnt vmcnt(1)
	scratch_store_dwordx2 off, v[4:5], s0
.LBB46_386:
	global_load_dword v2, v0, s[16:17]
	s_nop 0
	scratch_load_dwordx2 v[0:1], off, off
	s_waitcnt vmcnt(1)
	v_readfirstlane_b32 s0, v2
	s_add_i32 s0, s0, -1
	s_cmp_eq_u32 s0, 0
	s_cbranch_scc1 .LBB46_388
; %bb.387:
	s_lshl_b32 s0, s0, 3
	s_nop 0
	scratch_load_dwordx2 v[2:3], off, s0
	s_waitcnt vmcnt(0)
	scratch_store_dwordx2 off, v[2:3], off
	scratch_store_dwordx2 off, v[0:1], s0
	scratch_load_dwordx2 v[0:1], off, off
.LBB46_388:
	s_nop 0
	scratch_load_dwordx4 v[2:5], off, off offset:8
	scratch_load_dwordx4 v[6:9], off, off offset:24
	;; [unrolled: 1-line block ×23, first 2 shown]
	v_accvgpr_read_b32 v95, a1
	v_accvgpr_read_b32 v94, a0
	s_waitcnt vmcnt(23)
	global_store_dwordx2 v[94:95], v[0:1], off
	v_accvgpr_read_b32 v0, a2
	v_accvgpr_read_b32 v1, a3
	s_waitcnt vmcnt(23)
	global_store_dwordx2 v[0:1], v[2:3], off
	v_accvgpr_read_b32 v0, a4
	v_accvgpr_read_b32 v1, a5
	global_store_dwordx2 v[0:1], v[4:5], off
	v_accvgpr_read_b32 v0, a6
	v_accvgpr_read_b32 v1, a7
	s_waitcnt vmcnt(24)
	global_store_dwordx2 v[0:1], v[6:7], off
	v_accvgpr_read_b32 v0, a8
	v_accvgpr_read_b32 v1, a9
	;; [unrolled: 7-line block ×3, first 2 shown]
	global_store_dwordx2 v[0:1], v[12:13], off
	s_waitcnt vmcnt(26)
	global_store_dwordx2 v[168:169], v[14:15], off
	global_store_dwordx2 v[170:171], v[16:17], off
	s_waitcnt vmcnt(27)
	global_store_dwordx2 v[172:173], v[18:19], off
	;; [unrolled: 3-line block ×20, first 2 shown]
	global_store_dwordx2 v[246:247], v[92:93], off
	s_endpgm
	.section	.rodata,"a",@progbits
	.p2align	6, 0x0
	.amdhsa_kernel _ZN9rocsolver6v33100L18getri_kernel_smallILi47E19rocblas_complex_numIfEPS3_EEvT1_iilPiilS6_bb
		.amdhsa_group_segment_fixed_size 760
		.amdhsa_private_segment_fixed_size 384
		.amdhsa_kernarg_size 60
		.amdhsa_user_sgpr_count 2
		.amdhsa_user_sgpr_dispatch_ptr 0
		.amdhsa_user_sgpr_queue_ptr 0
		.amdhsa_user_sgpr_kernarg_segment_ptr 1
		.amdhsa_user_sgpr_dispatch_id 0
		.amdhsa_user_sgpr_kernarg_preload_length 0
		.amdhsa_user_sgpr_kernarg_preload_offset 0
		.amdhsa_user_sgpr_private_segment_size 0
		.amdhsa_uses_dynamic_stack 0
		.amdhsa_enable_private_segment 1
		.amdhsa_system_sgpr_workgroup_id_x 1
		.amdhsa_system_sgpr_workgroup_id_y 0
		.amdhsa_system_sgpr_workgroup_id_z 0
		.amdhsa_system_sgpr_workgroup_info 0
		.amdhsa_system_vgpr_workitem_id 0
		.amdhsa_next_free_vgpr 270
		.amdhsa_next_free_sgpr 20
		.amdhsa_accum_offset 256
		.amdhsa_reserve_vcc 1
		.amdhsa_float_round_mode_32 0
		.amdhsa_float_round_mode_16_64 0
		.amdhsa_float_denorm_mode_32 3
		.amdhsa_float_denorm_mode_16_64 3
		.amdhsa_dx10_clamp 1
		.amdhsa_ieee_mode 1
		.amdhsa_fp16_overflow 0
		.amdhsa_tg_split 0
		.amdhsa_exception_fp_ieee_invalid_op 0
		.amdhsa_exception_fp_denorm_src 0
		.amdhsa_exception_fp_ieee_div_zero 0
		.amdhsa_exception_fp_ieee_overflow 0
		.amdhsa_exception_fp_ieee_underflow 0
		.amdhsa_exception_fp_ieee_inexact 0
		.amdhsa_exception_int_div_zero 0
	.end_amdhsa_kernel
	.section	.text._ZN9rocsolver6v33100L18getri_kernel_smallILi47E19rocblas_complex_numIfEPS3_EEvT1_iilPiilS6_bb,"axG",@progbits,_ZN9rocsolver6v33100L18getri_kernel_smallILi47E19rocblas_complex_numIfEPS3_EEvT1_iilPiilS6_bb,comdat
.Lfunc_end46:
	.size	_ZN9rocsolver6v33100L18getri_kernel_smallILi47E19rocblas_complex_numIfEPS3_EEvT1_iilPiilS6_bb, .Lfunc_end46-_ZN9rocsolver6v33100L18getri_kernel_smallILi47E19rocblas_complex_numIfEPS3_EEvT1_iilPiilS6_bb
                                        ; -- End function
	.set _ZN9rocsolver6v33100L18getri_kernel_smallILi47E19rocblas_complex_numIfEPS3_EEvT1_iilPiilS6_bb.num_vgpr, 256
	.set _ZN9rocsolver6v33100L18getri_kernel_smallILi47E19rocblas_complex_numIfEPS3_EEvT1_iilPiilS6_bb.num_agpr, 14
	.set _ZN9rocsolver6v33100L18getri_kernel_smallILi47E19rocblas_complex_numIfEPS3_EEvT1_iilPiilS6_bb.numbered_sgpr, 20
	.set _ZN9rocsolver6v33100L18getri_kernel_smallILi47E19rocblas_complex_numIfEPS3_EEvT1_iilPiilS6_bb.num_named_barrier, 0
	.set _ZN9rocsolver6v33100L18getri_kernel_smallILi47E19rocblas_complex_numIfEPS3_EEvT1_iilPiilS6_bb.private_seg_size, 384
	.set _ZN9rocsolver6v33100L18getri_kernel_smallILi47E19rocblas_complex_numIfEPS3_EEvT1_iilPiilS6_bb.uses_vcc, 1
	.set _ZN9rocsolver6v33100L18getri_kernel_smallILi47E19rocblas_complex_numIfEPS3_EEvT1_iilPiilS6_bb.uses_flat_scratch, 0
	.set _ZN9rocsolver6v33100L18getri_kernel_smallILi47E19rocblas_complex_numIfEPS3_EEvT1_iilPiilS6_bb.has_dyn_sized_stack, 0
	.set _ZN9rocsolver6v33100L18getri_kernel_smallILi47E19rocblas_complex_numIfEPS3_EEvT1_iilPiilS6_bb.has_recursion, 0
	.set _ZN9rocsolver6v33100L18getri_kernel_smallILi47E19rocblas_complex_numIfEPS3_EEvT1_iilPiilS6_bb.has_indirect_call, 0
	.section	.AMDGPU.csdata,"",@progbits
; Kernel info:
; codeLenInByte = 65924
; TotalNumSgprs: 26
; NumVgprs: 256
; NumAgprs: 14
; TotalNumVgprs: 270
; ScratchSize: 384
; MemoryBound: 0
; FloatMode: 240
; IeeeMode: 1
; LDSByteSize: 760 bytes/workgroup (compile time only)
; SGPRBlocks: 3
; VGPRBlocks: 33
; NumSGPRsForWavesPerEU: 26
; NumVGPRsForWavesPerEU: 270
; AccumOffset: 256
; Occupancy: 1
; WaveLimiterHint : 1
; COMPUTE_PGM_RSRC2:SCRATCH_EN: 1
; COMPUTE_PGM_RSRC2:USER_SGPR: 2
; COMPUTE_PGM_RSRC2:TRAP_HANDLER: 0
; COMPUTE_PGM_RSRC2:TGID_X_EN: 1
; COMPUTE_PGM_RSRC2:TGID_Y_EN: 0
; COMPUTE_PGM_RSRC2:TGID_Z_EN: 0
; COMPUTE_PGM_RSRC2:TIDIG_COMP_CNT: 0
; COMPUTE_PGM_RSRC3_GFX90A:ACCUM_OFFSET: 63
; COMPUTE_PGM_RSRC3_GFX90A:TG_SPLIT: 0
	.section	.text._ZN9rocsolver6v33100L18getri_kernel_smallILi48E19rocblas_complex_numIfEPS3_EEvT1_iilPiilS6_bb,"axG",@progbits,_ZN9rocsolver6v33100L18getri_kernel_smallILi48E19rocblas_complex_numIfEPS3_EEvT1_iilPiilS6_bb,comdat
	.globl	_ZN9rocsolver6v33100L18getri_kernel_smallILi48E19rocblas_complex_numIfEPS3_EEvT1_iilPiilS6_bb ; -- Begin function _ZN9rocsolver6v33100L18getri_kernel_smallILi48E19rocblas_complex_numIfEPS3_EEvT1_iilPiilS6_bb
	.p2align	8
	.type	_ZN9rocsolver6v33100L18getri_kernel_smallILi48E19rocblas_complex_numIfEPS3_EEvT1_iilPiilS6_bb,@function
_ZN9rocsolver6v33100L18getri_kernel_smallILi48E19rocblas_complex_numIfEPS3_EEvT1_iilPiilS6_bb: ; @_ZN9rocsolver6v33100L18getri_kernel_smallILi48E19rocblas_complex_numIfEPS3_EEvT1_iilPiilS6_bb
; %bb.0:
	v_cmp_gt_u32_e32 vcc, 48, v0
	s_and_saveexec_b64 s[4:5], vcc
	s_cbranch_execz .LBB47_206
; %bb.1:
	s_load_dword s8, s[0:1], 0x38
	s_load_dwordx4 s[12:15], s[0:1], 0x10
	s_load_dwordx4 s[4:7], s[0:1], 0x28
                                        ; implicit-def: $sgpr16_sgpr17
	s_waitcnt lgkmcnt(0)
	s_bitcmp1_b32 s8, 8
	s_cselect_b64 s[18:19], -1, 0
	s_ashr_i32 s3, s2, 31
	s_bfe_u32 s8, s8, 0x10008
	s_cmp_eq_u32 s8, 0
	s_cbranch_scc1 .LBB47_3
; %bb.2:
	s_load_dword s8, s[0:1], 0x20
	s_mul_i32 s9, s4, s3
	s_mul_hi_u32 s10, s4, s2
	s_mul_i32 s5, s5, s2
	s_add_i32 s10, s10, s9
	s_add_i32 s5, s10, s5
	s_mul_i32 s4, s4, s2
	s_waitcnt lgkmcnt(0)
	s_ashr_i32 s9, s8, 31
	s_lshl_b64 s[4:5], s[4:5], 2
	s_add_u32 s10, s14, s4
	s_addc_u32 s11, s15, s5
	s_lshl_b64 s[4:5], s[8:9], 2
	s_add_u32 s16, s10, s4
	s_addc_u32 s17, s11, s5
.LBB47_3:
	s_load_dwordx4 s[8:11], s[0:1], 0x0
	s_load_dword s4, s[0:1], 0x38
	s_mul_i32 s5, s12, s3
	s_mul_hi_u32 s14, s12, s2
	s_add_i32 s5, s14, s5
	s_waitcnt lgkmcnt(0)
	s_ashr_i32 s1, s10, 31
	s_mov_b32 s0, s10
	s_mul_i32 s10, s13, s2
	s_add_i32 s13, s5, s10
	s_mul_i32 s12, s12, s2
	s_lshl_b64 s[12:13], s[12:13], 3
	s_add_u32 s5, s8, s12
	s_addc_u32 s8, s9, s13
	s_lshl_b64 s[0:1], s[0:1], 3
	s_add_u32 s0, s5, s0
	s_addc_u32 s1, s8, s1
	v_lshlrev_b32_e32 v2, 3, v0
	v_mov_b32_e32 v3, 0
	v_lshl_add_u64 v[4:5], s[0:1], 0, v[2:3]
	s_ashr_i32 s9, s11, 31
	s_mov_b32 s8, s11
	v_accvgpr_write_b32 a0, v4
	s_add_i32 s5, s11, s11
	v_accvgpr_write_b32 a1, v5
	v_lshl_add_u64 v[8:9], s[8:9], 3, v[4:5]
	v_add_u32_e32 v4, s5, v0
	v_ashrrev_i32_e32 v5, 31, v4
	v_lshl_add_u64 v[10:11], v[4:5], 3, s[0:1]
	v_add_u32_e32 v4, s11, v4
	v_ashrrev_i32_e32 v5, 31, v4
	;; [unrolled: 3-line block ×45, first 2 shown]
	v_lshl_add_u64 v[246:247], v[4:5], 3, s[0:1]
	v_add_u32_e32 v4, s11, v4
	v_accvgpr_write_b32 a2, v8
	v_accvgpr_write_b32 a4, v10
	;; [unrolled: 1-line block ×10, first 2 shown]
	v_ashrrev_i32_e32 v5, 31, v4
	global_load_dwordx2 v[6:7], v2, s[0:1]
	v_accvgpr_write_b32 a3, v9
	global_load_dwordx2 v[8:9], v[8:9], off
	v_accvgpr_write_b32 a5, v11
	global_load_dwordx2 v[10:11], v[10:11], off
	;; [unrolled: 2-line block ×10, first 2 shown]
	s_nop 0
	global_load_dwordx2 v[28:29], v[176:177], off
	global_load_dwordx2 v[30:31], v[178:179], off
	;; [unrolled: 1-line block ×34, first 2 shown]
	v_lshl_add_u64 v[248:249], v[4:5], 3, s[0:1]
	global_load_dwordx2 v[96:97], v[244:245], off
	global_load_dwordx2 v[98:99], v[246:247], off
	;; [unrolled: 1-line block ×3, first 2 shown]
	s_bitcmp0_b32 s4, 0
	s_mov_b64 s[4:5], -1
	s_waitcnt vmcnt(46)
	scratch_store_dwordx4 off, v[6:9], off
	s_waitcnt vmcnt(45)
	scratch_store_dwordx4 off, v[10:13], off offset:16
	s_waitcnt vmcnt(44)
	scratch_store_dwordx4 off, v[14:17], off offset:32
	;; [unrolled: 2-line block ×23, first 2 shown]
	s_cbranch_scc1 .LBB47_204
; %bb.4:
	v_cmp_eq_u32_e64 s[0:1], 0, v0
	s_and_saveexec_b64 s[4:5], s[0:1]
; %bb.5:
	v_mov_b32_e32 v1, 0
	ds_write_b32 v1, v1 offset:768
; %bb.6:
	s_or_b64 exec, exec, s[4:5]
	s_waitcnt lgkmcnt(0)
	; wave barrier
	scratch_load_dwordx2 v[4:5], v2, off
	s_waitcnt vmcnt(0)
	v_cmp_eq_f32_e32 vcc, 0, v4
	v_cmp_eq_f32_e64 s[4:5], 0, v5
	s_and_b64 s[4:5], vcc, s[4:5]
	s_and_saveexec_b64 s[8:9], s[4:5]
	s_cbranch_execz .LBB47_10
; %bb.7:
	v_mov_b32_e32 v1, 0
	ds_read_b32 v4, v1 offset:768
	v_add_u32_e32 v3, 1, v0
	s_waitcnt lgkmcnt(0)
	v_readfirstlane_b32 s4, v4
	s_cmp_eq_u32 s4, 0
	s_cselect_b64 s[10:11], -1, 0
	v_cmp_gt_i32_e32 vcc, s4, v3
	s_or_b64 s[10:11], s[10:11], vcc
	s_and_b64 exec, exec, s[10:11]
	s_cbranch_execz .LBB47_10
; %bb.8:
	s_mov_b64 s[10:11], 0
	v_mov_b32_e32 v4, s4
.LBB47_9:                               ; =>This Inner Loop Header: Depth=1
	ds_cmpst_rtn_b32 v4, v1, v4, v3 offset:768
	s_waitcnt lgkmcnt(0)
	v_cmp_ne_u32_e32 vcc, 0, v4
	v_cmp_le_i32_e64 s[4:5], v4, v3
	s_and_b64 s[4:5], vcc, s[4:5]
	s_and_b64 s[4:5], exec, s[4:5]
	s_or_b64 s[10:11], s[4:5], s[10:11]
	s_andn2_b64 exec, exec, s[10:11]
	s_cbranch_execnz .LBB47_9
.LBB47_10:
	s_or_b64 exec, exec, s[8:9]
	v_mov_b32_e32 v3, 0
	; wave barrier
	ds_read_b32 v1, v3 offset:768
	s_and_saveexec_b64 s[4:5], s[0:1]
	s_cbranch_execz .LBB47_12
; %bb.11:
	s_lshl_b64 s[8:9], s[2:3], 2
	s_add_u32 s8, s6, s8
	s_addc_u32 s9, s7, s9
	s_waitcnt lgkmcnt(0)
	global_store_dword v3, v1, s[8:9]
.LBB47_12:
	s_or_b64 exec, exec, s[4:5]
	s_waitcnt lgkmcnt(0)
	v_cmp_ne_u32_e32 vcc, 0, v1
	s_mov_b64 s[4:5], 0
	s_cbranch_vccnz .LBB47_204
; %bb.13:
	v_mov_b32_e32 v3, v2
	scratch_load_dwordx2 v[4:5], v3, off
                                        ; implicit-def: $vgpr7
                                        ; implicit-def: $vgpr8
	s_waitcnt vmcnt(0)
	v_cmp_ngt_f32_e64 s[4:5], |v4|, |v5|
	s_and_saveexec_b64 s[8:9], s[4:5]
	s_xor_b64 s[4:5], exec, s[8:9]
	s_cbranch_execz .LBB47_15
; %bb.14:
	v_div_scale_f32 v1, s[8:9], v5, v5, v4
	v_rcp_f32_e32 v6, v1
	v_div_scale_f32 v7, vcc, v4, v5, v4
	v_fma_f32 v8, -v1, v6, 1.0
	v_fmac_f32_e32 v6, v8, v6
	v_mul_f32_e32 v8, v7, v6
	v_fma_f32 v9, -v1, v8, v7
	v_fmac_f32_e32 v8, v9, v6
	v_fma_f32 v1, -v1, v8, v7
	v_div_fmas_f32 v1, v1, v6, v8
	v_div_fixup_f32 v1, v1, v5, v4
	v_fmac_f32_e32 v5, v4, v1
	v_div_scale_f32 v4, s[8:9], v5, v5, -1.0
	v_rcp_f32_e32 v6, v4
	s_nop 0
	v_fma_f32 v7, -v4, v6, 1.0
	v_fmac_f32_e32 v6, v7, v6
	v_div_scale_f32 v7, vcc, -1.0, v5, -1.0
	v_mul_f32_e32 v8, v7, v6
	v_fma_f32 v9, -v4, v8, v7
	v_fmac_f32_e32 v8, v9, v6
	v_fma_f32 v4, -v4, v8, v7
	v_div_fmas_f32 v4, v4, v6, v8
	v_div_fixup_f32 v7, v4, v5, -1.0
	v_mul_f32_e32 v8, v1, v7
	v_xor_b32_e32 v6, 0x80000000, v8
                                        ; implicit-def: $vgpr4_vgpr5
.LBB47_15:
	s_andn2_saveexec_b64 s[4:5], s[4:5]
	s_cbranch_execz .LBB47_17
; %bb.16:
	v_div_scale_f32 v1, s[8:9], v4, v4, v5
	v_rcp_f32_e32 v6, v1
	v_div_scale_f32 v7, vcc, v5, v4, v5
	v_fma_f32 v8, -v1, v6, 1.0
	v_fmac_f32_e32 v6, v8, v6
	v_mul_f32_e32 v8, v7, v6
	v_fma_f32 v9, -v1, v8, v7
	v_fmac_f32_e32 v8, v9, v6
	v_fma_f32 v1, -v1, v8, v7
	v_div_fmas_f32 v1, v1, v6, v8
	v_div_fixup_f32 v1, v1, v4, v5
	v_fmac_f32_e32 v4, v5, v1
	v_div_scale_f32 v5, s[8:9], v4, v4, 1.0
	v_rcp_f32_e32 v6, v5
	s_nop 0
	v_fma_f32 v7, -v5, v6, 1.0
	v_fmac_f32_e32 v6, v7, v6
	v_div_scale_f32 v7, vcc, 1.0, v4, 1.0
	v_mul_f32_e32 v8, v7, v6
	v_fma_f32 v9, -v5, v8, v7
	v_fmac_f32_e32 v8, v9, v6
	v_fma_f32 v5, -v5, v8, v7
	v_div_fmas_f32 v5, v5, v6, v8
	v_div_fixup_f32 v6, v5, v4, 1.0
	v_xor_b32_e32 v8, 0x80000000, v6
	v_mul_f32_e64 v7, v1, -v6
.LBB47_17:
	s_or_b64 exec, exec, s[4:5]
	scratch_store_dwordx2 v3, v[6:7], off
	scratch_load_dwordx2 v[4:5], off, off offset:8
	v_xor_b32_e32 v9, 0x80000000, v7
	v_add_u32_e32 v1, 0x180, v2
	s_waitcnt vmcnt(0)
	ds_write2_b64 v2, v[8:9], v[4:5] offset1:48
	s_waitcnt lgkmcnt(0)
	; wave barrier
	s_and_saveexec_b64 s[4:5], s[0:1]
	s_cbranch_execz .LBB47_19
; %bb.18:
	scratch_load_dwordx2 v[4:5], v3, off
	ds_read_b64 v[6:7], v1
	v_mov_b32_e32 v8, 0
	ds_read_b64 v[8:9], v8 offset:8
	s_waitcnt vmcnt(0) lgkmcnt(1)
	v_pk_mul_f32 v[10:11], v[6:7], v[4:5] op_sel:[1,1] op_sel_hi:[0,1]
	v_pk_fma_f32 v[12:13], v[6:7], v[4:5], v[10:11] neg_lo:[0,0,1] neg_hi:[0,0,1]
	v_pk_fma_f32 v[4:5], v[6:7], v[4:5], v[10:11] op_sel_hi:[1,0,1]
	s_nop 0
	v_mov_b32_e32 v13, v5
	v_pk_add_f32 v[4:5], v[12:13], 0 op_sel_hi:[1,0]
	s_waitcnt lgkmcnt(0)
	v_pk_mul_f32 v[6:7], v[4:5], v[8:9] op_sel:[1,1] op_sel_hi:[0,1]
	v_pk_fma_f32 v[10:11], v[4:5], v[8:9], v[6:7] neg_lo:[0,0,1] neg_hi:[0,0,1]
	v_pk_fma_f32 v[4:5], v[4:5], v[8:9], v[6:7] op_sel_hi:[1,0,1]
	s_nop 0
	v_mov_b32_e32 v11, v5
	scratch_store_dwordx2 off, v[10:11], off offset:8
.LBB47_19:
	s_or_b64 exec, exec, s[4:5]
	; wave barrier
	scratch_load_dwordx2 v[4:5], off, off offset:16
	v_cmp_gt_u32_e32 vcc, 2, v0
	s_waitcnt vmcnt(0)
	ds_write_b64 v1, v[4:5]
	s_waitcnt lgkmcnt(0)
	; wave barrier
	s_and_saveexec_b64 s[4:5], vcc
	s_cbranch_execz .LBB47_23
; %bb.20:
	scratch_load_dwordx2 v[4:5], v3, off
	ds_read_b64 v[6:7], v1
	s_waitcnt vmcnt(0) lgkmcnt(0)
	v_pk_mul_f32 v[8:9], v[6:7], v[4:5] op_sel:[1,1] op_sel_hi:[0,1]
	v_pk_fma_f32 v[10:11], v[6:7], v[4:5], v[8:9] neg_lo:[0,0,1] neg_hi:[0,0,1]
	v_pk_fma_f32 v[4:5], v[6:7], v[4:5], v[8:9] op_sel_hi:[1,0,1]
	s_nop 0
	v_mov_b32_e32 v11, v5
	v_pk_add_f32 v[4:5], v[10:11], 0 op_sel_hi:[1,0]
	s_and_saveexec_b64 s[8:9], s[0:1]
	s_cbranch_execz .LBB47_22
; %bb.21:
	scratch_load_dwordx2 v[6:7], off, off offset:8
	v_mov_b32_e32 v3, 0
	ds_read_b64 v[8:9], v3 offset:392
	s_waitcnt vmcnt(0) lgkmcnt(0)
	v_pk_mul_f32 v[10:11], v[8:9], v[6:7] op_sel:[1,1] op_sel_hi:[0,1]
	v_pk_fma_f32 v[12:13], v[8:9], v[6:7], v[10:11] neg_lo:[0,0,1] neg_hi:[0,0,1]
	v_pk_fma_f32 v[6:7], v[8:9], v[6:7], v[10:11] op_sel_hi:[1,0,1]
	s_nop 0
	v_mov_b32_e32 v13, v7
	v_pk_add_f32 v[4:5], v[4:5], v[12:13]
.LBB47_22:
	s_or_b64 exec, exec, s[8:9]
	v_mov_b32_e32 v3, 0
	ds_read_b64 v[6:7], v3 offset:16
	s_waitcnt lgkmcnt(0)
	v_pk_mul_f32 v[8:9], v[4:5], v[6:7] op_sel:[1,1] op_sel_hi:[0,1]
	v_pk_fma_f32 v[10:11], v[4:5], v[6:7], v[8:9] neg_lo:[0,0,1] neg_hi:[0,0,1]
	v_pk_fma_f32 v[4:5], v[4:5], v[6:7], v[8:9] op_sel_hi:[1,0,1]
	s_nop 0
	v_mov_b32_e32 v11, v5
	scratch_store_dwordx2 off, v[10:11], off offset:16
.LBB47_23:
	s_or_b64 exec, exec, s[4:5]
	; wave barrier
	scratch_load_dwordx2 v[4:5], off, off offset:24
	v_cmp_gt_u32_e32 vcc, 3, v0
	v_add_u32_e32 v6, -1, v0
	s_waitcnt vmcnt(0)
	ds_write_b64 v1, v[4:5]
	s_waitcnt lgkmcnt(0)
	; wave barrier
	s_and_saveexec_b64 s[0:1], vcc
	s_cbranch_execz .LBB47_27
; %bb.24:
	v_mov_b32_e32 v4, 0
	v_add_u32_e32 v3, -1, v0
	v_add_u32_e32 v7, 0x180, v2
	v_mov_b32_e32 v8, v2
	s_mov_b64 s[4:5], 0
	v_mov_b32_e32 v5, v4
.LBB47_25:                              ; =>This Inner Loop Header: Depth=1
	scratch_load_dwordx2 v[10:11], v8, off
	ds_read_b64 v[12:13], v7
	v_add_u32_e32 v3, 1, v3
	v_cmp_lt_u32_e32 vcc, 1, v3
	v_add_u32_e32 v7, 8, v7
	v_add_u32_e32 v8, 8, v8
	s_or_b64 s[4:5], vcc, s[4:5]
	s_waitcnt vmcnt(0) lgkmcnt(0)
	v_pk_mul_f32 v[14:15], v[12:13], v[10:11] op_sel:[1,1] op_sel_hi:[0,1]
	v_pk_fma_f32 v[16:17], v[12:13], v[10:11], v[14:15] neg_lo:[0,0,1] neg_hi:[0,0,1]
	v_pk_fma_f32 v[10:11], v[12:13], v[10:11], v[14:15] op_sel_hi:[1,0,1]
	s_nop 0
	v_mov_b32_e32 v17, v11
	v_pk_add_f32 v[4:5], v[4:5], v[16:17]
	s_andn2_b64 exec, exec, s[4:5]
	s_cbranch_execnz .LBB47_25
; %bb.26:
	s_or_b64 exec, exec, s[4:5]
	v_mov_b32_e32 v3, 0
	ds_read_b64 v[8:9], v3 offset:24
	s_waitcnt lgkmcnt(0)
	v_pk_mul_f32 v[10:11], v[4:5], v[8:9] op_sel:[1,1] op_sel_hi:[0,1]
	v_pk_fma_f32 v[12:13], v[4:5], v[8:9], v[10:11] neg_lo:[0,0,1] neg_hi:[0,0,1]
	v_pk_fma_f32 v[4:5], v[4:5], v[8:9], v[10:11] op_sel_hi:[1,0,1]
	s_nop 0
	v_mov_b32_e32 v13, v5
	scratch_store_dwordx2 off, v[12:13], off offset:24
.LBB47_27:
	s_or_b64 exec, exec, s[0:1]
	; wave barrier
	scratch_load_dwordx2 v[4:5], off, off offset:32
	v_cmp_gt_u32_e32 vcc, 4, v0
	s_waitcnt vmcnt(0)
	ds_write_b64 v1, v[4:5]
	s_waitcnt lgkmcnt(0)
	; wave barrier
	s_and_saveexec_b64 s[0:1], vcc
	s_cbranch_execz .LBB47_31
; %bb.28:
	v_mov_b32_e32 v4, 0
	v_add_u32_e32 v3, -1, v0
	v_add_u32_e32 v7, 0x180, v2
	v_mov_b32_e32 v8, v2
	s_mov_b64 s[4:5], 0
	v_mov_b32_e32 v5, v4
.LBB47_29:                              ; =>This Inner Loop Header: Depth=1
	scratch_load_dwordx2 v[10:11], v8, off
	ds_read_b64 v[12:13], v7
	v_add_u32_e32 v3, 1, v3
	v_cmp_lt_u32_e32 vcc, 2, v3
	v_add_u32_e32 v7, 8, v7
	v_add_u32_e32 v8, 8, v8
	s_or_b64 s[4:5], vcc, s[4:5]
	s_waitcnt vmcnt(0) lgkmcnt(0)
	v_pk_mul_f32 v[14:15], v[12:13], v[10:11] op_sel:[1,1] op_sel_hi:[0,1]
	v_pk_fma_f32 v[16:17], v[12:13], v[10:11], v[14:15] neg_lo:[0,0,1] neg_hi:[0,0,1]
	v_pk_fma_f32 v[10:11], v[12:13], v[10:11], v[14:15] op_sel_hi:[1,0,1]
	s_nop 0
	v_mov_b32_e32 v17, v11
	v_pk_add_f32 v[4:5], v[4:5], v[16:17]
	s_andn2_b64 exec, exec, s[4:5]
	s_cbranch_execnz .LBB47_29
; %bb.30:
	s_or_b64 exec, exec, s[4:5]
	v_mov_b32_e32 v3, 0
	ds_read_b64 v[8:9], v3 offset:32
	s_waitcnt lgkmcnt(0)
	v_pk_mul_f32 v[10:11], v[4:5], v[8:9] op_sel:[1,1] op_sel_hi:[0,1]
	v_pk_fma_f32 v[12:13], v[4:5], v[8:9], v[10:11] neg_lo:[0,0,1] neg_hi:[0,0,1]
	v_pk_fma_f32 v[4:5], v[4:5], v[8:9], v[10:11] op_sel_hi:[1,0,1]
	s_nop 0
	v_mov_b32_e32 v13, v5
	scratch_store_dwordx2 off, v[12:13], off offset:32
.LBB47_31:
	s_or_b64 exec, exec, s[0:1]
	; wave barrier
	scratch_load_dwordx2 v[4:5], off, off offset:40
	v_cmp_gt_u32_e32 vcc, 5, v0
	s_waitcnt vmcnt(0)
	ds_write_b64 v1, v[4:5]
	s_waitcnt lgkmcnt(0)
	; wave barrier
	s_and_saveexec_b64 s[0:1], vcc
	s_cbranch_execz .LBB47_35
; %bb.32:
	v_mov_b32_e32 v4, 0
	v_add_u32_e32 v3, -1, v0
	v_add_u32_e32 v7, 0x180, v2
	v_mov_b32_e32 v8, v2
	s_mov_b64 s[4:5], 0
	v_mov_b32_e32 v5, v4
.LBB47_33:                              ; =>This Inner Loop Header: Depth=1
	scratch_load_dwordx2 v[10:11], v8, off
	ds_read_b64 v[12:13], v7
	v_add_u32_e32 v3, 1, v3
	v_cmp_lt_u32_e32 vcc, 3, v3
	v_add_u32_e32 v7, 8, v7
	v_add_u32_e32 v8, 8, v8
	s_or_b64 s[4:5], vcc, s[4:5]
	s_waitcnt vmcnt(0) lgkmcnt(0)
	v_pk_mul_f32 v[14:15], v[12:13], v[10:11] op_sel:[1,1] op_sel_hi:[0,1]
	v_pk_fma_f32 v[16:17], v[12:13], v[10:11], v[14:15] neg_lo:[0,0,1] neg_hi:[0,0,1]
	v_pk_fma_f32 v[10:11], v[12:13], v[10:11], v[14:15] op_sel_hi:[1,0,1]
	s_nop 0
	v_mov_b32_e32 v17, v11
	v_pk_add_f32 v[4:5], v[4:5], v[16:17]
	s_andn2_b64 exec, exec, s[4:5]
	s_cbranch_execnz .LBB47_33
; %bb.34:
	s_or_b64 exec, exec, s[4:5]
	v_mov_b32_e32 v3, 0
	ds_read_b64 v[8:9], v3 offset:40
	s_waitcnt lgkmcnt(0)
	v_pk_mul_f32 v[10:11], v[4:5], v[8:9] op_sel:[1,1] op_sel_hi:[0,1]
	v_pk_fma_f32 v[12:13], v[4:5], v[8:9], v[10:11] neg_lo:[0,0,1] neg_hi:[0,0,1]
	v_pk_fma_f32 v[4:5], v[4:5], v[8:9], v[10:11] op_sel_hi:[1,0,1]
	s_nop 0
	v_mov_b32_e32 v13, v5
	scratch_store_dwordx2 off, v[12:13], off offset:40
.LBB47_35:
	s_or_b64 exec, exec, s[0:1]
	; wave barrier
	scratch_load_dwordx2 v[4:5], off, off offset:48
	v_cmp_gt_u32_e32 vcc, 6, v0
	s_waitcnt vmcnt(0)
	ds_write_b64 v1, v[4:5]
	s_waitcnt lgkmcnt(0)
	; wave barrier
	s_and_saveexec_b64 s[0:1], vcc
	s_cbranch_execz .LBB47_39
; %bb.36:
	v_mov_b32_e32 v4, 0
	v_add_u32_e32 v3, -1, v0
	v_add_u32_e32 v7, 0x180, v2
	v_mov_b32_e32 v8, v2
	s_mov_b64 s[4:5], 0
	v_mov_b32_e32 v5, v4
.LBB47_37:                              ; =>This Inner Loop Header: Depth=1
	scratch_load_dwordx2 v[10:11], v8, off
	ds_read_b64 v[12:13], v7
	v_add_u32_e32 v3, 1, v3
	v_cmp_lt_u32_e32 vcc, 4, v3
	v_add_u32_e32 v7, 8, v7
	v_add_u32_e32 v8, 8, v8
	s_or_b64 s[4:5], vcc, s[4:5]
	s_waitcnt vmcnt(0) lgkmcnt(0)
	v_pk_mul_f32 v[14:15], v[12:13], v[10:11] op_sel:[1,1] op_sel_hi:[0,1]
	v_pk_fma_f32 v[16:17], v[12:13], v[10:11], v[14:15] neg_lo:[0,0,1] neg_hi:[0,0,1]
	v_pk_fma_f32 v[10:11], v[12:13], v[10:11], v[14:15] op_sel_hi:[1,0,1]
	s_nop 0
	v_mov_b32_e32 v17, v11
	v_pk_add_f32 v[4:5], v[4:5], v[16:17]
	s_andn2_b64 exec, exec, s[4:5]
	s_cbranch_execnz .LBB47_37
; %bb.38:
	s_or_b64 exec, exec, s[4:5]
	v_mov_b32_e32 v3, 0
	ds_read_b64 v[8:9], v3 offset:48
	s_waitcnt lgkmcnt(0)
	v_pk_mul_f32 v[10:11], v[4:5], v[8:9] op_sel:[1,1] op_sel_hi:[0,1]
	v_pk_fma_f32 v[12:13], v[4:5], v[8:9], v[10:11] neg_lo:[0,0,1] neg_hi:[0,0,1]
	v_pk_fma_f32 v[4:5], v[4:5], v[8:9], v[10:11] op_sel_hi:[1,0,1]
	s_nop 0
	v_mov_b32_e32 v13, v5
	scratch_store_dwordx2 off, v[12:13], off offset:48
.LBB47_39:
	s_or_b64 exec, exec, s[0:1]
	; wave barrier
	scratch_load_dwordx2 v[4:5], off, off offset:56
	v_cmp_gt_u32_e32 vcc, 7, v0
	s_waitcnt vmcnt(0)
	ds_write_b64 v1, v[4:5]
	s_waitcnt lgkmcnt(0)
	; wave barrier
	s_and_saveexec_b64 s[0:1], vcc
	s_cbranch_execz .LBB47_43
; %bb.40:
	v_mov_b32_e32 v4, 0
	v_add_u32_e32 v3, -1, v0
	v_add_u32_e32 v7, 0x180, v2
	v_mov_b32_e32 v8, v2
	s_mov_b64 s[4:5], 0
	v_mov_b32_e32 v5, v4
.LBB47_41:                              ; =>This Inner Loop Header: Depth=1
	scratch_load_dwordx2 v[10:11], v8, off
	ds_read_b64 v[12:13], v7
	v_add_u32_e32 v3, 1, v3
	v_cmp_lt_u32_e32 vcc, 5, v3
	v_add_u32_e32 v7, 8, v7
	v_add_u32_e32 v8, 8, v8
	s_or_b64 s[4:5], vcc, s[4:5]
	s_waitcnt vmcnt(0) lgkmcnt(0)
	v_pk_mul_f32 v[14:15], v[12:13], v[10:11] op_sel:[1,1] op_sel_hi:[0,1]
	v_pk_fma_f32 v[16:17], v[12:13], v[10:11], v[14:15] neg_lo:[0,0,1] neg_hi:[0,0,1]
	v_pk_fma_f32 v[10:11], v[12:13], v[10:11], v[14:15] op_sel_hi:[1,0,1]
	s_nop 0
	v_mov_b32_e32 v17, v11
	v_pk_add_f32 v[4:5], v[4:5], v[16:17]
	s_andn2_b64 exec, exec, s[4:5]
	s_cbranch_execnz .LBB47_41
; %bb.42:
	s_or_b64 exec, exec, s[4:5]
	v_mov_b32_e32 v3, 0
	ds_read_b64 v[8:9], v3 offset:56
	s_waitcnt lgkmcnt(0)
	v_pk_mul_f32 v[10:11], v[4:5], v[8:9] op_sel:[1,1] op_sel_hi:[0,1]
	v_pk_fma_f32 v[12:13], v[4:5], v[8:9], v[10:11] neg_lo:[0,0,1] neg_hi:[0,0,1]
	v_pk_fma_f32 v[4:5], v[4:5], v[8:9], v[10:11] op_sel_hi:[1,0,1]
	s_nop 0
	v_mov_b32_e32 v13, v5
	scratch_store_dwordx2 off, v[12:13], off offset:56
.LBB47_43:
	s_or_b64 exec, exec, s[0:1]
	; wave barrier
	scratch_load_dwordx2 v[4:5], off, off offset:64
	v_cmp_gt_u32_e32 vcc, 8, v0
	s_waitcnt vmcnt(0)
	ds_write_b64 v1, v[4:5]
	s_waitcnt lgkmcnt(0)
	; wave barrier
	s_and_saveexec_b64 s[0:1], vcc
	s_cbranch_execz .LBB47_47
; %bb.44:
	v_mov_b32_e32 v4, 0
	v_add_u32_e32 v3, -1, v0
	v_add_u32_e32 v7, 0x180, v2
	v_mov_b32_e32 v8, v2
	s_mov_b64 s[4:5], 0
	v_mov_b32_e32 v5, v4
.LBB47_45:                              ; =>This Inner Loop Header: Depth=1
	scratch_load_dwordx2 v[10:11], v8, off
	ds_read_b64 v[12:13], v7
	v_add_u32_e32 v3, 1, v3
	v_cmp_lt_u32_e32 vcc, 6, v3
	v_add_u32_e32 v7, 8, v7
	v_add_u32_e32 v8, 8, v8
	s_or_b64 s[4:5], vcc, s[4:5]
	s_waitcnt vmcnt(0) lgkmcnt(0)
	v_pk_mul_f32 v[14:15], v[12:13], v[10:11] op_sel:[1,1] op_sel_hi:[0,1]
	v_pk_fma_f32 v[16:17], v[12:13], v[10:11], v[14:15] neg_lo:[0,0,1] neg_hi:[0,0,1]
	v_pk_fma_f32 v[10:11], v[12:13], v[10:11], v[14:15] op_sel_hi:[1,0,1]
	s_nop 0
	v_mov_b32_e32 v17, v11
	v_pk_add_f32 v[4:5], v[4:5], v[16:17]
	s_andn2_b64 exec, exec, s[4:5]
	s_cbranch_execnz .LBB47_45
; %bb.46:
	s_or_b64 exec, exec, s[4:5]
	v_mov_b32_e32 v3, 0
	ds_read_b64 v[8:9], v3 offset:64
	s_waitcnt lgkmcnt(0)
	v_pk_mul_f32 v[10:11], v[4:5], v[8:9] op_sel:[1,1] op_sel_hi:[0,1]
	v_pk_fma_f32 v[12:13], v[4:5], v[8:9], v[10:11] neg_lo:[0,0,1] neg_hi:[0,0,1]
	v_pk_fma_f32 v[4:5], v[4:5], v[8:9], v[10:11] op_sel_hi:[1,0,1]
	s_nop 0
	v_mov_b32_e32 v13, v5
	scratch_store_dwordx2 off, v[12:13], off offset:64
.LBB47_47:
	s_or_b64 exec, exec, s[0:1]
	; wave barrier
	scratch_load_dwordx2 v[4:5], off, off offset:72
	v_cmp_gt_u32_e32 vcc, 9, v0
	s_waitcnt vmcnt(0)
	ds_write_b64 v1, v[4:5]
	s_waitcnt lgkmcnt(0)
	; wave barrier
	s_and_saveexec_b64 s[0:1], vcc
	s_cbranch_execz .LBB47_51
; %bb.48:
	v_mov_b32_e32 v4, 0
	v_add_u32_e32 v3, -1, v0
	v_add_u32_e32 v7, 0x180, v2
	v_mov_b32_e32 v8, v2
	s_mov_b64 s[4:5], 0
	v_mov_b32_e32 v5, v4
.LBB47_49:                              ; =>This Inner Loop Header: Depth=1
	scratch_load_dwordx2 v[10:11], v8, off
	ds_read_b64 v[12:13], v7
	v_add_u32_e32 v3, 1, v3
	v_cmp_lt_u32_e32 vcc, 7, v3
	v_add_u32_e32 v7, 8, v7
	v_add_u32_e32 v8, 8, v8
	s_or_b64 s[4:5], vcc, s[4:5]
	s_waitcnt vmcnt(0) lgkmcnt(0)
	v_pk_mul_f32 v[14:15], v[12:13], v[10:11] op_sel:[1,1] op_sel_hi:[0,1]
	v_pk_fma_f32 v[16:17], v[12:13], v[10:11], v[14:15] neg_lo:[0,0,1] neg_hi:[0,0,1]
	v_pk_fma_f32 v[10:11], v[12:13], v[10:11], v[14:15] op_sel_hi:[1,0,1]
	s_nop 0
	v_mov_b32_e32 v17, v11
	v_pk_add_f32 v[4:5], v[4:5], v[16:17]
	s_andn2_b64 exec, exec, s[4:5]
	s_cbranch_execnz .LBB47_49
; %bb.50:
	s_or_b64 exec, exec, s[4:5]
	v_mov_b32_e32 v3, 0
	ds_read_b64 v[8:9], v3 offset:72
	s_waitcnt lgkmcnt(0)
	v_pk_mul_f32 v[10:11], v[4:5], v[8:9] op_sel:[1,1] op_sel_hi:[0,1]
	v_pk_fma_f32 v[12:13], v[4:5], v[8:9], v[10:11] neg_lo:[0,0,1] neg_hi:[0,0,1]
	v_pk_fma_f32 v[4:5], v[4:5], v[8:9], v[10:11] op_sel_hi:[1,0,1]
	s_nop 0
	v_mov_b32_e32 v13, v5
	scratch_store_dwordx2 off, v[12:13], off offset:72
.LBB47_51:
	s_or_b64 exec, exec, s[0:1]
	; wave barrier
	scratch_load_dwordx2 v[4:5], off, off offset:80
	v_cmp_gt_u32_e32 vcc, 10, v0
	s_waitcnt vmcnt(0)
	ds_write_b64 v1, v[4:5]
	s_waitcnt lgkmcnt(0)
	; wave barrier
	s_and_saveexec_b64 s[0:1], vcc
	s_cbranch_execz .LBB47_55
; %bb.52:
	v_mov_b32_e32 v4, 0
	v_add_u32_e32 v3, -1, v0
	v_add_u32_e32 v7, 0x180, v2
	v_mov_b32_e32 v8, v2
	s_mov_b64 s[4:5], 0
	v_mov_b32_e32 v5, v4
.LBB47_53:                              ; =>This Inner Loop Header: Depth=1
	scratch_load_dwordx2 v[10:11], v8, off
	ds_read_b64 v[12:13], v7
	v_add_u32_e32 v3, 1, v3
	v_cmp_lt_u32_e32 vcc, 8, v3
	v_add_u32_e32 v7, 8, v7
	v_add_u32_e32 v8, 8, v8
	s_or_b64 s[4:5], vcc, s[4:5]
	s_waitcnt vmcnt(0) lgkmcnt(0)
	v_pk_mul_f32 v[14:15], v[12:13], v[10:11] op_sel:[1,1] op_sel_hi:[0,1]
	v_pk_fma_f32 v[16:17], v[12:13], v[10:11], v[14:15] neg_lo:[0,0,1] neg_hi:[0,0,1]
	v_pk_fma_f32 v[10:11], v[12:13], v[10:11], v[14:15] op_sel_hi:[1,0,1]
	s_nop 0
	v_mov_b32_e32 v17, v11
	v_pk_add_f32 v[4:5], v[4:5], v[16:17]
	s_andn2_b64 exec, exec, s[4:5]
	s_cbranch_execnz .LBB47_53
; %bb.54:
	s_or_b64 exec, exec, s[4:5]
	v_mov_b32_e32 v3, 0
	ds_read_b64 v[8:9], v3 offset:80
	s_waitcnt lgkmcnt(0)
	v_pk_mul_f32 v[10:11], v[4:5], v[8:9] op_sel:[1,1] op_sel_hi:[0,1]
	v_pk_fma_f32 v[12:13], v[4:5], v[8:9], v[10:11] neg_lo:[0,0,1] neg_hi:[0,0,1]
	v_pk_fma_f32 v[4:5], v[4:5], v[8:9], v[10:11] op_sel_hi:[1,0,1]
	s_nop 0
	v_mov_b32_e32 v13, v5
	scratch_store_dwordx2 off, v[12:13], off offset:80
.LBB47_55:
	s_or_b64 exec, exec, s[0:1]
	; wave barrier
	scratch_load_dwordx2 v[4:5], off, off offset:88
	v_cmp_gt_u32_e32 vcc, 11, v0
	s_waitcnt vmcnt(0)
	ds_write_b64 v1, v[4:5]
	s_waitcnt lgkmcnt(0)
	; wave barrier
	s_and_saveexec_b64 s[0:1], vcc
	s_cbranch_execz .LBB47_59
; %bb.56:
	v_mov_b32_e32 v4, 0
	v_add_u32_e32 v3, -1, v0
	v_add_u32_e32 v7, 0x180, v2
	v_mov_b32_e32 v8, v2
	s_mov_b64 s[4:5], 0
	v_mov_b32_e32 v5, v4
.LBB47_57:                              ; =>This Inner Loop Header: Depth=1
	scratch_load_dwordx2 v[10:11], v8, off
	ds_read_b64 v[12:13], v7
	v_add_u32_e32 v3, 1, v3
	v_cmp_lt_u32_e32 vcc, 9, v3
	v_add_u32_e32 v7, 8, v7
	v_add_u32_e32 v8, 8, v8
	s_or_b64 s[4:5], vcc, s[4:5]
	s_waitcnt vmcnt(0) lgkmcnt(0)
	v_pk_mul_f32 v[14:15], v[12:13], v[10:11] op_sel:[1,1] op_sel_hi:[0,1]
	v_pk_fma_f32 v[16:17], v[12:13], v[10:11], v[14:15] neg_lo:[0,0,1] neg_hi:[0,0,1]
	v_pk_fma_f32 v[10:11], v[12:13], v[10:11], v[14:15] op_sel_hi:[1,0,1]
	s_nop 0
	v_mov_b32_e32 v17, v11
	v_pk_add_f32 v[4:5], v[4:5], v[16:17]
	s_andn2_b64 exec, exec, s[4:5]
	s_cbranch_execnz .LBB47_57
; %bb.58:
	s_or_b64 exec, exec, s[4:5]
	v_mov_b32_e32 v3, 0
	ds_read_b64 v[8:9], v3 offset:88
	s_waitcnt lgkmcnt(0)
	v_pk_mul_f32 v[10:11], v[4:5], v[8:9] op_sel:[1,1] op_sel_hi:[0,1]
	v_pk_fma_f32 v[12:13], v[4:5], v[8:9], v[10:11] neg_lo:[0,0,1] neg_hi:[0,0,1]
	v_pk_fma_f32 v[4:5], v[4:5], v[8:9], v[10:11] op_sel_hi:[1,0,1]
	s_nop 0
	v_mov_b32_e32 v13, v5
	scratch_store_dwordx2 off, v[12:13], off offset:88
.LBB47_59:
	s_or_b64 exec, exec, s[0:1]
	; wave barrier
	scratch_load_dwordx2 v[4:5], off, off offset:96
	v_cmp_gt_u32_e32 vcc, 12, v0
	s_waitcnt vmcnt(0)
	ds_write_b64 v1, v[4:5]
	s_waitcnt lgkmcnt(0)
	; wave barrier
	s_and_saveexec_b64 s[0:1], vcc
	s_cbranch_execz .LBB47_63
; %bb.60:
	v_mov_b32_e32 v4, 0
	v_add_u32_e32 v3, -1, v0
	v_add_u32_e32 v7, 0x180, v2
	v_mov_b32_e32 v8, v2
	s_mov_b64 s[4:5], 0
	v_mov_b32_e32 v5, v4
.LBB47_61:                              ; =>This Inner Loop Header: Depth=1
	scratch_load_dwordx2 v[10:11], v8, off
	ds_read_b64 v[12:13], v7
	v_add_u32_e32 v3, 1, v3
	v_cmp_lt_u32_e32 vcc, 10, v3
	v_add_u32_e32 v7, 8, v7
	v_add_u32_e32 v8, 8, v8
	s_or_b64 s[4:5], vcc, s[4:5]
	s_waitcnt vmcnt(0) lgkmcnt(0)
	v_pk_mul_f32 v[14:15], v[12:13], v[10:11] op_sel:[1,1] op_sel_hi:[0,1]
	v_pk_fma_f32 v[16:17], v[12:13], v[10:11], v[14:15] neg_lo:[0,0,1] neg_hi:[0,0,1]
	v_pk_fma_f32 v[10:11], v[12:13], v[10:11], v[14:15] op_sel_hi:[1,0,1]
	s_nop 0
	v_mov_b32_e32 v17, v11
	v_pk_add_f32 v[4:5], v[4:5], v[16:17]
	s_andn2_b64 exec, exec, s[4:5]
	s_cbranch_execnz .LBB47_61
; %bb.62:
	s_or_b64 exec, exec, s[4:5]
	v_mov_b32_e32 v3, 0
	ds_read_b64 v[8:9], v3 offset:96
	s_waitcnt lgkmcnt(0)
	v_pk_mul_f32 v[10:11], v[4:5], v[8:9] op_sel:[1,1] op_sel_hi:[0,1]
	v_pk_fma_f32 v[12:13], v[4:5], v[8:9], v[10:11] neg_lo:[0,0,1] neg_hi:[0,0,1]
	v_pk_fma_f32 v[4:5], v[4:5], v[8:9], v[10:11] op_sel_hi:[1,0,1]
	s_nop 0
	v_mov_b32_e32 v13, v5
	scratch_store_dwordx2 off, v[12:13], off offset:96
.LBB47_63:
	s_or_b64 exec, exec, s[0:1]
	; wave barrier
	scratch_load_dwordx2 v[4:5], off, off offset:104
	v_cmp_gt_u32_e32 vcc, 13, v0
	s_waitcnt vmcnt(0)
	ds_write_b64 v1, v[4:5]
	s_waitcnt lgkmcnt(0)
	; wave barrier
	s_and_saveexec_b64 s[0:1], vcc
	s_cbranch_execz .LBB47_67
; %bb.64:
	v_mov_b32_e32 v4, 0
	v_add_u32_e32 v3, -1, v0
	v_add_u32_e32 v7, 0x180, v2
	v_mov_b32_e32 v8, v2
	s_mov_b64 s[4:5], 0
	v_mov_b32_e32 v5, v4
.LBB47_65:                              ; =>This Inner Loop Header: Depth=1
	scratch_load_dwordx2 v[10:11], v8, off
	ds_read_b64 v[12:13], v7
	v_add_u32_e32 v3, 1, v3
	v_cmp_lt_u32_e32 vcc, 11, v3
	v_add_u32_e32 v7, 8, v7
	v_add_u32_e32 v8, 8, v8
	s_or_b64 s[4:5], vcc, s[4:5]
	s_waitcnt vmcnt(0) lgkmcnt(0)
	v_pk_mul_f32 v[14:15], v[12:13], v[10:11] op_sel:[1,1] op_sel_hi:[0,1]
	v_pk_fma_f32 v[16:17], v[12:13], v[10:11], v[14:15] neg_lo:[0,0,1] neg_hi:[0,0,1]
	v_pk_fma_f32 v[10:11], v[12:13], v[10:11], v[14:15] op_sel_hi:[1,0,1]
	s_nop 0
	v_mov_b32_e32 v17, v11
	v_pk_add_f32 v[4:5], v[4:5], v[16:17]
	s_andn2_b64 exec, exec, s[4:5]
	s_cbranch_execnz .LBB47_65
; %bb.66:
	s_or_b64 exec, exec, s[4:5]
	v_mov_b32_e32 v3, 0
	ds_read_b64 v[8:9], v3 offset:104
	s_waitcnt lgkmcnt(0)
	v_pk_mul_f32 v[10:11], v[4:5], v[8:9] op_sel:[1,1] op_sel_hi:[0,1]
	v_pk_fma_f32 v[12:13], v[4:5], v[8:9], v[10:11] neg_lo:[0,0,1] neg_hi:[0,0,1]
	v_pk_fma_f32 v[4:5], v[4:5], v[8:9], v[10:11] op_sel_hi:[1,0,1]
	s_nop 0
	v_mov_b32_e32 v13, v5
	scratch_store_dwordx2 off, v[12:13], off offset:104
.LBB47_67:
	s_or_b64 exec, exec, s[0:1]
	; wave barrier
	scratch_load_dwordx2 v[4:5], off, off offset:112
	v_cmp_gt_u32_e32 vcc, 14, v0
	s_waitcnt vmcnt(0)
	ds_write_b64 v1, v[4:5]
	s_waitcnt lgkmcnt(0)
	; wave barrier
	s_and_saveexec_b64 s[0:1], vcc
	s_cbranch_execz .LBB47_71
; %bb.68:
	v_mov_b32_e32 v4, 0
	v_add_u32_e32 v3, -1, v0
	v_add_u32_e32 v7, 0x180, v2
	v_mov_b32_e32 v8, v2
	s_mov_b64 s[4:5], 0
	v_mov_b32_e32 v5, v4
.LBB47_69:                              ; =>This Inner Loop Header: Depth=1
	scratch_load_dwordx2 v[10:11], v8, off
	ds_read_b64 v[12:13], v7
	v_add_u32_e32 v3, 1, v3
	v_cmp_lt_u32_e32 vcc, 12, v3
	v_add_u32_e32 v7, 8, v7
	v_add_u32_e32 v8, 8, v8
	s_or_b64 s[4:5], vcc, s[4:5]
	s_waitcnt vmcnt(0) lgkmcnt(0)
	v_pk_mul_f32 v[14:15], v[12:13], v[10:11] op_sel:[1,1] op_sel_hi:[0,1]
	v_pk_fma_f32 v[16:17], v[12:13], v[10:11], v[14:15] neg_lo:[0,0,1] neg_hi:[0,0,1]
	v_pk_fma_f32 v[10:11], v[12:13], v[10:11], v[14:15] op_sel_hi:[1,0,1]
	s_nop 0
	v_mov_b32_e32 v17, v11
	v_pk_add_f32 v[4:5], v[4:5], v[16:17]
	s_andn2_b64 exec, exec, s[4:5]
	s_cbranch_execnz .LBB47_69
; %bb.70:
	s_or_b64 exec, exec, s[4:5]
	v_mov_b32_e32 v3, 0
	ds_read_b64 v[8:9], v3 offset:112
	s_waitcnt lgkmcnt(0)
	v_pk_mul_f32 v[10:11], v[4:5], v[8:9] op_sel:[1,1] op_sel_hi:[0,1]
	v_pk_fma_f32 v[12:13], v[4:5], v[8:9], v[10:11] neg_lo:[0,0,1] neg_hi:[0,0,1]
	v_pk_fma_f32 v[4:5], v[4:5], v[8:9], v[10:11] op_sel_hi:[1,0,1]
	s_nop 0
	v_mov_b32_e32 v13, v5
	scratch_store_dwordx2 off, v[12:13], off offset:112
.LBB47_71:
	s_or_b64 exec, exec, s[0:1]
	; wave barrier
	scratch_load_dwordx2 v[4:5], off, off offset:120
	v_cmp_gt_u32_e32 vcc, 15, v0
	s_waitcnt vmcnt(0)
	ds_write_b64 v1, v[4:5]
	s_waitcnt lgkmcnt(0)
	; wave barrier
	s_and_saveexec_b64 s[0:1], vcc
	s_cbranch_execz .LBB47_75
; %bb.72:
	v_mov_b32_e32 v4, 0
	v_add_u32_e32 v3, -1, v0
	v_add_u32_e32 v7, 0x180, v2
	v_mov_b32_e32 v8, v2
	s_mov_b64 s[4:5], 0
	v_mov_b32_e32 v5, v4
.LBB47_73:                              ; =>This Inner Loop Header: Depth=1
	scratch_load_dwordx2 v[10:11], v8, off
	ds_read_b64 v[12:13], v7
	v_add_u32_e32 v3, 1, v3
	v_cmp_lt_u32_e32 vcc, 13, v3
	v_add_u32_e32 v7, 8, v7
	v_add_u32_e32 v8, 8, v8
	s_or_b64 s[4:5], vcc, s[4:5]
	s_waitcnt vmcnt(0) lgkmcnt(0)
	v_pk_mul_f32 v[14:15], v[12:13], v[10:11] op_sel:[1,1] op_sel_hi:[0,1]
	v_pk_fma_f32 v[16:17], v[12:13], v[10:11], v[14:15] neg_lo:[0,0,1] neg_hi:[0,0,1]
	v_pk_fma_f32 v[10:11], v[12:13], v[10:11], v[14:15] op_sel_hi:[1,0,1]
	s_nop 0
	v_mov_b32_e32 v17, v11
	v_pk_add_f32 v[4:5], v[4:5], v[16:17]
	s_andn2_b64 exec, exec, s[4:5]
	s_cbranch_execnz .LBB47_73
; %bb.74:
	s_or_b64 exec, exec, s[4:5]
	v_mov_b32_e32 v3, 0
	ds_read_b64 v[8:9], v3 offset:120
	s_waitcnt lgkmcnt(0)
	v_pk_mul_f32 v[10:11], v[4:5], v[8:9] op_sel:[1,1] op_sel_hi:[0,1]
	v_pk_fma_f32 v[12:13], v[4:5], v[8:9], v[10:11] neg_lo:[0,0,1] neg_hi:[0,0,1]
	v_pk_fma_f32 v[4:5], v[4:5], v[8:9], v[10:11] op_sel_hi:[1,0,1]
	s_nop 0
	v_mov_b32_e32 v13, v5
	scratch_store_dwordx2 off, v[12:13], off offset:120
.LBB47_75:
	s_or_b64 exec, exec, s[0:1]
	; wave barrier
	scratch_load_dwordx2 v[4:5], off, off offset:128
	v_cmp_gt_u32_e32 vcc, 16, v0
	s_waitcnt vmcnt(0)
	ds_write_b64 v1, v[4:5]
	s_waitcnt lgkmcnt(0)
	; wave barrier
	s_and_saveexec_b64 s[0:1], vcc
	s_cbranch_execz .LBB47_79
; %bb.76:
	v_mov_b32_e32 v4, 0
	v_add_u32_e32 v3, -1, v0
	v_add_u32_e32 v7, 0x180, v2
	v_mov_b32_e32 v8, v2
	s_mov_b64 s[4:5], 0
	v_mov_b32_e32 v5, v4
.LBB47_77:                              ; =>This Inner Loop Header: Depth=1
	scratch_load_dwordx2 v[10:11], v8, off
	ds_read_b64 v[12:13], v7
	v_add_u32_e32 v3, 1, v3
	v_cmp_lt_u32_e32 vcc, 14, v3
	v_add_u32_e32 v7, 8, v7
	v_add_u32_e32 v8, 8, v8
	s_or_b64 s[4:5], vcc, s[4:5]
	s_waitcnt vmcnt(0) lgkmcnt(0)
	v_pk_mul_f32 v[14:15], v[12:13], v[10:11] op_sel:[1,1] op_sel_hi:[0,1]
	v_pk_fma_f32 v[16:17], v[12:13], v[10:11], v[14:15] neg_lo:[0,0,1] neg_hi:[0,0,1]
	v_pk_fma_f32 v[10:11], v[12:13], v[10:11], v[14:15] op_sel_hi:[1,0,1]
	s_nop 0
	v_mov_b32_e32 v17, v11
	v_pk_add_f32 v[4:5], v[4:5], v[16:17]
	s_andn2_b64 exec, exec, s[4:5]
	s_cbranch_execnz .LBB47_77
; %bb.78:
	s_or_b64 exec, exec, s[4:5]
	v_mov_b32_e32 v3, 0
	ds_read_b64 v[8:9], v3 offset:128
	s_waitcnt lgkmcnt(0)
	v_pk_mul_f32 v[10:11], v[4:5], v[8:9] op_sel:[1,1] op_sel_hi:[0,1]
	v_pk_fma_f32 v[12:13], v[4:5], v[8:9], v[10:11] neg_lo:[0,0,1] neg_hi:[0,0,1]
	v_pk_fma_f32 v[4:5], v[4:5], v[8:9], v[10:11] op_sel_hi:[1,0,1]
	s_nop 0
	v_mov_b32_e32 v13, v5
	scratch_store_dwordx2 off, v[12:13], off offset:128
.LBB47_79:
	s_or_b64 exec, exec, s[0:1]
	; wave barrier
	scratch_load_dwordx2 v[4:5], off, off offset:136
	v_cmp_gt_u32_e32 vcc, 17, v0
	s_waitcnt vmcnt(0)
	ds_write_b64 v1, v[4:5]
	s_waitcnt lgkmcnt(0)
	; wave barrier
	s_and_saveexec_b64 s[0:1], vcc
	s_cbranch_execz .LBB47_83
; %bb.80:
	v_mov_b32_e32 v4, 0
	v_add_u32_e32 v3, -1, v0
	v_add_u32_e32 v7, 0x180, v2
	v_mov_b32_e32 v8, v2
	s_mov_b64 s[4:5], 0
	v_mov_b32_e32 v5, v4
.LBB47_81:                              ; =>This Inner Loop Header: Depth=1
	scratch_load_dwordx2 v[10:11], v8, off
	ds_read_b64 v[12:13], v7
	v_add_u32_e32 v3, 1, v3
	v_cmp_lt_u32_e32 vcc, 15, v3
	v_add_u32_e32 v7, 8, v7
	v_add_u32_e32 v8, 8, v8
	s_or_b64 s[4:5], vcc, s[4:5]
	s_waitcnt vmcnt(0) lgkmcnt(0)
	v_pk_mul_f32 v[14:15], v[12:13], v[10:11] op_sel:[1,1] op_sel_hi:[0,1]
	v_pk_fma_f32 v[16:17], v[12:13], v[10:11], v[14:15] neg_lo:[0,0,1] neg_hi:[0,0,1]
	v_pk_fma_f32 v[10:11], v[12:13], v[10:11], v[14:15] op_sel_hi:[1,0,1]
	s_nop 0
	v_mov_b32_e32 v17, v11
	v_pk_add_f32 v[4:5], v[4:5], v[16:17]
	s_andn2_b64 exec, exec, s[4:5]
	s_cbranch_execnz .LBB47_81
; %bb.82:
	s_or_b64 exec, exec, s[4:5]
	v_mov_b32_e32 v3, 0
	ds_read_b64 v[8:9], v3 offset:136
	s_waitcnt lgkmcnt(0)
	v_pk_mul_f32 v[10:11], v[4:5], v[8:9] op_sel:[1,1] op_sel_hi:[0,1]
	v_pk_fma_f32 v[12:13], v[4:5], v[8:9], v[10:11] neg_lo:[0,0,1] neg_hi:[0,0,1]
	v_pk_fma_f32 v[4:5], v[4:5], v[8:9], v[10:11] op_sel_hi:[1,0,1]
	s_nop 0
	v_mov_b32_e32 v13, v5
	scratch_store_dwordx2 off, v[12:13], off offset:136
.LBB47_83:
	s_or_b64 exec, exec, s[0:1]
	; wave barrier
	scratch_load_dwordx2 v[4:5], off, off offset:144
	v_cmp_gt_u32_e32 vcc, 18, v0
	s_waitcnt vmcnt(0)
	ds_write_b64 v1, v[4:5]
	s_waitcnt lgkmcnt(0)
	; wave barrier
	s_and_saveexec_b64 s[0:1], vcc
	s_cbranch_execz .LBB47_87
; %bb.84:
	v_mov_b32_e32 v4, 0
	v_add_u32_e32 v3, -1, v0
	v_add_u32_e32 v7, 0x180, v2
	v_mov_b32_e32 v8, v2
	s_mov_b64 s[4:5], 0
	v_mov_b32_e32 v5, v4
.LBB47_85:                              ; =>This Inner Loop Header: Depth=1
	scratch_load_dwordx2 v[10:11], v8, off
	ds_read_b64 v[12:13], v7
	v_add_u32_e32 v3, 1, v3
	v_cmp_lt_u32_e32 vcc, 16, v3
	v_add_u32_e32 v7, 8, v7
	v_add_u32_e32 v8, 8, v8
	s_or_b64 s[4:5], vcc, s[4:5]
	s_waitcnt vmcnt(0) lgkmcnt(0)
	v_pk_mul_f32 v[14:15], v[12:13], v[10:11] op_sel:[1,1] op_sel_hi:[0,1]
	v_pk_fma_f32 v[16:17], v[12:13], v[10:11], v[14:15] neg_lo:[0,0,1] neg_hi:[0,0,1]
	v_pk_fma_f32 v[10:11], v[12:13], v[10:11], v[14:15] op_sel_hi:[1,0,1]
	s_nop 0
	v_mov_b32_e32 v17, v11
	v_pk_add_f32 v[4:5], v[4:5], v[16:17]
	s_andn2_b64 exec, exec, s[4:5]
	s_cbranch_execnz .LBB47_85
; %bb.86:
	s_or_b64 exec, exec, s[4:5]
	v_mov_b32_e32 v3, 0
	ds_read_b64 v[8:9], v3 offset:144
	s_waitcnt lgkmcnt(0)
	v_pk_mul_f32 v[10:11], v[4:5], v[8:9] op_sel:[1,1] op_sel_hi:[0,1]
	v_pk_fma_f32 v[12:13], v[4:5], v[8:9], v[10:11] neg_lo:[0,0,1] neg_hi:[0,0,1]
	v_pk_fma_f32 v[4:5], v[4:5], v[8:9], v[10:11] op_sel_hi:[1,0,1]
	s_nop 0
	v_mov_b32_e32 v13, v5
	scratch_store_dwordx2 off, v[12:13], off offset:144
.LBB47_87:
	s_or_b64 exec, exec, s[0:1]
	; wave barrier
	scratch_load_dwordx2 v[4:5], off, off offset:152
	v_cmp_gt_u32_e32 vcc, 19, v0
	s_waitcnt vmcnt(0)
	ds_write_b64 v1, v[4:5]
	s_waitcnt lgkmcnt(0)
	; wave barrier
	s_and_saveexec_b64 s[0:1], vcc
	s_cbranch_execz .LBB47_91
; %bb.88:
	v_mov_b32_e32 v4, 0
	v_add_u32_e32 v3, -1, v0
	v_add_u32_e32 v7, 0x180, v2
	v_mov_b32_e32 v8, v2
	s_mov_b64 s[4:5], 0
	v_mov_b32_e32 v5, v4
.LBB47_89:                              ; =>This Inner Loop Header: Depth=1
	scratch_load_dwordx2 v[10:11], v8, off
	ds_read_b64 v[12:13], v7
	v_add_u32_e32 v3, 1, v3
	v_cmp_lt_u32_e32 vcc, 17, v3
	v_add_u32_e32 v7, 8, v7
	v_add_u32_e32 v8, 8, v8
	s_or_b64 s[4:5], vcc, s[4:5]
	s_waitcnt vmcnt(0) lgkmcnt(0)
	v_pk_mul_f32 v[14:15], v[12:13], v[10:11] op_sel:[1,1] op_sel_hi:[0,1]
	v_pk_fma_f32 v[16:17], v[12:13], v[10:11], v[14:15] neg_lo:[0,0,1] neg_hi:[0,0,1]
	v_pk_fma_f32 v[10:11], v[12:13], v[10:11], v[14:15] op_sel_hi:[1,0,1]
	s_nop 0
	v_mov_b32_e32 v17, v11
	v_pk_add_f32 v[4:5], v[4:5], v[16:17]
	s_andn2_b64 exec, exec, s[4:5]
	s_cbranch_execnz .LBB47_89
; %bb.90:
	s_or_b64 exec, exec, s[4:5]
	v_mov_b32_e32 v3, 0
	ds_read_b64 v[8:9], v3 offset:152
	s_waitcnt lgkmcnt(0)
	v_pk_mul_f32 v[10:11], v[4:5], v[8:9] op_sel:[1,1] op_sel_hi:[0,1]
	v_pk_fma_f32 v[12:13], v[4:5], v[8:9], v[10:11] neg_lo:[0,0,1] neg_hi:[0,0,1]
	v_pk_fma_f32 v[4:5], v[4:5], v[8:9], v[10:11] op_sel_hi:[1,0,1]
	s_nop 0
	v_mov_b32_e32 v13, v5
	scratch_store_dwordx2 off, v[12:13], off offset:152
.LBB47_91:
	s_or_b64 exec, exec, s[0:1]
	; wave barrier
	scratch_load_dwordx2 v[4:5], off, off offset:160
	v_cmp_gt_u32_e32 vcc, 20, v0
	s_waitcnt vmcnt(0)
	ds_write_b64 v1, v[4:5]
	s_waitcnt lgkmcnt(0)
	; wave barrier
	s_and_saveexec_b64 s[0:1], vcc
	s_cbranch_execz .LBB47_95
; %bb.92:
	v_mov_b32_e32 v4, 0
	v_add_u32_e32 v3, -1, v0
	v_add_u32_e32 v7, 0x180, v2
	v_mov_b32_e32 v8, v2
	s_mov_b64 s[4:5], 0
	v_mov_b32_e32 v5, v4
.LBB47_93:                              ; =>This Inner Loop Header: Depth=1
	scratch_load_dwordx2 v[10:11], v8, off
	ds_read_b64 v[12:13], v7
	v_add_u32_e32 v3, 1, v3
	v_cmp_lt_u32_e32 vcc, 18, v3
	v_add_u32_e32 v7, 8, v7
	v_add_u32_e32 v8, 8, v8
	s_or_b64 s[4:5], vcc, s[4:5]
	s_waitcnt vmcnt(0) lgkmcnt(0)
	v_pk_mul_f32 v[14:15], v[12:13], v[10:11] op_sel:[1,1] op_sel_hi:[0,1]
	v_pk_fma_f32 v[16:17], v[12:13], v[10:11], v[14:15] neg_lo:[0,0,1] neg_hi:[0,0,1]
	v_pk_fma_f32 v[10:11], v[12:13], v[10:11], v[14:15] op_sel_hi:[1,0,1]
	s_nop 0
	v_mov_b32_e32 v17, v11
	v_pk_add_f32 v[4:5], v[4:5], v[16:17]
	s_andn2_b64 exec, exec, s[4:5]
	s_cbranch_execnz .LBB47_93
; %bb.94:
	s_or_b64 exec, exec, s[4:5]
	v_mov_b32_e32 v3, 0
	ds_read_b64 v[8:9], v3 offset:160
	s_waitcnt lgkmcnt(0)
	v_pk_mul_f32 v[10:11], v[4:5], v[8:9] op_sel:[1,1] op_sel_hi:[0,1]
	v_pk_fma_f32 v[12:13], v[4:5], v[8:9], v[10:11] neg_lo:[0,0,1] neg_hi:[0,0,1]
	v_pk_fma_f32 v[4:5], v[4:5], v[8:9], v[10:11] op_sel_hi:[1,0,1]
	s_nop 0
	v_mov_b32_e32 v13, v5
	scratch_store_dwordx2 off, v[12:13], off offset:160
.LBB47_95:
	s_or_b64 exec, exec, s[0:1]
	; wave barrier
	scratch_load_dwordx2 v[4:5], off, off offset:168
	v_cmp_gt_u32_e32 vcc, 21, v0
	s_waitcnt vmcnt(0)
	ds_write_b64 v1, v[4:5]
	s_waitcnt lgkmcnt(0)
	; wave barrier
	s_and_saveexec_b64 s[0:1], vcc
	s_cbranch_execz .LBB47_99
; %bb.96:
	v_mov_b32_e32 v4, 0
	v_add_u32_e32 v3, -1, v0
	v_add_u32_e32 v7, 0x180, v2
	v_mov_b32_e32 v8, v2
	s_mov_b64 s[4:5], 0
	v_mov_b32_e32 v5, v4
.LBB47_97:                              ; =>This Inner Loop Header: Depth=1
	scratch_load_dwordx2 v[10:11], v8, off
	ds_read_b64 v[12:13], v7
	v_add_u32_e32 v3, 1, v3
	v_cmp_lt_u32_e32 vcc, 19, v3
	v_add_u32_e32 v7, 8, v7
	v_add_u32_e32 v8, 8, v8
	s_or_b64 s[4:5], vcc, s[4:5]
	s_waitcnt vmcnt(0) lgkmcnt(0)
	v_pk_mul_f32 v[14:15], v[12:13], v[10:11] op_sel:[1,1] op_sel_hi:[0,1]
	v_pk_fma_f32 v[16:17], v[12:13], v[10:11], v[14:15] neg_lo:[0,0,1] neg_hi:[0,0,1]
	v_pk_fma_f32 v[10:11], v[12:13], v[10:11], v[14:15] op_sel_hi:[1,0,1]
	s_nop 0
	v_mov_b32_e32 v17, v11
	v_pk_add_f32 v[4:5], v[4:5], v[16:17]
	s_andn2_b64 exec, exec, s[4:5]
	s_cbranch_execnz .LBB47_97
; %bb.98:
	s_or_b64 exec, exec, s[4:5]
	v_mov_b32_e32 v3, 0
	ds_read_b64 v[8:9], v3 offset:168
	s_waitcnt lgkmcnt(0)
	v_pk_mul_f32 v[10:11], v[4:5], v[8:9] op_sel:[1,1] op_sel_hi:[0,1]
	v_pk_fma_f32 v[12:13], v[4:5], v[8:9], v[10:11] neg_lo:[0,0,1] neg_hi:[0,0,1]
	v_pk_fma_f32 v[4:5], v[4:5], v[8:9], v[10:11] op_sel_hi:[1,0,1]
	s_nop 0
	v_mov_b32_e32 v13, v5
	scratch_store_dwordx2 off, v[12:13], off offset:168
.LBB47_99:
	s_or_b64 exec, exec, s[0:1]
	; wave barrier
	scratch_load_dwordx2 v[4:5], off, off offset:176
	v_cmp_gt_u32_e32 vcc, 22, v0
	s_waitcnt vmcnt(0)
	ds_write_b64 v1, v[4:5]
	s_waitcnt lgkmcnt(0)
	; wave barrier
	s_and_saveexec_b64 s[0:1], vcc
	s_cbranch_execz .LBB47_103
; %bb.100:
	v_mov_b32_e32 v4, 0
	v_add_u32_e32 v3, -1, v0
	v_add_u32_e32 v7, 0x180, v2
	v_mov_b32_e32 v8, v2
	s_mov_b64 s[4:5], 0
	v_mov_b32_e32 v5, v4
.LBB47_101:                             ; =>This Inner Loop Header: Depth=1
	scratch_load_dwordx2 v[10:11], v8, off
	ds_read_b64 v[12:13], v7
	v_add_u32_e32 v3, 1, v3
	v_cmp_lt_u32_e32 vcc, 20, v3
	v_add_u32_e32 v7, 8, v7
	v_add_u32_e32 v8, 8, v8
	s_or_b64 s[4:5], vcc, s[4:5]
	s_waitcnt vmcnt(0) lgkmcnt(0)
	v_pk_mul_f32 v[14:15], v[12:13], v[10:11] op_sel:[1,1] op_sel_hi:[0,1]
	v_pk_fma_f32 v[16:17], v[12:13], v[10:11], v[14:15] neg_lo:[0,0,1] neg_hi:[0,0,1]
	v_pk_fma_f32 v[10:11], v[12:13], v[10:11], v[14:15] op_sel_hi:[1,0,1]
	s_nop 0
	v_mov_b32_e32 v17, v11
	v_pk_add_f32 v[4:5], v[4:5], v[16:17]
	s_andn2_b64 exec, exec, s[4:5]
	s_cbranch_execnz .LBB47_101
; %bb.102:
	s_or_b64 exec, exec, s[4:5]
	v_mov_b32_e32 v3, 0
	ds_read_b64 v[8:9], v3 offset:176
	s_waitcnt lgkmcnt(0)
	v_pk_mul_f32 v[10:11], v[4:5], v[8:9] op_sel:[1,1] op_sel_hi:[0,1]
	v_pk_fma_f32 v[12:13], v[4:5], v[8:9], v[10:11] neg_lo:[0,0,1] neg_hi:[0,0,1]
	v_pk_fma_f32 v[4:5], v[4:5], v[8:9], v[10:11] op_sel_hi:[1,0,1]
	s_nop 0
	v_mov_b32_e32 v13, v5
	scratch_store_dwordx2 off, v[12:13], off offset:176
.LBB47_103:
	s_or_b64 exec, exec, s[0:1]
	; wave barrier
	scratch_load_dwordx2 v[4:5], off, off offset:184
	v_cmp_gt_u32_e32 vcc, 23, v0
	s_waitcnt vmcnt(0)
	ds_write_b64 v1, v[4:5]
	s_waitcnt lgkmcnt(0)
	; wave barrier
	s_and_saveexec_b64 s[0:1], vcc
	s_cbranch_execz .LBB47_107
; %bb.104:
	v_mov_b32_e32 v4, 0
	v_add_u32_e32 v3, -1, v0
	v_add_u32_e32 v7, 0x180, v2
	v_mov_b32_e32 v8, v2
	s_mov_b64 s[4:5], 0
	v_mov_b32_e32 v5, v4
.LBB47_105:                             ; =>This Inner Loop Header: Depth=1
	scratch_load_dwordx2 v[10:11], v8, off
	ds_read_b64 v[12:13], v7
	v_add_u32_e32 v3, 1, v3
	v_cmp_lt_u32_e32 vcc, 21, v3
	v_add_u32_e32 v7, 8, v7
	v_add_u32_e32 v8, 8, v8
	s_or_b64 s[4:5], vcc, s[4:5]
	s_waitcnt vmcnt(0) lgkmcnt(0)
	v_pk_mul_f32 v[14:15], v[12:13], v[10:11] op_sel:[1,1] op_sel_hi:[0,1]
	v_pk_fma_f32 v[16:17], v[12:13], v[10:11], v[14:15] neg_lo:[0,0,1] neg_hi:[0,0,1]
	v_pk_fma_f32 v[10:11], v[12:13], v[10:11], v[14:15] op_sel_hi:[1,0,1]
	s_nop 0
	v_mov_b32_e32 v17, v11
	v_pk_add_f32 v[4:5], v[4:5], v[16:17]
	s_andn2_b64 exec, exec, s[4:5]
	s_cbranch_execnz .LBB47_105
; %bb.106:
	s_or_b64 exec, exec, s[4:5]
	v_mov_b32_e32 v3, 0
	ds_read_b64 v[8:9], v3 offset:184
	s_waitcnt lgkmcnt(0)
	v_pk_mul_f32 v[10:11], v[4:5], v[8:9] op_sel:[1,1] op_sel_hi:[0,1]
	v_pk_fma_f32 v[12:13], v[4:5], v[8:9], v[10:11] neg_lo:[0,0,1] neg_hi:[0,0,1]
	v_pk_fma_f32 v[4:5], v[4:5], v[8:9], v[10:11] op_sel_hi:[1,0,1]
	s_nop 0
	v_mov_b32_e32 v13, v5
	scratch_store_dwordx2 off, v[12:13], off offset:184
.LBB47_107:
	s_or_b64 exec, exec, s[0:1]
	; wave barrier
	scratch_load_dwordx2 v[4:5], off, off offset:192
	v_cmp_gt_u32_e32 vcc, 24, v0
	;; [unrolled: 46-line block ×24, first 2 shown]
	s_waitcnt vmcnt(0)
	ds_write_b64 v1, v[4:5]
	s_waitcnt lgkmcnt(0)
	; wave barrier
	s_and_saveexec_b64 s[0:1], vcc
	s_cbranch_execz .LBB47_199
; %bb.196:
	v_mov_b32_e32 v4, 0
	v_add_u32_e32 v3, -1, v0
	v_add_u32_e32 v7, 0x180, v2
	v_mov_b32_e32 v8, v2
	s_mov_b64 s[4:5], 0
	v_mov_b32_e32 v5, v4
.LBB47_197:                             ; =>This Inner Loop Header: Depth=1
	scratch_load_dwordx2 v[10:11], v8, off
	ds_read_b64 v[12:13], v7
	v_add_u32_e32 v3, 1, v3
	v_cmp_lt_u32_e32 vcc, 44, v3
	v_add_u32_e32 v7, 8, v7
	v_add_u32_e32 v8, 8, v8
	s_or_b64 s[4:5], vcc, s[4:5]
	s_waitcnt vmcnt(0) lgkmcnt(0)
	v_pk_mul_f32 v[14:15], v[12:13], v[10:11] op_sel:[1,1] op_sel_hi:[0,1]
	v_pk_fma_f32 v[16:17], v[12:13], v[10:11], v[14:15] neg_lo:[0,0,1] neg_hi:[0,0,1]
	v_pk_fma_f32 v[10:11], v[12:13], v[10:11], v[14:15] op_sel_hi:[1,0,1]
	s_nop 0
	v_mov_b32_e32 v17, v11
	v_pk_add_f32 v[4:5], v[4:5], v[16:17]
	s_andn2_b64 exec, exec, s[4:5]
	s_cbranch_execnz .LBB47_197
; %bb.198:
	s_or_b64 exec, exec, s[4:5]
	v_mov_b32_e32 v3, 0
	ds_read_b64 v[8:9], v3 offset:368
	s_waitcnt lgkmcnt(0)
	v_pk_mul_f32 v[10:11], v[4:5], v[8:9] op_sel:[1,1] op_sel_hi:[0,1]
	v_pk_fma_f32 v[12:13], v[4:5], v[8:9], v[10:11] neg_lo:[0,0,1] neg_hi:[0,0,1]
	v_pk_fma_f32 v[4:5], v[4:5], v[8:9], v[10:11] op_sel_hi:[1,0,1]
	s_nop 0
	v_mov_b32_e32 v13, v5
	scratch_store_dwordx2 off, v[12:13], off offset:368
.LBB47_199:
	s_or_b64 exec, exec, s[0:1]
	; wave barrier
	scratch_load_dwordx2 v[4:5], off, off offset:376
	v_cmp_ne_u32_e32 vcc, 47, v0
	s_waitcnt vmcnt(0)
	ds_write_b64 v1, v[4:5]
	s_waitcnt lgkmcnt(0)
	; wave barrier
	s_and_saveexec_b64 s[0:1], vcc
	s_cbranch_execz .LBB47_203
; %bb.200:
	v_add_u32_e32 v1, 0x180, v2
	v_mov_b32_e32 v4, v2
	v_mov_b32_e32 v2, 0
	s_mov_b64 s[4:5], 0
	v_mov_b32_e32 v3, v2
.LBB47_201:                             ; =>This Inner Loop Header: Depth=1
	scratch_load_dwordx2 v[8:9], v4, off
	ds_read_b64 v[10:11], v1
	v_add_u32_e32 v6, 1, v6
	v_cmp_lt_u32_e32 vcc, 45, v6
	v_add_u32_e32 v1, 8, v1
	v_add_u32_e32 v4, 8, v4
	s_or_b64 s[4:5], vcc, s[4:5]
	s_waitcnt vmcnt(0) lgkmcnt(0)
	v_pk_mul_f32 v[12:13], v[10:11], v[8:9] op_sel:[1,1] op_sel_hi:[0,1]
	v_pk_fma_f32 v[14:15], v[10:11], v[8:9], v[12:13] neg_lo:[0,0,1] neg_hi:[0,0,1]
	v_pk_fma_f32 v[8:9], v[10:11], v[8:9], v[12:13] op_sel_hi:[1,0,1]
	s_nop 0
	v_mov_b32_e32 v15, v9
	v_pk_add_f32 v[2:3], v[2:3], v[14:15]
	s_andn2_b64 exec, exec, s[4:5]
	s_cbranch_execnz .LBB47_201
; %bb.202:
	s_or_b64 exec, exec, s[4:5]
	v_mov_b32_e32 v1, 0
	ds_read_b64 v[4:5], v1 offset:376
	s_waitcnt lgkmcnt(0)
	v_pk_mul_f32 v[6:7], v[2:3], v[4:5] op_sel:[1,1] op_sel_hi:[0,1]
	v_pk_fma_f32 v[8:9], v[2:3], v[4:5], v[6:7] neg_lo:[0,0,1] neg_hi:[0,0,1]
	v_pk_fma_f32 v[2:3], v[2:3], v[4:5], v[6:7] op_sel_hi:[1,0,1]
	s_nop 0
	v_mov_b32_e32 v9, v3
	scratch_store_dwordx2 off, v[8:9], off offset:376
.LBB47_203:
	s_or_b64 exec, exec, s[0:1]
	s_mov_b64 s[4:5], -1
	; wave barrier
.LBB47_204:
	s_and_b64 vcc, exec, s[4:5]
	s_cbranch_vccz .LBB47_206
; %bb.205:
	s_lshl_b64 s[0:1], s[2:3], 2
	s_add_u32 s0, s6, s0
	s_addc_u32 s1, s7, s1
	v_mov_b32_e32 v1, 0
	global_load_dword v1, v1, s[0:1]
	s_waitcnt vmcnt(0)
	v_cmp_ne_u32_e32 vcc, 0, v1
	s_cbranch_vccz .LBB47_207
.LBB47_206:
	s_endpgm
.LBB47_207:
	v_mov_b32_e32 v1, 0x180
	v_lshl_add_u32 v1, v0, 3, v1
	v_cmp_eq_u32_e32 vcc, 47, v0
	s_and_saveexec_b64 s[0:1], vcc
	s_cbranch_execz .LBB47_209
; %bb.208:
	scratch_load_dwordx2 v[2:3], off, off offset:368
	v_mov_b32_e32 v4, 0
	v_mov_b32_e32 v5, v4
	scratch_store_dwordx2 off, v[4:5], off offset:368
	s_waitcnt vmcnt(1)
	ds_write_b64 v1, v[2:3]
.LBB47_209:
	s_or_b64 exec, exec, s[0:1]
	s_waitcnt lgkmcnt(0)
	; wave barrier
	scratch_load_dwordx2 v[4:5], off, off offset:376
	scratch_load_dwordx2 v[6:7], off, off offset:368
	v_mov_b32_e32 v2, 0
	ds_read_b64 v[8:9], v2 offset:760
	v_cmp_lt_u32_e32 vcc, 45, v0
	s_waitcnt vmcnt(1) lgkmcnt(0)
	v_pk_mul_f32 v[10:11], v[8:9], v[4:5] op_sel:[1,1] op_sel_hi:[0,1]
	v_pk_fma_f32 v[12:13], v[8:9], v[4:5], v[10:11] neg_lo:[0,0,1] neg_hi:[0,0,1]
	v_pk_fma_f32 v[4:5], v[8:9], v[4:5], v[10:11] op_sel_hi:[1,0,1]
	s_nop 0
	v_mov_b32_e32 v13, v5
	v_pk_add_f32 v[4:5], v[12:13], 0 op_sel_hi:[1,0]
	s_waitcnt vmcnt(0)
	v_pk_add_f32 v[4:5], v[6:7], v[4:5] neg_lo:[0,1] neg_hi:[0,1]
	scratch_store_dwordx2 off, v[4:5], off offset:368
	s_and_saveexec_b64 s[0:1], vcc
	s_cbranch_execz .LBB47_211
; %bb.210:
	scratch_load_dwordx2 v[4:5], off, off offset:360
	v_mov_b32_e32 v3, v2
	scratch_store_dwordx2 off, v[2:3], off offset:360
	s_waitcnt vmcnt(1)
	ds_write_b64 v1, v[4:5]
.LBB47_211:
	s_or_b64 exec, exec, s[0:1]
	s_waitcnt lgkmcnt(0)
	; wave barrier
	scratch_load_dwordx4 v[4:7], off, off offset:368
	scratch_load_dwordx2 v[12:13], off, off offset:360
	ds_read_b128 v[8:11], v2 offset:752
	v_cmp_lt_u32_e32 vcc, 44, v0
	s_waitcnt vmcnt(1) lgkmcnt(0)
	v_pk_mul_f32 v[2:3], v[8:9], v[4:5] op_sel:[1,1] op_sel_hi:[0,1]
	v_mov_b32_e32 v14, v7
	v_pk_fma_f32 v[16:17], v[8:9], v[4:5], v[2:3] neg_lo:[0,0,1] neg_hi:[0,0,1]
	v_pk_fma_f32 v[2:3], v[8:9], v[4:5], v[2:3] op_sel_hi:[1,0,1]
	v_pk_mul_f32 v[4:5], v[10:11], v[14:15] op_sel:[1,0] op_sel_hi:[0,0]
	v_mov_b32_e32 v17, v3
	v_pk_fma_f32 v[2:3], v[10:11], v[6:7], v[4:5] neg_lo:[0,0,1] neg_hi:[0,0,1]
	v_pk_fma_f32 v[4:5], v[10:11], v[6:7], v[4:5] op_sel_hi:[1,0,1]
	v_pk_add_f32 v[6:7], v[16:17], 0 op_sel_hi:[1,0]
	v_mov_b32_e32 v3, v5
	v_pk_add_f32 v[2:3], v[6:7], v[2:3]
	s_waitcnt vmcnt(0)
	v_pk_add_f32 v[2:3], v[12:13], v[2:3] neg_lo:[0,1] neg_hi:[0,1]
	scratch_store_dwordx2 off, v[2:3], off offset:360
	s_and_saveexec_b64 s[0:1], vcc
	s_cbranch_execz .LBB47_213
; %bb.212:
	scratch_load_dwordx2 v[2:3], off, off offset:352
	v_mov_b32_e32 v4, 0
	v_mov_b32_e32 v5, v4
	scratch_store_dwordx2 off, v[4:5], off offset:352
	s_waitcnt vmcnt(1)
	ds_write_b64 v1, v[2:3]
.LBB47_213:
	s_or_b64 exec, exec, s[0:1]
	s_waitcnt lgkmcnt(0)
	; wave barrier
	scratch_load_dwordx4 v[4:7], off, off offset:360
	scratch_load_dwordx2 v[12:13], off, off offset:376
	scratch_load_dwordx2 v[14:15], off, off offset:352
	v_mov_b32_e32 v2, 0
	ds_read2_b64 v[8:11], v2 offset0:93 offset1:94
	ds_read_b64 v[16:17], v2 offset:760
	v_cmp_lt_u32_e32 vcc, 43, v0
	s_waitcnt vmcnt(2) lgkmcnt(1)
	v_pk_mul_f32 v[18:19], v[8:9], v[4:5] op_sel:[1,1] op_sel_hi:[0,1]
	v_mov_b32_e32 v20, v7
	v_pk_fma_f32 v[24:25], v[8:9], v[4:5], v[18:19] neg_lo:[0,0,1] neg_hi:[0,0,1]
	v_pk_fma_f32 v[4:5], v[8:9], v[4:5], v[18:19] op_sel_hi:[1,0,1]
	v_pk_mul_f32 v[8:9], v[10:11], v[20:21] op_sel:[1,0] op_sel_hi:[0,0]
	s_waitcnt vmcnt(1) lgkmcnt(0)
	v_pk_mul_f32 v[22:23], v[16:17], v[12:13] op_sel:[1,1] op_sel_hi:[0,1]
	v_mov_b32_e32 v25, v5
	v_pk_fma_f32 v[4:5], v[10:11], v[6:7], v[8:9] neg_lo:[0,0,1] neg_hi:[0,0,1]
	v_pk_fma_f32 v[6:7], v[10:11], v[6:7], v[8:9] op_sel_hi:[1,0,1]
	v_pk_fma_f32 v[18:19], v[16:17], v[12:13], v[22:23] neg_lo:[0,0,1] neg_hi:[0,0,1]
	v_pk_fma_f32 v[12:13], v[16:17], v[12:13], v[22:23] op_sel_hi:[1,0,1]
	v_pk_add_f32 v[8:9], v[24:25], 0 op_sel_hi:[1,0]
	v_mov_b32_e32 v5, v7
	v_mov_b32_e32 v19, v13
	v_pk_add_f32 v[4:5], v[8:9], v[4:5]
	s_nop 0
	v_pk_add_f32 v[4:5], v[4:5], v[18:19]
	s_waitcnt vmcnt(0)
	v_pk_add_f32 v[4:5], v[14:15], v[4:5] neg_lo:[0,1] neg_hi:[0,1]
	scratch_store_dwordx2 off, v[4:5], off offset:352
	s_and_saveexec_b64 s[0:1], vcc
	s_cbranch_execz .LBB47_215
; %bb.214:
	scratch_load_dwordx2 v[4:5], off, off offset:344
	v_mov_b32_e32 v3, v2
	scratch_store_dwordx2 off, v[2:3], off offset:344
	s_waitcnt vmcnt(1)
	ds_write_b64 v1, v[4:5]
.LBB47_215:
	s_or_b64 exec, exec, s[0:1]
	s_waitcnt lgkmcnt(0)
	; wave barrier
	scratch_load_dwordx4 v[4:7], off, off offset:352
	scratch_load_dwordx4 v[8:11], off, off offset:368
	scratch_load_dwordx2 v[20:21], off, off offset:344
	ds_read_b128 v[12:15], v2 offset:736
	ds_read_b128 v[16:19], v2 offset:752
	v_cmp_lt_u32_e32 vcc, 42, v0
	s_waitcnt vmcnt(2) lgkmcnt(1)
	v_pk_mul_f32 v[2:3], v[12:13], v[4:5] op_sel:[1,1] op_sel_hi:[0,1]
	v_mov_b32_e32 v22, v7
	s_waitcnt vmcnt(1) lgkmcnt(0)
	v_pk_mul_f32 v[24:25], v[16:17], v[8:9] op_sel:[1,1] op_sel_hi:[0,1]
	v_mov_b32_e32 v26, v11
	v_pk_fma_f32 v[28:29], v[12:13], v[4:5], v[2:3] neg_lo:[0,0,1] neg_hi:[0,0,1]
	v_pk_fma_f32 v[2:3], v[12:13], v[4:5], v[2:3] op_sel_hi:[1,0,1]
	v_pk_mul_f32 v[4:5], v[14:15], v[22:23] op_sel:[1,0] op_sel_hi:[0,0]
	v_pk_fma_f32 v[12:13], v[16:17], v[8:9], v[24:25] neg_lo:[0,0,1] neg_hi:[0,0,1]
	v_pk_fma_f32 v[8:9], v[16:17], v[8:9], v[24:25] op_sel_hi:[1,0,1]
	v_pk_mul_f32 v[16:17], v[18:19], v[26:27] op_sel:[1,0] op_sel_hi:[0,0]
	v_mov_b32_e32 v29, v3
	v_pk_fma_f32 v[2:3], v[14:15], v[6:7], v[4:5] neg_lo:[0,0,1] neg_hi:[0,0,1]
	v_pk_fma_f32 v[4:5], v[14:15], v[6:7], v[4:5] op_sel_hi:[1,0,1]
	v_mov_b32_e32 v13, v9
	v_pk_fma_f32 v[6:7], v[18:19], v[10:11], v[16:17] neg_lo:[0,0,1] neg_hi:[0,0,1]
	v_pk_fma_f32 v[8:9], v[18:19], v[10:11], v[16:17] op_sel_hi:[1,0,1]
	v_pk_add_f32 v[10:11], v[28:29], 0 op_sel_hi:[1,0]
	v_mov_b32_e32 v3, v5
	v_pk_add_f32 v[2:3], v[10:11], v[2:3]
	v_mov_b32_e32 v7, v9
	v_pk_add_f32 v[2:3], v[2:3], v[12:13]
	s_nop 0
	v_pk_add_f32 v[2:3], v[2:3], v[6:7]
	s_waitcnt vmcnt(0)
	v_pk_add_f32 v[2:3], v[20:21], v[2:3] neg_lo:[0,1] neg_hi:[0,1]
	scratch_store_dwordx2 off, v[2:3], off offset:344
	s_and_saveexec_b64 s[0:1], vcc
	s_cbranch_execz .LBB47_217
; %bb.216:
	scratch_load_dwordx2 v[2:3], off, off offset:336
	v_mov_b32_e32 v4, 0
	v_mov_b32_e32 v5, v4
	scratch_store_dwordx2 off, v[4:5], off offset:336
	s_waitcnt vmcnt(1)
	ds_write_b64 v1, v[2:3]
.LBB47_217:
	s_or_b64 exec, exec, s[0:1]
	s_waitcnt lgkmcnt(0)
	; wave barrier
	scratch_load_dwordx4 v[4:7], off, off offset:344
	scratch_load_dwordx4 v[8:11], off, off offset:360
	scratch_load_dwordx2 v[20:21], off, off offset:376
	v_mov_b32_e32 v2, 0
	ds_read2_b64 v[12:15], v2 offset0:91 offset1:92
	ds_read2_b64 v[16:19], v2 offset0:93 offset1:94
	ds_read_b64 v[22:23], v2 offset:760
	v_cmp_lt_u32_e32 vcc, 41, v0
	s_waitcnt vmcnt(2) lgkmcnt(2)
	v_pk_mul_f32 v[24:25], v[12:13], v[4:5] op_sel:[1,1] op_sel_hi:[0,1]
	v_pk_fma_f32 v[26:27], v[12:13], v[4:5], v[24:25] neg_lo:[0,0,1] neg_hi:[0,0,1]
	v_pk_fma_f32 v[4:5], v[12:13], v[4:5], v[24:25] op_sel_hi:[1,0,1]
	v_mov_b32_e32 v12, v7
	v_pk_mul_f32 v[12:13], v[14:15], v[12:13] op_sel:[1,0] op_sel_hi:[0,0]
	v_pk_fma_f32 v[24:25], v[14:15], v[6:7], v[12:13] neg_lo:[0,0,1] neg_hi:[0,0,1]
	v_pk_fma_f32 v[6:7], v[14:15], v[6:7], v[12:13] op_sel_hi:[1,0,1]
	v_mov_b32_e32 v27, v5
	v_mov_b32_e32 v25, v7
	s_waitcnt vmcnt(1) lgkmcnt(1)
	v_pk_mul_f32 v[6:7], v[16:17], v[8:9] op_sel:[1,1] op_sel_hi:[0,1]
	v_pk_fma_f32 v[12:13], v[16:17], v[8:9], v[6:7] neg_lo:[0,0,1] neg_hi:[0,0,1]
	v_pk_fma_f32 v[6:7], v[16:17], v[8:9], v[6:7] op_sel_hi:[1,0,1]
	v_pk_add_f32 v[4:5], v[26:27], 0 op_sel_hi:[1,0]
	v_mov_b32_e32 v6, v11
	v_mov_b32_e32 v13, v7
	v_pk_mul_f32 v[6:7], v[18:19], v[6:7] op_sel:[1,0] op_sel_hi:[0,0]
	v_pk_add_f32 v[4:5], v[4:5], v[24:25]
	v_pk_fma_f32 v[8:9], v[18:19], v[10:11], v[6:7] neg_lo:[0,0,1] neg_hi:[0,0,1]
	v_pk_fma_f32 v[6:7], v[18:19], v[10:11], v[6:7] op_sel_hi:[1,0,1]
	v_pk_add_f32 v[4:5], v[4:5], v[12:13]
	v_mov_b32_e32 v9, v7
	s_waitcnt vmcnt(0) lgkmcnt(0)
	v_pk_mul_f32 v[6:7], v[22:23], v[20:21] op_sel:[1,1] op_sel_hi:[0,1]
	v_pk_add_f32 v[4:5], v[4:5], v[8:9]
	v_pk_fma_f32 v[8:9], v[22:23], v[20:21], v[6:7] neg_lo:[0,0,1] neg_hi:[0,0,1]
	v_pk_fma_f32 v[6:7], v[22:23], v[20:21], v[6:7] op_sel_hi:[1,0,1]
	s_nop 0
	v_mov_b32_e32 v9, v7
	scratch_load_dwordx2 v[6:7], off, off offset:336
	v_pk_add_f32 v[4:5], v[4:5], v[8:9]
	s_waitcnt vmcnt(0)
	v_pk_add_f32 v[4:5], v[6:7], v[4:5] neg_lo:[0,1] neg_hi:[0,1]
	scratch_store_dwordx2 off, v[4:5], off offset:336
	s_and_saveexec_b64 s[0:1], vcc
	s_cbranch_execz .LBB47_219
; %bb.218:
	scratch_load_dwordx2 v[4:5], off, off offset:328
	v_mov_b32_e32 v3, v2
	scratch_store_dwordx2 off, v[2:3], off offset:328
	s_waitcnt vmcnt(1)
	ds_write_b64 v1, v[4:5]
.LBB47_219:
	s_or_b64 exec, exec, s[0:1]
	s_waitcnt lgkmcnt(0)
	; wave barrier
	scratch_load_dwordx4 v[4:7], off, off offset:336
	scratch_load_dwordx4 v[8:11], off, off offset:352
	;; [unrolled: 1-line block ×3, first 2 shown]
	ds_read_b128 v[16:19], v2 offset:720
	ds_read_b128 v[20:23], v2 offset:736
	;; [unrolled: 1-line block ×3, first 2 shown]
	v_cmp_lt_u32_e32 vcc, 40, v0
	s_waitcnt vmcnt(2) lgkmcnt(2)
	v_pk_mul_f32 v[2:3], v[16:17], v[4:5] op_sel:[1,1] op_sel_hi:[0,1]
	v_pk_fma_f32 v[28:29], v[16:17], v[4:5], v[2:3] neg_lo:[0,0,1] neg_hi:[0,0,1]
	v_pk_fma_f32 v[2:3], v[16:17], v[4:5], v[2:3] op_sel_hi:[1,0,1]
	v_mov_b32_e32 v4, v7
	v_pk_mul_f32 v[4:5], v[18:19], v[4:5] op_sel:[1,0] op_sel_hi:[0,0]
	v_pk_fma_f32 v[16:17], v[18:19], v[6:7], v[4:5] neg_lo:[0,0,1] neg_hi:[0,0,1]
	v_pk_fma_f32 v[4:5], v[18:19], v[6:7], v[4:5] op_sel_hi:[1,0,1]
	v_mov_b32_e32 v29, v3
	v_mov_b32_e32 v17, v5
	s_waitcnt vmcnt(1) lgkmcnt(1)
	v_pk_mul_f32 v[4:5], v[20:21], v[8:9] op_sel:[1,1] op_sel_hi:[0,1]
	v_pk_fma_f32 v[6:7], v[20:21], v[8:9], v[4:5] neg_lo:[0,0,1] neg_hi:[0,0,1]
	v_pk_fma_f32 v[4:5], v[20:21], v[8:9], v[4:5] op_sel_hi:[1,0,1]
	v_pk_add_f32 v[2:3], v[28:29], 0 op_sel_hi:[1,0]
	v_mov_b32_e32 v4, v11
	v_pk_add_f32 v[2:3], v[2:3], v[16:17]
	v_mov_b32_e32 v7, v5
	v_pk_mul_f32 v[4:5], v[22:23], v[4:5] op_sel:[1,0] op_sel_hi:[0,0]
	v_pk_add_f32 v[2:3], v[2:3], v[6:7]
	v_pk_fma_f32 v[6:7], v[22:23], v[10:11], v[4:5] neg_lo:[0,0,1] neg_hi:[0,0,1]
	v_pk_fma_f32 v[4:5], v[22:23], v[10:11], v[4:5] op_sel_hi:[1,0,1]
	s_nop 0
	v_mov_b32_e32 v7, v5
	s_waitcnt vmcnt(0) lgkmcnt(0)
	v_pk_mul_f32 v[4:5], v[24:25], v[12:13] op_sel:[1,1] op_sel_hi:[0,1]
	v_pk_add_f32 v[2:3], v[2:3], v[6:7]
	v_pk_fma_f32 v[6:7], v[24:25], v[12:13], v[4:5] neg_lo:[0,0,1] neg_hi:[0,0,1]
	v_pk_fma_f32 v[4:5], v[24:25], v[12:13], v[4:5] op_sel_hi:[1,0,1]
	s_nop 0
	v_mov_b32_e32 v4, v15
	v_mov_b32_e32 v7, v5
	v_pk_mul_f32 v[4:5], v[26:27], v[4:5] op_sel:[1,0] op_sel_hi:[0,0]
	v_pk_add_f32 v[2:3], v[2:3], v[6:7]
	v_pk_fma_f32 v[6:7], v[26:27], v[14:15], v[4:5] neg_lo:[0,0,1] neg_hi:[0,0,1]
	v_pk_fma_f32 v[4:5], v[26:27], v[14:15], v[4:5] op_sel_hi:[1,0,1]
	s_nop 0
	v_mov_b32_e32 v7, v5
	scratch_load_dwordx2 v[4:5], off, off offset:328
	v_pk_add_f32 v[2:3], v[2:3], v[6:7]
	s_waitcnt vmcnt(0)
	v_pk_add_f32 v[2:3], v[4:5], v[2:3] neg_lo:[0,1] neg_hi:[0,1]
	scratch_store_dwordx2 off, v[2:3], off offset:328
	s_and_saveexec_b64 s[0:1], vcc
	s_cbranch_execz .LBB47_221
; %bb.220:
	scratch_load_dwordx2 v[2:3], off, off offset:320
	v_mov_b32_e32 v4, 0
	v_mov_b32_e32 v5, v4
	scratch_store_dwordx2 off, v[4:5], off offset:320
	s_waitcnt vmcnt(1)
	ds_write_b64 v1, v[2:3]
.LBB47_221:
	s_or_b64 exec, exec, s[0:1]
	s_waitcnt lgkmcnt(0)
	; wave barrier
	scratch_load_dwordx4 v[4:7], off, off offset:328
	scratch_load_dwordx4 v[8:11], off, off offset:344
	;; [unrolled: 1-line block ×3, first 2 shown]
	scratch_load_dwordx2 v[28:29], off, off offset:376
	scratch_load_dwordx2 v[30:31], off, off offset:320
	v_mov_b32_e32 v2, 0
	ds_read2_b64 v[16:19], v2 offset0:89 offset1:90
	ds_read2_b64 v[20:23], v2 offset0:91 offset1:92
	;; [unrolled: 1-line block ×3, first 2 shown]
	ds_read_b64 v[32:33], v2 offset:760
	v_cmp_lt_u32_e32 vcc, 39, v0
	s_waitcnt vmcnt(4) lgkmcnt(3)
	v_pk_mul_f32 v[34:35], v[16:17], v[4:5] op_sel:[1,1] op_sel_hi:[0,1]
	v_mov_b32_e32 v36, v7
	v_pk_fma_f32 v[48:49], v[16:17], v[4:5], v[34:35] neg_lo:[0,0,1] neg_hi:[0,0,1]
	v_pk_fma_f32 v[4:5], v[16:17], v[4:5], v[34:35] op_sel_hi:[1,0,1]
	v_pk_mul_f32 v[16:17], v[18:19], v[36:37] op_sel:[1,0] op_sel_hi:[0,0]
	s_waitcnt vmcnt(3) lgkmcnt(2)
	v_pk_mul_f32 v[38:39], v[20:21], v[8:9] op_sel:[1,1] op_sel_hi:[0,1]
	v_mov_b32_e32 v40, v11
	v_mov_b32_e32 v49, v5
	v_pk_fma_f32 v[4:5], v[18:19], v[6:7], v[16:17] neg_lo:[0,0,1] neg_hi:[0,0,1]
	v_pk_fma_f32 v[6:7], v[18:19], v[6:7], v[16:17] op_sel_hi:[1,0,1]
	v_pk_fma_f32 v[34:35], v[20:21], v[8:9], v[38:39] neg_lo:[0,0,1] neg_hi:[0,0,1]
	v_pk_fma_f32 v[8:9], v[20:21], v[8:9], v[38:39] op_sel_hi:[1,0,1]
	v_pk_mul_f32 v[20:21], v[22:23], v[40:41] op_sel:[1,0] op_sel_hi:[0,0]
	v_pk_add_f32 v[16:17], v[48:49], 0 op_sel_hi:[1,0]
	v_mov_b32_e32 v5, v7
	s_waitcnt vmcnt(2) lgkmcnt(1)
	v_pk_mul_f32 v[42:43], v[24:25], v[12:13] op_sel:[1,1] op_sel_hi:[0,1]
	v_mov_b32_e32 v44, v15
	v_mov_b32_e32 v35, v9
	v_pk_fma_f32 v[8:9], v[22:23], v[10:11], v[20:21] neg_lo:[0,0,1] neg_hi:[0,0,1]
	v_pk_fma_f32 v[10:11], v[22:23], v[10:11], v[20:21] op_sel_hi:[1,0,1]
	v_pk_add_f32 v[4:5], v[16:17], v[4:5]
	v_pk_fma_f32 v[36:37], v[24:25], v[12:13], v[42:43] neg_lo:[0,0,1] neg_hi:[0,0,1]
	v_pk_fma_f32 v[12:13], v[24:25], v[12:13], v[42:43] op_sel_hi:[1,0,1]
	v_pk_mul_f32 v[24:25], v[26:27], v[44:45] op_sel:[1,0] op_sel_hi:[0,0]
	v_mov_b32_e32 v9, v11
	v_pk_add_f32 v[4:5], v[4:5], v[34:35]
	s_waitcnt vmcnt(1) lgkmcnt(0)
	v_pk_mul_f32 v[46:47], v[32:33], v[28:29] op_sel:[1,1] op_sel_hi:[0,1]
	v_mov_b32_e32 v37, v13
	v_pk_fma_f32 v[12:13], v[26:27], v[14:15], v[24:25] neg_lo:[0,0,1] neg_hi:[0,0,1]
	v_pk_fma_f32 v[14:15], v[26:27], v[14:15], v[24:25] op_sel_hi:[1,0,1]
	v_pk_add_f32 v[4:5], v[4:5], v[8:9]
	v_pk_fma_f32 v[38:39], v[32:33], v[28:29], v[46:47] neg_lo:[0,0,1] neg_hi:[0,0,1]
	v_pk_fma_f32 v[28:29], v[32:33], v[28:29], v[46:47] op_sel_hi:[1,0,1]
	v_mov_b32_e32 v13, v15
	v_pk_add_f32 v[4:5], v[4:5], v[36:37]
	v_mov_b32_e32 v39, v29
	v_pk_add_f32 v[4:5], v[4:5], v[12:13]
	s_nop 0
	v_pk_add_f32 v[4:5], v[4:5], v[38:39]
	s_waitcnt vmcnt(0)
	v_pk_add_f32 v[4:5], v[30:31], v[4:5] neg_lo:[0,1] neg_hi:[0,1]
	scratch_store_dwordx2 off, v[4:5], off offset:320
	s_and_saveexec_b64 s[0:1], vcc
	s_cbranch_execz .LBB47_223
; %bb.222:
	scratch_load_dwordx2 v[4:5], off, off offset:312
	v_mov_b32_e32 v3, v2
	scratch_store_dwordx2 off, v[2:3], off offset:312
	s_waitcnt vmcnt(1)
	ds_write_b64 v1, v[4:5]
.LBB47_223:
	s_or_b64 exec, exec, s[0:1]
	s_waitcnt lgkmcnt(0)
	; wave barrier
	scratch_load_dwordx4 v[4:7], off, off offset:320
	scratch_load_dwordx4 v[8:11], off, off offset:336
	;; [unrolled: 1-line block ×4, first 2 shown]
	scratch_load_dwordx2 v[36:37], off, off offset:312
	ds_read_b128 v[20:23], v2 offset:704
	ds_read_b128 v[24:27], v2 offset:720
	;; [unrolled: 1-line block ×4, first 2 shown]
	v_cmp_lt_u32_e32 vcc, 38, v0
	s_waitcnt vmcnt(4) lgkmcnt(3)
	v_pk_mul_f32 v[2:3], v[20:21], v[4:5] op_sel:[1,1] op_sel_hi:[0,1]
	v_mov_b32_e32 v38, v7
	s_waitcnt vmcnt(3) lgkmcnt(2)
	v_pk_mul_f32 v[40:41], v[24:25], v[8:9] op_sel:[1,1] op_sel_hi:[0,1]
	v_mov_b32_e32 v42, v11
	;; [unrolled: 3-line block ×4, first 2 shown]
	v_pk_fma_f32 v[52:53], v[20:21], v[4:5], v[2:3] neg_lo:[0,0,1] neg_hi:[0,0,1]
	v_pk_fma_f32 v[2:3], v[20:21], v[4:5], v[2:3] op_sel_hi:[1,0,1]
	v_pk_mul_f32 v[4:5], v[22:23], v[38:39] op_sel:[1,0] op_sel_hi:[0,0]
	v_pk_fma_f32 v[20:21], v[24:25], v[8:9], v[40:41] neg_lo:[0,0,1] neg_hi:[0,0,1]
	v_pk_fma_f32 v[8:9], v[24:25], v[8:9], v[40:41] op_sel_hi:[1,0,1]
	v_pk_mul_f32 v[24:25], v[26:27], v[42:43] op_sel:[1,0] op_sel_hi:[0,0]
	;; [unrolled: 3-line block ×4, first 2 shown]
	v_mov_b32_e32 v53, v3
	v_pk_fma_f32 v[2:3], v[22:23], v[6:7], v[4:5] neg_lo:[0,0,1] neg_hi:[0,0,1]
	v_pk_fma_f32 v[4:5], v[22:23], v[6:7], v[4:5] op_sel_hi:[1,0,1]
	v_mov_b32_e32 v21, v9
	v_pk_fma_f32 v[6:7], v[26:27], v[10:11], v[24:25] neg_lo:[0,0,1] neg_hi:[0,0,1]
	v_pk_fma_f32 v[8:9], v[26:27], v[10:11], v[24:25] op_sel_hi:[1,0,1]
	;; [unrolled: 3-line block ×4, first 2 shown]
	v_pk_add_f32 v[18:19], v[52:53], 0 op_sel_hi:[1,0]
	v_mov_b32_e32 v3, v5
	v_pk_add_f32 v[2:3], v[18:19], v[2:3]
	v_mov_b32_e32 v7, v9
	v_pk_add_f32 v[2:3], v[2:3], v[20:21]
	;; [unrolled: 2-line block ×4, first 2 shown]
	s_nop 0
	v_pk_add_f32 v[2:3], v[2:3], v[10:11]
	s_nop 0
	v_pk_add_f32 v[2:3], v[2:3], v[40:41]
	;; [unrolled: 2-line block ×3, first 2 shown]
	s_waitcnt vmcnt(0)
	v_pk_add_f32 v[2:3], v[36:37], v[2:3] neg_lo:[0,1] neg_hi:[0,1]
	scratch_store_dwordx2 off, v[2:3], off offset:312
	s_and_saveexec_b64 s[0:1], vcc
	s_cbranch_execz .LBB47_225
; %bb.224:
	scratch_load_dwordx2 v[2:3], off, off offset:304
	v_mov_b32_e32 v4, 0
	v_mov_b32_e32 v5, v4
	scratch_store_dwordx2 off, v[4:5], off offset:304
	s_waitcnt vmcnt(1)
	ds_write_b64 v1, v[2:3]
.LBB47_225:
	s_or_b64 exec, exec, s[0:1]
	s_waitcnt lgkmcnt(0)
	; wave barrier
	scratch_load_dwordx4 v[4:7], off, off offset:312
	scratch_load_dwordx4 v[8:11], off, off offset:328
	;; [unrolled: 1-line block ×4, first 2 shown]
	scratch_load_dwordx2 v[36:37], off, off offset:376
	scratch_load_dwordx2 v[38:39], off, off offset:304
	v_mov_b32_e32 v2, 0
	ds_read2_b64 v[20:23], v2 offset0:87 offset1:88
	ds_read2_b64 v[24:27], v2 offset0:89 offset1:90
	;; [unrolled: 1-line block ×4, first 2 shown]
	ds_read_b64 v[40:41], v2 offset:760
	v_cmp_lt_u32_e32 vcc, 37, v0
	s_waitcnt vmcnt(5) lgkmcnt(4)
	v_mul_f32_e32 v43, v20, v5
	v_mul_f32_e32 v3, v21, v5
	v_mov_b32_e32 v44, v7
	s_waitcnt vmcnt(4) lgkmcnt(3)
	v_pk_mul_f32 v[46:47], v[24:25], v[8:9] op_sel:[1,1] op_sel_hi:[0,1]
	v_mov_b32_e32 v48, v11
	s_waitcnt vmcnt(1) lgkmcnt(0)
	v_pk_mul_f32 v[58:59], v[40:41], v[36:37] op_sel:[1,1] op_sel_hi:[0,1]
	v_fmac_f32_e32 v43, v21, v4
	v_fma_f32 v42, v20, v4, -v3
	v_pk_mul_f32 v[4:5], v[22:23], v[44:45] op_sel:[1,0] op_sel_hi:[0,0]
	v_pk_fma_f32 v[20:21], v[24:25], v[8:9], v[46:47] neg_lo:[0,0,1] neg_hi:[0,0,1]
	v_pk_fma_f32 v[8:9], v[24:25], v[8:9], v[46:47] op_sel_hi:[1,0,1]
	v_pk_mul_f32 v[24:25], v[26:27], v[48:49] op_sel:[1,0] op_sel_hi:[0,0]
	v_pk_fma_f32 v[48:49], v[40:41], v[36:37], v[58:59] neg_lo:[0,0,1] neg_hi:[0,0,1]
	v_pk_fma_f32 v[36:37], v[40:41], v[36:37], v[58:59] op_sel_hi:[1,0,1]
	v_pk_add_f32 v[40:41], v[42:43], 0 op_sel_hi:[1,0]
	v_pk_fma_f32 v[42:43], v[22:23], v[6:7], v[4:5] neg_lo:[0,0,1] neg_hi:[0,0,1]
	v_pk_fma_f32 v[4:5], v[22:23], v[6:7], v[4:5] op_sel_hi:[1,0,1]
	v_pk_mul_f32 v[50:51], v[28:29], v[12:13] op_sel:[1,1] op_sel_hi:[0,1]
	v_mov_b32_e32 v43, v5
	v_mov_b32_e32 v52, v15
	v_mov_b32_e32 v21, v9
	v_pk_fma_f32 v[6:7], v[26:27], v[10:11], v[24:25] neg_lo:[0,0,1] neg_hi:[0,0,1]
	v_pk_fma_f32 v[8:9], v[26:27], v[10:11], v[24:25] op_sel_hi:[1,0,1]
	v_pk_add_f32 v[4:5], v[40:41], v[42:43]
	v_pk_fma_f32 v[44:45], v[28:29], v[12:13], v[50:51] neg_lo:[0,0,1] neg_hi:[0,0,1]
	v_pk_fma_f32 v[12:13], v[28:29], v[12:13], v[50:51] op_sel_hi:[1,0,1]
	v_pk_mul_f32 v[28:29], v[30:31], v[52:53] op_sel:[1,0] op_sel_hi:[0,0]
	v_mov_b32_e32 v7, v9
	v_pk_add_f32 v[4:5], v[4:5], v[20:21]
	v_pk_mul_f32 v[54:55], v[32:33], v[16:17] op_sel:[1,1] op_sel_hi:[0,1]
	v_mov_b32_e32 v56, v19
	v_mov_b32_e32 v45, v13
	v_pk_fma_f32 v[10:11], v[30:31], v[14:15], v[28:29] neg_lo:[0,0,1] neg_hi:[0,0,1]
	v_pk_fma_f32 v[12:13], v[30:31], v[14:15], v[28:29] op_sel_hi:[1,0,1]
	v_pk_add_f32 v[4:5], v[4:5], v[6:7]
	v_pk_fma_f32 v[46:47], v[32:33], v[16:17], v[54:55] neg_lo:[0,0,1] neg_hi:[0,0,1]
	v_pk_fma_f32 v[16:17], v[32:33], v[16:17], v[54:55] op_sel_hi:[1,0,1]
	v_pk_mul_f32 v[32:33], v[34:35], v[56:57] op_sel:[1,0] op_sel_hi:[0,0]
	v_mov_b32_e32 v11, v13
	v_pk_add_f32 v[4:5], v[4:5], v[44:45]
	v_mov_b32_e32 v47, v17
	v_pk_fma_f32 v[14:15], v[34:35], v[18:19], v[32:33] neg_lo:[0,0,1] neg_hi:[0,0,1]
	v_pk_fma_f32 v[16:17], v[34:35], v[18:19], v[32:33] op_sel_hi:[1,0,1]
	v_pk_add_f32 v[4:5], v[4:5], v[10:11]
	v_mov_b32_e32 v15, v17
	v_pk_add_f32 v[4:5], v[4:5], v[46:47]
	v_mov_b32_e32 v49, v37
	v_pk_add_f32 v[4:5], v[4:5], v[14:15]
	s_nop 0
	v_pk_add_f32 v[4:5], v[4:5], v[48:49]
	s_waitcnt vmcnt(0)
	v_pk_add_f32 v[4:5], v[38:39], v[4:5] neg_lo:[0,1] neg_hi:[0,1]
	scratch_store_dwordx2 off, v[4:5], off offset:304
	s_and_saveexec_b64 s[0:1], vcc
	s_cbranch_execz .LBB47_227
; %bb.226:
	scratch_load_dwordx2 v[4:5], off, off offset:296
	v_mov_b32_e32 v3, v2
	scratch_store_dwordx2 off, v[2:3], off offset:296
	s_waitcnt vmcnt(1)
	ds_write_b64 v1, v[4:5]
.LBB47_227:
	s_or_b64 exec, exec, s[0:1]
	s_waitcnt lgkmcnt(0)
	; wave barrier
	scratch_load_dwordx4 v[4:7], off, off offset:304
	scratch_load_dwordx4 v[8:11], off, off offset:320
	;; [unrolled: 1-line block ×5, first 2 shown]
	scratch_load_dwordx2 v[44:45], off, off offset:296
	ds_read_b128 v[24:27], v2 offset:688
	ds_read_b128 v[28:31], v2 offset:704
	;; [unrolled: 1-line block ×5, first 2 shown]
	v_cmp_lt_u32_e32 vcc, 36, v0
	s_waitcnt vmcnt(5) lgkmcnt(4)
	v_mul_f32_e32 v3, v24, v5
	v_mul_f32_e32 v2, v25, v5
	;; [unrolled: 1-line block ×4, first 2 shown]
	s_waitcnt vmcnt(4) lgkmcnt(3)
	v_pk_mul_f32 v[48:49], v[28:29], v[8:9] op_sel:[1,1] op_sel_hi:[0,1]
	v_mov_b32_e32 v50, v11
	v_fmac_f32_e32 v3, v25, v4
	v_fma_f32 v2, v24, v4, -v2
	v_fmac_f32_e32 v47, v27, v6
	v_fma_f32 v46, v26, v6, -v5
	v_pk_fma_f32 v[4:5], v[28:29], v[8:9], v[48:49] neg_lo:[0,0,1] neg_hi:[0,0,1]
	v_pk_fma_f32 v[6:7], v[28:29], v[8:9], v[48:49] op_sel_hi:[1,0,1]
	v_pk_mul_f32 v[8:9], v[30:31], v[50:51] op_sel:[1,0] op_sel_hi:[0,0]
	v_pk_add_f32 v[2:3], v[2:3], 0 op_sel_hi:[1,0]
	s_waitcnt vmcnt(3) lgkmcnt(2)
	v_pk_mul_f32 v[52:53], v[32:33], v[12:13] op_sel:[1,1] op_sel_hi:[0,1]
	v_mov_b32_e32 v54, v15
	v_mov_b32_e32 v5, v7
	v_pk_fma_f32 v[6:7], v[30:31], v[10:11], v[8:9] neg_lo:[0,0,1] neg_hi:[0,0,1]
	v_pk_fma_f32 v[8:9], v[30:31], v[10:11], v[8:9] op_sel_hi:[1,0,1]
	v_pk_add_f32 v[2:3], v[2:3], v[46:47]
	v_pk_fma_f32 v[24:25], v[32:33], v[12:13], v[52:53] neg_lo:[0,0,1] neg_hi:[0,0,1]
	v_pk_fma_f32 v[12:13], v[32:33], v[12:13], v[52:53] op_sel_hi:[1,0,1]
	v_pk_mul_f32 v[26:27], v[34:35], v[54:55] op_sel:[1,0] op_sel_hi:[0,0]
	v_mov_b32_e32 v7, v9
	v_pk_add_f32 v[2:3], v[2:3], v[4:5]
	s_waitcnt vmcnt(2) lgkmcnt(1)
	v_pk_mul_f32 v[56:57], v[36:37], v[16:17] op_sel:[1,1] op_sel_hi:[0,1]
	v_mov_b32_e32 v58, v19
	v_mov_b32_e32 v25, v13
	v_pk_fma_f32 v[10:11], v[34:35], v[14:15], v[26:27] neg_lo:[0,0,1] neg_hi:[0,0,1]
	v_pk_fma_f32 v[12:13], v[34:35], v[14:15], v[26:27] op_sel_hi:[1,0,1]
	v_pk_add_f32 v[2:3], v[2:3], v[6:7]
	v_pk_fma_f32 v[28:29], v[36:37], v[16:17], v[56:57] neg_lo:[0,0,1] neg_hi:[0,0,1]
	v_pk_fma_f32 v[16:17], v[36:37], v[16:17], v[56:57] op_sel_hi:[1,0,1]
	v_pk_mul_f32 v[32:33], v[38:39], v[58:59] op_sel:[1,0] op_sel_hi:[0,0]
	v_mov_b32_e32 v11, v13
	v_pk_add_f32 v[2:3], v[2:3], v[24:25]
	;; [unrolled: 12-line block ×3, first 2 shown]
	v_mov_b32_e32 v37, v21
	v_pk_fma_f32 v[18:19], v[42:43], v[22:23], v[40:41] neg_lo:[0,0,1] neg_hi:[0,0,1]
	v_pk_fma_f32 v[20:21], v[42:43], v[22:23], v[40:41] op_sel_hi:[1,0,1]
	v_pk_add_f32 v[2:3], v[2:3], v[14:15]
	v_mov_b32_e32 v19, v21
	v_pk_add_f32 v[2:3], v[2:3], v[36:37]
	s_nop 0
	v_pk_add_f32 v[2:3], v[2:3], v[18:19]
	s_waitcnt vmcnt(0)
	v_pk_add_f32 v[2:3], v[44:45], v[2:3] neg_lo:[0,1] neg_hi:[0,1]
	scratch_store_dwordx2 off, v[2:3], off offset:296
	s_and_saveexec_b64 s[0:1], vcc
	s_cbranch_execz .LBB47_229
; %bb.228:
	scratch_load_dwordx2 v[2:3], off, off offset:288
	v_mov_b32_e32 v4, 0
	v_mov_b32_e32 v5, v4
	scratch_store_dwordx2 off, v[4:5], off offset:288
	s_waitcnt vmcnt(1)
	ds_write_b64 v1, v[2:3]
.LBB47_229:
	s_or_b64 exec, exec, s[0:1]
	s_waitcnt lgkmcnt(0)
	; wave barrier
	scratch_load_dwordx4 v[4:7], off, off offset:296
	scratch_load_dwordx4 v[8:11], off, off offset:312
	;; [unrolled: 1-line block ×5, first 2 shown]
	scratch_load_dwordx2 v[44:45], off, off offset:376
	scratch_load_dwordx2 v[46:47], off, off offset:288
	v_mov_b32_e32 v2, 0
	ds_read2_b64 v[24:27], v2 offset0:85 offset1:86
	ds_read2_b64 v[28:31], v2 offset0:87 offset1:88
	;; [unrolled: 1-line block ×5, first 2 shown]
	ds_read_b64 v[48:49], v2 offset:760
	v_cmp_lt_u32_e32 vcc, 35, v0
	s_waitcnt vmcnt(6) lgkmcnt(5)
	v_mul_f32_e32 v3, v24, v5
	v_mul_f32_e32 v5, v25, v5
	;; [unrolled: 1-line block ×3, first 2 shown]
	s_waitcnt vmcnt(5) lgkmcnt(4)
	v_mul_f32_e32 v53, v28, v9
	v_mul_f32_e32 v7, v27, v7
	;; [unrolled: 1-line block ×3, first 2 shown]
	v_mov_b32_e32 v54, v11
	s_waitcnt vmcnt(3) lgkmcnt(2)
	v_pk_mul_f32 v[60:61], v[36:37], v[16:17] op_sel:[1,1] op_sel_hi:[0,1]
	s_waitcnt vmcnt(2) lgkmcnt(1)
	v_pk_mul_f32 v[64:65], v[40:41], v[20:21] op_sel:[1,1] op_sel_hi:[0,1]
	;; [unrolled: 2-line block ×3, first 2 shown]
	v_fmac_f32_e32 v3, v25, v4
	v_fma_f32 v55, v24, v4, -v5
	v_fmac_f32_e32 v51, v27, v6
	v_fmac_f32_e32 v53, v29, v8
	v_fma_f32 v50, v26, v6, -v7
	v_fma_f32 v52, v28, v8, -v9
	v_pk_mul_f32 v[4:5], v[30:31], v[54:55] op_sel:[1,0] op_sel_hi:[0,0]
	v_pk_fma_f32 v[24:25], v[36:37], v[16:17], v[60:61] neg_lo:[0,0,1] neg_hi:[0,0,1]
	v_pk_fma_f32 v[16:17], v[36:37], v[16:17], v[60:61] op_sel_hi:[1,0,1]
	v_pk_fma_f32 v[28:29], v[40:41], v[20:21], v[64:65] neg_lo:[0,0,1] neg_hi:[0,0,1]
	v_pk_fma_f32 v[20:21], v[40:41], v[20:21], v[64:65] op_sel_hi:[1,0,1]
	;; [unrolled: 2-line block ×3, first 2 shown]
	v_add_f32_e32 v45, 0, v3
	v_add_f32_e32 v44, 0, v55
	v_pk_mul_f32 v[56:57], v[32:33], v[12:13] op_sel:[1,1] op_sel_hi:[0,1]
	v_mov_b32_e32 v58, v15
	v_pk_fma_f32 v[48:49], v[30:31], v[10:11], v[4:5] neg_lo:[0,0,1] neg_hi:[0,0,1]
	v_pk_fma_f32 v[4:5], v[30:31], v[10:11], v[4:5] op_sel_hi:[1,0,1]
	v_mov_b32_e32 v29, v21
	v_pk_add_f32 v[20:21], v[44:45], v[50:51]
	v_pk_fma_f32 v[6:7], v[32:33], v[12:13], v[56:57] neg_lo:[0,0,1] neg_hi:[0,0,1]
	v_pk_fma_f32 v[8:9], v[32:33], v[12:13], v[56:57] op_sel_hi:[1,0,1]
	v_pk_mul_f32 v[12:13], v[34:35], v[58:59] op_sel:[1,0] op_sel_hi:[0,0]
	v_mov_b32_e32 v49, v5
	v_pk_add_f32 v[4:5], v[20:21], v[52:53]
	v_mov_b32_e32 v62, v19
	v_mov_b32_e32 v7, v9
	v_pk_fma_f32 v[8:9], v[34:35], v[14:15], v[12:13] neg_lo:[0,0,1] neg_hi:[0,0,1]
	v_pk_fma_f32 v[10:11], v[34:35], v[14:15], v[12:13] op_sel_hi:[1,0,1]
	v_pk_add_f32 v[4:5], v[4:5], v[48:49]
	v_pk_mul_f32 v[26:27], v[38:39], v[62:63] op_sel:[1,0] op_sel_hi:[0,0]
	v_mov_b32_e32 v9, v11
	v_pk_add_f32 v[4:5], v[4:5], v[6:7]
	v_mov_b32_e32 v66, v23
	v_mov_b32_e32 v25, v17
	v_pk_fma_f32 v[12:13], v[38:39], v[18:19], v[26:27] neg_lo:[0,0,1] neg_hi:[0,0,1]
	v_pk_fma_f32 v[14:15], v[38:39], v[18:19], v[26:27] op_sel_hi:[1,0,1]
	v_pk_add_f32 v[4:5], v[4:5], v[8:9]
	v_pk_mul_f32 v[32:33], v[42:43], v[66:67] op_sel:[1,0] op_sel_hi:[0,0]
	v_mov_b32_e32 v13, v15
	v_pk_add_f32 v[4:5], v[4:5], v[24:25]
	v_pk_fma_f32 v[16:17], v[42:43], v[22:23], v[32:33] neg_lo:[0,0,1] neg_hi:[0,0,1]
	v_pk_fma_f32 v[18:19], v[42:43], v[22:23], v[32:33] op_sel_hi:[1,0,1]
	v_pk_add_f32 v[4:5], v[4:5], v[12:13]
	v_mov_b32_e32 v17, v19
	v_pk_add_f32 v[4:5], v[4:5], v[28:29]
	v_mov_b32_e32 v37, v41
	v_pk_add_f32 v[4:5], v[4:5], v[16:17]
	s_nop 0
	v_pk_add_f32 v[4:5], v[4:5], v[36:37]
	s_waitcnt vmcnt(0)
	v_pk_add_f32 v[4:5], v[46:47], v[4:5] neg_lo:[0,1] neg_hi:[0,1]
	scratch_store_dwordx2 off, v[4:5], off offset:288
	s_and_saveexec_b64 s[0:1], vcc
	s_cbranch_execz .LBB47_231
; %bb.230:
	scratch_load_dwordx2 v[4:5], off, off offset:280
	v_mov_b32_e32 v3, v2
	scratch_store_dwordx2 off, v[2:3], off offset:280
	s_waitcnt vmcnt(1)
	ds_write_b64 v1, v[4:5]
.LBB47_231:
	s_or_b64 exec, exec, s[0:1]
	s_waitcnt lgkmcnt(0)
	; wave barrier
	scratch_load_dwordx4 v[4:7], off, off offset:288
	scratch_load_dwordx4 v[8:11], off, off offset:304
	;; [unrolled: 1-line block ×6, first 2 shown]
	scratch_load_dwordx2 v[52:53], off, off offset:280
	ds_read_b128 v[28:31], v2 offset:672
	ds_read_b128 v[32:35], v2 offset:688
	;; [unrolled: 1-line block ×6, first 2 shown]
	v_cmp_lt_u32_e32 vcc, 34, v0
	s_waitcnt vmcnt(6) lgkmcnt(5)
	v_mul_f32_e32 v59, v28, v5
	v_mul_f32_e32 v63, v30, v7
	s_waitcnt vmcnt(5) lgkmcnt(4)
	v_mul_f32_e32 v3, v32, v9
	v_mul_f32_e32 v2, v29, v5
	;; [unrolled: 1-line block ×4, first 2 shown]
	s_waitcnt vmcnt(1) lgkmcnt(0)
	v_pk_mul_f32 v[68:69], v[48:49], v[24:25] op_sel:[1,1] op_sel_hi:[0,1]
	v_pk_mul_f32 v[56:57], v[36:37], v[12:13] op_sel:[1,1] op_sel_hi:[0,1]
	v_fmac_f32_e32 v59, v29, v4
	v_fmac_f32_e32 v3, v33, v8
	v_fma_f32 v67, v28, v4, -v2
	v_fma_f32 v2, v32, v8, -v7
	v_pk_fma_f32 v[32:33], v[48:49], v[24:25], v[68:69] neg_lo:[0,0,1] neg_hi:[0,0,1]
	v_pk_fma_f32 v[24:25], v[48:49], v[24:25], v[68:69] op_sel_hi:[1,0,1]
	v_fmac_f32_e32 v63, v31, v6
	v_fma_f32 v71, v30, v6, -v5
	v_pk_fma_f32 v[4:5], v[36:37], v[12:13], v[56:57] neg_lo:[0,0,1] neg_hi:[0,0,1]
	v_pk_fma_f32 v[6:7], v[36:37], v[12:13], v[56:57] op_sel_hi:[1,0,1]
	v_add_f32_e32 v24, 0, v59
	v_add_f32_e32 v36, 0, v67
	v_mul_f32_e32 v55, v34, v11
	v_mul_f32_e32 v9, v35, v11
	v_mov_b32_e32 v58, v15
	v_mov_b32_e32 v33, v25
	v_add_f32_e32 v25, v24, v63
	v_add_f32_e32 v24, v36, v71
	v_fmac_f32_e32 v55, v35, v10
	v_fma_f32 v54, v34, v10, -v9
	v_pk_mul_f32 v[8:9], v[38:39], v[58:59] op_sel:[1,0] op_sel_hi:[0,0]
	v_pk_add_f32 v[2:3], v[24:25], v[2:3]
	v_pk_mul_f32 v[60:61], v[40:41], v[16:17] op_sel:[1,1] op_sel_hi:[0,1]
	v_mov_b32_e32 v62, v19
	v_mov_b32_e32 v5, v7
	v_pk_fma_f32 v[6:7], v[38:39], v[14:15], v[8:9] neg_lo:[0,0,1] neg_hi:[0,0,1]
	v_pk_fma_f32 v[8:9], v[38:39], v[14:15], v[8:9] op_sel_hi:[1,0,1]
	v_pk_add_f32 v[2:3], v[2:3], v[54:55]
	v_pk_fma_f32 v[10:11], v[40:41], v[16:17], v[60:61] neg_lo:[0,0,1] neg_hi:[0,0,1]
	v_pk_fma_f32 v[12:13], v[40:41], v[16:17], v[60:61] op_sel_hi:[1,0,1]
	v_pk_mul_f32 v[16:17], v[42:43], v[62:63] op_sel:[1,0] op_sel_hi:[0,0]
	v_mov_b32_e32 v7, v9
	v_pk_add_f32 v[2:3], v[2:3], v[4:5]
	v_pk_mul_f32 v[64:65], v[44:45], v[20:21] op_sel:[1,1] op_sel_hi:[0,1]
	v_mov_b32_e32 v66, v23
	v_mov_b32_e32 v11, v13
	v_pk_fma_f32 v[12:13], v[42:43], v[18:19], v[16:17] neg_lo:[0,0,1] neg_hi:[0,0,1]
	v_pk_fma_f32 v[14:15], v[42:43], v[18:19], v[16:17] op_sel_hi:[1,0,1]
	v_pk_add_f32 v[2:3], v[2:3], v[6:7]
	v_pk_fma_f32 v[28:29], v[44:45], v[20:21], v[64:65] neg_lo:[0,0,1] neg_hi:[0,0,1]
	v_pk_fma_f32 v[20:21], v[44:45], v[20:21], v[64:65] op_sel_hi:[1,0,1]
	v_pk_mul_f32 v[30:31], v[46:47], v[66:67] op_sel:[1,0] op_sel_hi:[0,0]
	v_mov_b32_e32 v13, v15
	v_pk_add_f32 v[2:3], v[2:3], v[10:11]
	v_mov_b32_e32 v70, v27
	v_mov_b32_e32 v29, v21
	v_pk_fma_f32 v[16:17], v[46:47], v[22:23], v[30:31] neg_lo:[0,0,1] neg_hi:[0,0,1]
	v_pk_fma_f32 v[18:19], v[46:47], v[22:23], v[30:31] op_sel_hi:[1,0,1]
	v_pk_add_f32 v[2:3], v[2:3], v[12:13]
	v_pk_mul_f32 v[34:35], v[50:51], v[70:71] op_sel:[1,0] op_sel_hi:[0,0]
	v_mov_b32_e32 v17, v19
	v_pk_add_f32 v[2:3], v[2:3], v[28:29]
	v_pk_fma_f32 v[20:21], v[50:51], v[26:27], v[34:35] neg_lo:[0,0,1] neg_hi:[0,0,1]
	v_pk_fma_f32 v[22:23], v[50:51], v[26:27], v[34:35] op_sel_hi:[1,0,1]
	v_pk_add_f32 v[2:3], v[2:3], v[16:17]
	v_mov_b32_e32 v21, v23
	v_pk_add_f32 v[2:3], v[2:3], v[32:33]
	s_nop 0
	v_pk_add_f32 v[2:3], v[2:3], v[20:21]
	s_waitcnt vmcnt(0)
	v_pk_add_f32 v[2:3], v[52:53], v[2:3] neg_lo:[0,1] neg_hi:[0,1]
	scratch_store_dwordx2 off, v[2:3], off offset:280
	s_and_saveexec_b64 s[0:1], vcc
	s_cbranch_execz .LBB47_233
; %bb.232:
	scratch_load_dwordx2 v[2:3], off, off offset:272
	v_mov_b32_e32 v4, 0
	v_mov_b32_e32 v5, v4
	scratch_store_dwordx2 off, v[4:5], off offset:272
	s_waitcnt vmcnt(1)
	ds_write_b64 v1, v[2:3]
.LBB47_233:
	s_or_b64 exec, exec, s[0:1]
	s_waitcnt lgkmcnt(0)
	; wave barrier
	scratch_load_dwordx4 v[8:11], off, off offset:280
	scratch_load_dwordx4 v[16:19], off, off offset:296
	v_mov_b32_e32 v2, 0
	ds_read2_b64 v[4:7], v2 offset0:83 offset1:84
	scratch_load_dwordx4 v[24:27], off, off offset:312
	v_cmp_lt_u32_e32 vcc, 33, v0
	s_waitcnt vmcnt(2) lgkmcnt(0)
	v_mul_f32_e32 v3, v4, v9
	v_fmac_f32_e32 v3, v5, v8
	v_mul_f32_e32 v12, v6, v11
	v_add_f32_e32 v3, 0, v3
	v_fmac_f32_e32 v12, v7, v10
	v_add_f32_e32 v3, v3, v12
	ds_read2_b64 v[12:15], v2 offset0:85 offset1:86
	s_waitcnt vmcnt(1) lgkmcnt(0)
	v_mul_f32_e32 v20, v12, v17
	v_fmac_f32_e32 v20, v13, v16
	v_add_f32_e32 v41, v3, v20
	ds_read2_b64 v[20:23], v2 offset0:87 offset1:88
	scratch_load_dwordx4 v[28:31], off, off offset:328
	scratch_load_dwordx4 v[32:35], off, off offset:344
	;; [unrolled: 1-line block ×3, first 2 shown]
	scratch_load_dwordx2 v[46:47], off, off offset:376
	v_mul_f32_e32 v3, v5, v9
	v_fma_f32 v3, v4, v8, -v3
	v_mul_f32_e32 v4, v7, v11
	v_add_f32_e32 v3, 0, v3
	v_fma_f32 v4, v6, v10, -v4
	v_add_f32_e32 v3, v3, v4
	v_mul_f32_e32 v4, v13, v17
	v_fma_f32 v4, v12, v16, -v4
	v_add_f32_e32 v40, v3, v4
	v_mul_f32_e32 v3, v15, v19
	v_fma_f32 v42, v14, v18, -v3
	s_waitcnt vmcnt(4) lgkmcnt(0)
	v_mul_f32_e32 v3, v21, v25
	v_mul_f32_e32 v43, v14, v19
	;; [unrolled: 1-line block ×3, first 2 shown]
	v_fma_f32 v44, v20, v24, -v3
	v_mov_b32_e32 v20, v27
	v_fmac_f32_e32 v43, v15, v18
	v_fmac_f32_e32 v45, v21, v24
	ds_read2_b64 v[4:7], v2 offset0:89 offset1:90
	ds_read2_b64 v[8:11], v2 offset0:91 offset1:92
	;; [unrolled: 1-line block ×3, first 2 shown]
	ds_read_b64 v[16:17], v2 offset:760
	v_pk_mul_f32 v[20:21], v[22:23], v[20:21] op_sel:[1,0] op_sel_hi:[0,0]
	v_pk_fma_f32 v[24:25], v[22:23], v[26:27], v[20:21] neg_lo:[0,0,1] neg_hi:[0,0,1]
	v_pk_fma_f32 v[20:21], v[22:23], v[26:27], v[20:21] op_sel_hi:[1,0,1]
	v_pk_add_f32 v[18:19], v[40:41], v[42:43]
	v_mov_b32_e32 v25, v21
	v_pk_add_f32 v[18:19], v[18:19], v[44:45]
	s_waitcnt vmcnt(3) lgkmcnt(3)
	v_pk_mul_f32 v[20:21], v[4:5], v[28:29] op_sel:[1,1] op_sel_hi:[0,1]
	v_pk_fma_f32 v[22:23], v[4:5], v[28:29], v[20:21] neg_lo:[0,0,1] neg_hi:[0,0,1]
	v_pk_fma_f32 v[4:5], v[4:5], v[28:29], v[20:21] op_sel_hi:[1,0,1]
	v_pk_add_f32 v[18:19], v[18:19], v[24:25]
	v_mov_b32_e32 v23, v5
	v_pk_add_f32 v[4:5], v[18:19], v[22:23]
	v_mov_b32_e32 v18, v31
	v_pk_mul_f32 v[18:19], v[6:7], v[18:19] op_sel:[1,0] op_sel_hi:[0,0]
	v_pk_fma_f32 v[20:21], v[6:7], v[30:31], v[18:19] neg_lo:[0,0,1] neg_hi:[0,0,1]
	v_pk_fma_f32 v[6:7], v[6:7], v[30:31], v[18:19] op_sel_hi:[1,0,1]
	s_nop 0
	v_mov_b32_e32 v21, v7
	s_waitcnt vmcnt(2) lgkmcnt(2)
	v_pk_mul_f32 v[6:7], v[8:9], v[32:33] op_sel:[1,1] op_sel_hi:[0,1]
	v_pk_fma_f32 v[18:19], v[8:9], v[32:33], v[6:7] neg_lo:[0,0,1] neg_hi:[0,0,1]
	v_pk_fma_f32 v[6:7], v[8:9], v[32:33], v[6:7] op_sel_hi:[1,0,1]
	v_pk_add_f32 v[4:5], v[4:5], v[20:21]
	v_mov_b32_e32 v6, v35
	v_mov_b32_e32 v19, v7
	v_pk_mul_f32 v[6:7], v[10:11], v[6:7] op_sel:[1,0] op_sel_hi:[0,0]
	v_pk_fma_f32 v[8:9], v[10:11], v[34:35], v[6:7] neg_lo:[0,0,1] neg_hi:[0,0,1]
	v_pk_fma_f32 v[6:7], v[10:11], v[34:35], v[6:7] op_sel_hi:[1,0,1]
	v_pk_add_f32 v[4:5], v[4:5], v[18:19]
	v_mov_b32_e32 v9, v7
	s_waitcnt vmcnt(1) lgkmcnt(1)
	v_pk_mul_f32 v[6:7], v[12:13], v[36:37] op_sel:[1,1] op_sel_hi:[0,1]
	v_pk_add_f32 v[4:5], v[4:5], v[8:9]
	v_pk_fma_f32 v[8:9], v[12:13], v[36:37], v[6:7] neg_lo:[0,0,1] neg_hi:[0,0,1]
	v_pk_fma_f32 v[6:7], v[12:13], v[36:37], v[6:7] op_sel_hi:[1,0,1]
	s_nop 0
	v_mov_b32_e32 v6, v39
	v_mov_b32_e32 v9, v7
	v_pk_mul_f32 v[6:7], v[14:15], v[6:7] op_sel:[1,0] op_sel_hi:[0,0]
	v_pk_add_f32 v[4:5], v[4:5], v[8:9]
	v_pk_fma_f32 v[8:9], v[14:15], v[38:39], v[6:7] neg_lo:[0,0,1] neg_hi:[0,0,1]
	v_pk_fma_f32 v[6:7], v[14:15], v[38:39], v[6:7] op_sel_hi:[1,0,1]
	s_nop 0
	v_mov_b32_e32 v9, v7
	s_waitcnt vmcnt(0) lgkmcnt(0)
	v_pk_mul_f32 v[6:7], v[16:17], v[46:47] op_sel:[1,1] op_sel_hi:[0,1]
	v_pk_add_f32 v[4:5], v[4:5], v[8:9]
	v_pk_fma_f32 v[8:9], v[16:17], v[46:47], v[6:7] neg_lo:[0,0,1] neg_hi:[0,0,1]
	v_pk_fma_f32 v[6:7], v[16:17], v[46:47], v[6:7] op_sel_hi:[1,0,1]
	s_nop 0
	v_mov_b32_e32 v9, v7
	scratch_load_dwordx2 v[6:7], off, off offset:272
	v_pk_add_f32 v[4:5], v[4:5], v[8:9]
	s_waitcnt vmcnt(0)
	v_pk_add_f32 v[4:5], v[6:7], v[4:5] neg_lo:[0,1] neg_hi:[0,1]
	scratch_store_dwordx2 off, v[4:5], off offset:272
	s_and_saveexec_b64 s[0:1], vcc
	s_cbranch_execz .LBB47_235
; %bb.234:
	scratch_load_dwordx2 v[4:5], off, off offset:264
	v_mov_b32_e32 v3, v2
	scratch_store_dwordx2 off, v[2:3], off offset:264
	s_waitcnt vmcnt(1)
	ds_write_b64 v1, v[4:5]
.LBB47_235:
	s_or_b64 exec, exec, s[0:1]
	s_waitcnt lgkmcnt(0)
	; wave barrier
	ds_read_b128 v[4:7], v2 offset:656
	ds_read_b128 v[8:11], v2 offset:672
	;; [unrolled: 1-line block ×4, first 2 shown]
	scratch_load_dwordx4 v[20:23], off, off offset:272
	v_cmp_lt_u32_e32 vcc, 32, v0
	s_waitcnt vmcnt(0) lgkmcnt(3)
	v_mul_f32_e32 v3, v4, v21
	v_fmac_f32_e32 v3, v5, v20
	v_mul_f32_e32 v24, v6, v23
	v_add_f32_e32 v3, 0, v3
	v_fmac_f32_e32 v24, v7, v22
	v_add_f32_e32 v3, v3, v24
	scratch_load_dwordx4 v[24:27], off, off offset:288
	s_waitcnt vmcnt(0) lgkmcnt(2)
	v_mul_f32_e32 v28, v8, v25
	v_fmac_f32_e32 v28, v9, v24
	v_add_f32_e32 v3, v3, v28
	v_mul_f32_e32 v28, v10, v27
	v_fmac_f32_e32 v28, v11, v26
	v_add_f32_e32 v49, v3, v28
	scratch_load_dwordx4 v[28:31], off, off offset:304
	scratch_load_dwordx4 v[32:35], off, off offset:320
	;; [unrolled: 1-line block ×5, first 2 shown]
	v_mul_f32_e32 v3, v5, v21
	v_fma_f32 v3, v4, v20, -v3
	v_mul_f32_e32 v4, v7, v23
	v_add_f32_e32 v3, 0, v3
	v_fma_f32 v4, v6, v22, -v4
	v_add_f32_e32 v3, v3, v4
	v_mul_f32_e32 v4, v9, v25
	v_fma_f32 v4, v8, v24, -v4
	v_add_f32_e32 v3, v3, v4
	v_mul_f32_e32 v4, v11, v27
	v_fma_f32 v4, v10, v26, -v4
	v_add_f32_e32 v48, v3, v4
	s_waitcnt vmcnt(3) lgkmcnt(0)
	v_pk_mul_f32 v[20:21], v[16:17], v[32:33] op_sel:[1,1] op_sel_hi:[0,1]
	v_pk_fma_f32 v[22:23], v[16:17], v[32:33], v[20:21] neg_lo:[0,0,1] neg_hi:[0,0,1]
	v_mul_f32_e32 v3, v13, v29
	v_mul_f32_e32 v51, v12, v29
	;; [unrolled: 1-line block ×3, first 2 shown]
	v_fma_f32 v50, v12, v28, -v3
	v_mul_f32_e32 v3, v15, v31
	v_pk_fma_f32 v[16:17], v[16:17], v[32:33], v[20:21] op_sel_hi:[1,0,1]
	v_fmac_f32_e32 v51, v13, v28
	v_fmac_f32_e32 v53, v15, v30
	v_fma_f32 v52, v14, v30, -v3
	ds_read_b128 v[4:7], v2 offset:720
	ds_read_b128 v[8:11], v2 offset:736
	;; [unrolled: 1-line block ×3, first 2 shown]
	v_mov_b32_e32 v16, v35
	v_mov_b32_e32 v23, v17
	v_pk_mul_f32 v[16:17], v[18:19], v[16:17] op_sel:[1,0] op_sel_hi:[0,0]
	v_pk_fma_f32 v[20:21], v[18:19], v[34:35], v[16:17] neg_lo:[0,0,1] neg_hi:[0,0,1]
	v_pk_fma_f32 v[16:17], v[18:19], v[34:35], v[16:17] op_sel_hi:[1,0,1]
	v_pk_add_f32 v[2:3], v[48:49], v[50:51]
	v_mov_b32_e32 v21, v17
	s_waitcnt vmcnt(2) lgkmcnt(2)
	v_pk_mul_f32 v[16:17], v[4:5], v[36:37] op_sel:[1,1] op_sel_hi:[0,1]
	v_pk_fma_f32 v[18:19], v[4:5], v[36:37], v[16:17] neg_lo:[0,0,1] neg_hi:[0,0,1]
	v_pk_fma_f32 v[4:5], v[4:5], v[36:37], v[16:17] op_sel_hi:[1,0,1]
	v_pk_add_f32 v[2:3], v[2:3], v[52:53]
	v_mov_b32_e32 v4, v39
	v_mov_b32_e32 v19, v5
	v_pk_mul_f32 v[4:5], v[6:7], v[4:5] op_sel:[1,0] op_sel_hi:[0,0]
	v_pk_fma_f32 v[16:17], v[6:7], v[38:39], v[4:5] neg_lo:[0,0,1] neg_hi:[0,0,1]
	v_pk_fma_f32 v[4:5], v[6:7], v[38:39], v[4:5] op_sel_hi:[1,0,1]
	v_pk_add_f32 v[2:3], v[2:3], v[22:23]
	v_mov_b32_e32 v17, v5
	s_waitcnt vmcnt(1) lgkmcnt(1)
	v_pk_mul_f32 v[4:5], v[8:9], v[40:41] op_sel:[1,1] op_sel_hi:[0,1]
	v_pk_add_f32 v[2:3], v[2:3], v[20:21]
	v_pk_fma_f32 v[6:7], v[8:9], v[40:41], v[4:5] neg_lo:[0,0,1] neg_hi:[0,0,1]
	v_pk_fma_f32 v[4:5], v[8:9], v[40:41], v[4:5] op_sel_hi:[1,0,1]
	v_pk_add_f32 v[2:3], v[2:3], v[18:19]
	v_mov_b32_e32 v4, v43
	v_pk_add_f32 v[2:3], v[2:3], v[16:17]
	v_mov_b32_e32 v7, v5
	v_pk_mul_f32 v[4:5], v[10:11], v[4:5] op_sel:[1,0] op_sel_hi:[0,0]
	v_pk_add_f32 v[2:3], v[2:3], v[6:7]
	v_pk_fma_f32 v[6:7], v[10:11], v[42:43], v[4:5] neg_lo:[0,0,1] neg_hi:[0,0,1]
	v_pk_fma_f32 v[4:5], v[10:11], v[42:43], v[4:5] op_sel_hi:[1,0,1]
	s_nop 0
	v_mov_b32_e32 v7, v5
	s_waitcnt vmcnt(0) lgkmcnt(0)
	v_pk_mul_f32 v[4:5], v[12:13], v[44:45] op_sel:[1,1] op_sel_hi:[0,1]
	v_pk_add_f32 v[2:3], v[2:3], v[6:7]
	v_pk_fma_f32 v[6:7], v[12:13], v[44:45], v[4:5] neg_lo:[0,0,1] neg_hi:[0,0,1]
	v_pk_fma_f32 v[4:5], v[12:13], v[44:45], v[4:5] op_sel_hi:[1,0,1]
	s_nop 0
	v_mov_b32_e32 v4, v47
	v_mov_b32_e32 v7, v5
	v_pk_mul_f32 v[4:5], v[14:15], v[4:5] op_sel:[1,0] op_sel_hi:[0,0]
	v_pk_add_f32 v[2:3], v[2:3], v[6:7]
	v_pk_fma_f32 v[6:7], v[14:15], v[46:47], v[4:5] neg_lo:[0,0,1] neg_hi:[0,0,1]
	v_pk_fma_f32 v[4:5], v[14:15], v[46:47], v[4:5] op_sel_hi:[1,0,1]
	s_nop 0
	v_mov_b32_e32 v7, v5
	scratch_load_dwordx2 v[4:5], off, off offset:264
	v_pk_add_f32 v[2:3], v[2:3], v[6:7]
	s_waitcnt vmcnt(0)
	v_pk_add_f32 v[2:3], v[4:5], v[2:3] neg_lo:[0,1] neg_hi:[0,1]
	scratch_store_dwordx2 off, v[2:3], off offset:264
	s_and_saveexec_b64 s[0:1], vcc
	s_cbranch_execz .LBB47_237
; %bb.236:
	scratch_load_dwordx2 v[2:3], off, off offset:256
	v_mov_b32_e32 v4, 0
	v_mov_b32_e32 v5, v4
	scratch_store_dwordx2 off, v[4:5], off offset:256
	s_waitcnt vmcnt(1)
	ds_write_b64 v1, v[2:3]
.LBB47_237:
	s_or_b64 exec, exec, s[0:1]
	s_waitcnt lgkmcnt(0)
	; wave barrier
	scratch_load_dwordx4 v[8:11], off, off offset:264
	scratch_load_dwordx4 v[16:19], off, off offset:280
	;; [unrolled: 1-line block ×4, first 2 shown]
	v_mov_b32_e32 v2, 0
	ds_read2_b64 v[4:7], v2 offset0:81 offset1:82
	v_cmp_lt_u32_e32 vcc, 31, v0
	s_waitcnt vmcnt(3) lgkmcnt(0)
	v_mul_f32_e32 v3, v4, v9
	v_fmac_f32_e32 v3, v5, v8
	v_mul_f32_e32 v12, v6, v11
	v_add_f32_e32 v3, 0, v3
	v_fmac_f32_e32 v12, v7, v10
	v_add_f32_e32 v3, v3, v12
	ds_read2_b64 v[12:15], v2 offset0:83 offset1:84
	s_waitcnt vmcnt(2) lgkmcnt(0)
	v_mul_f32_e32 v20, v12, v17
	v_fmac_f32_e32 v20, v13, v16
	v_add_f32_e32 v3, v3, v20
	v_mul_f32_e32 v20, v14, v19
	v_fmac_f32_e32 v20, v15, v18
	v_add_f32_e32 v3, v3, v20
	ds_read2_b64 v[20:23], v2 offset0:85 offset1:86
	s_waitcnt vmcnt(1) lgkmcnt(0)
	v_mul_f32_e32 v28, v20, v25
	v_fmac_f32_e32 v28, v21, v24
	v_add_f32_e32 v49, v3, v28
	ds_read2_b64 v[28:31], v2 offset0:87 offset1:88
	scratch_load_dwordx4 v[36:39], off, off offset:328
	scratch_load_dwordx4 v[40:43], off, off offset:344
	;; [unrolled: 1-line block ×3, first 2 shown]
	scratch_load_dwordx2 v[54:55], off, off offset:376
	v_mul_f32_e32 v3, v5, v9
	v_fma_f32 v3, v4, v8, -v3
	v_mul_f32_e32 v4, v7, v11
	v_add_f32_e32 v3, 0, v3
	v_fma_f32 v4, v6, v10, -v4
	v_add_f32_e32 v3, v3, v4
	v_mul_f32_e32 v4, v13, v17
	v_fma_f32 v4, v12, v16, -v4
	v_add_f32_e32 v3, v3, v4
	v_mul_f32_e32 v4, v15, v19
	;; [unrolled: 3-line block ×3, first 2 shown]
	v_fma_f32 v4, v20, v24, -v4
	v_mul_f32_e32 v51, v22, v27
	v_add_f32_e32 v48, v3, v4
	v_mul_f32_e32 v3, v23, v27
	s_waitcnt vmcnt(4)
	v_mov_b32_e32 v20, v35
	v_fmac_f32_e32 v51, v23, v26
	s_waitcnt lgkmcnt(0)
	v_mul_f32_e32 v53, v28, v33
	v_fma_f32 v50, v22, v26, -v3
	v_mul_f32_e32 v3, v29, v33
	ds_read2_b64 v[4:7], v2 offset0:89 offset1:90
	ds_read2_b64 v[8:11], v2 offset0:91 offset1:92
	ds_read2_b64 v[12:15], v2 offset0:93 offset1:94
	ds_read_b64 v[16:17], v2 offset:760
	v_pk_mul_f32 v[20:21], v[30:31], v[20:21] op_sel:[1,0] op_sel_hi:[0,0]
	v_fmac_f32_e32 v53, v29, v32
	v_fma_f32 v52, v28, v32, -v3
	v_pk_add_f32 v[18:19], v[48:49], v[50:51]
	v_pk_fma_f32 v[22:23], v[30:31], v[34:35], v[20:21] neg_lo:[0,0,1] neg_hi:[0,0,1]
	v_pk_fma_f32 v[20:21], v[30:31], v[34:35], v[20:21] op_sel_hi:[1,0,1]
	v_pk_add_f32 v[18:19], v[18:19], v[52:53]
	v_mov_b32_e32 v23, v21
	v_pk_add_f32 v[18:19], v[18:19], v[22:23]
	s_waitcnt vmcnt(3) lgkmcnt(3)
	v_pk_mul_f32 v[20:21], v[4:5], v[36:37] op_sel:[1,1] op_sel_hi:[0,1]
	v_pk_fma_f32 v[22:23], v[4:5], v[36:37], v[20:21] neg_lo:[0,0,1] neg_hi:[0,0,1]
	v_pk_fma_f32 v[4:5], v[4:5], v[36:37], v[20:21] op_sel_hi:[1,0,1]
	s_nop 0
	v_mov_b32_e32 v23, v5
	v_pk_add_f32 v[4:5], v[18:19], v[22:23]
	v_mov_b32_e32 v18, v39
	v_pk_mul_f32 v[18:19], v[6:7], v[18:19] op_sel:[1,0] op_sel_hi:[0,0]
	v_pk_fma_f32 v[20:21], v[6:7], v[38:39], v[18:19] neg_lo:[0,0,1] neg_hi:[0,0,1]
	v_pk_fma_f32 v[6:7], v[6:7], v[38:39], v[18:19] op_sel_hi:[1,0,1]
	s_nop 0
	v_mov_b32_e32 v21, v7
	s_waitcnt vmcnt(2) lgkmcnt(2)
	v_pk_mul_f32 v[6:7], v[8:9], v[40:41] op_sel:[1,1] op_sel_hi:[0,1]
	v_pk_fma_f32 v[18:19], v[8:9], v[40:41], v[6:7] neg_lo:[0,0,1] neg_hi:[0,0,1]
	v_pk_fma_f32 v[6:7], v[8:9], v[40:41], v[6:7] op_sel_hi:[1,0,1]
	v_pk_add_f32 v[4:5], v[4:5], v[20:21]
	v_mov_b32_e32 v6, v43
	v_mov_b32_e32 v19, v7
	v_pk_mul_f32 v[6:7], v[10:11], v[6:7] op_sel:[1,0] op_sel_hi:[0,0]
	v_pk_fma_f32 v[8:9], v[10:11], v[42:43], v[6:7] neg_lo:[0,0,1] neg_hi:[0,0,1]
	v_pk_fma_f32 v[6:7], v[10:11], v[42:43], v[6:7] op_sel_hi:[1,0,1]
	v_pk_add_f32 v[4:5], v[4:5], v[18:19]
	v_mov_b32_e32 v9, v7
	s_waitcnt vmcnt(1) lgkmcnt(1)
	v_pk_mul_f32 v[6:7], v[12:13], v[44:45] op_sel:[1,1] op_sel_hi:[0,1]
	v_pk_add_f32 v[4:5], v[4:5], v[8:9]
	v_pk_fma_f32 v[8:9], v[12:13], v[44:45], v[6:7] neg_lo:[0,0,1] neg_hi:[0,0,1]
	v_pk_fma_f32 v[6:7], v[12:13], v[44:45], v[6:7] op_sel_hi:[1,0,1]
	s_nop 0
	v_mov_b32_e32 v6, v47
	v_mov_b32_e32 v9, v7
	v_pk_mul_f32 v[6:7], v[14:15], v[6:7] op_sel:[1,0] op_sel_hi:[0,0]
	v_pk_add_f32 v[4:5], v[4:5], v[8:9]
	v_pk_fma_f32 v[8:9], v[14:15], v[46:47], v[6:7] neg_lo:[0,0,1] neg_hi:[0,0,1]
	v_pk_fma_f32 v[6:7], v[14:15], v[46:47], v[6:7] op_sel_hi:[1,0,1]
	s_nop 0
	v_mov_b32_e32 v9, v7
	s_waitcnt vmcnt(0) lgkmcnt(0)
	v_pk_mul_f32 v[6:7], v[16:17], v[54:55] op_sel:[1,1] op_sel_hi:[0,1]
	v_pk_add_f32 v[4:5], v[4:5], v[8:9]
	v_pk_fma_f32 v[8:9], v[16:17], v[54:55], v[6:7] neg_lo:[0,0,1] neg_hi:[0,0,1]
	v_pk_fma_f32 v[6:7], v[16:17], v[54:55], v[6:7] op_sel_hi:[1,0,1]
	s_nop 0
	v_mov_b32_e32 v9, v7
	scratch_load_dwordx2 v[6:7], off, off offset:256
	v_pk_add_f32 v[4:5], v[4:5], v[8:9]
	s_waitcnt vmcnt(0)
	v_pk_add_f32 v[4:5], v[6:7], v[4:5] neg_lo:[0,1] neg_hi:[0,1]
	scratch_store_dwordx2 off, v[4:5], off offset:256
	s_and_saveexec_b64 s[0:1], vcc
	s_cbranch_execz .LBB47_239
; %bb.238:
	scratch_load_dwordx2 v[4:5], off, off offset:248
	v_mov_b32_e32 v3, v2
	scratch_store_dwordx2 off, v[2:3], off offset:248
	s_waitcnt vmcnt(1)
	ds_write_b64 v1, v[4:5]
.LBB47_239:
	s_or_b64 exec, exec, s[0:1]
	s_waitcnt lgkmcnt(0)
	; wave barrier
	ds_read_b128 v[4:7], v2 offset:640
	ds_read_b128 v[8:11], v2 offset:656
	;; [unrolled: 1-line block ×4, first 2 shown]
	scratch_load_dwordx4 v[20:23], off, off offset:256
	v_cmp_lt_u32_e32 vcc, 30, v0
	s_waitcnt vmcnt(0) lgkmcnt(3)
	v_mul_f32_e32 v3, v4, v21
	v_fmac_f32_e32 v3, v5, v20
	v_mul_f32_e32 v24, v6, v23
	v_add_f32_e32 v3, 0, v3
	v_fmac_f32_e32 v24, v7, v22
	v_add_f32_e32 v3, v3, v24
	scratch_load_dwordx4 v[24:27], off, off offset:272
	s_waitcnt vmcnt(0) lgkmcnt(2)
	v_mul_f32_e32 v28, v8, v25
	v_fmac_f32_e32 v28, v9, v24
	v_add_f32_e32 v3, v3, v28
	v_mul_f32_e32 v28, v10, v27
	v_fmac_f32_e32 v28, v11, v26
	v_add_f32_e32 v3, v3, v28
	scratch_load_dwordx4 v[28:31], off, off offset:288
	s_waitcnt vmcnt(0) lgkmcnt(1)
	v_mul_f32_e32 v32, v12, v29
	v_fmac_f32_e32 v32, v13, v28
	v_add_f32_e32 v3, v3, v32
	v_mul_f32_e32 v32, v14, v31
	v_fmac_f32_e32 v32, v15, v30
	v_add_f32_e32 v53, v3, v32
	scratch_load_dwordx4 v[32:35], off, off offset:304
	scratch_load_dwordx4 v[36:39], off, off offset:320
	;; [unrolled: 1-line block ×5, first 2 shown]
	v_mul_f32_e32 v3, v5, v21
	v_fma_f32 v3, v4, v20, -v3
	v_mul_f32_e32 v4, v7, v23
	v_add_f32_e32 v3, 0, v3
	v_fma_f32 v4, v6, v22, -v4
	v_add_f32_e32 v3, v3, v4
	v_mul_f32_e32 v4, v9, v25
	v_fma_f32 v4, v8, v24, -v4
	v_add_f32_e32 v3, v3, v4
	v_mul_f32_e32 v4, v11, v27
	;; [unrolled: 3-line block ×4, first 2 shown]
	v_fma_f32 v4, v14, v30, -v4
	v_add_f32_e32 v52, v3, v4
	s_waitcnt vmcnt(4) lgkmcnt(0)
	v_mul_f32_e32 v3, v17, v33
	v_mul_f32_e32 v55, v16, v33
	;; [unrolled: 1-line block ×3, first 2 shown]
	v_fma_f32 v54, v16, v32, -v3
	v_mul_f32_e32 v3, v19, v35
	v_fmac_f32_e32 v55, v17, v32
	v_fmac_f32_e32 v57, v19, v34
	v_fma_f32 v56, v18, v34, -v3
	ds_read_b128 v[4:7], v2 offset:704
	ds_read_b128 v[8:11], v2 offset:720
	ds_read_b128 v[12:15], v2 offset:736
	ds_read_b128 v[16:19], v2 offset:752
	v_pk_add_f32 v[2:3], v[52:53], v[54:55]
	s_waitcnt vmcnt(3) lgkmcnt(3)
	v_pk_mul_f32 v[20:21], v[4:5], v[36:37] op_sel:[1,1] op_sel_hi:[0,1]
	v_pk_fma_f32 v[22:23], v[4:5], v[36:37], v[20:21] neg_lo:[0,0,1] neg_hi:[0,0,1]
	v_pk_fma_f32 v[4:5], v[4:5], v[36:37], v[20:21] op_sel_hi:[1,0,1]
	v_pk_add_f32 v[2:3], v[2:3], v[56:57]
	v_mov_b32_e32 v4, v39
	v_mov_b32_e32 v23, v5
	v_pk_mul_f32 v[4:5], v[6:7], v[4:5] op_sel:[1,0] op_sel_hi:[0,0]
	v_pk_fma_f32 v[20:21], v[6:7], v[38:39], v[4:5] neg_lo:[0,0,1] neg_hi:[0,0,1]
	v_pk_fma_f32 v[4:5], v[6:7], v[38:39], v[4:5] op_sel_hi:[1,0,1]
	v_pk_add_f32 v[2:3], v[2:3], v[22:23]
	v_mov_b32_e32 v21, v5
	s_waitcnt vmcnt(2) lgkmcnt(2)
	v_pk_mul_f32 v[4:5], v[8:9], v[40:41] op_sel:[1,1] op_sel_hi:[0,1]
	v_pk_fma_f32 v[6:7], v[8:9], v[40:41], v[4:5] neg_lo:[0,0,1] neg_hi:[0,0,1]
	v_pk_fma_f32 v[4:5], v[8:9], v[40:41], v[4:5] op_sel_hi:[1,0,1]
	v_pk_add_f32 v[2:3], v[2:3], v[20:21]
	v_mov_b32_e32 v4, v43
	v_mov_b32_e32 v7, v5
	v_pk_mul_f32 v[4:5], v[10:11], v[4:5] op_sel:[1,0] op_sel_hi:[0,0]
	v_pk_add_f32 v[2:3], v[2:3], v[6:7]
	v_pk_fma_f32 v[6:7], v[10:11], v[42:43], v[4:5] neg_lo:[0,0,1] neg_hi:[0,0,1]
	v_pk_fma_f32 v[4:5], v[10:11], v[42:43], v[4:5] op_sel_hi:[1,0,1]
	s_nop 0
	v_mov_b32_e32 v7, v5
	s_waitcnt vmcnt(1) lgkmcnt(1)
	v_pk_mul_f32 v[4:5], v[12:13], v[44:45] op_sel:[1,1] op_sel_hi:[0,1]
	v_pk_add_f32 v[2:3], v[2:3], v[6:7]
	v_pk_fma_f32 v[6:7], v[12:13], v[44:45], v[4:5] neg_lo:[0,0,1] neg_hi:[0,0,1]
	v_pk_fma_f32 v[4:5], v[12:13], v[44:45], v[4:5] op_sel_hi:[1,0,1]
	s_nop 0
	v_mov_b32_e32 v4, v47
	v_mov_b32_e32 v7, v5
	v_pk_mul_f32 v[4:5], v[14:15], v[4:5] op_sel:[1,0] op_sel_hi:[0,0]
	v_pk_add_f32 v[2:3], v[2:3], v[6:7]
	v_pk_fma_f32 v[6:7], v[14:15], v[46:47], v[4:5] neg_lo:[0,0,1] neg_hi:[0,0,1]
	v_pk_fma_f32 v[4:5], v[14:15], v[46:47], v[4:5] op_sel_hi:[1,0,1]
	s_nop 0
	v_mov_b32_e32 v7, v5
	s_waitcnt vmcnt(0) lgkmcnt(0)
	v_pk_mul_f32 v[4:5], v[16:17], v[48:49] op_sel:[1,1] op_sel_hi:[0,1]
	v_pk_add_f32 v[2:3], v[2:3], v[6:7]
	v_pk_fma_f32 v[6:7], v[16:17], v[48:49], v[4:5] neg_lo:[0,0,1] neg_hi:[0,0,1]
	v_pk_fma_f32 v[4:5], v[16:17], v[48:49], v[4:5] op_sel_hi:[1,0,1]
	s_nop 0
	v_mov_b32_e32 v4, v51
	v_mov_b32_e32 v7, v5
	v_pk_mul_f32 v[4:5], v[18:19], v[4:5] op_sel:[1,0] op_sel_hi:[0,0]
	v_pk_add_f32 v[2:3], v[2:3], v[6:7]
	v_pk_fma_f32 v[6:7], v[18:19], v[50:51], v[4:5] neg_lo:[0,0,1] neg_hi:[0,0,1]
	v_pk_fma_f32 v[4:5], v[18:19], v[50:51], v[4:5] op_sel_hi:[1,0,1]
	s_nop 0
	v_mov_b32_e32 v7, v5
	scratch_load_dwordx2 v[4:5], off, off offset:248
	v_pk_add_f32 v[2:3], v[2:3], v[6:7]
	s_waitcnt vmcnt(0)
	v_pk_add_f32 v[2:3], v[4:5], v[2:3] neg_lo:[0,1] neg_hi:[0,1]
	scratch_store_dwordx2 off, v[2:3], off offset:248
	s_and_saveexec_b64 s[0:1], vcc
	s_cbranch_execz .LBB47_241
; %bb.240:
	scratch_load_dwordx2 v[2:3], off, off offset:240
	v_mov_b32_e32 v4, 0
	v_mov_b32_e32 v5, v4
	scratch_store_dwordx2 off, v[4:5], off offset:240
	s_waitcnt vmcnt(1)
	ds_write_b64 v1, v[2:3]
.LBB47_241:
	s_or_b64 exec, exec, s[0:1]
	s_waitcnt lgkmcnt(0)
	; wave barrier
	scratch_load_dwordx4 v[8:11], off, off offset:248
	scratch_load_dwordx4 v[16:19], off, off offset:264
	;; [unrolled: 1-line block ×4, first 2 shown]
	v_mov_b32_e32 v2, 0
	ds_read2_b64 v[4:7], v2 offset0:79 offset1:80
	scratch_load_dwordx4 v[40:43], off, off offset:312
	v_cmp_lt_u32_e32 vcc, 29, v0
	s_waitcnt vmcnt(4) lgkmcnt(0)
	v_mul_f32_e32 v3, v4, v9
	v_fmac_f32_e32 v3, v5, v8
	v_mul_f32_e32 v12, v6, v11
	v_add_f32_e32 v3, 0, v3
	v_fmac_f32_e32 v12, v7, v10
	v_add_f32_e32 v3, v3, v12
	ds_read2_b64 v[12:15], v2 offset0:81 offset1:82
	s_waitcnt vmcnt(3) lgkmcnt(0)
	v_mul_f32_e32 v20, v12, v17
	v_fmac_f32_e32 v20, v13, v16
	v_add_f32_e32 v3, v3, v20
	v_mul_f32_e32 v20, v14, v19
	v_fmac_f32_e32 v20, v15, v18
	v_add_f32_e32 v3, v3, v20
	ds_read2_b64 v[20:23], v2 offset0:83 offset1:84
	s_waitcnt vmcnt(2) lgkmcnt(0)
	v_mul_f32_e32 v28, v20, v25
	v_fmac_f32_e32 v28, v21, v24
	v_add_f32_e32 v3, v3, v28
	v_mul_f32_e32 v28, v22, v27
	v_fmac_f32_e32 v28, v23, v26
	v_add_f32_e32 v3, v3, v28
	ds_read2_b64 v[28:31], v2 offset0:85 offset1:86
	s_waitcnt vmcnt(1) lgkmcnt(0)
	v_mul_f32_e32 v36, v28, v33
	v_fmac_f32_e32 v36, v29, v32
	v_add_f32_e32 v57, v3, v36
	ds_read2_b64 v[36:39], v2 offset0:87 offset1:88
	scratch_load_dwordx4 v[44:47], off, off offset:328
	scratch_load_dwordx4 v[48:51], off, off offset:344
	;; [unrolled: 1-line block ×3, first 2 shown]
	scratch_load_dwordx2 v[62:63], off, off offset:376
	v_mul_f32_e32 v3, v5, v9
	v_fma_f32 v3, v4, v8, -v3
	v_mul_f32_e32 v4, v7, v11
	v_add_f32_e32 v3, 0, v3
	v_fma_f32 v4, v6, v10, -v4
	v_add_f32_e32 v3, v3, v4
	v_mul_f32_e32 v4, v13, v17
	v_fma_f32 v4, v12, v16, -v4
	v_add_f32_e32 v3, v3, v4
	v_mul_f32_e32 v4, v15, v19
	;; [unrolled: 3-line block ×5, first 2 shown]
	v_fma_f32 v4, v28, v32, -v4
	v_mul_f32_e32 v59, v30, v35
	v_add_f32_e32 v56, v3, v4
	v_mul_f32_e32 v3, v31, v35
	s_waitcnt vmcnt(4)
	v_mov_b32_e32 v20, v43
	v_fmac_f32_e32 v59, v31, v34
	s_waitcnt lgkmcnt(0)
	v_mul_f32_e32 v61, v36, v41
	v_fma_f32 v58, v30, v34, -v3
	v_mul_f32_e32 v3, v37, v41
	ds_read2_b64 v[4:7], v2 offset0:89 offset1:90
	ds_read2_b64 v[8:11], v2 offset0:91 offset1:92
	;; [unrolled: 1-line block ×3, first 2 shown]
	ds_read_b64 v[16:17], v2 offset:760
	v_pk_mul_f32 v[20:21], v[38:39], v[20:21] op_sel:[1,0] op_sel_hi:[0,0]
	v_fmac_f32_e32 v61, v37, v40
	v_fma_f32 v60, v36, v40, -v3
	v_pk_add_f32 v[18:19], v[56:57], v[58:59]
	v_pk_fma_f32 v[22:23], v[38:39], v[42:43], v[20:21] neg_lo:[0,0,1] neg_hi:[0,0,1]
	v_pk_fma_f32 v[20:21], v[38:39], v[42:43], v[20:21] op_sel_hi:[1,0,1]
	v_pk_add_f32 v[18:19], v[18:19], v[60:61]
	v_mov_b32_e32 v23, v21
	v_pk_add_f32 v[18:19], v[18:19], v[22:23]
	s_waitcnt vmcnt(3) lgkmcnt(3)
	v_pk_mul_f32 v[20:21], v[4:5], v[44:45] op_sel:[1,1] op_sel_hi:[0,1]
	v_pk_fma_f32 v[22:23], v[4:5], v[44:45], v[20:21] neg_lo:[0,0,1] neg_hi:[0,0,1]
	v_pk_fma_f32 v[4:5], v[4:5], v[44:45], v[20:21] op_sel_hi:[1,0,1]
	s_nop 0
	v_mov_b32_e32 v23, v5
	v_pk_add_f32 v[4:5], v[18:19], v[22:23]
	v_mov_b32_e32 v18, v47
	v_pk_mul_f32 v[18:19], v[6:7], v[18:19] op_sel:[1,0] op_sel_hi:[0,0]
	v_pk_fma_f32 v[20:21], v[6:7], v[46:47], v[18:19] neg_lo:[0,0,1] neg_hi:[0,0,1]
	v_pk_fma_f32 v[6:7], v[6:7], v[46:47], v[18:19] op_sel_hi:[1,0,1]
	s_nop 0
	v_mov_b32_e32 v21, v7
	s_waitcnt vmcnt(2) lgkmcnt(2)
	v_pk_mul_f32 v[6:7], v[8:9], v[48:49] op_sel:[1,1] op_sel_hi:[0,1]
	v_pk_fma_f32 v[18:19], v[8:9], v[48:49], v[6:7] neg_lo:[0,0,1] neg_hi:[0,0,1]
	v_pk_fma_f32 v[6:7], v[8:9], v[48:49], v[6:7] op_sel_hi:[1,0,1]
	v_pk_add_f32 v[4:5], v[4:5], v[20:21]
	v_mov_b32_e32 v6, v51
	v_mov_b32_e32 v19, v7
	v_pk_mul_f32 v[6:7], v[10:11], v[6:7] op_sel:[1,0] op_sel_hi:[0,0]
	v_pk_fma_f32 v[8:9], v[10:11], v[50:51], v[6:7] neg_lo:[0,0,1] neg_hi:[0,0,1]
	v_pk_fma_f32 v[6:7], v[10:11], v[50:51], v[6:7] op_sel_hi:[1,0,1]
	v_pk_add_f32 v[4:5], v[4:5], v[18:19]
	v_mov_b32_e32 v9, v7
	s_waitcnt vmcnt(1) lgkmcnt(1)
	v_pk_mul_f32 v[6:7], v[12:13], v[52:53] op_sel:[1,1] op_sel_hi:[0,1]
	v_pk_add_f32 v[4:5], v[4:5], v[8:9]
	v_pk_fma_f32 v[8:9], v[12:13], v[52:53], v[6:7] neg_lo:[0,0,1] neg_hi:[0,0,1]
	v_pk_fma_f32 v[6:7], v[12:13], v[52:53], v[6:7] op_sel_hi:[1,0,1]
	s_nop 0
	v_mov_b32_e32 v6, v55
	v_mov_b32_e32 v9, v7
	v_pk_mul_f32 v[6:7], v[14:15], v[6:7] op_sel:[1,0] op_sel_hi:[0,0]
	v_pk_add_f32 v[4:5], v[4:5], v[8:9]
	v_pk_fma_f32 v[8:9], v[14:15], v[54:55], v[6:7] neg_lo:[0,0,1] neg_hi:[0,0,1]
	v_pk_fma_f32 v[6:7], v[14:15], v[54:55], v[6:7] op_sel_hi:[1,0,1]
	s_nop 0
	v_mov_b32_e32 v9, v7
	s_waitcnt vmcnt(0) lgkmcnt(0)
	v_pk_mul_f32 v[6:7], v[16:17], v[62:63] op_sel:[1,1] op_sel_hi:[0,1]
	v_pk_add_f32 v[4:5], v[4:5], v[8:9]
	v_pk_fma_f32 v[8:9], v[16:17], v[62:63], v[6:7] neg_lo:[0,0,1] neg_hi:[0,0,1]
	v_pk_fma_f32 v[6:7], v[16:17], v[62:63], v[6:7] op_sel_hi:[1,0,1]
	s_nop 0
	v_mov_b32_e32 v9, v7
	scratch_load_dwordx2 v[6:7], off, off offset:240
	v_pk_add_f32 v[4:5], v[4:5], v[8:9]
	s_waitcnt vmcnt(0)
	v_pk_add_f32 v[4:5], v[6:7], v[4:5] neg_lo:[0,1] neg_hi:[0,1]
	scratch_store_dwordx2 off, v[4:5], off offset:240
	s_and_saveexec_b64 s[0:1], vcc
	s_cbranch_execz .LBB47_243
; %bb.242:
	scratch_load_dwordx2 v[4:5], off, off offset:232
	v_mov_b32_e32 v3, v2
	scratch_store_dwordx2 off, v[2:3], off offset:232
	s_waitcnt vmcnt(1)
	ds_write_b64 v1, v[4:5]
.LBB47_243:
	s_or_b64 exec, exec, s[0:1]
	s_waitcnt lgkmcnt(0)
	; wave barrier
	ds_read_b128 v[4:7], v2 offset:624
	ds_read_b128 v[8:11], v2 offset:640
	;; [unrolled: 1-line block ×4, first 2 shown]
	scratch_load_dwordx4 v[20:23], off, off offset:240
	scratch_load_dwordx4 v[40:43], off, off offset:304
	v_cmp_lt_u32_e32 vcc, 28, v0
	s_waitcnt vmcnt(1) lgkmcnt(3)
	v_mul_f32_e32 v3, v4, v21
	v_fmac_f32_e32 v3, v5, v20
	v_mul_f32_e32 v24, v6, v23
	v_add_f32_e32 v3, 0, v3
	v_fmac_f32_e32 v24, v7, v22
	v_add_f32_e32 v3, v3, v24
	scratch_load_dwordx4 v[24:27], off, off offset:256
	s_waitcnt vmcnt(0) lgkmcnt(2)
	v_mul_f32_e32 v28, v8, v25
	v_fmac_f32_e32 v28, v9, v24
	v_add_f32_e32 v3, v3, v28
	v_mul_f32_e32 v28, v10, v27
	v_fmac_f32_e32 v28, v11, v26
	v_add_f32_e32 v3, v3, v28
	scratch_load_dwordx4 v[28:31], off, off offset:272
	s_waitcnt vmcnt(0) lgkmcnt(1)
	v_mul_f32_e32 v32, v12, v29
	v_fmac_f32_e32 v32, v13, v28
	v_add_f32_e32 v3, v3, v32
	v_mul_f32_e32 v32, v14, v31
	;; [unrolled: 8-line block ×3, first 2 shown]
	v_fmac_f32_e32 v36, v19, v34
	v_add_f32_e32 v61, v3, v36
	ds_read_b128 v[36:39], v2 offset:688
	scratch_load_dwordx4 v[44:47], off, off offset:320
	scratch_load_dwordx4 v[48:51], off, off offset:336
	;; [unrolled: 1-line block ×4, first 2 shown]
	v_mul_f32_e32 v3, v5, v21
	v_fma_f32 v3, v4, v20, -v3
	v_mul_f32_e32 v4, v7, v23
	v_add_f32_e32 v3, 0, v3
	v_fma_f32 v4, v6, v22, -v4
	v_add_f32_e32 v3, v3, v4
	v_mul_f32_e32 v4, v9, v25
	v_fma_f32 v4, v8, v24, -v4
	v_add_f32_e32 v3, v3, v4
	v_mul_f32_e32 v4, v11, v27
	;; [unrolled: 3-line block ×6, first 2 shown]
	v_fma_f32 v4, v18, v34, -v4
	v_add_f32_e32 v60, v3, v4
	ds_read_b128 v[4:7], v2 offset:704
	ds_read_b128 v[8:11], v2 offset:720
	;; [unrolled: 1-line block ×4, first 2 shown]
	s_waitcnt lgkmcnt(4)
	v_mul_f32_e32 v63, v36, v41
	v_mul_f32_e32 v3, v37, v41
	v_fmac_f32_e32 v63, v37, v40
	v_mul_f32_e32 v65, v38, v43
	v_fma_f32 v62, v36, v40, -v3
	v_mul_f32_e32 v3, v39, v43
	v_fmac_f32_e32 v65, v39, v42
	v_fma_f32 v64, v38, v42, -v3
	v_pk_add_f32 v[2:3], v[60:61], v[62:63]
	s_waitcnt vmcnt(3) lgkmcnt(3)
	v_pk_mul_f32 v[20:21], v[4:5], v[44:45] op_sel:[1,1] op_sel_hi:[0,1]
	v_pk_fma_f32 v[22:23], v[4:5], v[44:45], v[20:21] neg_lo:[0,0,1] neg_hi:[0,0,1]
	v_pk_fma_f32 v[4:5], v[4:5], v[44:45], v[20:21] op_sel_hi:[1,0,1]
	v_pk_add_f32 v[2:3], v[2:3], v[64:65]
	v_mov_b32_e32 v4, v47
	v_mov_b32_e32 v23, v5
	v_pk_mul_f32 v[4:5], v[6:7], v[4:5] op_sel:[1,0] op_sel_hi:[0,0]
	v_pk_fma_f32 v[20:21], v[6:7], v[46:47], v[4:5] neg_lo:[0,0,1] neg_hi:[0,0,1]
	v_pk_fma_f32 v[4:5], v[6:7], v[46:47], v[4:5] op_sel_hi:[1,0,1]
	v_pk_add_f32 v[2:3], v[2:3], v[22:23]
	v_mov_b32_e32 v21, v5
	s_waitcnt vmcnt(2) lgkmcnt(2)
	v_pk_mul_f32 v[4:5], v[8:9], v[48:49] op_sel:[1,1] op_sel_hi:[0,1]
	v_pk_fma_f32 v[6:7], v[8:9], v[48:49], v[4:5] neg_lo:[0,0,1] neg_hi:[0,0,1]
	v_pk_fma_f32 v[4:5], v[8:9], v[48:49], v[4:5] op_sel_hi:[1,0,1]
	v_pk_add_f32 v[2:3], v[2:3], v[20:21]
	v_mov_b32_e32 v4, v51
	v_mov_b32_e32 v7, v5
	v_pk_mul_f32 v[4:5], v[10:11], v[4:5] op_sel:[1,0] op_sel_hi:[0,0]
	v_pk_add_f32 v[2:3], v[2:3], v[6:7]
	v_pk_fma_f32 v[6:7], v[10:11], v[50:51], v[4:5] neg_lo:[0,0,1] neg_hi:[0,0,1]
	v_pk_fma_f32 v[4:5], v[10:11], v[50:51], v[4:5] op_sel_hi:[1,0,1]
	s_nop 0
	v_mov_b32_e32 v7, v5
	s_waitcnt vmcnt(1) lgkmcnt(1)
	v_pk_mul_f32 v[4:5], v[12:13], v[52:53] op_sel:[1,1] op_sel_hi:[0,1]
	v_pk_add_f32 v[2:3], v[2:3], v[6:7]
	v_pk_fma_f32 v[6:7], v[12:13], v[52:53], v[4:5] neg_lo:[0,0,1] neg_hi:[0,0,1]
	v_pk_fma_f32 v[4:5], v[12:13], v[52:53], v[4:5] op_sel_hi:[1,0,1]
	s_nop 0
	v_mov_b32_e32 v4, v55
	v_mov_b32_e32 v7, v5
	v_pk_mul_f32 v[4:5], v[14:15], v[4:5] op_sel:[1,0] op_sel_hi:[0,0]
	v_pk_add_f32 v[2:3], v[2:3], v[6:7]
	v_pk_fma_f32 v[6:7], v[14:15], v[54:55], v[4:5] neg_lo:[0,0,1] neg_hi:[0,0,1]
	v_pk_fma_f32 v[4:5], v[14:15], v[54:55], v[4:5] op_sel_hi:[1,0,1]
	s_nop 0
	v_mov_b32_e32 v7, v5
	s_waitcnt vmcnt(0) lgkmcnt(0)
	v_pk_mul_f32 v[4:5], v[16:17], v[56:57] op_sel:[1,1] op_sel_hi:[0,1]
	v_pk_add_f32 v[2:3], v[2:3], v[6:7]
	v_pk_fma_f32 v[6:7], v[16:17], v[56:57], v[4:5] neg_lo:[0,0,1] neg_hi:[0,0,1]
	v_pk_fma_f32 v[4:5], v[16:17], v[56:57], v[4:5] op_sel_hi:[1,0,1]
	s_nop 0
	v_mov_b32_e32 v4, v59
	v_mov_b32_e32 v7, v5
	v_pk_mul_f32 v[4:5], v[18:19], v[4:5] op_sel:[1,0] op_sel_hi:[0,0]
	v_pk_add_f32 v[2:3], v[2:3], v[6:7]
	v_pk_fma_f32 v[6:7], v[18:19], v[58:59], v[4:5] neg_lo:[0,0,1] neg_hi:[0,0,1]
	v_pk_fma_f32 v[4:5], v[18:19], v[58:59], v[4:5] op_sel_hi:[1,0,1]
	s_nop 0
	v_mov_b32_e32 v7, v5
	scratch_load_dwordx2 v[4:5], off, off offset:232
	v_pk_add_f32 v[2:3], v[2:3], v[6:7]
	s_waitcnt vmcnt(0)
	v_pk_add_f32 v[2:3], v[4:5], v[2:3] neg_lo:[0,1] neg_hi:[0,1]
	scratch_store_dwordx2 off, v[2:3], off offset:232
	s_and_saveexec_b64 s[0:1], vcc
	s_cbranch_execz .LBB47_245
; %bb.244:
	scratch_load_dwordx2 v[2:3], off, off offset:224
	v_mov_b32_e32 v4, 0
	v_mov_b32_e32 v5, v4
	scratch_store_dwordx2 off, v[4:5], off offset:224
	s_waitcnt vmcnt(1)
	ds_write_b64 v1, v[2:3]
.LBB47_245:
	s_or_b64 exec, exec, s[0:1]
	s_waitcnt lgkmcnt(0)
	; wave barrier
	scratch_load_dwordx4 v[8:11], off, off offset:232
	scratch_load_dwordx4 v[16:19], off, off offset:248
	scratch_load_dwordx4 v[24:27], off, off offset:264
	scratch_load_dwordx4 v[32:35], off, off offset:280
	scratch_load_dwordx4 v[40:43], off, off offset:296
	scratch_load_dwordx4 v[48:51], off, off offset:312
	v_mov_b32_e32 v2, 0
	ds_read2_b64 v[4:7], v2 offset0:77 offset1:78
	v_cmp_lt_u32_e32 vcc, 27, v0
	s_waitcnt vmcnt(5) lgkmcnt(0)
	v_mul_f32_e32 v3, v4, v9
	v_fmac_f32_e32 v3, v5, v8
	v_mul_f32_e32 v12, v6, v11
	v_add_f32_e32 v3, 0, v3
	v_fmac_f32_e32 v12, v7, v10
	v_add_f32_e32 v3, v3, v12
	ds_read2_b64 v[12:15], v2 offset0:79 offset1:80
	s_waitcnt vmcnt(4) lgkmcnt(0)
	v_mul_f32_e32 v20, v12, v17
	v_fmac_f32_e32 v20, v13, v16
	v_add_f32_e32 v3, v3, v20
	v_mul_f32_e32 v20, v14, v19
	v_fmac_f32_e32 v20, v15, v18
	v_add_f32_e32 v3, v3, v20
	ds_read2_b64 v[20:23], v2 offset0:81 offset1:82
	s_waitcnt vmcnt(3) lgkmcnt(0)
	v_mul_f32_e32 v28, v20, v25
	v_fmac_f32_e32 v28, v21, v24
	v_add_f32_e32 v3, v3, v28
	v_mul_f32_e32 v28, v22, v27
	;; [unrolled: 8-line block ×3, first 2 shown]
	v_fmac_f32_e32 v36, v31, v34
	v_add_f32_e32 v3, v3, v36
	ds_read2_b64 v[36:39], v2 offset0:85 offset1:86
	s_waitcnt vmcnt(1) lgkmcnt(0)
	v_mul_f32_e32 v44, v36, v41
	v_fmac_f32_e32 v44, v37, v40
	v_add_f32_e32 v65, v3, v44
	ds_read2_b64 v[44:47], v2 offset0:87 offset1:88
	scratch_load_dwordx4 v[52:55], off, off offset:328
	scratch_load_dwordx4 v[56:59], off, off offset:344
	;; [unrolled: 1-line block ×3, first 2 shown]
	scratch_load_dwordx2 v[70:71], off, off offset:376
	v_mul_f32_e32 v3, v5, v9
	v_fma_f32 v3, v4, v8, -v3
	v_mul_f32_e32 v4, v7, v11
	v_add_f32_e32 v3, 0, v3
	v_fma_f32 v4, v6, v10, -v4
	v_add_f32_e32 v3, v3, v4
	v_mul_f32_e32 v4, v13, v17
	v_fma_f32 v4, v12, v16, -v4
	v_add_f32_e32 v3, v3, v4
	v_mul_f32_e32 v4, v15, v19
	;; [unrolled: 3-line block ×7, first 2 shown]
	v_fma_f32 v4, v36, v40, -v4
	v_mul_f32_e32 v67, v38, v43
	v_add_f32_e32 v64, v3, v4
	v_mul_f32_e32 v3, v39, v43
	s_waitcnt vmcnt(4)
	v_mov_b32_e32 v20, v51
	v_fmac_f32_e32 v67, v39, v42
	s_waitcnt lgkmcnt(0)
	v_mul_f32_e32 v69, v44, v49
	v_fma_f32 v66, v38, v42, -v3
	v_mul_f32_e32 v3, v45, v49
	ds_read2_b64 v[4:7], v2 offset0:89 offset1:90
	ds_read2_b64 v[8:11], v2 offset0:91 offset1:92
	;; [unrolled: 1-line block ×3, first 2 shown]
	ds_read_b64 v[16:17], v2 offset:760
	v_pk_mul_f32 v[20:21], v[46:47], v[20:21] op_sel:[1,0] op_sel_hi:[0,0]
	v_fmac_f32_e32 v69, v45, v48
	v_fma_f32 v68, v44, v48, -v3
	v_pk_add_f32 v[18:19], v[64:65], v[66:67]
	v_pk_fma_f32 v[22:23], v[46:47], v[50:51], v[20:21] neg_lo:[0,0,1] neg_hi:[0,0,1]
	v_pk_fma_f32 v[20:21], v[46:47], v[50:51], v[20:21] op_sel_hi:[1,0,1]
	v_pk_add_f32 v[18:19], v[18:19], v[68:69]
	v_mov_b32_e32 v23, v21
	v_pk_add_f32 v[18:19], v[18:19], v[22:23]
	s_waitcnt vmcnt(3) lgkmcnt(3)
	v_pk_mul_f32 v[20:21], v[4:5], v[52:53] op_sel:[1,1] op_sel_hi:[0,1]
	v_pk_fma_f32 v[22:23], v[4:5], v[52:53], v[20:21] neg_lo:[0,0,1] neg_hi:[0,0,1]
	v_pk_fma_f32 v[4:5], v[4:5], v[52:53], v[20:21] op_sel_hi:[1,0,1]
	s_nop 0
	v_mov_b32_e32 v23, v5
	v_pk_add_f32 v[4:5], v[18:19], v[22:23]
	v_mov_b32_e32 v18, v55
	v_pk_mul_f32 v[18:19], v[6:7], v[18:19] op_sel:[1,0] op_sel_hi:[0,0]
	v_pk_fma_f32 v[20:21], v[6:7], v[54:55], v[18:19] neg_lo:[0,0,1] neg_hi:[0,0,1]
	v_pk_fma_f32 v[6:7], v[6:7], v[54:55], v[18:19] op_sel_hi:[1,0,1]
	s_nop 0
	v_mov_b32_e32 v21, v7
	s_waitcnt vmcnt(2) lgkmcnt(2)
	v_pk_mul_f32 v[6:7], v[8:9], v[56:57] op_sel:[1,1] op_sel_hi:[0,1]
	v_pk_fma_f32 v[18:19], v[8:9], v[56:57], v[6:7] neg_lo:[0,0,1] neg_hi:[0,0,1]
	v_pk_fma_f32 v[6:7], v[8:9], v[56:57], v[6:7] op_sel_hi:[1,0,1]
	v_pk_add_f32 v[4:5], v[4:5], v[20:21]
	v_mov_b32_e32 v6, v59
	v_mov_b32_e32 v19, v7
	v_pk_mul_f32 v[6:7], v[10:11], v[6:7] op_sel:[1,0] op_sel_hi:[0,0]
	v_pk_fma_f32 v[8:9], v[10:11], v[58:59], v[6:7] neg_lo:[0,0,1] neg_hi:[0,0,1]
	v_pk_fma_f32 v[6:7], v[10:11], v[58:59], v[6:7] op_sel_hi:[1,0,1]
	v_pk_add_f32 v[4:5], v[4:5], v[18:19]
	v_mov_b32_e32 v9, v7
	s_waitcnt vmcnt(1) lgkmcnt(1)
	v_pk_mul_f32 v[6:7], v[12:13], v[60:61] op_sel:[1,1] op_sel_hi:[0,1]
	v_pk_add_f32 v[4:5], v[4:5], v[8:9]
	v_pk_fma_f32 v[8:9], v[12:13], v[60:61], v[6:7] neg_lo:[0,0,1] neg_hi:[0,0,1]
	v_pk_fma_f32 v[6:7], v[12:13], v[60:61], v[6:7] op_sel_hi:[1,0,1]
	s_nop 0
	v_mov_b32_e32 v6, v63
	v_mov_b32_e32 v9, v7
	v_pk_mul_f32 v[6:7], v[14:15], v[6:7] op_sel:[1,0] op_sel_hi:[0,0]
	v_pk_add_f32 v[4:5], v[4:5], v[8:9]
	v_pk_fma_f32 v[8:9], v[14:15], v[62:63], v[6:7] neg_lo:[0,0,1] neg_hi:[0,0,1]
	v_pk_fma_f32 v[6:7], v[14:15], v[62:63], v[6:7] op_sel_hi:[1,0,1]
	s_nop 0
	v_mov_b32_e32 v9, v7
	s_waitcnt vmcnt(0) lgkmcnt(0)
	v_pk_mul_f32 v[6:7], v[16:17], v[70:71] op_sel:[1,1] op_sel_hi:[0,1]
	v_pk_add_f32 v[4:5], v[4:5], v[8:9]
	v_pk_fma_f32 v[8:9], v[16:17], v[70:71], v[6:7] neg_lo:[0,0,1] neg_hi:[0,0,1]
	v_pk_fma_f32 v[6:7], v[16:17], v[70:71], v[6:7] op_sel_hi:[1,0,1]
	s_nop 0
	v_mov_b32_e32 v9, v7
	scratch_load_dwordx2 v[6:7], off, off offset:224
	v_pk_add_f32 v[4:5], v[4:5], v[8:9]
	s_waitcnt vmcnt(0)
	v_pk_add_f32 v[4:5], v[6:7], v[4:5] neg_lo:[0,1] neg_hi:[0,1]
	scratch_store_dwordx2 off, v[4:5], off offset:224
	s_and_saveexec_b64 s[0:1], vcc
	s_cbranch_execz .LBB47_247
; %bb.246:
	scratch_load_dwordx2 v[4:5], off, off offset:216
	v_mov_b32_e32 v3, v2
	scratch_store_dwordx2 off, v[2:3], off offset:216
	s_waitcnt vmcnt(1)
	ds_write_b64 v1, v[4:5]
.LBB47_247:
	s_or_b64 exec, exec, s[0:1]
	s_waitcnt lgkmcnt(0)
	; wave barrier
	ds_read_b128 v[4:7], v2 offset:608
	ds_read_b128 v[8:11], v2 offset:624
	;; [unrolled: 1-line block ×4, first 2 shown]
	scratch_load_dwordx4 v[20:23], off, off offset:224
	scratch_load_dwordx4 v[40:43], off, off offset:288
	v_cmp_lt_u32_e32 vcc, 26, v0
	scratch_load_dwordx4 v[48:51], off, off offset:304
	s_waitcnt vmcnt(2) lgkmcnt(3)
	v_mul_f32_e32 v3, v4, v21
	v_fmac_f32_e32 v3, v5, v20
	v_mul_f32_e32 v24, v6, v23
	v_add_f32_e32 v3, 0, v3
	v_fmac_f32_e32 v24, v7, v22
	v_add_f32_e32 v3, v3, v24
	scratch_load_dwordx4 v[24:27], off, off offset:240
	s_waitcnt vmcnt(0) lgkmcnt(2)
	v_mul_f32_e32 v28, v8, v25
	v_fmac_f32_e32 v28, v9, v24
	v_add_f32_e32 v3, v3, v28
	v_mul_f32_e32 v28, v10, v27
	v_fmac_f32_e32 v28, v11, v26
	v_add_f32_e32 v3, v3, v28
	scratch_load_dwordx4 v[28:31], off, off offset:256
	s_waitcnt vmcnt(0) lgkmcnt(1)
	v_mul_f32_e32 v32, v12, v29
	v_fmac_f32_e32 v32, v13, v28
	v_add_f32_e32 v3, v3, v32
	v_mul_f32_e32 v32, v14, v31
	;; [unrolled: 8-line block ×3, first 2 shown]
	v_fmac_f32_e32 v36, v19, v34
	v_add_f32_e32 v3, v3, v36
	ds_read_b128 v[36:39], v2 offset:672
	s_waitcnt lgkmcnt(0)
	v_mul_f32_e32 v44, v36, v41
	v_fmac_f32_e32 v44, v37, v40
	v_add_f32_e32 v3, v3, v44
	v_mul_f32_e32 v44, v38, v43
	v_fmac_f32_e32 v44, v39, v42
	v_add_f32_e32 v69, v3, v44
	ds_read_b128 v[44:47], v2 offset:688
	scratch_load_dwordx4 v[52:55], off, off offset:320
	scratch_load_dwordx4 v[56:59], off, off offset:336
	scratch_load_dwordx4 v[60:63], off, off offset:352
	scratch_load_dwordx4 v[64:67], off, off offset:368
	v_mul_f32_e32 v3, v5, v21
	v_fma_f32 v3, v4, v20, -v3
	v_mul_f32_e32 v4, v7, v23
	v_add_f32_e32 v3, 0, v3
	v_fma_f32 v4, v6, v22, -v4
	v_add_f32_e32 v3, v3, v4
	v_mul_f32_e32 v4, v9, v25
	v_fma_f32 v4, v8, v24, -v4
	v_add_f32_e32 v3, v3, v4
	v_mul_f32_e32 v4, v11, v27
	;; [unrolled: 3-line block ×8, first 2 shown]
	v_fma_f32 v4, v38, v42, -v4
	v_add_f32_e32 v68, v3, v4
	ds_read_b128 v[4:7], v2 offset:704
	ds_read_b128 v[8:11], v2 offset:720
	;; [unrolled: 1-line block ×4, first 2 shown]
	s_waitcnt lgkmcnt(4)
	v_mul_f32_e32 v71, v44, v49
	v_mul_f32_e32 v3, v45, v49
	v_fmac_f32_e32 v71, v45, v48
	v_mul_f32_e32 v73, v46, v51
	v_fma_f32 v70, v44, v48, -v3
	v_mul_f32_e32 v3, v47, v51
	v_fmac_f32_e32 v73, v47, v50
	v_fma_f32 v72, v46, v50, -v3
	v_pk_add_f32 v[2:3], v[68:69], v[70:71]
	s_waitcnt vmcnt(3) lgkmcnt(3)
	v_pk_mul_f32 v[20:21], v[4:5], v[52:53] op_sel:[1,1] op_sel_hi:[0,1]
	v_pk_fma_f32 v[22:23], v[4:5], v[52:53], v[20:21] neg_lo:[0,0,1] neg_hi:[0,0,1]
	v_pk_fma_f32 v[4:5], v[4:5], v[52:53], v[20:21] op_sel_hi:[1,0,1]
	v_pk_add_f32 v[2:3], v[2:3], v[72:73]
	v_mov_b32_e32 v4, v55
	v_mov_b32_e32 v23, v5
	v_pk_mul_f32 v[4:5], v[6:7], v[4:5] op_sel:[1,0] op_sel_hi:[0,0]
	v_pk_fma_f32 v[20:21], v[6:7], v[54:55], v[4:5] neg_lo:[0,0,1] neg_hi:[0,0,1]
	v_pk_fma_f32 v[4:5], v[6:7], v[54:55], v[4:5] op_sel_hi:[1,0,1]
	v_pk_add_f32 v[2:3], v[2:3], v[22:23]
	v_mov_b32_e32 v21, v5
	s_waitcnt vmcnt(2) lgkmcnt(2)
	v_pk_mul_f32 v[4:5], v[8:9], v[56:57] op_sel:[1,1] op_sel_hi:[0,1]
	v_pk_fma_f32 v[6:7], v[8:9], v[56:57], v[4:5] neg_lo:[0,0,1] neg_hi:[0,0,1]
	v_pk_fma_f32 v[4:5], v[8:9], v[56:57], v[4:5] op_sel_hi:[1,0,1]
	v_pk_add_f32 v[2:3], v[2:3], v[20:21]
	v_mov_b32_e32 v4, v59
	v_mov_b32_e32 v7, v5
	v_pk_mul_f32 v[4:5], v[10:11], v[4:5] op_sel:[1,0] op_sel_hi:[0,0]
	v_pk_add_f32 v[2:3], v[2:3], v[6:7]
	v_pk_fma_f32 v[6:7], v[10:11], v[58:59], v[4:5] neg_lo:[0,0,1] neg_hi:[0,0,1]
	v_pk_fma_f32 v[4:5], v[10:11], v[58:59], v[4:5] op_sel_hi:[1,0,1]
	s_nop 0
	v_mov_b32_e32 v7, v5
	s_waitcnt vmcnt(1) lgkmcnt(1)
	v_pk_mul_f32 v[4:5], v[12:13], v[60:61] op_sel:[1,1] op_sel_hi:[0,1]
	v_pk_add_f32 v[2:3], v[2:3], v[6:7]
	v_pk_fma_f32 v[6:7], v[12:13], v[60:61], v[4:5] neg_lo:[0,0,1] neg_hi:[0,0,1]
	v_pk_fma_f32 v[4:5], v[12:13], v[60:61], v[4:5] op_sel_hi:[1,0,1]
	s_nop 0
	v_mov_b32_e32 v4, v63
	v_mov_b32_e32 v7, v5
	v_pk_mul_f32 v[4:5], v[14:15], v[4:5] op_sel:[1,0] op_sel_hi:[0,0]
	v_pk_add_f32 v[2:3], v[2:3], v[6:7]
	v_pk_fma_f32 v[6:7], v[14:15], v[62:63], v[4:5] neg_lo:[0,0,1] neg_hi:[0,0,1]
	v_pk_fma_f32 v[4:5], v[14:15], v[62:63], v[4:5] op_sel_hi:[1,0,1]
	s_nop 0
	v_mov_b32_e32 v7, v5
	s_waitcnt vmcnt(0) lgkmcnt(0)
	v_pk_mul_f32 v[4:5], v[16:17], v[64:65] op_sel:[1,1] op_sel_hi:[0,1]
	v_pk_add_f32 v[2:3], v[2:3], v[6:7]
	v_pk_fma_f32 v[6:7], v[16:17], v[64:65], v[4:5] neg_lo:[0,0,1] neg_hi:[0,0,1]
	v_pk_fma_f32 v[4:5], v[16:17], v[64:65], v[4:5] op_sel_hi:[1,0,1]
	s_nop 0
	v_mov_b32_e32 v4, v67
	v_mov_b32_e32 v7, v5
	v_pk_mul_f32 v[4:5], v[18:19], v[4:5] op_sel:[1,0] op_sel_hi:[0,0]
	v_pk_add_f32 v[2:3], v[2:3], v[6:7]
	v_pk_fma_f32 v[6:7], v[18:19], v[66:67], v[4:5] neg_lo:[0,0,1] neg_hi:[0,0,1]
	v_pk_fma_f32 v[4:5], v[18:19], v[66:67], v[4:5] op_sel_hi:[1,0,1]
	s_nop 0
	v_mov_b32_e32 v7, v5
	scratch_load_dwordx2 v[4:5], off, off offset:216
	v_pk_add_f32 v[2:3], v[2:3], v[6:7]
	s_waitcnt vmcnt(0)
	v_pk_add_f32 v[2:3], v[4:5], v[2:3] neg_lo:[0,1] neg_hi:[0,1]
	scratch_store_dwordx2 off, v[2:3], off offset:216
	s_and_saveexec_b64 s[0:1], vcc
	s_cbranch_execz .LBB47_249
; %bb.248:
	scratch_load_dwordx2 v[2:3], off, off offset:208
	v_mov_b32_e32 v4, 0
	v_mov_b32_e32 v5, v4
	scratch_store_dwordx2 off, v[4:5], off offset:208
	s_waitcnt vmcnt(1)
	ds_write_b64 v1, v[2:3]
.LBB47_249:
	s_or_b64 exec, exec, s[0:1]
	s_waitcnt lgkmcnt(0)
	; wave barrier
	scratch_load_dwordx4 v[2:5], off, off offset:216
	scratch_load_dwordx4 v[8:11], off, off offset:232
	;; [unrolled: 1-line block ×10, first 2 shown]
	scratch_load_dwordx2 v[76:77], off, off offset:376
	scratch_load_dwordx2 v[78:79], off, off offset:208
	v_mov_b32_e32 v6, 0
	ds_read2_b64 v[44:47], v6 offset0:75 offset1:76
	ds_read2_b64 v[48:51], v6 offset0:77 offset1:78
	;; [unrolled: 1-line block ×8, first 2 shown]
	v_cmp_lt_u32_e32 vcc, 25, v0
	s_waitcnt vmcnt(11) lgkmcnt(7)
	v_mul_f32_e32 v7, v44, v3
	v_mul_f32_e32 v3, v45, v3
	;; [unrolled: 1-line block ×4, first 2 shown]
	v_fmac_f32_e32 v7, v45, v2
	v_fma_f32 v2, v44, v2, -v3
	s_waitcnt vmcnt(10) lgkmcnt(6)
	v_mul_f32_e32 v82, v48, v9
	v_mul_f32_e32 v9, v49, v9
	v_fma_f32 v3, v46, v4, -v5
	v_add_f32_e32 v2, 0, v2
	v_mul_f32_e32 v84, v50, v11
	v_mul_f32_e32 v11, v51, v11
	v_fmac_f32_e32 v80, v47, v4
	v_fma_f32 v4, v48, v8, -v9
	v_add_f32_e32 v7, 0, v7
	v_add_f32_e32 v2, v2, v3
	s_waitcnt vmcnt(9) lgkmcnt(5)
	v_mul_f32_e32 v85, v52, v13
	v_mul_f32_e32 v13, v53, v13
	v_fmac_f32_e32 v82, v49, v8
	v_fma_f32 v5, v50, v10, -v11
	v_add_f32_e32 v7, v7, v80
	v_add_f32_e32 v2, v2, v4
	v_mul_f32_e32 v86, v54, v15
	v_mul_f32_e32 v15, v55, v15
	v_fmac_f32_e32 v84, v51, v10
	v_fma_f32 v8, v52, v12, -v13
	v_add_f32_e32 v3, v7, v82
	v_add_f32_e32 v2, v2, v5
	s_waitcnt vmcnt(8) lgkmcnt(4)
	v_mul_f32_e32 v87, v56, v17
	v_mul_f32_e32 v17, v57, v17
	v_fmac_f32_e32 v85, v53, v12
	v_fma_f32 v9, v54, v14, -v15
	v_add_f32_e32 v3, v3, v84
	;; [unrolled: 13-line block ×4, first 2 shown]
	v_add_f32_e32 v2, v2, v12
	v_fmac_f32_e32 v90, v63, v22
	v_fma_f32 v14, v64, v24, -v25
	v_add_f32_e32 v3, v3, v89
	v_add_f32_e32 v2, v2, v13
	v_mul_f32_e32 v81, v66, v27
	v_fmac_f32_e32 v91, v65, v24
	v_add_f32_e32 v3, v3, v90
	v_add_f32_e32 v12, v2, v14
	v_mul_f32_e32 v2, v67, v27
	s_waitcnt vmcnt(5)
	v_mov_b32_e32 v16, v31
	s_waitcnt lgkmcnt(1)
	v_mul_f32_e32 v83, v68, v29
	v_fmac_f32_e32 v81, v67, v26
	v_add_f32_e32 v13, v3, v91
	v_fma_f32 v80, v66, v26, -v2
	v_mul_f32_e32 v2, v69, v29
	v_pk_mul_f32 v[16:17], v[70:71], v[16:17] op_sel:[1,0] op_sel_hi:[0,0]
	v_fmac_f32_e32 v83, v69, v28
	v_fma_f32 v82, v68, v28, -v2
	v_pk_add_f32 v[12:13], v[12:13], v[80:81]
	v_pk_fma_f32 v[18:19], v[70:71], v[30:31], v[16:17] neg_lo:[0,0,1] neg_hi:[0,0,1]
	v_pk_fma_f32 v[16:17], v[70:71], v[30:31], v[16:17] op_sel_hi:[1,0,1]
	v_pk_add_f32 v[12:13], v[12:13], v[82:83]
	v_mov_b32_e32 v19, v17
	s_waitcnt vmcnt(4) lgkmcnt(0)
	v_pk_mul_f32 v[16:17], v[72:73], v[32:33] op_sel:[1,1] op_sel_hi:[0,1]
	v_pk_add_f32 v[12:13], v[12:13], v[18:19]
	v_pk_fma_f32 v[18:19], v[72:73], v[32:33], v[16:17] neg_lo:[0,0,1] neg_hi:[0,0,1]
	v_pk_fma_f32 v[16:17], v[72:73], v[32:33], v[16:17] op_sel_hi:[1,0,1]
	ds_read2_b64 v[2:5], v6 offset0:91 offset1:92
	ds_read2_b64 v[8:11], v6 offset0:93 offset1:94
	ds_read_b64 v[14:15], v6 offset:760
	v_mov_b32_e32 v16, v35
	v_mov_b32_e32 v19, v17
	v_pk_mul_f32 v[16:17], v[74:75], v[16:17] op_sel:[1,0] op_sel_hi:[0,0]
	v_pk_add_f32 v[12:13], v[12:13], v[18:19]
	v_pk_fma_f32 v[18:19], v[74:75], v[34:35], v[16:17] neg_lo:[0,0,1] neg_hi:[0,0,1]
	v_pk_fma_f32 v[16:17], v[74:75], v[34:35], v[16:17] op_sel_hi:[1,0,1]
	s_nop 0
	v_mov_b32_e32 v19, v17
	s_waitcnt vmcnt(3) lgkmcnt(2)
	v_pk_mul_f32 v[16:17], v[2:3], v[36:37] op_sel:[1,1] op_sel_hi:[0,1]
	v_pk_add_f32 v[12:13], v[12:13], v[18:19]
	v_pk_fma_f32 v[18:19], v[2:3], v[36:37], v[16:17] neg_lo:[0,0,1] neg_hi:[0,0,1]
	v_pk_fma_f32 v[2:3], v[2:3], v[36:37], v[16:17] op_sel_hi:[1,0,1]
	s_nop 0
	v_mov_b32_e32 v19, v3
	v_pk_add_f32 v[2:3], v[12:13], v[18:19]
	v_mov_b32_e32 v12, v39
	v_pk_mul_f32 v[12:13], v[4:5], v[12:13] op_sel:[1,0] op_sel_hi:[0,0]
	v_pk_fma_f32 v[16:17], v[4:5], v[38:39], v[12:13] neg_lo:[0,0,1] neg_hi:[0,0,1]
	v_pk_fma_f32 v[4:5], v[4:5], v[38:39], v[12:13] op_sel_hi:[1,0,1]
	s_nop 0
	v_mov_b32_e32 v17, v5
	s_waitcnt vmcnt(2) lgkmcnt(1)
	v_pk_mul_f32 v[4:5], v[8:9], v[40:41] op_sel:[1,1] op_sel_hi:[0,1]
	v_pk_fma_f32 v[12:13], v[8:9], v[40:41], v[4:5] neg_lo:[0,0,1] neg_hi:[0,0,1]
	v_pk_fma_f32 v[4:5], v[8:9], v[40:41], v[4:5] op_sel_hi:[1,0,1]
	v_pk_add_f32 v[2:3], v[2:3], v[16:17]
	v_mov_b32_e32 v4, v43
	v_mov_b32_e32 v13, v5
	v_pk_mul_f32 v[4:5], v[10:11], v[4:5] op_sel:[1,0] op_sel_hi:[0,0]
	v_pk_fma_f32 v[8:9], v[10:11], v[42:43], v[4:5] neg_lo:[0,0,1] neg_hi:[0,0,1]
	v_pk_fma_f32 v[4:5], v[10:11], v[42:43], v[4:5] op_sel_hi:[1,0,1]
	v_pk_add_f32 v[2:3], v[2:3], v[12:13]
	v_mov_b32_e32 v9, v5
	s_waitcnt vmcnt(1) lgkmcnt(0)
	v_pk_mul_f32 v[4:5], v[14:15], v[76:77] op_sel:[1,1] op_sel_hi:[0,1]
	v_pk_add_f32 v[2:3], v[2:3], v[8:9]
	v_pk_fma_f32 v[8:9], v[14:15], v[76:77], v[4:5] neg_lo:[0,0,1] neg_hi:[0,0,1]
	v_pk_fma_f32 v[4:5], v[14:15], v[76:77], v[4:5] op_sel_hi:[1,0,1]
	s_nop 0
	v_mov_b32_e32 v9, v5
	v_pk_add_f32 v[2:3], v[2:3], v[8:9]
	s_waitcnt vmcnt(0)
	v_pk_add_f32 v[2:3], v[78:79], v[2:3] neg_lo:[0,1] neg_hi:[0,1]
	scratch_store_dwordx2 off, v[2:3], off offset:208
	s_and_saveexec_b64 s[0:1], vcc
	s_cbranch_execz .LBB47_251
; %bb.250:
	scratch_load_dwordx2 v[2:3], off, off offset:200
	v_mov_b32_e32 v7, v6
	scratch_store_dwordx2 off, v[6:7], off offset:200
	s_waitcnt vmcnt(1)
	ds_write_b64 v1, v[2:3]
.LBB47_251:
	s_or_b64 exec, exec, s[0:1]
	s_waitcnt lgkmcnt(0)
	; wave barrier
	scratch_load_dwordx4 v[8:11], off, off offset:208
	scratch_load_dwordx4 v[12:15], off, off offset:224
	;; [unrolled: 1-line block ×7, first 2 shown]
	ds_read_b128 v[36:39], v6 offset:592
	ds_read_b128 v[40:43], v6 offset:608
	ds_read_b128 v[44:47], v6 offset:624
	ds_read_b128 v[48:51], v6 offset:640
	ds_read_b128 v[52:55], v6 offset:656
	ds_read_b128 v[56:59], v6 offset:672
	scratch_load_dwordx4 v[60:63], off, off offset:320
	scratch_load_dwordx4 v[64:67], off, off offset:336
	;; [unrolled: 1-line block ×4, first 2 shown]
	ds_read_b128 v[72:75], v6 offset:688
	ds_read_b128 v[76:79], v6 offset:704
	scratch_load_dwordx2 v[80:81], off, off offset:200
	v_cmp_lt_u32_e32 vcc, 24, v0
	s_waitcnt vmcnt(11) lgkmcnt(7)
	v_mul_f32_e32 v7, v36, v9
	v_mul_f32_e32 v82, v38, v11
	;; [unrolled: 1-line block ×3, first 2 shown]
	v_fmac_f32_e32 v7, v37, v8
	s_waitcnt vmcnt(10) lgkmcnt(6)
	v_mul_f32_e32 v84, v40, v13
	v_mul_f32_e32 v11, v39, v11
	v_fmac_f32_e32 v82, v39, v10
	v_fma_f32 v8, v36, v8, -v9
	v_add_f32_e32 v7, 0, v7
	v_mul_f32_e32 v86, v42, v15
	v_mul_f32_e32 v13, v41, v13
	v_fmac_f32_e32 v84, v41, v12
	v_fma_f32 v9, v38, v10, -v11
	v_add_f32_e32 v8, 0, v8
	v_add_f32_e32 v7, v7, v82
	s_waitcnt vmcnt(9) lgkmcnt(5)
	v_mul_f32_e32 v87, v44, v17
	v_mul_f32_e32 v15, v43, v15
	v_fmac_f32_e32 v86, v43, v14
	v_fma_f32 v10, v40, v12, -v13
	v_add_f32_e32 v8, v8, v9
	v_add_f32_e32 v7, v7, v84
	v_mul_f32_e32 v88, v46, v19
	v_mul_f32_e32 v17, v45, v17
	v_fmac_f32_e32 v87, v45, v16
	v_fma_f32 v11, v42, v14, -v15
	v_add_f32_e32 v8, v8, v10
	v_add_f32_e32 v7, v7, v86
	s_waitcnt vmcnt(8) lgkmcnt(4)
	v_mul_f32_e32 v89, v48, v21
	v_mul_f32_e32 v19, v47, v19
	v_fmac_f32_e32 v88, v47, v18
	v_fma_f32 v12, v44, v16, -v17
	v_add_f32_e32 v8, v8, v11
	;; [unrolled: 13-line block ×4, first 2 shown]
	v_add_f32_e32 v7, v7, v91
	v_mul_f32_e32 v94, v58, v31
	v_mul_f32_e32 v29, v57, v29
	v_fmac_f32_e32 v93, v57, v28
	v_fma_f32 v17, v54, v26, -v27
	v_add_f32_e32 v8, v8, v16
	v_add_f32_e32 v7, v7, v92
	v_fmac_f32_e32 v94, v59, v30
	v_fma_f32 v18, v56, v28, -v29
	v_add_f32_e32 v8, v8, v17
	v_add_f32_e32 v7, v7, v93
	;; [unrolled: 1-line block ×4, first 2 shown]
	v_mul_f32_e32 v8, v59, v31
	v_fma_f32 v8, v58, v30, -v8
	s_waitcnt vmcnt(5) lgkmcnt(1)
	v_mul_f32_e32 v83, v72, v33
	v_add_f32_e32 v20, v7, v8
	v_mul_f32_e32 v7, v73, v33
	v_fmac_f32_e32 v83, v73, v32
	v_fma_f32 v82, v72, v32, -v7
	v_mul_f32_e32 v7, v75, v35
	v_fma_f32 v84, v74, v34, -v7
	ds_read_b128 v[8:11], v6 offset:720
	ds_read_b128 v[12:15], v6 offset:736
	;; [unrolled: 1-line block ×3, first 2 shown]
	v_pk_add_f32 v[6:7], v[20:21], v[82:83]
	s_waitcnt vmcnt(4) lgkmcnt(3)
	v_pk_mul_f32 v[20:21], v[76:77], v[60:61] op_sel:[1,1] op_sel_hi:[0,1]
	v_mul_f32_e32 v85, v74, v35
	v_pk_fma_f32 v[22:23], v[76:77], v[60:61], v[20:21] neg_lo:[0,0,1] neg_hi:[0,0,1]
	v_pk_fma_f32 v[20:21], v[76:77], v[60:61], v[20:21] op_sel_hi:[1,0,1]
	v_fmac_f32_e32 v85, v75, v34
	v_mov_b32_e32 v20, v63
	v_pk_add_f32 v[6:7], v[6:7], v[84:85]
	v_mov_b32_e32 v23, v21
	v_pk_mul_f32 v[20:21], v[78:79], v[20:21] op_sel:[1,0] op_sel_hi:[0,0]
	v_pk_add_f32 v[6:7], v[6:7], v[22:23]
	v_pk_fma_f32 v[22:23], v[78:79], v[62:63], v[20:21] neg_lo:[0,0,1] neg_hi:[0,0,1]
	v_pk_fma_f32 v[20:21], v[78:79], v[62:63], v[20:21] op_sel_hi:[1,0,1]
	s_nop 0
	v_mov_b32_e32 v23, v21
	s_waitcnt vmcnt(3) lgkmcnt(2)
	v_pk_mul_f32 v[20:21], v[8:9], v[64:65] op_sel:[1,1] op_sel_hi:[0,1]
	v_pk_add_f32 v[6:7], v[6:7], v[22:23]
	v_pk_fma_f32 v[22:23], v[8:9], v[64:65], v[20:21] neg_lo:[0,0,1] neg_hi:[0,0,1]
	v_pk_fma_f32 v[8:9], v[8:9], v[64:65], v[20:21] op_sel_hi:[1,0,1]
	s_nop 0
	v_mov_b32_e32 v8, v67
	v_mov_b32_e32 v23, v9
	v_pk_mul_f32 v[8:9], v[10:11], v[8:9] op_sel:[1,0] op_sel_hi:[0,0]
	v_pk_fma_f32 v[20:21], v[10:11], v[66:67], v[8:9] neg_lo:[0,0,1] neg_hi:[0,0,1]
	v_pk_fma_f32 v[8:9], v[10:11], v[66:67], v[8:9] op_sel_hi:[1,0,1]
	v_pk_add_f32 v[6:7], v[6:7], v[22:23]
	v_mov_b32_e32 v21, v9
	s_waitcnt vmcnt(2) lgkmcnt(1)
	v_pk_mul_f32 v[8:9], v[12:13], v[68:69] op_sel:[1,1] op_sel_hi:[0,1]
	v_pk_fma_f32 v[10:11], v[12:13], v[68:69], v[8:9] neg_lo:[0,0,1] neg_hi:[0,0,1]
	v_pk_fma_f32 v[8:9], v[12:13], v[68:69], v[8:9] op_sel_hi:[1,0,1]
	v_pk_add_f32 v[6:7], v[6:7], v[20:21]
	v_mov_b32_e32 v8, v71
	v_mov_b32_e32 v11, v9
	v_pk_mul_f32 v[8:9], v[14:15], v[8:9] op_sel:[1,0] op_sel_hi:[0,0]
	v_pk_add_f32 v[6:7], v[6:7], v[10:11]
	v_pk_fma_f32 v[10:11], v[14:15], v[70:71], v[8:9] neg_lo:[0,0,1] neg_hi:[0,0,1]
	v_pk_fma_f32 v[8:9], v[14:15], v[70:71], v[8:9] op_sel_hi:[1,0,1]
	s_nop 0
	v_mov_b32_e32 v11, v9
	s_waitcnt vmcnt(1) lgkmcnt(0)
	v_pk_mul_f32 v[8:9], v[16:17], v[2:3] op_sel:[1,1] op_sel_hi:[0,1]
	v_pk_add_f32 v[6:7], v[6:7], v[10:11]
	v_pk_fma_f32 v[10:11], v[16:17], v[2:3], v[8:9] neg_lo:[0,0,1] neg_hi:[0,0,1]
	v_pk_fma_f32 v[2:3], v[16:17], v[2:3], v[8:9] op_sel_hi:[1,0,1]
	s_nop 0
	v_mov_b32_e32 v11, v3
	v_pk_add_f32 v[2:3], v[6:7], v[10:11]
	v_mov_b32_e32 v6, v5
	v_pk_mul_f32 v[6:7], v[18:19], v[6:7] op_sel:[1,0] op_sel_hi:[0,0]
	v_pk_fma_f32 v[8:9], v[18:19], v[4:5], v[6:7] neg_lo:[0,0,1] neg_hi:[0,0,1]
	v_pk_fma_f32 v[4:5], v[18:19], v[4:5], v[6:7] op_sel_hi:[1,0,1]
	s_nop 0
	v_mov_b32_e32 v9, v5
	v_pk_add_f32 v[2:3], v[2:3], v[8:9]
	s_waitcnt vmcnt(0)
	v_pk_add_f32 v[2:3], v[80:81], v[2:3] neg_lo:[0,1] neg_hi:[0,1]
	scratch_store_dwordx2 off, v[2:3], off offset:200
	s_and_saveexec_b64 s[0:1], vcc
	s_cbranch_execz .LBB47_253
; %bb.252:
	scratch_load_dwordx2 v[2:3], off, off offset:192
	v_mov_b32_e32 v4, 0
	v_mov_b32_e32 v5, v4
	scratch_store_dwordx2 off, v[4:5], off offset:192
	s_waitcnt vmcnt(1)
	ds_write_b64 v1, v[2:3]
.LBB47_253:
	s_or_b64 exec, exec, s[0:1]
	s_waitcnt lgkmcnt(0)
	; wave barrier
	scratch_load_dwordx4 v[2:5], off, off offset:200
	scratch_load_dwordx4 v[14:17], off, off offset:216
	scratch_load_dwordx4 v[24:27], off, off offset:232
	scratch_load_dwordx4 v[28:31], off, off offset:248
	scratch_load_dwordx4 v[18:21], off, off offset:264
	scratch_load_dwordx4 v[32:35], off, off offset:280
	scratch_load_dwordx4 v[40:43], off, off offset:296
	scratch_load_dwordx4 v[44:47], off, off offset:312
	scratch_load_dwordx4 v[48:51], off, off offset:328
	scratch_load_dwordx4 v[10:13], off, off offset:344
	scratch_load_dwordx4 v[6:9], off, off offset:360
	scratch_load_dwordx2 v[22:23], off, off offset:376
	scratch_load_dwordx2 v[36:37], off, off offset:192
	v_mov_b32_e32 v38, 0
	ds_read2_b64 v[52:55], v38 offset0:73 offset1:74
	ds_read2_b64 v[56:59], v38 offset0:75 offset1:76
	;; [unrolled: 1-line block ×8, first 2 shown]
	v_cmp_lt_u32_e32 vcc, 23, v0
	s_waitcnt vmcnt(12) lgkmcnt(7)
	v_mul_f32_e32 v39, v52, v3
	v_mul_f32_e32 v84, v54, v5
	;; [unrolled: 1-line block ×3, first 2 shown]
	v_fmac_f32_e32 v39, v53, v2
	s_waitcnt vmcnt(8) lgkmcnt(3)
	v_mul_f32_e32 v93, v68, v19
	v_mul_f32_e32 v19, v69, v19
	;; [unrolled: 1-line block ×4, first 2 shown]
	v_fmac_f32_e32 v84, v55, v4
	v_fmac_f32_e32 v93, v69, v18
	v_fma_f32 v2, v52, v2, -v3
	v_fma_f32 v18, v68, v18, -v19
	v_add_f32_e32 v19, 0, v39
	v_mul_f32_e32 v88, v58, v17
	v_fmac_f32_e32 v86, v57, v14
	v_fma_f32 v3, v54, v4, -v5
	v_add_f32_e32 v2, 0, v2
	v_add_f32_e32 v19, v19, v84
	v_mul_f32_e32 v89, v60, v25
	v_fmac_f32_e32 v88, v59, v16
	v_add_f32_e32 v2, v2, v3
	v_add_f32_e32 v3, v19, v86
	v_mul_f32_e32 v90, v62, v27
	v_fmac_f32_e32 v89, v61, v24
	v_add_f32_e32 v3, v3, v88
	v_mul_f32_e32 v91, v64, v29
	v_mul_f32_e32 v15, v57, v15
	v_fmac_f32_e32 v90, v63, v26
	v_add_f32_e32 v3, v3, v89
	v_mul_f32_e32 v92, v66, v31
	v_mul_f32_e32 v17, v59, v17
	v_fmac_f32_e32 v91, v65, v28
	v_fma_f32 v4, v56, v14, -v15
	v_add_f32_e32 v3, v3, v90
	v_mul_f32_e32 v25, v61, v25
	v_fmac_f32_e32 v92, v67, v30
	v_fma_f32 v5, v58, v16, -v17
	v_add_f32_e32 v2, v2, v4
	v_add_f32_e32 v3, v3, v91
	v_mul_f32_e32 v94, v70, v21
	v_mul_f32_e32 v27, v63, v27
	v_fma_f32 v14, v60, v24, -v25
	v_add_f32_e32 v2, v2, v5
	v_add_f32_e32 v3, v3, v92
	s_waitcnt vmcnt(7) lgkmcnt(2)
	v_mul_f32_e32 v95, v72, v33
	v_mul_f32_e32 v29, v65, v29
	v_fmac_f32_e32 v94, v71, v20
	v_fma_f32 v15, v62, v26, -v27
	v_add_f32_e32 v2, v2, v14
	v_add_f32_e32 v3, v3, v93
	v_mul_f32_e32 v96, v74, v35
	v_mul_f32_e32 v31, v67, v31
	v_fmac_f32_e32 v95, v73, v32
	v_fma_f32 v16, v64, v28, -v29
	v_add_f32_e32 v2, v2, v15
	v_add_f32_e32 v3, v3, v94
	s_waitcnt vmcnt(6) lgkmcnt(1)
	v_mul_f32_e32 v97, v76, v41
	v_fmac_f32_e32 v96, v75, v34
	v_fma_f32 v17, v66, v30, -v31
	v_add_f32_e32 v2, v2, v16
	v_add_f32_e32 v3, v3, v95
	v_mul_f32_e32 v21, v71, v21
	v_fmac_f32_e32 v97, v77, v40
	v_add_f32_e32 v2, v2, v17
	v_add_f32_e32 v3, v3, v96
	;; [unrolled: 1-line block ×4, first 2 shown]
	v_fma_f32 v3, v70, v20, -v21
	v_add_f32_e32 v2, v2, v3
	v_mul_f32_e32 v3, v73, v33
	v_fma_f32 v3, v72, v32, -v3
	v_add_f32_e32 v2, v2, v3
	v_mul_f32_e32 v3, v75, v35
	;; [unrolled: 3-line block ×4, first 2 shown]
	v_mul_f32_e32 v85, v78, v43
	v_fma_f32 v84, v78, v42, -v2
	s_waitcnt vmcnt(5) lgkmcnt(0)
	v_mul_f32_e32 v2, v81, v45
	v_mov_b32_e32 v28, v47
	v_mul_f32_e32 v87, v80, v45
	v_fmac_f32_e32 v85, v79, v42
	v_fma_f32 v86, v80, v44, -v2
	ds_read2_b64 v[2:5], v38 offset0:89 offset1:90
	ds_read2_b64 v[14:17], v38 offset0:91 offset1:92
	;; [unrolled: 1-line block ×3, first 2 shown]
	ds_read_b64 v[26:27], v38 offset:760
	v_pk_mul_f32 v[28:29], v[82:83], v[28:29] op_sel:[1,0] op_sel_hi:[0,0]
	v_fmac_f32_e32 v87, v81, v44
	v_pk_add_f32 v[24:25], v[24:25], v[84:85]
	v_pk_fma_f32 v[30:31], v[82:83], v[46:47], v[28:29] neg_lo:[0,0,1] neg_hi:[0,0,1]
	v_pk_fma_f32 v[28:29], v[82:83], v[46:47], v[28:29] op_sel_hi:[1,0,1]
	v_pk_add_f32 v[24:25], v[24:25], v[86:87]
	v_mov_b32_e32 v31, v29
	s_waitcnt vmcnt(4) lgkmcnt(3)
	v_pk_mul_f32 v[28:29], v[2:3], v[48:49] op_sel:[1,1] op_sel_hi:[0,1]
	v_pk_add_f32 v[24:25], v[24:25], v[30:31]
	v_pk_fma_f32 v[30:31], v[2:3], v[48:49], v[28:29] neg_lo:[0,0,1] neg_hi:[0,0,1]
	v_pk_fma_f32 v[2:3], v[2:3], v[48:49], v[28:29] op_sel_hi:[1,0,1]
	s_nop 0
	v_mov_b32_e32 v31, v3
	v_pk_add_f32 v[2:3], v[24:25], v[30:31]
	v_mov_b32_e32 v24, v51
	v_pk_mul_f32 v[24:25], v[4:5], v[24:25] op_sel:[1,0] op_sel_hi:[0,0]
	v_pk_fma_f32 v[28:29], v[4:5], v[50:51], v[24:25] neg_lo:[0,0,1] neg_hi:[0,0,1]
	v_pk_fma_f32 v[4:5], v[4:5], v[50:51], v[24:25] op_sel_hi:[1,0,1]
	s_nop 0
	v_mov_b32_e32 v29, v5
	s_waitcnt vmcnt(3) lgkmcnt(2)
	v_pk_mul_f32 v[4:5], v[14:15], v[10:11] op_sel:[1,1] op_sel_hi:[0,1]
	v_pk_fma_f32 v[24:25], v[14:15], v[10:11], v[4:5] neg_lo:[0,0,1] neg_hi:[0,0,1]
	v_pk_fma_f32 v[4:5], v[14:15], v[10:11], v[4:5] op_sel_hi:[1,0,1]
	v_pk_add_f32 v[2:3], v[2:3], v[28:29]
	v_mov_b32_e32 v4, v13
	v_mov_b32_e32 v25, v5
	v_pk_mul_f32 v[4:5], v[16:17], v[4:5] op_sel:[1,0] op_sel_hi:[0,0]
	v_pk_fma_f32 v[10:11], v[16:17], v[12:13], v[4:5] neg_lo:[0,0,1] neg_hi:[0,0,1]
	v_pk_fma_f32 v[4:5], v[16:17], v[12:13], v[4:5] op_sel_hi:[1,0,1]
	v_pk_add_f32 v[2:3], v[2:3], v[24:25]
	v_mov_b32_e32 v11, v5
	s_waitcnt vmcnt(2) lgkmcnt(1)
	v_pk_mul_f32 v[4:5], v[18:19], v[6:7] op_sel:[1,1] op_sel_hi:[0,1]
	v_pk_add_f32 v[2:3], v[2:3], v[10:11]
	v_pk_fma_f32 v[10:11], v[18:19], v[6:7], v[4:5] neg_lo:[0,0,1] neg_hi:[0,0,1]
	v_pk_fma_f32 v[4:5], v[18:19], v[6:7], v[4:5] op_sel_hi:[1,0,1]
	s_nop 0
	v_mov_b32_e32 v4, v9
	v_mov_b32_e32 v11, v5
	v_pk_mul_f32 v[4:5], v[20:21], v[4:5] op_sel:[1,0] op_sel_hi:[0,0]
	v_pk_fma_f32 v[6:7], v[20:21], v[8:9], v[4:5] neg_lo:[0,0,1] neg_hi:[0,0,1]
	v_pk_fma_f32 v[4:5], v[20:21], v[8:9], v[4:5] op_sel_hi:[1,0,1]
	v_pk_add_f32 v[2:3], v[2:3], v[10:11]
	v_mov_b32_e32 v7, v5
	s_waitcnt vmcnt(1) lgkmcnt(0)
	v_pk_mul_f32 v[4:5], v[26:27], v[22:23] op_sel:[1,1] op_sel_hi:[0,1]
	v_pk_add_f32 v[2:3], v[2:3], v[6:7]
	v_pk_fma_f32 v[6:7], v[26:27], v[22:23], v[4:5] neg_lo:[0,0,1] neg_hi:[0,0,1]
	v_pk_fma_f32 v[4:5], v[26:27], v[22:23], v[4:5] op_sel_hi:[1,0,1]
	s_nop 0
	v_mov_b32_e32 v7, v5
	v_pk_add_f32 v[2:3], v[2:3], v[6:7]
	s_waitcnt vmcnt(0)
	v_pk_add_f32 v[2:3], v[36:37], v[2:3] neg_lo:[0,1] neg_hi:[0,1]
	scratch_store_dwordx2 off, v[2:3], off offset:192
	s_and_saveexec_b64 s[0:1], vcc
	s_cbranch_execz .LBB47_255
; %bb.254:
	scratch_load_dwordx2 v[2:3], off, off offset:184
	v_mov_b32_e32 v39, v38
	scratch_store_dwordx2 off, v[38:39], off offset:184
	s_waitcnt vmcnt(1)
	ds_write_b64 v1, v[2:3]
.LBB47_255:
	s_or_b64 exec, exec, s[0:1]
	s_waitcnt lgkmcnt(0)
	; wave barrier
	scratch_load_dwordx4 v[6:9], off, off offset:192
	scratch_load_dwordx4 v[18:21], off, off offset:208
	;; [unrolled: 1-line block ×8, first 2 shown]
	ds_read_b128 v[48:51], v38 offset:576
	ds_read_b128 v[52:55], v38 offset:592
	;; [unrolled: 1-line block ×8, first 2 shown]
	scratch_load_dwordx4 v[80:83], off, off offset:320
	scratch_load_dwordx4 v[26:29], off, off offset:336
	;; [unrolled: 1-line block ×4, first 2 shown]
	scratch_load_dwordx2 v[84:85], off, off offset:184
	v_cmp_lt_u32_e32 vcc, 22, v0
	s_waitcnt vmcnt(12) lgkmcnt(7)
	v_mul_f32_e32 v39, v48, v7
	v_mul_f32_e32 v86, v50, v9
	;; [unrolled: 1-line block ×3, first 2 shown]
	v_fmac_f32_e32 v39, v49, v6
	s_waitcnt vmcnt(8) lgkmcnt(3)
	v_mul_f32_e32 v95, v64, v15
	v_mul_f32_e32 v15, v65, v15
	;; [unrolled: 1-line block ×4, first 2 shown]
	v_fmac_f32_e32 v86, v51, v8
	v_fmac_f32_e32 v95, v65, v14
	v_fma_f32 v6, v48, v6, -v7
	v_fma_f32 v14, v64, v14, -v15
	v_add_f32_e32 v15, 0, v39
	v_mul_f32_e32 v90, v54, v21
	v_fmac_f32_e32 v88, v53, v18
	v_fma_f32 v7, v50, v8, -v9
	v_add_f32_e32 v6, 0, v6
	v_add_f32_e32 v15, v15, v86
	v_mul_f32_e32 v91, v56, v35
	v_fmac_f32_e32 v90, v55, v20
	v_add_f32_e32 v6, v6, v7
	v_add_f32_e32 v7, v15, v88
	v_mul_f32_e32 v92, v58, v37
	v_fmac_f32_e32 v91, v57, v34
	v_add_f32_e32 v7, v7, v90
	v_mul_f32_e32 v93, v60, v41
	v_fmac_f32_e32 v92, v59, v36
	;; [unrolled: 3-line block ×4, first 2 shown]
	v_add_f32_e32 v7, v7, v93
	v_mul_f32_e32 v96, v66, v17
	v_mul_f32_e32 v21, v55, v21
	v_fma_f32 v8, v52, v18, -v19
	v_add_f32_e32 v7, v7, v94
	s_waitcnt vmcnt(7) lgkmcnt(2)
	v_mul_f32_e32 v97, v68, v23
	v_mul_f32_e32 v35, v57, v35
	v_fmac_f32_e32 v96, v67, v16
	v_fma_f32 v9, v54, v20, -v21
	v_add_f32_e32 v6, v6, v8
	v_add_f32_e32 v7, v7, v95
	v_mul_f32_e32 v98, v70, v25
	v_mul_f32_e32 v37, v59, v37
	v_fmac_f32_e32 v97, v69, v22
	v_fma_f32 v18, v56, v34, -v35
	v_add_f32_e32 v6, v6, v9
	v_add_f32_e32 v7, v7, v96
	s_waitcnt vmcnt(6) lgkmcnt(1)
	v_mul_f32_e32 v99, v72, v31
	v_mul_f32_e32 v41, v61, v41
	v_fmac_f32_e32 v98, v71, v24
	v_fma_f32 v19, v58, v36, -v37
	v_add_f32_e32 v6, v6, v18
	v_add_f32_e32 v7, v7, v97
	v_mul_f32_e32 v100, v74, v33
	v_mul_f32_e32 v43, v63, v43
	v_fmac_f32_e32 v99, v73, v30
	v_fma_f32 v20, v60, v40, -v41
	v_add_f32_e32 v6, v6, v19
	v_add_f32_e32 v7, v7, v98
	v_fmac_f32_e32 v100, v75, v32
	v_fma_f32 v21, v62, v42, -v43
	v_add_f32_e32 v6, v6, v20
	v_add_f32_e32 v7, v7, v99
	;; [unrolled: 1-line block ×4, first 2 shown]
	v_mul_f32_e32 v7, v67, v17
	v_add_f32_e32 v6, v6, v14
	v_fma_f32 v7, v66, v16, -v7
	v_add_f32_e32 v6, v6, v7
	v_mul_f32_e32 v7, v69, v23
	v_fma_f32 v7, v68, v22, -v7
	v_add_f32_e32 v6, v6, v7
	v_mul_f32_e32 v7, v71, v25
	;; [unrolled: 3-line block ×4, first 2 shown]
	v_fma_f32 v7, v74, v32, -v7
	v_add_f32_e32 v34, v6, v7
	s_waitcnt vmcnt(5) lgkmcnt(0)
	v_mul_f32_e32 v6, v77, v45
	v_fma_f32 v86, v76, v44, -v6
	v_mul_f32_e32 v6, v79, v47
	v_fma_f32 v88, v78, v46, -v6
	ds_read_b128 v[6:9], v38 offset:704
	ds_read_b128 v[14:17], v38 offset:720
	;; [unrolled: 1-line block ×4, first 2 shown]
	v_mul_f32_e32 v87, v76, v45
	v_mul_f32_e32 v89, v78, v47
	v_fmac_f32_e32 v87, v77, v44
	s_waitcnt vmcnt(4) lgkmcnt(3)
	v_pk_mul_f32 v[32:33], v[6:7], v[80:81] op_sel:[1,1] op_sel_hi:[0,1]
	v_fmac_f32_e32 v89, v79, v46
	v_pk_add_f32 v[30:31], v[34:35], v[86:87]
	v_pk_fma_f32 v[34:35], v[6:7], v[80:81], v[32:33] neg_lo:[0,0,1] neg_hi:[0,0,1]
	v_pk_fma_f32 v[6:7], v[6:7], v[80:81], v[32:33] op_sel_hi:[1,0,1]
	v_pk_add_f32 v[30:31], v[30:31], v[88:89]
	v_mov_b32_e32 v35, v7
	v_pk_add_f32 v[6:7], v[30:31], v[34:35]
	v_mov_b32_e32 v30, v83
	v_pk_mul_f32 v[30:31], v[8:9], v[30:31] op_sel:[1,0] op_sel_hi:[0,0]
	v_pk_fma_f32 v[32:33], v[8:9], v[82:83], v[30:31] neg_lo:[0,0,1] neg_hi:[0,0,1]
	v_pk_fma_f32 v[8:9], v[8:9], v[82:83], v[30:31] op_sel_hi:[1,0,1]
	s_nop 0
	v_mov_b32_e32 v33, v9
	s_waitcnt vmcnt(3) lgkmcnt(2)
	v_pk_mul_f32 v[8:9], v[14:15], v[26:27] op_sel:[1,1] op_sel_hi:[0,1]
	v_pk_fma_f32 v[30:31], v[14:15], v[26:27], v[8:9] neg_lo:[0,0,1] neg_hi:[0,0,1]
	v_pk_fma_f32 v[8:9], v[14:15], v[26:27], v[8:9] op_sel_hi:[1,0,1]
	v_pk_add_f32 v[6:7], v[6:7], v[32:33]
	v_mov_b32_e32 v8, v29
	v_mov_b32_e32 v31, v9
	v_pk_mul_f32 v[8:9], v[16:17], v[8:9] op_sel:[1,0] op_sel_hi:[0,0]
	v_pk_fma_f32 v[14:15], v[16:17], v[28:29], v[8:9] neg_lo:[0,0,1] neg_hi:[0,0,1]
	v_pk_fma_f32 v[8:9], v[16:17], v[28:29], v[8:9] op_sel_hi:[1,0,1]
	v_pk_add_f32 v[6:7], v[6:7], v[30:31]
	v_mov_b32_e32 v15, v9
	s_waitcnt vmcnt(2) lgkmcnt(1)
	v_pk_mul_f32 v[8:9], v[18:19], v[10:11] op_sel:[1,1] op_sel_hi:[0,1]
	v_pk_add_f32 v[6:7], v[6:7], v[14:15]
	v_pk_fma_f32 v[14:15], v[18:19], v[10:11], v[8:9] neg_lo:[0,0,1] neg_hi:[0,0,1]
	v_pk_fma_f32 v[8:9], v[18:19], v[10:11], v[8:9] op_sel_hi:[1,0,1]
	s_nop 0
	v_mov_b32_e32 v8, v13
	v_mov_b32_e32 v15, v9
	v_pk_mul_f32 v[8:9], v[20:21], v[8:9] op_sel:[1,0] op_sel_hi:[0,0]
	v_pk_fma_f32 v[10:11], v[20:21], v[12:13], v[8:9] neg_lo:[0,0,1] neg_hi:[0,0,1]
	v_pk_fma_f32 v[8:9], v[20:21], v[12:13], v[8:9] op_sel_hi:[1,0,1]
	v_pk_add_f32 v[6:7], v[6:7], v[14:15]
	v_mov_b32_e32 v11, v9
	s_waitcnt vmcnt(1) lgkmcnt(0)
	v_pk_mul_f32 v[8:9], v[22:23], v[2:3] op_sel:[1,1] op_sel_hi:[0,1]
	v_pk_add_f32 v[6:7], v[6:7], v[10:11]
	v_pk_fma_f32 v[10:11], v[22:23], v[2:3], v[8:9] neg_lo:[0,0,1] neg_hi:[0,0,1]
	v_pk_fma_f32 v[2:3], v[22:23], v[2:3], v[8:9] op_sel_hi:[1,0,1]
	s_nop 0
	v_mov_b32_e32 v11, v3
	v_pk_add_f32 v[2:3], v[6:7], v[10:11]
	v_mov_b32_e32 v6, v5
	v_pk_mul_f32 v[6:7], v[24:25], v[6:7] op_sel:[1,0] op_sel_hi:[0,0]
	v_pk_fma_f32 v[8:9], v[24:25], v[4:5], v[6:7] neg_lo:[0,0,1] neg_hi:[0,0,1]
	v_pk_fma_f32 v[4:5], v[24:25], v[4:5], v[6:7] op_sel_hi:[1,0,1]
	s_nop 0
	v_mov_b32_e32 v9, v5
	v_pk_add_f32 v[2:3], v[2:3], v[8:9]
	s_waitcnt vmcnt(0)
	v_pk_add_f32 v[2:3], v[84:85], v[2:3] neg_lo:[0,1] neg_hi:[0,1]
	scratch_store_dwordx2 off, v[2:3], off offset:184
	s_and_saveexec_b64 s[0:1], vcc
	s_cbranch_execz .LBB47_257
; %bb.256:
	scratch_load_dwordx2 v[2:3], off, off offset:176
	v_mov_b32_e32 v4, 0
	v_mov_b32_e32 v5, v4
	scratch_store_dwordx2 off, v[4:5], off offset:176
	s_waitcnt vmcnt(1)
	ds_write_b64 v1, v[2:3]
.LBB47_257:
	s_or_b64 exec, exec, s[0:1]
	s_waitcnt lgkmcnt(0)
	; wave barrier
	scratch_load_dwordx4 v[2:5], off, off offset:184
	scratch_load_dwordx4 v[22:25], off, off offset:200
	;; [unrolled: 1-line block ×12, first 2 shown]
	scratch_load_dwordx2 v[50:51], off, off offset:376
	scratch_load_dwordx2 v[56:57], off, off offset:176
	v_mov_b32_e32 v58, 0
	ds_read2_b64 v[52:55], v58 offset0:71 offset1:72
	ds_read2_b64 v[60:63], v58 offset0:73 offset1:74
	;; [unrolled: 1-line block ×10, first 2 shown]
	v_cmp_lt_u32_e32 vcc, 21, v0
	s_waitcnt vmcnt(13) lgkmcnt(9)
	v_mul_f32_e32 v59, v52, v3
	v_mul_f32_e32 v96, v54, v5
	;; [unrolled: 1-line block ×3, first 2 shown]
	s_waitcnt vmcnt(10) lgkmcnt(6)
	v_mul_f32_e32 v103, v68, v11
	v_mul_f32_e32 v11, v69, v11
	v_fmac_f32_e32 v59, v53, v2
	v_mul_f32_e32 v98, v60, v23
	v_mul_f32_e32 v5, v55, v5
	v_fmac_f32_e32 v96, v55, v4
	v_fmac_f32_e32 v103, v69, v10
	v_fma_f32 v2, v52, v2, -v3
	v_fma_f32 v10, v68, v10, -v11
	v_add_f32_e32 v11, 0, v59
	v_mul_f32_e32 v100, v62, v25
	v_fmac_f32_e32 v98, v61, v22
	v_fma_f32 v3, v54, v4, -v5
	v_add_f32_e32 v2, 0, v2
	v_add_f32_e32 v11, v11, v96
	v_mul_f32_e32 v101, v64, v39
	v_fmac_f32_e32 v100, v63, v24
	v_add_f32_e32 v2, v2, v3
	v_add_f32_e32 v3, v11, v98
	v_mul_f32_e32 v102, v66, v41
	v_fmac_f32_e32 v101, v65, v38
	v_add_f32_e32 v3, v3, v100
	v_fmac_f32_e32 v102, v67, v40
	v_add_f32_e32 v3, v3, v101
	v_mul_f32_e32 v104, v70, v13
	v_add_f32_e32 v3, v3, v102
	s_waitcnt vmcnt(9) lgkmcnt(5)
	v_mul_f32_e32 v105, v72, v15
	v_fmac_f32_e32 v104, v71, v12
	v_add_f32_e32 v3, v3, v103
	v_mul_f32_e32 v106, v74, v17
	v_fmac_f32_e32 v105, v73, v14
	v_add_f32_e32 v3, v3, v104
	s_waitcnt vmcnt(8) lgkmcnt(4)
	v_mul_f32_e32 v107, v76, v27
	v_fmac_f32_e32 v106, v75, v16
	v_add_f32_e32 v3, v3, v105
	v_mul_f32_e32 v108, v78, v29
	v_mul_f32_e32 v23, v61, v23
	v_fmac_f32_e32 v107, v77, v26
	v_add_f32_e32 v3, v3, v106
	s_waitcnt vmcnt(7) lgkmcnt(3)
	v_mul_f32_e32 v109, v80, v31
	v_mul_f32_e32 v25, v63, v25
	v_fmac_f32_e32 v108, v79, v28
	v_fma_f32 v4, v60, v22, -v23
	v_add_f32_e32 v3, v3, v107
	v_mul_f32_e32 v110, v82, v33
	v_mul_f32_e32 v39, v65, v39
	v_fmac_f32_e32 v109, v81, v30
	v_fma_f32 v5, v62, v24, -v25
	v_add_f32_e32 v2, v2, v4
	v_add_f32_e32 v3, v3, v108
	s_waitcnt vmcnt(6) lgkmcnt(2)
	v_mul_f32_e32 v111, v84, v43
	v_mul_f32_e32 v41, v67, v41
	v_fmac_f32_e32 v110, v83, v32
	v_fma_f32 v22, v64, v38, -v39
	v_add_f32_e32 v2, v2, v5
	v_add_f32_e32 v3, v3, v109
	v_fmac_f32_e32 v111, v85, v42
	v_fma_f32 v23, v66, v40, -v41
	v_add_f32_e32 v2, v2, v22
	v_add_f32_e32 v3, v3, v110
	v_add_f32_e32 v2, v2, v23
	v_add_f32_e32 v23, v3, v111
	v_mul_f32_e32 v3, v71, v13
	v_add_f32_e32 v2, v2, v10
	v_fma_f32 v3, v70, v12, -v3
	v_add_f32_e32 v2, v2, v3
	v_mul_f32_e32 v3, v73, v15
	v_fma_f32 v3, v72, v14, -v3
	v_add_f32_e32 v2, v2, v3
	v_mul_f32_e32 v3, v75, v17
	;; [unrolled: 3-line block ×7, first 2 shown]
	v_fma_f32 v3, v84, v42, -v3
	v_mul_f32_e32 v97, v86, v45
	v_add_f32_e32 v22, v2, v3
	v_mul_f32_e32 v2, v87, v45
	v_fmac_f32_e32 v97, v87, v44
	v_fma_f32 v96, v86, v44, -v2
	v_pk_add_f32 v[16:17], v[22:23], v[96:97]
	s_waitcnt vmcnt(5)
	v_mov_b32_e32 v22, v49
	s_waitcnt lgkmcnt(1)
	v_mul_f32_e32 v99, v88, v47
	v_mul_f32_e32 v2, v89, v47
	v_pk_mul_f32 v[22:23], v[90:91], v[22:23] op_sel:[1,0] op_sel_hi:[0,0]
	v_fmac_f32_e32 v99, v89, v46
	v_fma_f32 v98, v88, v46, -v2
	v_pk_fma_f32 v[24:25], v[90:91], v[48:49], v[22:23] neg_lo:[0,0,1] neg_hi:[0,0,1]
	v_pk_fma_f32 v[22:23], v[90:91], v[48:49], v[22:23] op_sel_hi:[1,0,1]
	v_pk_add_f32 v[16:17], v[16:17], v[98:99]
	v_mov_b32_e32 v25, v23
	s_waitcnt vmcnt(4) lgkmcnt(0)
	v_pk_mul_f32 v[22:23], v[92:93], v[34:35] op_sel:[1,1] op_sel_hi:[0,1]
	v_pk_add_f32 v[16:17], v[16:17], v[24:25]
	v_pk_fma_f32 v[24:25], v[92:93], v[34:35], v[22:23] neg_lo:[0,0,1] neg_hi:[0,0,1]
	v_pk_fma_f32 v[22:23], v[92:93], v[34:35], v[22:23] op_sel_hi:[1,0,1]
	ds_read2_b64 v[2:5], v58 offset0:91 offset1:92
	ds_read2_b64 v[10:13], v58 offset0:93 offset1:94
	ds_read_b64 v[14:15], v58 offset:760
	v_mov_b32_e32 v22, v37
	v_mov_b32_e32 v25, v23
	v_pk_mul_f32 v[22:23], v[94:95], v[22:23] op_sel:[1,0] op_sel_hi:[0,0]
	v_pk_add_f32 v[16:17], v[16:17], v[24:25]
	v_pk_fma_f32 v[24:25], v[94:95], v[36:37], v[22:23] neg_lo:[0,0,1] neg_hi:[0,0,1]
	v_pk_fma_f32 v[22:23], v[94:95], v[36:37], v[22:23] op_sel_hi:[1,0,1]
	s_nop 0
	v_mov_b32_e32 v25, v23
	s_waitcnt vmcnt(3) lgkmcnt(2)
	v_pk_mul_f32 v[22:23], v[2:3], v[18:19] op_sel:[1,1] op_sel_hi:[0,1]
	v_pk_add_f32 v[16:17], v[16:17], v[24:25]
	v_pk_fma_f32 v[24:25], v[2:3], v[18:19], v[22:23] neg_lo:[0,0,1] neg_hi:[0,0,1]
	v_pk_fma_f32 v[2:3], v[2:3], v[18:19], v[22:23] op_sel_hi:[1,0,1]
	s_nop 0
	v_mov_b32_e32 v25, v3
	v_pk_add_f32 v[2:3], v[16:17], v[24:25]
	v_mov_b32_e32 v16, v21
	v_pk_mul_f32 v[16:17], v[4:5], v[16:17] op_sel:[1,0] op_sel_hi:[0,0]
	v_pk_fma_f32 v[18:19], v[4:5], v[20:21], v[16:17] neg_lo:[0,0,1] neg_hi:[0,0,1]
	v_pk_fma_f32 v[4:5], v[4:5], v[20:21], v[16:17] op_sel_hi:[1,0,1]
	s_nop 0
	v_mov_b32_e32 v19, v5
	s_waitcnt vmcnt(2) lgkmcnt(1)
	v_pk_mul_f32 v[4:5], v[10:11], v[6:7] op_sel:[1,1] op_sel_hi:[0,1]
	v_pk_fma_f32 v[16:17], v[10:11], v[6:7], v[4:5] neg_lo:[0,0,1] neg_hi:[0,0,1]
	v_pk_fma_f32 v[4:5], v[10:11], v[6:7], v[4:5] op_sel_hi:[1,0,1]
	v_pk_add_f32 v[2:3], v[2:3], v[18:19]
	v_mov_b32_e32 v4, v9
	v_mov_b32_e32 v17, v5
	v_pk_mul_f32 v[4:5], v[12:13], v[4:5] op_sel:[1,0] op_sel_hi:[0,0]
	v_pk_fma_f32 v[6:7], v[12:13], v[8:9], v[4:5] neg_lo:[0,0,1] neg_hi:[0,0,1]
	v_pk_fma_f32 v[4:5], v[12:13], v[8:9], v[4:5] op_sel_hi:[1,0,1]
	v_pk_add_f32 v[2:3], v[2:3], v[16:17]
	v_mov_b32_e32 v7, v5
	s_waitcnt vmcnt(1) lgkmcnt(0)
	v_pk_mul_f32 v[4:5], v[14:15], v[50:51] op_sel:[1,1] op_sel_hi:[0,1]
	v_pk_add_f32 v[2:3], v[2:3], v[6:7]
	v_pk_fma_f32 v[6:7], v[14:15], v[50:51], v[4:5] neg_lo:[0,0,1] neg_hi:[0,0,1]
	v_pk_fma_f32 v[4:5], v[14:15], v[50:51], v[4:5] op_sel_hi:[1,0,1]
	s_nop 0
	v_mov_b32_e32 v7, v5
	v_pk_add_f32 v[2:3], v[2:3], v[6:7]
	s_waitcnt vmcnt(0)
	v_pk_add_f32 v[2:3], v[56:57], v[2:3] neg_lo:[0,1] neg_hi:[0,1]
	scratch_store_dwordx2 off, v[2:3], off offset:176
	s_and_saveexec_b64 s[0:1], vcc
	s_cbranch_execz .LBB47_259
; %bb.258:
	scratch_load_dwordx2 v[2:3], off, off offset:168
	v_mov_b32_e32 v59, v58
	scratch_store_dwordx2 off, v[58:59], off offset:168
	s_waitcnt vmcnt(1)
	ds_write_b64 v1, v[2:3]
.LBB47_259:
	s_or_b64 exec, exec, s[0:1]
	s_waitcnt lgkmcnt(0)
	; wave barrier
	scratch_load_dwordx4 v[10:13], off, off offset:176
	scratch_load_dwordx4 v[26:29], off, off offset:192
	;; [unrolled: 1-line block ×9, first 2 shown]
	ds_read_b128 v[60:63], v58 offset:560
	ds_read_b128 v[64:67], v58 offset:576
	;; [unrolled: 1-line block ×8, first 2 shown]
	scratch_load_dwordx4 v[50:53], off, off offset:320
	scratch_load_dwordx4 v[34:37], off, off offset:336
	;; [unrolled: 1-line block ×4, first 2 shown]
	ds_read_b128 v[88:91], v58 offset:688
	ds_read_b128 v[92:95], v58 offset:704
	scratch_load_dwordx2 v[96:97], off, off offset:168
	v_cmp_lt_u32_e32 vcc, 20, v0
	s_waitcnt vmcnt(13) lgkmcnt(9)
	v_mul_f32_e32 v59, v60, v11
	v_mul_f32_e32 v98, v62, v13
	v_fmac_f32_e32 v59, v61, v10
	s_waitcnt vmcnt(10) lgkmcnt(6)
	v_mul_f32_e32 v105, v72, v3
	v_mul_f32_e32 v3, v73, v3
	;; [unrolled: 1-line block ×3, first 2 shown]
	v_fmac_f32_e32 v98, v63, v12
	v_fmac_f32_e32 v105, v73, v2
	v_fma_f32 v2, v72, v2, -v3
	v_add_f32_e32 v3, 0, v59
	v_mul_f32_e32 v102, v66, v29
	v_fmac_f32_e32 v100, v65, v26
	v_add_f32_e32 v3, v3, v98
	v_mul_f32_e32 v103, v68, v43
	v_fmac_f32_e32 v102, v67, v28
	;; [unrolled: 3-line block ×3, first 2 shown]
	v_add_f32_e32 v3, v3, v102
	v_fmac_f32_e32 v104, v71, v44
	v_add_f32_e32 v3, v3, v103
	v_mul_f32_e32 v106, v74, v5
	v_add_f32_e32 v3, v3, v104
	s_waitcnt vmcnt(9) lgkmcnt(5)
	v_mul_f32_e32 v107, v76, v15
	v_fmac_f32_e32 v106, v75, v4
	v_add_f32_e32 v3, v3, v105
	v_mul_f32_e32 v108, v78, v17
	v_fmac_f32_e32 v107, v77, v14
	v_add_f32_e32 v3, v3, v106
	s_waitcnt vmcnt(8) lgkmcnt(4)
	v_mul_f32_e32 v109, v80, v19
	v_mul_f32_e32 v11, v61, v11
	v_fmac_f32_e32 v108, v79, v16
	v_add_f32_e32 v3, v3, v107
	v_mul_f32_e32 v110, v82, v21
	v_mul_f32_e32 v13, v63, v13
	v_fmac_f32_e32 v109, v81, v18
	v_fma_f32 v10, v60, v10, -v11
	v_add_f32_e32 v3, v3, v108
	s_waitcnt vmcnt(7) lgkmcnt(3)
	v_mul_f32_e32 v111, v84, v31
	v_mul_f32_e32 v27, v65, v27
	v_fmac_f32_e32 v110, v83, v20
	v_fma_f32 v11, v62, v12, -v13
	v_add_f32_e32 v10, 0, v10
	v_add_f32_e32 v3, v3, v109
	v_mul_f32_e32 v112, v86, v33
	v_mul_f32_e32 v29, v67, v29
	v_fmac_f32_e32 v111, v85, v30
	v_fma_f32 v12, v64, v26, -v27
	v_add_f32_e32 v10, v10, v11
	v_add_f32_e32 v3, v3, v110
	s_waitcnt vmcnt(6) lgkmcnt(2)
	v_mul_f32_e32 v113, v54, v39
	v_mul_f32_e32 v43, v69, v43
	v_fmac_f32_e32 v112, v87, v32
	v_fma_f32 v13, v66, v28, -v29
	v_add_f32_e32 v10, v10, v12
	v_add_f32_e32 v3, v3, v111
	v_mul_f32_e32 v114, v56, v41
	v_mul_f32_e32 v45, v71, v45
	v_fmac_f32_e32 v113, v55, v38
	v_fma_f32 v26, v68, v42, -v43
	v_add_f32_e32 v10, v10, v13
	v_add_f32_e32 v3, v3, v112
	v_fmac_f32_e32 v114, v57, v40
	v_fma_f32 v27, v70, v44, -v45
	v_add_f32_e32 v10, v10, v26
	v_add_f32_e32 v3, v3, v113
	;; [unrolled: 1-line block ×4, first 2 shown]
	v_mul_f32_e32 v3, v75, v5
	v_add_f32_e32 v2, v10, v2
	v_fma_f32 v3, v74, v4, -v3
	v_add_f32_e32 v2, v2, v3
	v_mul_f32_e32 v3, v77, v15
	v_fma_f32 v3, v76, v14, -v3
	v_add_f32_e32 v2, v2, v3
	v_mul_f32_e32 v3, v79, v17
	;; [unrolled: 3-line block ×8, first 2 shown]
	v_fma_f32 v3, v56, v40, -v3
	s_waitcnt vmcnt(5) lgkmcnt(1)
	v_mul_f32_e32 v99, v88, v47
	v_add_f32_e32 v26, v2, v3
	v_mul_f32_e32 v2, v89, v47
	v_fmac_f32_e32 v99, v89, v46
	v_fma_f32 v98, v88, v46, -v2
	s_waitcnt vmcnt(4) lgkmcnt(0)
	v_pk_mul_f32 v[20:21], v[92:93], v[50:51] op_sel:[1,1] op_sel_hi:[0,1]
	v_mul_f32_e32 v101, v90, v49
	v_mul_f32_e32 v2, v91, v49
	v_pk_add_f32 v[18:19], v[26:27], v[98:99]
	v_pk_fma_f32 v[26:27], v[92:93], v[50:51], v[20:21] neg_lo:[0,0,1] neg_hi:[0,0,1]
	v_pk_fma_f32 v[20:21], v[92:93], v[50:51], v[20:21] op_sel_hi:[1,0,1]
	v_fmac_f32_e32 v101, v91, v48
	v_fma_f32 v100, v90, v48, -v2
	ds_read_b128 v[2:5], v58 offset:720
	ds_read_b128 v[10:13], v58 offset:736
	;; [unrolled: 1-line block ×3, first 2 shown]
	v_mov_b32_e32 v20, v53
	v_pk_add_f32 v[18:19], v[18:19], v[100:101]
	v_mov_b32_e32 v27, v21
	v_pk_mul_f32 v[20:21], v[94:95], v[20:21] op_sel:[1,0] op_sel_hi:[0,0]
	v_pk_add_f32 v[18:19], v[18:19], v[26:27]
	v_pk_fma_f32 v[26:27], v[94:95], v[52:53], v[20:21] neg_lo:[0,0,1] neg_hi:[0,0,1]
	v_pk_fma_f32 v[20:21], v[94:95], v[52:53], v[20:21] op_sel_hi:[1,0,1]
	s_nop 0
	v_mov_b32_e32 v27, v21
	s_waitcnt vmcnt(3) lgkmcnt(2)
	v_pk_mul_f32 v[20:21], v[2:3], v[34:35] op_sel:[1,1] op_sel_hi:[0,1]
	v_pk_add_f32 v[18:19], v[18:19], v[26:27]
	v_pk_fma_f32 v[26:27], v[2:3], v[34:35], v[20:21] neg_lo:[0,0,1] neg_hi:[0,0,1]
	v_pk_fma_f32 v[2:3], v[2:3], v[34:35], v[20:21] op_sel_hi:[1,0,1]
	s_nop 0
	v_mov_b32_e32 v27, v3
	v_pk_add_f32 v[2:3], v[18:19], v[26:27]
	v_mov_b32_e32 v18, v37
	v_pk_mul_f32 v[18:19], v[4:5], v[18:19] op_sel:[1,0] op_sel_hi:[0,0]
	v_pk_fma_f32 v[20:21], v[4:5], v[36:37], v[18:19] neg_lo:[0,0,1] neg_hi:[0,0,1]
	v_pk_fma_f32 v[4:5], v[4:5], v[36:37], v[18:19] op_sel_hi:[1,0,1]
	s_nop 0
	v_mov_b32_e32 v21, v5
	s_waitcnt vmcnt(2) lgkmcnt(1)
	v_pk_mul_f32 v[4:5], v[10:11], v[22:23] op_sel:[1,1] op_sel_hi:[0,1]
	v_pk_fma_f32 v[18:19], v[10:11], v[22:23], v[4:5] neg_lo:[0,0,1] neg_hi:[0,0,1]
	v_pk_fma_f32 v[4:5], v[10:11], v[22:23], v[4:5] op_sel_hi:[1,0,1]
	v_pk_add_f32 v[2:3], v[2:3], v[20:21]
	v_mov_b32_e32 v4, v25
	v_mov_b32_e32 v19, v5
	v_pk_mul_f32 v[4:5], v[12:13], v[4:5] op_sel:[1,0] op_sel_hi:[0,0]
	v_pk_fma_f32 v[10:11], v[12:13], v[24:25], v[4:5] neg_lo:[0,0,1] neg_hi:[0,0,1]
	v_pk_fma_f32 v[4:5], v[12:13], v[24:25], v[4:5] op_sel_hi:[1,0,1]
	v_pk_add_f32 v[2:3], v[2:3], v[18:19]
	v_mov_b32_e32 v11, v5
	s_waitcnt vmcnt(1) lgkmcnt(0)
	v_pk_mul_f32 v[4:5], v[14:15], v[6:7] op_sel:[1,1] op_sel_hi:[0,1]
	v_pk_add_f32 v[2:3], v[2:3], v[10:11]
	v_pk_fma_f32 v[10:11], v[14:15], v[6:7], v[4:5] neg_lo:[0,0,1] neg_hi:[0,0,1]
	v_pk_fma_f32 v[4:5], v[14:15], v[6:7], v[4:5] op_sel_hi:[1,0,1]
	s_nop 0
	v_mov_b32_e32 v4, v9
	v_mov_b32_e32 v11, v5
	v_pk_mul_f32 v[4:5], v[16:17], v[4:5] op_sel:[1,0] op_sel_hi:[0,0]
	v_pk_fma_f32 v[6:7], v[16:17], v[8:9], v[4:5] neg_lo:[0,0,1] neg_hi:[0,0,1]
	v_pk_fma_f32 v[4:5], v[16:17], v[8:9], v[4:5] op_sel_hi:[1,0,1]
	v_pk_add_f32 v[2:3], v[2:3], v[10:11]
	v_mov_b32_e32 v7, v5
	v_pk_add_f32 v[2:3], v[2:3], v[6:7]
	s_waitcnt vmcnt(0)
	v_pk_add_f32 v[2:3], v[96:97], v[2:3] neg_lo:[0,1] neg_hi:[0,1]
	scratch_store_dwordx2 off, v[2:3], off offset:168
	s_and_saveexec_b64 s[0:1], vcc
	s_cbranch_execz .LBB47_261
; %bb.260:
	scratch_load_dwordx2 v[2:3], off, off offset:160
	v_mov_b32_e32 v4, 0
	v_mov_b32_e32 v5, v4
	scratch_store_dwordx2 off, v[4:5], off offset:160
	s_waitcnt vmcnt(1)
	ds_write_b64 v1, v[2:3]
.LBB47_261:
	s_or_b64 exec, exec, s[0:1]
	s_waitcnt lgkmcnt(0)
	; wave barrier
	scratch_load_dwordx4 v[10:13], off, off offset:168
	scratch_load_dwordx4 v[30:33], off, off offset:184
	;; [unrolled: 1-line block ×13, first 2 shown]
	scratch_load_dwordx2 v[54:55], off, off offset:376
	scratch_load_dwordx2 v[80:81], off, off offset:160
	v_mov_b32_e32 v82, 0
	ds_read2_b64 v[56:59], v82 offset0:69 offset1:70
	ds_read2_b64 v[60:63], v82 offset0:71 offset1:72
	ds_read2_b64 v[64:67], v82 offset0:73 offset1:74
	ds_read2_b64 v[68:71], v82 offset0:75 offset1:76
	ds_read2_b64 v[72:75], v82 offset0:77 offset1:78
	ds_read2_b64 v[76:79], v82 offset0:79 offset1:80
	ds_read2_b64 v[84:87], v82 offset0:81 offset1:82
	ds_read2_b64 v[88:91], v82 offset0:83 offset1:84
	ds_read2_b64 v[92:95], v82 offset0:85 offset1:86
	ds_read2_b64 v[96:99], v82 offset0:87 offset1:88
	v_cmp_lt_u32_e32 vcc, 19, v0
	s_waitcnt vmcnt(14) lgkmcnt(9)
	v_mul_f32_e32 v83, v56, v11
	v_mul_f32_e32 v100, v58, v13
	s_waitcnt vmcnt(12) lgkmcnt(7)
	v_mul_f32_e32 v105, v64, v3
	v_mul_f32_e32 v3, v65, v3
	v_fmac_f32_e32 v83, v57, v10
	v_mul_f32_e32 v102, v60, v31
	v_fmac_f32_e32 v100, v59, v12
	v_fmac_f32_e32 v105, v65, v2
	v_fma_f32 v2, v64, v2, -v3
	v_add_f32_e32 v3, 0, v83
	v_mul_f32_e32 v104, v62, v33
	v_fmac_f32_e32 v102, v61, v30
	v_add_f32_e32 v3, v3, v100
	v_fmac_f32_e32 v104, v63, v32
	v_add_f32_e32 v3, v3, v102
	v_mul_f32_e32 v106, v66, v5
	v_add_f32_e32 v3, v3, v104
	s_waitcnt vmcnt(11) lgkmcnt(6)
	v_mul_f32_e32 v107, v68, v7
	v_fmac_f32_e32 v106, v67, v4
	v_add_f32_e32 v3, v3, v105
	v_mul_f32_e32 v108, v70, v9
	v_fmac_f32_e32 v107, v69, v6
	v_add_f32_e32 v3, v3, v106
	s_waitcnt vmcnt(10) lgkmcnt(5)
	v_mul_f32_e32 v109, v72, v19
	v_fmac_f32_e32 v108, v71, v8
	v_add_f32_e32 v3, v3, v107
	v_mul_f32_e32 v110, v74, v21
	v_fmac_f32_e32 v109, v73, v18
	;; [unrolled: 7-line block ×3, first 2 shown]
	v_add_f32_e32 v3, v3, v110
	s_waitcnt vmcnt(8) lgkmcnt(3)
	v_mul_f32_e32 v113, v84, v35
	v_mul_f32_e32 v11, v57, v11
	v_fmac_f32_e32 v112, v79, v24
	v_add_f32_e32 v3, v3, v111
	v_mul_f32_e32 v114, v86, v37
	v_mul_f32_e32 v13, v59, v13
	v_fmac_f32_e32 v113, v85, v34
	v_fma_f32 v10, v56, v10, -v11
	v_add_f32_e32 v3, v3, v112
	s_waitcnt vmcnt(7) lgkmcnt(2)
	v_mul_f32_e32 v115, v88, v39
	v_mul_f32_e32 v31, v61, v31
	v_fmac_f32_e32 v114, v87, v36
	v_fma_f32 v11, v58, v12, -v13
	v_add_f32_e32 v10, 0, v10
	v_add_f32_e32 v3, v3, v113
	v_mul_f32_e32 v116, v90, v41
	v_mul_f32_e32 v33, v63, v33
	v_fmac_f32_e32 v115, v89, v38
	v_fma_f32 v12, v60, v30, -v31
	v_add_f32_e32 v10, v10, v11
	v_add_f32_e32 v3, v3, v114
	s_waitcnt vmcnt(6) lgkmcnt(1)
	v_mul_f32_e32 v117, v92, v51
	v_fmac_f32_e32 v116, v91, v40
	v_fma_f32 v13, v62, v32, -v33
	v_add_f32_e32 v10, v10, v12
	v_add_f32_e32 v3, v3, v115
	v_mul_f32_e32 v5, v67, v5
	v_fmac_f32_e32 v117, v93, v50
	v_add_f32_e32 v10, v10, v13
	v_add_f32_e32 v3, v3, v116
	;; [unrolled: 1-line block ×4, first 2 shown]
	v_fma_f32 v3, v66, v4, -v5
	v_add_f32_e32 v2, v2, v3
	v_mul_f32_e32 v3, v69, v7
	v_fma_f32 v3, v68, v6, -v3
	v_add_f32_e32 v2, v2, v3
	v_mul_f32_e32 v3, v71, v9
	;; [unrolled: 3-line block ×12, first 2 shown]
	v_mul_f32_e32 v101, v94, v53
	v_fma_f32 v100, v94, v52, -v2
	s_waitcnt vmcnt(5) lgkmcnt(0)
	v_mul_f32_e32 v2, v97, v47
	v_mov_b32_e32 v22, v49
	v_mul_f32_e32 v103, v96, v47
	v_fmac_f32_e32 v101, v95, v52
	v_fma_f32 v102, v96, v46, -v2
	ds_read2_b64 v[2:5], v82 offset0:89 offset1:90
	ds_read2_b64 v[6:9], v82 offset0:91 offset1:92
	;; [unrolled: 1-line block ×3, first 2 shown]
	ds_read_b64 v[18:19], v82 offset:760
	v_pk_mul_f32 v[22:23], v[98:99], v[22:23] op_sel:[1,0] op_sel_hi:[0,0]
	v_fmac_f32_e32 v103, v97, v46
	v_pk_add_f32 v[20:21], v[30:31], v[100:101]
	v_pk_fma_f32 v[24:25], v[98:99], v[48:49], v[22:23] neg_lo:[0,0,1] neg_hi:[0,0,1]
	v_pk_fma_f32 v[22:23], v[98:99], v[48:49], v[22:23] op_sel_hi:[1,0,1]
	v_pk_add_f32 v[20:21], v[20:21], v[102:103]
	v_mov_b32_e32 v25, v23
	s_waitcnt vmcnt(4) lgkmcnt(3)
	v_pk_mul_f32 v[22:23], v[2:3], v[42:43] op_sel:[1,1] op_sel_hi:[0,1]
	v_pk_add_f32 v[20:21], v[20:21], v[24:25]
	v_pk_fma_f32 v[24:25], v[2:3], v[42:43], v[22:23] neg_lo:[0,0,1] neg_hi:[0,0,1]
	v_pk_fma_f32 v[2:3], v[2:3], v[42:43], v[22:23] op_sel_hi:[1,0,1]
	s_nop 0
	v_mov_b32_e32 v25, v3
	v_pk_add_f32 v[2:3], v[20:21], v[24:25]
	v_mov_b32_e32 v20, v45
	v_pk_mul_f32 v[20:21], v[4:5], v[20:21] op_sel:[1,0] op_sel_hi:[0,0]
	v_pk_fma_f32 v[22:23], v[4:5], v[44:45], v[20:21] neg_lo:[0,0,1] neg_hi:[0,0,1]
	v_pk_fma_f32 v[4:5], v[4:5], v[44:45], v[20:21] op_sel_hi:[1,0,1]
	s_nop 0
	v_mov_b32_e32 v23, v5
	s_waitcnt vmcnt(3) lgkmcnt(2)
	v_pk_mul_f32 v[4:5], v[6:7], v[26:27] op_sel:[1,1] op_sel_hi:[0,1]
	v_pk_fma_f32 v[20:21], v[6:7], v[26:27], v[4:5] neg_lo:[0,0,1] neg_hi:[0,0,1]
	v_pk_fma_f32 v[4:5], v[6:7], v[26:27], v[4:5] op_sel_hi:[1,0,1]
	v_pk_add_f32 v[2:3], v[2:3], v[22:23]
	v_mov_b32_e32 v4, v29
	v_mov_b32_e32 v21, v5
	v_pk_mul_f32 v[4:5], v[8:9], v[4:5] op_sel:[1,0] op_sel_hi:[0,0]
	v_pk_fma_f32 v[6:7], v[8:9], v[28:29], v[4:5] neg_lo:[0,0,1] neg_hi:[0,0,1]
	v_pk_fma_f32 v[4:5], v[8:9], v[28:29], v[4:5] op_sel_hi:[1,0,1]
	v_pk_add_f32 v[2:3], v[2:3], v[20:21]
	v_mov_b32_e32 v7, v5
	s_waitcnt vmcnt(2) lgkmcnt(1)
	v_pk_mul_f32 v[4:5], v[10:11], v[14:15] op_sel:[1,1] op_sel_hi:[0,1]
	v_pk_add_f32 v[2:3], v[2:3], v[6:7]
	v_pk_fma_f32 v[6:7], v[10:11], v[14:15], v[4:5] neg_lo:[0,0,1] neg_hi:[0,0,1]
	v_pk_fma_f32 v[4:5], v[10:11], v[14:15], v[4:5] op_sel_hi:[1,0,1]
	s_nop 0
	v_mov_b32_e32 v4, v17
	v_mov_b32_e32 v7, v5
	v_pk_mul_f32 v[4:5], v[12:13], v[4:5] op_sel:[1,0] op_sel_hi:[0,0]
	v_pk_add_f32 v[2:3], v[2:3], v[6:7]
	v_pk_fma_f32 v[6:7], v[12:13], v[16:17], v[4:5] neg_lo:[0,0,1] neg_hi:[0,0,1]
	v_pk_fma_f32 v[4:5], v[12:13], v[16:17], v[4:5] op_sel_hi:[1,0,1]
	s_nop 0
	v_mov_b32_e32 v7, v5
	s_waitcnt vmcnt(1) lgkmcnt(0)
	v_pk_mul_f32 v[4:5], v[18:19], v[54:55] op_sel:[1,1] op_sel_hi:[0,1]
	v_pk_add_f32 v[2:3], v[2:3], v[6:7]
	v_pk_fma_f32 v[6:7], v[18:19], v[54:55], v[4:5] neg_lo:[0,0,1] neg_hi:[0,0,1]
	v_pk_fma_f32 v[4:5], v[18:19], v[54:55], v[4:5] op_sel_hi:[1,0,1]
	s_nop 0
	v_mov_b32_e32 v7, v5
	v_pk_add_f32 v[2:3], v[2:3], v[6:7]
	s_waitcnt vmcnt(0)
	v_pk_add_f32 v[2:3], v[80:81], v[2:3] neg_lo:[0,1] neg_hi:[0,1]
	scratch_store_dwordx2 off, v[2:3], off offset:160
	s_and_saveexec_b64 s[0:1], vcc
	s_cbranch_execz .LBB47_263
; %bb.262:
	scratch_load_dwordx2 v[2:3], off, off offset:152
	v_mov_b32_e32 v83, v82
	scratch_store_dwordx2 off, v[82:83], off offset:152
	s_waitcnt vmcnt(1)
	ds_write_b64 v1, v[2:3]
.LBB47_263:
	s_or_b64 exec, exec, s[0:1]
	s_waitcnt lgkmcnt(0)
	; wave barrier
	scratch_load_dwordx4 v[18:21], off, off offset:160
	scratch_load_dwordx4 v[34:37], off, off offset:176
	;; [unrolled: 1-line block ×10, first 2 shown]
	ds_read_b128 v[84:87], v82 offset:544
	ds_read_b128 v[88:91], v82 offset:560
	;; [unrolled: 1-line block ×10, first 2 shown]
	scratch_load_dwordx4 v[54:57], off, off offset:320
	scratch_load_dwordx4 v[46:49], off, off offset:336
	;; [unrolled: 1-line block ×4, first 2 shown]
	scratch_load_dwordx2 v[100:101], off, off offset:152
	v_cmp_lt_u32_e32 vcc, 18, v0
	s_waitcnt vmcnt(14) lgkmcnt(9)
	v_mul_f32_e32 v83, v84, v19
	v_mul_f32_e32 v102, v86, v21
	s_waitcnt vmcnt(12) lgkmcnt(7)
	v_mul_f32_e32 v107, v92, v3
	v_mul_f32_e32 v3, v93, v3
	v_fmac_f32_e32 v83, v85, v18
	v_mul_f32_e32 v104, v88, v35
	v_fmac_f32_e32 v102, v87, v20
	v_fmac_f32_e32 v107, v93, v2
	v_fma_f32 v2, v92, v2, -v3
	v_add_f32_e32 v3, 0, v83
	v_mul_f32_e32 v106, v90, v37
	v_fmac_f32_e32 v104, v89, v34
	v_add_f32_e32 v3, v3, v102
	v_fmac_f32_e32 v106, v91, v36
	v_add_f32_e32 v3, v3, v104
	v_mul_f32_e32 v108, v94, v5
	v_add_f32_e32 v3, v3, v106
	s_waitcnt vmcnt(11) lgkmcnt(6)
	v_mul_f32_e32 v109, v96, v7
	v_fmac_f32_e32 v108, v95, v4
	v_add_f32_e32 v3, v3, v107
	v_mul_f32_e32 v110, v98, v9
	v_fmac_f32_e32 v109, v97, v6
	v_add_f32_e32 v3, v3, v108
	s_waitcnt vmcnt(10) lgkmcnt(5)
	v_mul_f32_e32 v111, v78, v11
	v_fmac_f32_e32 v110, v99, v8
	v_add_f32_e32 v3, v3, v109
	v_mul_f32_e32 v112, v80, v13
	v_fmac_f32_e32 v111, v79, v10
	;; [unrolled: 7-line block ×4, first 2 shown]
	v_add_f32_e32 v3, v3, v114
	s_waitcnt vmcnt(7) lgkmcnt(2)
	v_mul_f32_e32 v117, v66, v39
	v_mul_f32_e32 v19, v85, v19
	v_fmac_f32_e32 v116, v73, v28
	v_add_f32_e32 v3, v3, v115
	v_mul_f32_e32 v118, v68, v41
	v_mul_f32_e32 v21, v87, v21
	v_fmac_f32_e32 v117, v67, v38
	v_fma_f32 v18, v84, v18, -v19
	v_add_f32_e32 v3, v3, v116
	s_waitcnt vmcnt(6) lgkmcnt(1)
	v_mul_f32_e32 v119, v62, v43
	v_mul_f32_e32 v35, v89, v35
	v_fmac_f32_e32 v118, v69, v40
	v_fma_f32 v19, v86, v20, -v21
	v_add_f32_e32 v18, 0, v18
	v_add_f32_e32 v3, v3, v117
	v_mul_f32_e32 v120, v64, v45
	v_mul_f32_e32 v37, v91, v37
	v_fmac_f32_e32 v119, v63, v42
	v_fma_f32 v20, v88, v34, -v35
	v_add_f32_e32 v18, v18, v19
	v_add_f32_e32 v3, v3, v118
	v_fmac_f32_e32 v120, v65, v44
	v_fma_f32 v21, v90, v36, -v37
	v_add_f32_e32 v18, v18, v20
	v_add_f32_e32 v3, v3, v119
	v_add_f32_e32 v18, v18, v21
	v_add_f32_e32 v35, v3, v120
	v_mul_f32_e32 v3, v95, v5
	v_add_f32_e32 v2, v18, v2
	v_fma_f32 v3, v94, v4, -v3
	v_add_f32_e32 v2, v2, v3
	v_mul_f32_e32 v3, v97, v7
	v_fma_f32 v3, v96, v6, -v3
	v_add_f32_e32 v2, v2, v3
	v_mul_f32_e32 v3, v99, v9
	;; [unrolled: 3-line block ×12, first 2 shown]
	v_fma_f32 v3, v64, v44, -v3
	v_add_f32_e32 v34, v2, v3
	s_waitcnt vmcnt(5) lgkmcnt(0)
	v_mul_f32_e32 v2, v59, v51
	v_fma_f32 v102, v58, v50, -v2
	v_mul_f32_e32 v2, v61, v53
	v_fma_f32 v104, v60, v52, -v2
	ds_read_b128 v[2:5], v82 offset:704
	ds_read_b128 v[6:9], v82 offset:720
	;; [unrolled: 1-line block ×4, first 2 shown]
	v_mul_f32_e32 v103, v58, v51
	v_mul_f32_e32 v105, v60, v53
	v_fmac_f32_e32 v103, v59, v50
	s_waitcnt vmcnt(4) lgkmcnt(3)
	v_pk_mul_f32 v[24:25], v[2:3], v[54:55] op_sel:[1,1] op_sel_hi:[0,1]
	v_fmac_f32_e32 v105, v61, v52
	v_pk_add_f32 v[22:23], v[34:35], v[102:103]
	v_pk_fma_f32 v[26:27], v[2:3], v[54:55], v[24:25] neg_lo:[0,0,1] neg_hi:[0,0,1]
	v_pk_fma_f32 v[2:3], v[2:3], v[54:55], v[24:25] op_sel_hi:[1,0,1]
	v_pk_add_f32 v[22:23], v[22:23], v[104:105]
	v_mov_b32_e32 v27, v3
	v_pk_add_f32 v[2:3], v[22:23], v[26:27]
	v_mov_b32_e32 v22, v57
	v_pk_mul_f32 v[22:23], v[4:5], v[22:23] op_sel:[1,0] op_sel_hi:[0,0]
	v_pk_fma_f32 v[24:25], v[4:5], v[56:57], v[22:23] neg_lo:[0,0,1] neg_hi:[0,0,1]
	v_pk_fma_f32 v[4:5], v[4:5], v[56:57], v[22:23] op_sel_hi:[1,0,1]
	s_nop 0
	v_mov_b32_e32 v25, v5
	s_waitcnt vmcnt(3) lgkmcnt(2)
	v_pk_mul_f32 v[4:5], v[6:7], v[46:47] op_sel:[1,1] op_sel_hi:[0,1]
	v_pk_fma_f32 v[22:23], v[6:7], v[46:47], v[4:5] neg_lo:[0,0,1] neg_hi:[0,0,1]
	v_pk_fma_f32 v[4:5], v[6:7], v[46:47], v[4:5] op_sel_hi:[1,0,1]
	v_pk_add_f32 v[2:3], v[2:3], v[24:25]
	v_mov_b32_e32 v4, v49
	v_mov_b32_e32 v23, v5
	v_pk_mul_f32 v[4:5], v[8:9], v[4:5] op_sel:[1,0] op_sel_hi:[0,0]
	v_pk_fma_f32 v[6:7], v[8:9], v[48:49], v[4:5] neg_lo:[0,0,1] neg_hi:[0,0,1]
	v_pk_fma_f32 v[4:5], v[8:9], v[48:49], v[4:5] op_sel_hi:[1,0,1]
	v_pk_add_f32 v[2:3], v[2:3], v[22:23]
	v_mov_b32_e32 v7, v5
	s_waitcnt vmcnt(2) lgkmcnt(1)
	v_pk_mul_f32 v[4:5], v[10:11], v[30:31] op_sel:[1,1] op_sel_hi:[0,1]
	v_pk_add_f32 v[2:3], v[2:3], v[6:7]
	v_pk_fma_f32 v[6:7], v[10:11], v[30:31], v[4:5] neg_lo:[0,0,1] neg_hi:[0,0,1]
	v_pk_fma_f32 v[4:5], v[10:11], v[30:31], v[4:5] op_sel_hi:[1,0,1]
	s_nop 0
	v_mov_b32_e32 v4, v33
	v_mov_b32_e32 v7, v5
	v_pk_mul_f32 v[4:5], v[12:13], v[4:5] op_sel:[1,0] op_sel_hi:[0,0]
	v_pk_add_f32 v[2:3], v[2:3], v[6:7]
	v_pk_fma_f32 v[6:7], v[12:13], v[32:33], v[4:5] neg_lo:[0,0,1] neg_hi:[0,0,1]
	v_pk_fma_f32 v[4:5], v[12:13], v[32:33], v[4:5] op_sel_hi:[1,0,1]
	s_nop 0
	v_mov_b32_e32 v7, v5
	s_waitcnt vmcnt(1) lgkmcnt(0)
	v_pk_mul_f32 v[4:5], v[18:19], v[14:15] op_sel:[1,1] op_sel_hi:[0,1]
	v_pk_add_f32 v[2:3], v[2:3], v[6:7]
	v_pk_fma_f32 v[6:7], v[18:19], v[14:15], v[4:5] neg_lo:[0,0,1] neg_hi:[0,0,1]
	v_pk_fma_f32 v[4:5], v[18:19], v[14:15], v[4:5] op_sel_hi:[1,0,1]
	s_nop 0
	v_mov_b32_e32 v4, v17
	v_mov_b32_e32 v7, v5
	v_pk_mul_f32 v[4:5], v[20:21], v[4:5] op_sel:[1,0] op_sel_hi:[0,0]
	v_pk_add_f32 v[2:3], v[2:3], v[6:7]
	v_pk_fma_f32 v[6:7], v[20:21], v[16:17], v[4:5] neg_lo:[0,0,1] neg_hi:[0,0,1]
	v_pk_fma_f32 v[4:5], v[20:21], v[16:17], v[4:5] op_sel_hi:[1,0,1]
	s_nop 0
	v_mov_b32_e32 v7, v5
	v_pk_add_f32 v[2:3], v[2:3], v[6:7]
	s_waitcnt vmcnt(0)
	v_pk_add_f32 v[2:3], v[100:101], v[2:3] neg_lo:[0,1] neg_hi:[0,1]
	scratch_store_dwordx2 off, v[2:3], off offset:152
	s_and_saveexec_b64 s[0:1], vcc
	s_cbranch_execz .LBB47_265
; %bb.264:
	scratch_load_dwordx2 v[2:3], off, off offset:144
	v_mov_b32_e32 v4, 0
	v_mov_b32_e32 v5, v4
	scratch_store_dwordx2 off, v[4:5], off offset:144
	s_waitcnt vmcnt(1)
	ds_write_b64 v1, v[2:3]
.LBB47_265:
	s_or_b64 exec, exec, s[0:1]
	s_waitcnt lgkmcnt(0)
	; wave barrier
	scratch_load_dwordx4 v[18:21], off, off offset:152
	scratch_load_dwordx4 v[2:5], off, off offset:168
	;; [unrolled: 1-line block ×14, first 2 shown]
	scratch_load_dwordx2 v[58:59], off, off offset:376
	scratch_load_dwordx2 v[100:101], off, off offset:144
	v_mov_b32_e32 v102, 0
	ds_read2_b64 v[60:63], v102 offset0:67 offset1:68
	ds_read2_b64 v[64:67], v102 offset0:69 offset1:70
	;; [unrolled: 1-line block ×12, first 2 shown]
	v_cmp_lt_u32_e32 vcc, 17, v0
	s_waitcnt vmcnt(15) lgkmcnt(11)
	v_mul_f32_e32 v103, v60, v19
	v_mul_f32_e32 v112, v62, v21
	s_waitcnt vmcnt(14) lgkmcnt(10)
	v_mul_f32_e32 v114, v64, v3
	v_mul_f32_e32 v3, v65, v3
	v_fmac_f32_e32 v103, v61, v18
	v_fmac_f32_e32 v112, v63, v20
	;; [unrolled: 1-line block ×3, first 2 shown]
	v_fma_f32 v2, v64, v2, -v3
	v_add_f32_e32 v3, 0, v103
	v_mul_f32_e32 v116, v66, v5
	v_add_f32_e32 v3, v3, v112
	s_waitcnt vmcnt(13) lgkmcnt(9)
	v_mul_f32_e32 v117, v68, v7
	v_fmac_f32_e32 v116, v67, v4
	v_add_f32_e32 v3, v3, v114
	v_mul_f32_e32 v118, v70, v9
	v_fmac_f32_e32 v117, v69, v6
	v_add_f32_e32 v3, v3, v116
	s_waitcnt vmcnt(12) lgkmcnt(8)
	v_mul_f32_e32 v119, v72, v11
	v_fmac_f32_e32 v118, v71, v8
	v_add_f32_e32 v3, v3, v117
	v_mul_f32_e32 v120, v74, v13
	v_fmac_f32_e32 v119, v73, v10
	;; [unrolled: 7-line block ×6, first 2 shown]
	v_add_f32_e32 v3, v3, v126
	s_waitcnt vmcnt(7) lgkmcnt(3)
	v_mul_f32_e32 v129, v92, v43
	v_fmac_f32_e32 v128, v91, v40
	v_add_f32_e32 v3, v3, v127
	v_mul_f32_e32 v130, v94, v45
	v_mul_f32_e32 v19, v61, v19
	v_fmac_f32_e32 v129, v93, v42
	v_add_f32_e32 v3, v3, v128
	s_waitcnt vmcnt(6) lgkmcnt(2)
	v_mul_f32_e32 v131, v96, v51
	v_mul_f32_e32 v21, v63, v21
	v_fmac_f32_e32 v130, v95, v44
	v_fma_f32 v18, v60, v18, -v19
	v_add_f32_e32 v3, v3, v129
	v_fmac_f32_e32 v131, v97, v50
	v_fma_f32 v19, v62, v20, -v21
	v_add_f32_e32 v18, 0, v18
	v_add_f32_e32 v3, v3, v130
	;; [unrolled: 1-line block ×4, first 2 shown]
	v_mul_f32_e32 v3, v67, v5
	v_add_f32_e32 v2, v18, v2
	v_fma_f32 v3, v66, v4, -v3
	v_add_f32_e32 v2, v2, v3
	v_mul_f32_e32 v3, v69, v7
	v_fma_f32 v3, v68, v6, -v3
	v_add_f32_e32 v2, v2, v3
	v_mul_f32_e32 v3, v71, v9
	;; [unrolled: 3-line block ×15, first 2 shown]
	v_fma_f32 v3, v96, v50, -v3
	v_mul_f32_e32 v113, v98, v53
	v_add_f32_e32 v18, v2, v3
	v_mul_f32_e32 v2, v99, v53
	s_waitcnt vmcnt(5)
	v_mov_b32_e32 v14, v57
	s_waitcnt lgkmcnt(1)
	v_mul_f32_e32 v115, v104, v55
	v_fmac_f32_e32 v113, v99, v52
	v_fma_f32 v112, v98, v52, -v2
	v_mul_f32_e32 v2, v105, v55
	v_pk_mul_f32 v[14:15], v[106:107], v[14:15] op_sel:[1,0] op_sel_hi:[0,0]
	v_fmac_f32_e32 v115, v105, v54
	v_fma_f32 v114, v104, v54, -v2
	v_pk_add_f32 v[12:13], v[18:19], v[112:113]
	v_pk_fma_f32 v[16:17], v[106:107], v[56:57], v[14:15] neg_lo:[0,0,1] neg_hi:[0,0,1]
	v_pk_fma_f32 v[14:15], v[106:107], v[56:57], v[14:15] op_sel_hi:[1,0,1]
	v_pk_add_f32 v[12:13], v[12:13], v[114:115]
	v_mov_b32_e32 v17, v15
	s_waitcnt vmcnt(4) lgkmcnt(0)
	v_pk_mul_f32 v[14:15], v[108:109], v[46:47] op_sel:[1,1] op_sel_hi:[0,1]
	v_pk_add_f32 v[12:13], v[12:13], v[16:17]
	v_pk_fma_f32 v[16:17], v[108:109], v[46:47], v[14:15] neg_lo:[0,0,1] neg_hi:[0,0,1]
	v_pk_fma_f32 v[14:15], v[108:109], v[46:47], v[14:15] op_sel_hi:[1,0,1]
	ds_read2_b64 v[2:5], v102 offset0:91 offset1:92
	ds_read2_b64 v[6:9], v102 offset0:93 offset1:94
	ds_read_b64 v[10:11], v102 offset:760
	v_mov_b32_e32 v14, v49
	v_mov_b32_e32 v17, v15
	v_pk_mul_f32 v[14:15], v[110:111], v[14:15] op_sel:[1,0] op_sel_hi:[0,0]
	v_pk_add_f32 v[12:13], v[12:13], v[16:17]
	v_pk_fma_f32 v[16:17], v[110:111], v[48:49], v[14:15] neg_lo:[0,0,1] neg_hi:[0,0,1]
	v_pk_fma_f32 v[14:15], v[110:111], v[48:49], v[14:15] op_sel_hi:[1,0,1]
	s_nop 0
	v_mov_b32_e32 v17, v15
	s_waitcnt vmcnt(3) lgkmcnt(2)
	v_pk_mul_f32 v[14:15], v[2:3], v[34:35] op_sel:[1,1] op_sel_hi:[0,1]
	v_pk_add_f32 v[12:13], v[12:13], v[16:17]
	v_pk_fma_f32 v[16:17], v[2:3], v[34:35], v[14:15] neg_lo:[0,0,1] neg_hi:[0,0,1]
	v_pk_fma_f32 v[2:3], v[2:3], v[34:35], v[14:15] op_sel_hi:[1,0,1]
	s_nop 0
	v_mov_b32_e32 v17, v3
	v_pk_add_f32 v[2:3], v[12:13], v[16:17]
	v_mov_b32_e32 v12, v37
	v_pk_mul_f32 v[12:13], v[4:5], v[12:13] op_sel:[1,0] op_sel_hi:[0,0]
	v_pk_fma_f32 v[14:15], v[4:5], v[36:37], v[12:13] neg_lo:[0,0,1] neg_hi:[0,0,1]
	v_pk_fma_f32 v[4:5], v[4:5], v[36:37], v[12:13] op_sel_hi:[1,0,1]
	s_nop 0
	v_mov_b32_e32 v15, v5
	s_waitcnt vmcnt(2) lgkmcnt(1)
	v_pk_mul_f32 v[4:5], v[6:7], v[22:23] op_sel:[1,1] op_sel_hi:[0,1]
	v_pk_fma_f32 v[12:13], v[6:7], v[22:23], v[4:5] neg_lo:[0,0,1] neg_hi:[0,0,1]
	v_pk_fma_f32 v[4:5], v[6:7], v[22:23], v[4:5] op_sel_hi:[1,0,1]
	v_pk_add_f32 v[2:3], v[2:3], v[14:15]
	v_mov_b32_e32 v4, v25
	v_mov_b32_e32 v13, v5
	v_pk_mul_f32 v[4:5], v[8:9], v[4:5] op_sel:[1,0] op_sel_hi:[0,0]
	v_pk_fma_f32 v[6:7], v[8:9], v[24:25], v[4:5] neg_lo:[0,0,1] neg_hi:[0,0,1]
	v_pk_fma_f32 v[4:5], v[8:9], v[24:25], v[4:5] op_sel_hi:[1,0,1]
	v_pk_add_f32 v[2:3], v[2:3], v[12:13]
	v_mov_b32_e32 v7, v5
	s_waitcnt vmcnt(1) lgkmcnt(0)
	v_pk_mul_f32 v[4:5], v[10:11], v[58:59] op_sel:[1,1] op_sel_hi:[0,1]
	v_pk_add_f32 v[2:3], v[2:3], v[6:7]
	v_pk_fma_f32 v[6:7], v[10:11], v[58:59], v[4:5] neg_lo:[0,0,1] neg_hi:[0,0,1]
	v_pk_fma_f32 v[4:5], v[10:11], v[58:59], v[4:5] op_sel_hi:[1,0,1]
	s_nop 0
	v_mov_b32_e32 v7, v5
	v_pk_add_f32 v[2:3], v[2:3], v[6:7]
	s_waitcnt vmcnt(0)
	v_pk_add_f32 v[2:3], v[100:101], v[2:3] neg_lo:[0,1] neg_hi:[0,1]
	scratch_store_dwordx2 off, v[2:3], off offset:144
	s_and_saveexec_b64 s[0:1], vcc
	s_cbranch_execz .LBB47_267
; %bb.266:
	scratch_load_dwordx2 v[2:3], off, off offset:136
	v_mov_b32_e32 v103, v102
	scratch_store_dwordx2 off, v[102:103], off offset:136
	s_waitcnt vmcnt(1)
	ds_write_b64 v1, v[2:3]
.LBB47_267:
	s_or_b64 exec, exec, s[0:1]
	s_waitcnt lgkmcnt(0)
	; wave barrier
	scratch_load_dwordx4 v[22:25], off, off offset:144
	scratch_load_dwordx4 v[2:5], off, off offset:160
	;; [unrolled: 1-line block ×11, first 2 shown]
	ds_read_b128 v[104:107], v102 offset:528
	ds_read_b128 v[98:101], v102 offset:544
	;; [unrolled: 1-line block ×10, first 2 shown]
	scratch_load_dwordx4 v[58:61], off, off offset:320
	scratch_load_dwordx4 v[50:53], off, off offset:336
	;; [unrolled: 1-line block ×4, first 2 shown]
	ds_read_b128 v[78:81], v102 offset:688
	ds_read_b128 v[108:111], v102 offset:704
	scratch_load_dwordx2 v[112:113], off, off offset:136
	v_cmp_lt_u32_e32 vcc, 16, v0
	s_waitcnt vmcnt(15) lgkmcnt(11)
	v_mul_f32_e32 v103, v104, v23
	v_mul_f32_e32 v114, v106, v25
	s_waitcnt vmcnt(14) lgkmcnt(10)
	v_mul_f32_e32 v116, v98, v3
	v_mul_f32_e32 v3, v99, v3
	v_fmac_f32_e32 v103, v105, v22
	v_fmac_f32_e32 v114, v107, v24
	v_fmac_f32_e32 v116, v99, v2
	v_fma_f32 v2, v98, v2, -v3
	v_add_f32_e32 v3, 0, v103
	v_mul_f32_e32 v118, v100, v5
	v_add_f32_e32 v3, v3, v114
	s_waitcnt vmcnt(13) lgkmcnt(9)
	v_mul_f32_e32 v119, v94, v7
	v_fmac_f32_e32 v118, v101, v4
	v_add_f32_e32 v3, v3, v116
	v_mul_f32_e32 v120, v96, v9
	v_fmac_f32_e32 v119, v95, v6
	v_add_f32_e32 v3, v3, v118
	s_waitcnt vmcnt(12) lgkmcnt(8)
	v_mul_f32_e32 v121, v90, v11
	v_fmac_f32_e32 v120, v97, v8
	v_add_f32_e32 v3, v3, v119
	v_mul_f32_e32 v122, v92, v13
	v_fmac_f32_e32 v121, v91, v10
	v_add_f32_e32 v3, v3, v120
	s_waitcnt vmcnt(11) lgkmcnt(7)
	v_mul_f32_e32 v123, v86, v15
	v_fmac_f32_e32 v122, v93, v12
	v_add_f32_e32 v3, v3, v121
	v_mul_f32_e32 v124, v88, v17
	v_fmac_f32_e32 v123, v87, v14
	v_add_f32_e32 v3, v3, v122
	s_waitcnt vmcnt(10) lgkmcnt(6)
	v_mul_f32_e32 v125, v82, v19
	v_fmac_f32_e32 v124, v89, v16
	v_add_f32_e32 v3, v3, v123
	v_mul_f32_e32 v126, v84, v21
	v_fmac_f32_e32 v125, v83, v18
	v_add_f32_e32 v3, v3, v124
	s_waitcnt vmcnt(9) lgkmcnt(5)
	v_mul_f32_e32 v127, v74, v31
	v_fmac_f32_e32 v126, v85, v20
	v_add_f32_e32 v3, v3, v125
	v_mul_f32_e32 v128, v76, v33
	v_fmac_f32_e32 v127, v75, v30
	v_add_f32_e32 v3, v3, v126
	s_waitcnt vmcnt(8) lgkmcnt(4)
	v_mul_f32_e32 v129, v70, v35
	v_fmac_f32_e32 v128, v77, v32
	v_add_f32_e32 v3, v3, v127
	v_mul_f32_e32 v130, v72, v37
	v_fmac_f32_e32 v129, v71, v34
	v_add_f32_e32 v3, v3, v128
	s_waitcnt vmcnt(7) lgkmcnt(3)
	v_mul_f32_e32 v131, v66, v43
	v_fmac_f32_e32 v130, v73, v36
	v_add_f32_e32 v3, v3, v129
	v_mul_f32_e32 v132, v68, v45
	v_fmac_f32_e32 v131, v67, v42
	v_add_f32_e32 v3, v3, v130
	s_waitcnt vmcnt(6) lgkmcnt(2)
	v_mul_f32_e32 v133, v62, v47
	v_mul_f32_e32 v23, v105, v23
	v_fmac_f32_e32 v132, v69, v44
	v_add_f32_e32 v3, v3, v131
	v_mul_f32_e32 v134, v64, v49
	v_mul_f32_e32 v25, v107, v25
	v_fmac_f32_e32 v133, v63, v46
	v_fma_f32 v22, v104, v22, -v23
	v_add_f32_e32 v3, v3, v132
	v_fmac_f32_e32 v134, v65, v48
	v_fma_f32 v23, v106, v24, -v25
	v_add_f32_e32 v22, 0, v22
	v_add_f32_e32 v3, v3, v133
	;; [unrolled: 1-line block ×4, first 2 shown]
	v_mul_f32_e32 v3, v101, v5
	v_add_f32_e32 v2, v22, v2
	v_fma_f32 v3, v100, v4, -v3
	v_add_f32_e32 v2, v2, v3
	v_mul_f32_e32 v3, v95, v7
	v_fma_f32 v3, v94, v6, -v3
	v_add_f32_e32 v2, v2, v3
	v_mul_f32_e32 v3, v97, v9
	v_fma_f32 v3, v96, v8, -v3
	v_add_f32_e32 v2, v2, v3
	v_mul_f32_e32 v3, v91, v11
	v_fma_f32 v3, v90, v10, -v3
	v_add_f32_e32 v2, v2, v3
	v_mul_f32_e32 v3, v93, v13
	v_fma_f32 v3, v92, v12, -v3
	v_add_f32_e32 v2, v2, v3
	v_mul_f32_e32 v3, v87, v15
	v_fma_f32 v3, v86, v14, -v3
	v_add_f32_e32 v2, v2, v3
	v_mul_f32_e32 v3, v89, v17
	v_fma_f32 v3, v88, v16, -v3
	v_add_f32_e32 v2, v2, v3
	v_mul_f32_e32 v3, v83, v19
	v_fma_f32 v3, v82, v18, -v3
	v_add_f32_e32 v2, v2, v3
	v_mul_f32_e32 v3, v85, v21
	v_fma_f32 v3, v84, v20, -v3
	v_add_f32_e32 v2, v2, v3
	v_mul_f32_e32 v3, v75, v31
	v_fma_f32 v3, v74, v30, -v3
	v_add_f32_e32 v2, v2, v3
	v_mul_f32_e32 v3, v77, v33
	v_fma_f32 v3, v76, v32, -v3
	v_add_f32_e32 v2, v2, v3
	v_mul_f32_e32 v3, v71, v35
	v_fma_f32 v3, v70, v34, -v3
	v_add_f32_e32 v2, v2, v3
	v_mul_f32_e32 v3, v73, v37
	v_fma_f32 v3, v72, v36, -v3
	v_add_f32_e32 v2, v2, v3
	v_mul_f32_e32 v3, v67, v43
	v_fma_f32 v3, v66, v42, -v3
	v_add_f32_e32 v2, v2, v3
	v_mul_f32_e32 v3, v69, v45
	v_fma_f32 v3, v68, v44, -v3
	v_add_f32_e32 v2, v2, v3
	v_mul_f32_e32 v3, v63, v47
	v_fma_f32 v3, v62, v46, -v3
	v_add_f32_e32 v2, v2, v3
	v_mul_f32_e32 v3, v65, v49
	v_fma_f32 v3, v64, v48, -v3
	s_waitcnt vmcnt(5) lgkmcnt(1)
	v_mul_f32_e32 v115, v78, v55
	v_add_f32_e32 v22, v2, v3
	v_mul_f32_e32 v2, v79, v55
	s_waitcnt vmcnt(4) lgkmcnt(0)
	v_pk_mul_f32 v[16:17], v[108:109], v[58:59] op_sel:[1,1] op_sel_hi:[0,1]
	v_mul_f32_e32 v117, v80, v57
	v_fmac_f32_e32 v115, v79, v54
	v_fma_f32 v114, v78, v54, -v2
	v_mul_f32_e32 v2, v81, v57
	v_pk_fma_f32 v[18:19], v[108:109], v[58:59], v[16:17] neg_lo:[0,0,1] neg_hi:[0,0,1]
	v_pk_fma_f32 v[16:17], v[108:109], v[58:59], v[16:17] op_sel_hi:[1,0,1]
	v_fmac_f32_e32 v117, v81, v56
	v_fma_f32 v116, v80, v56, -v2
	ds_read_b128 v[2:5], v102 offset:720
	ds_read_b128 v[6:9], v102 offset:736
	;; [unrolled: 1-line block ×3, first 2 shown]
	v_pk_add_f32 v[14:15], v[22:23], v[114:115]
	v_mov_b32_e32 v16, v61
	v_pk_add_f32 v[14:15], v[14:15], v[116:117]
	v_mov_b32_e32 v19, v17
	v_pk_mul_f32 v[16:17], v[110:111], v[16:17] op_sel:[1,0] op_sel_hi:[0,0]
	v_pk_add_f32 v[14:15], v[14:15], v[18:19]
	v_pk_fma_f32 v[18:19], v[110:111], v[60:61], v[16:17] neg_lo:[0,0,1] neg_hi:[0,0,1]
	v_pk_fma_f32 v[16:17], v[110:111], v[60:61], v[16:17] op_sel_hi:[1,0,1]
	s_nop 0
	v_mov_b32_e32 v19, v17
	s_waitcnt vmcnt(3) lgkmcnt(2)
	v_pk_mul_f32 v[16:17], v[2:3], v[50:51] op_sel:[1,1] op_sel_hi:[0,1]
	v_pk_add_f32 v[14:15], v[14:15], v[18:19]
	v_pk_fma_f32 v[18:19], v[2:3], v[50:51], v[16:17] neg_lo:[0,0,1] neg_hi:[0,0,1]
	v_pk_fma_f32 v[2:3], v[2:3], v[50:51], v[16:17] op_sel_hi:[1,0,1]
	s_nop 0
	v_mov_b32_e32 v19, v3
	v_pk_add_f32 v[2:3], v[14:15], v[18:19]
	v_mov_b32_e32 v14, v53
	v_pk_mul_f32 v[14:15], v[4:5], v[14:15] op_sel:[1,0] op_sel_hi:[0,0]
	v_pk_fma_f32 v[16:17], v[4:5], v[52:53], v[14:15] neg_lo:[0,0,1] neg_hi:[0,0,1]
	v_pk_fma_f32 v[4:5], v[4:5], v[52:53], v[14:15] op_sel_hi:[1,0,1]
	s_nop 0
	v_mov_b32_e32 v17, v5
	s_waitcnt vmcnt(2) lgkmcnt(1)
	v_pk_mul_f32 v[4:5], v[6:7], v[38:39] op_sel:[1,1] op_sel_hi:[0,1]
	v_pk_fma_f32 v[14:15], v[6:7], v[38:39], v[4:5] neg_lo:[0,0,1] neg_hi:[0,0,1]
	v_pk_fma_f32 v[4:5], v[6:7], v[38:39], v[4:5] op_sel_hi:[1,0,1]
	v_pk_add_f32 v[2:3], v[2:3], v[16:17]
	v_mov_b32_e32 v4, v41
	v_mov_b32_e32 v15, v5
	v_pk_mul_f32 v[4:5], v[8:9], v[4:5] op_sel:[1,0] op_sel_hi:[0,0]
	v_pk_fma_f32 v[6:7], v[8:9], v[40:41], v[4:5] neg_lo:[0,0,1] neg_hi:[0,0,1]
	v_pk_fma_f32 v[4:5], v[8:9], v[40:41], v[4:5] op_sel_hi:[1,0,1]
	v_pk_add_f32 v[2:3], v[2:3], v[14:15]
	v_mov_b32_e32 v7, v5
	s_waitcnt vmcnt(1) lgkmcnt(0)
	v_pk_mul_f32 v[4:5], v[10:11], v[26:27] op_sel:[1,1] op_sel_hi:[0,1]
	v_pk_add_f32 v[2:3], v[2:3], v[6:7]
	v_pk_fma_f32 v[6:7], v[10:11], v[26:27], v[4:5] neg_lo:[0,0,1] neg_hi:[0,0,1]
	v_pk_fma_f32 v[4:5], v[10:11], v[26:27], v[4:5] op_sel_hi:[1,0,1]
	s_nop 0
	v_mov_b32_e32 v4, v29
	v_mov_b32_e32 v7, v5
	v_pk_mul_f32 v[4:5], v[12:13], v[4:5] op_sel:[1,0] op_sel_hi:[0,0]
	v_pk_add_f32 v[2:3], v[2:3], v[6:7]
	v_pk_fma_f32 v[6:7], v[12:13], v[28:29], v[4:5] neg_lo:[0,0,1] neg_hi:[0,0,1]
	v_pk_fma_f32 v[4:5], v[12:13], v[28:29], v[4:5] op_sel_hi:[1,0,1]
	s_nop 0
	v_mov_b32_e32 v7, v5
	v_pk_add_f32 v[2:3], v[2:3], v[6:7]
	s_waitcnt vmcnt(0)
	v_pk_add_f32 v[2:3], v[112:113], v[2:3] neg_lo:[0,1] neg_hi:[0,1]
	scratch_store_dwordx2 off, v[2:3], off offset:136
	s_and_saveexec_b64 s[0:1], vcc
	s_cbranch_execz .LBB47_269
; %bb.268:
	scratch_load_dwordx2 v[2:3], off, off offset:128
	v_mov_b32_e32 v4, 0
	v_mov_b32_e32 v5, v4
	scratch_store_dwordx2 off, v[4:5], off offset:128
	s_waitcnt vmcnt(1)
	ds_write_b64 v1, v[2:3]
.LBB47_269:
	s_or_b64 exec, exec, s[0:1]
	s_waitcnt lgkmcnt(0)
	; wave barrier
	scratch_load_dwordx4 v[2:5], off, off offset:136
	scratch_load_dwordx4 v[6:9], off, off offset:152
	;; [unrolled: 1-line block ×15, first 2 shown]
	scratch_load_dwordx2 v[62:63], off, off offset:376
	scratch_load_dwordx2 v[112:113], off, off offset:128
	v_mov_b32_e32 v114, 0
	ds_read2_b64 v[64:67], v114 offset0:65 offset1:66
	ds_read2_b64 v[68:71], v114 offset0:67 offset1:68
	;; [unrolled: 1-line block ×12, first 2 shown]
	v_cmp_lt_u32_e32 vcc, 15, v0
	s_waitcnt vmcnt(16) lgkmcnt(11)
	v_mul_f32_e32 v115, v64, v3
	v_mul_f32_e32 v116, v66, v5
	;; [unrolled: 1-line block ×3, first 2 shown]
	v_fmac_f32_e32 v115, v65, v2
	s_waitcnt vmcnt(15) lgkmcnt(10)
	v_mul_f32_e32 v118, v68, v7
	v_fmac_f32_e32 v116, v67, v4
	v_fma_f32 v2, v64, v2, -v3
	v_add_f32_e32 v3, 0, v115
	v_mul_f32_e32 v120, v70, v9
	v_fmac_f32_e32 v118, v69, v6
	v_add_f32_e32 v3, v3, v116
	s_waitcnt vmcnt(14) lgkmcnt(9)
	v_mul_f32_e32 v121, v72, v11
	v_fmac_f32_e32 v120, v71, v8
	v_add_f32_e32 v3, v3, v118
	v_mul_f32_e32 v122, v74, v13
	v_fmac_f32_e32 v121, v73, v10
	v_add_f32_e32 v3, v3, v120
	s_waitcnt vmcnt(13) lgkmcnt(8)
	v_mul_f32_e32 v123, v76, v15
	v_fmac_f32_e32 v122, v75, v12
	;; [unrolled: 7-line block ×9, first 2 shown]
	v_add_f32_e32 v3, v3, v135
	v_mul_f32_e32 v5, v67, v5
	v_fmac_f32_e32 v137, v105, v58
	v_add_f32_e32 v3, v3, v136
	v_add_f32_e32 v2, 0, v2
	v_add_f32_e32 v65, v3, v137
	v_fma_f32 v3, v66, v4, -v5
	v_add_f32_e32 v2, v2, v3
	v_mul_f32_e32 v3, v69, v7
	v_fma_f32 v3, v68, v6, -v3
	v_add_f32_e32 v2, v2, v3
	v_mul_f32_e32 v3, v71, v9
	v_fma_f32 v3, v70, v8, -v3
	v_add_f32_e32 v2, v2, v3
	v_mul_f32_e32 v3, v73, v11
	v_fma_f32 v3, v72, v10, -v3
	v_add_f32_e32 v2, v2, v3
	v_mul_f32_e32 v3, v75, v13
	v_fma_f32 v3, v74, v12, -v3
	v_add_f32_e32 v2, v2, v3
	v_mul_f32_e32 v3, v77, v15
	v_fma_f32 v3, v76, v14, -v3
	v_add_f32_e32 v2, v2, v3
	v_mul_f32_e32 v3, v79, v17
	v_fma_f32 v3, v78, v16, -v3
	v_add_f32_e32 v2, v2, v3
	v_mul_f32_e32 v3, v81, v19
	v_fma_f32 v3, v80, v18, -v3
	v_add_f32_e32 v2, v2, v3
	v_mul_f32_e32 v3, v83, v21
	v_fma_f32 v3, v82, v20, -v3
	v_add_f32_e32 v2, v2, v3
	v_mul_f32_e32 v3, v85, v23
	v_fma_f32 v3, v84, v22, -v3
	v_add_f32_e32 v2, v2, v3
	v_mul_f32_e32 v3, v87, v25
	v_fma_f32 v3, v86, v24, -v3
	v_add_f32_e32 v2, v2, v3
	v_mul_f32_e32 v3, v89, v31
	v_fma_f32 v3, v88, v30, -v3
	v_add_f32_e32 v2, v2, v3
	v_mul_f32_e32 v3, v91, v33
	v_fma_f32 v3, v90, v32, -v3
	v_add_f32_e32 v2, v2, v3
	v_mul_f32_e32 v3, v93, v35
	v_fma_f32 v3, v92, v34, -v3
	v_add_f32_e32 v2, v2, v3
	v_mul_f32_e32 v3, v95, v37
	v_fma_f32 v3, v94, v36, -v3
	v_add_f32_e32 v2, v2, v3
	v_mul_f32_e32 v3, v97, v43
	v_fma_f32 v3, v96, v42, -v3
	v_add_f32_e32 v2, v2, v3
	v_mul_f32_e32 v3, v99, v45
	v_fma_f32 v3, v98, v44, -v3
	v_add_f32_e32 v2, v2, v3
	v_mul_f32_e32 v3, v101, v47
	v_fma_f32 v3, v100, v46, -v3
	v_add_f32_e32 v2, v2, v3
	v_mul_f32_e32 v3, v103, v49
	v_fma_f32 v3, v102, v48, -v3
	v_add_f32_e32 v2, v2, v3
	v_mul_f32_e32 v3, v105, v59
	v_fma_f32 v3, v104, v58, -v3
	v_add_f32_e32 v64, v2, v3
	v_mul_f32_e32 v2, v107, v61
	v_mul_f32_e32 v117, v106, v61
	v_fma_f32 v116, v106, v60, -v2
	s_waitcnt vmcnt(5) lgkmcnt(0)
	v_mul_f32_e32 v2, v109, v55
	v_mov_b32_e32 v18, v57
	v_mul_f32_e32 v119, v108, v55
	v_fmac_f32_e32 v117, v107, v60
	v_fma_f32 v118, v108, v54, -v2
	ds_read2_b64 v[2:5], v114 offset0:89 offset1:90
	ds_read2_b64 v[6:9], v114 offset0:91 offset1:92
	;; [unrolled: 1-line block ×3, first 2 shown]
	ds_read_b64 v[14:15], v114 offset:760
	v_pk_mul_f32 v[18:19], v[110:111], v[18:19] op_sel:[1,0] op_sel_hi:[0,0]
	v_fmac_f32_e32 v119, v109, v54
	v_pk_add_f32 v[16:17], v[64:65], v[116:117]
	v_pk_fma_f32 v[20:21], v[110:111], v[56:57], v[18:19] neg_lo:[0,0,1] neg_hi:[0,0,1]
	v_pk_fma_f32 v[18:19], v[110:111], v[56:57], v[18:19] op_sel_hi:[1,0,1]
	v_pk_add_f32 v[16:17], v[16:17], v[118:119]
	v_mov_b32_e32 v21, v19
	s_waitcnt vmcnt(4) lgkmcnt(3)
	v_pk_mul_f32 v[18:19], v[2:3], v[50:51] op_sel:[1,1] op_sel_hi:[0,1]
	v_pk_add_f32 v[16:17], v[16:17], v[20:21]
	v_pk_fma_f32 v[20:21], v[2:3], v[50:51], v[18:19] neg_lo:[0,0,1] neg_hi:[0,0,1]
	v_pk_fma_f32 v[2:3], v[2:3], v[50:51], v[18:19] op_sel_hi:[1,0,1]
	s_nop 0
	v_mov_b32_e32 v21, v3
	v_pk_add_f32 v[2:3], v[16:17], v[20:21]
	v_mov_b32_e32 v16, v53
	v_pk_mul_f32 v[16:17], v[4:5], v[16:17] op_sel:[1,0] op_sel_hi:[0,0]
	v_pk_fma_f32 v[18:19], v[4:5], v[52:53], v[16:17] neg_lo:[0,0,1] neg_hi:[0,0,1]
	v_pk_fma_f32 v[4:5], v[4:5], v[52:53], v[16:17] op_sel_hi:[1,0,1]
	s_nop 0
	v_mov_b32_e32 v19, v5
	s_waitcnt vmcnt(3) lgkmcnt(2)
	v_pk_mul_f32 v[4:5], v[6:7], v[38:39] op_sel:[1,1] op_sel_hi:[0,1]
	v_pk_fma_f32 v[16:17], v[6:7], v[38:39], v[4:5] neg_lo:[0,0,1] neg_hi:[0,0,1]
	v_pk_fma_f32 v[4:5], v[6:7], v[38:39], v[4:5] op_sel_hi:[1,0,1]
	v_pk_add_f32 v[2:3], v[2:3], v[18:19]
	v_mov_b32_e32 v4, v41
	v_mov_b32_e32 v17, v5
	v_pk_mul_f32 v[4:5], v[8:9], v[4:5] op_sel:[1,0] op_sel_hi:[0,0]
	v_pk_fma_f32 v[6:7], v[8:9], v[40:41], v[4:5] neg_lo:[0,0,1] neg_hi:[0,0,1]
	v_pk_fma_f32 v[4:5], v[8:9], v[40:41], v[4:5] op_sel_hi:[1,0,1]
	v_pk_add_f32 v[2:3], v[2:3], v[16:17]
	v_mov_b32_e32 v7, v5
	s_waitcnt vmcnt(2) lgkmcnt(1)
	v_pk_mul_f32 v[4:5], v[10:11], v[26:27] op_sel:[1,1] op_sel_hi:[0,1]
	v_pk_add_f32 v[2:3], v[2:3], v[6:7]
	v_pk_fma_f32 v[6:7], v[10:11], v[26:27], v[4:5] neg_lo:[0,0,1] neg_hi:[0,0,1]
	v_pk_fma_f32 v[4:5], v[10:11], v[26:27], v[4:5] op_sel_hi:[1,0,1]
	s_nop 0
	v_mov_b32_e32 v4, v29
	v_mov_b32_e32 v7, v5
	v_pk_mul_f32 v[4:5], v[12:13], v[4:5] op_sel:[1,0] op_sel_hi:[0,0]
	v_pk_add_f32 v[2:3], v[2:3], v[6:7]
	v_pk_fma_f32 v[6:7], v[12:13], v[28:29], v[4:5] neg_lo:[0,0,1] neg_hi:[0,0,1]
	v_pk_fma_f32 v[4:5], v[12:13], v[28:29], v[4:5] op_sel_hi:[1,0,1]
	s_nop 0
	v_mov_b32_e32 v7, v5
	s_waitcnt vmcnt(1) lgkmcnt(0)
	v_pk_mul_f32 v[4:5], v[14:15], v[62:63] op_sel:[1,1] op_sel_hi:[0,1]
	v_pk_add_f32 v[2:3], v[2:3], v[6:7]
	v_pk_fma_f32 v[6:7], v[14:15], v[62:63], v[4:5] neg_lo:[0,0,1] neg_hi:[0,0,1]
	v_pk_fma_f32 v[4:5], v[14:15], v[62:63], v[4:5] op_sel_hi:[1,0,1]
	s_nop 0
	v_mov_b32_e32 v7, v5
	v_pk_add_f32 v[2:3], v[2:3], v[6:7]
	s_waitcnt vmcnt(0)
	v_pk_add_f32 v[2:3], v[112:113], v[2:3] neg_lo:[0,1] neg_hi:[0,1]
	scratch_store_dwordx2 off, v[2:3], off offset:128
	s_and_saveexec_b64 s[0:1], vcc
	s_cbranch_execz .LBB47_271
; %bb.270:
	scratch_load_dwordx2 v[2:3], off, off offset:120
	v_mov_b32_e32 v115, v114
	scratch_store_dwordx2 off, v[114:115], off offset:120
	s_waitcnt vmcnt(1)
	ds_write_b64 v1, v[2:3]
.LBB47_271:
	s_or_b64 exec, exec, s[0:1]
	s_waitcnt lgkmcnt(0)
	; wave barrier
	scratch_load_dwordx4 v[2:5], off, off offset:128
	scratch_load_dwordx4 v[6:9], off, off offset:144
	;; [unrolled: 1-line block ×12, first 2 shown]
	ds_read_b128 v[110:113], v114 offset:512
	ds_read_b128 v[106:109], v114 offset:528
	;; [unrolled: 1-line block ×12, first 2 shown]
	scratch_load_dwordx4 v[62:65], off, off offset:320
	scratch_load_dwordx4 v[54:57], off, off offset:336
	;; [unrolled: 1-line block ×4, first 2 shown]
	scratch_load_dwordx2 v[116:117], off, off offset:120
	v_cmp_lt_u32_e32 vcc, 14, v0
	s_waitcnt vmcnt(16) lgkmcnt(11)
	v_mul_f32_e32 v115, v110, v3
	v_mul_f32_e32 v118, v112, v5
	;; [unrolled: 1-line block ×3, first 2 shown]
	v_fmac_f32_e32 v115, v111, v2
	s_waitcnt vmcnt(15) lgkmcnt(10)
	v_mul_f32_e32 v120, v106, v7
	v_fmac_f32_e32 v118, v113, v4
	v_fma_f32 v2, v110, v2, -v3
	v_add_f32_e32 v3, 0, v115
	v_mul_f32_e32 v122, v108, v9
	v_fmac_f32_e32 v120, v107, v6
	v_add_f32_e32 v3, v3, v118
	s_waitcnt vmcnt(14) lgkmcnt(9)
	v_mul_f32_e32 v123, v102, v11
	v_fmac_f32_e32 v122, v109, v8
	v_add_f32_e32 v3, v3, v120
	v_mul_f32_e32 v124, v104, v13
	v_fmac_f32_e32 v123, v103, v10
	v_add_f32_e32 v3, v3, v122
	s_waitcnt vmcnt(13) lgkmcnt(8)
	v_mul_f32_e32 v125, v98, v15
	v_fmac_f32_e32 v124, v105, v12
	;; [unrolled: 7-line block ×9, first 2 shown]
	v_add_f32_e32 v3, v3, v137
	v_mul_f32_e32 v140, v72, v53
	v_fmac_f32_e32 v139, v71, v50
	v_add_f32_e32 v3, v3, v138
	v_fmac_f32_e32 v140, v73, v52
	v_add_f32_e32 v3, v3, v139
	v_add_f32_e32 v111, v3, v140
	v_mul_f32_e32 v3, v113, v5
	v_add_f32_e32 v2, 0, v2
	v_fma_f32 v3, v112, v4, -v3
	v_add_f32_e32 v2, v2, v3
	v_mul_f32_e32 v3, v107, v7
	v_fma_f32 v3, v106, v6, -v3
	v_add_f32_e32 v2, v2, v3
	v_mul_f32_e32 v3, v109, v9
	;; [unrolled: 3-line block ×20, first 2 shown]
	v_fma_f32 v3, v72, v52, -v3
	v_add_f32_e32 v110, v2, v3
	s_waitcnt vmcnt(5) lgkmcnt(0)
	v_mul_f32_e32 v2, v67, v59
	v_fma_f32 v118, v66, v58, -v2
	v_mul_f32_e32 v2, v69, v61
	v_fma_f32 v120, v68, v60, -v2
	ds_read_b128 v[2:5], v114 offset:704
	ds_read_b128 v[6:9], v114 offset:720
	;; [unrolled: 1-line block ×4, first 2 shown]
	v_mul_f32_e32 v119, v66, v59
	v_mul_f32_e32 v121, v68, v61
	v_fmac_f32_e32 v119, v67, v58
	s_waitcnt vmcnt(4) lgkmcnt(3)
	v_pk_mul_f32 v[20:21], v[2:3], v[62:63] op_sel:[1,1] op_sel_hi:[0,1]
	v_fmac_f32_e32 v121, v69, v60
	v_pk_add_f32 v[18:19], v[110:111], v[118:119]
	v_pk_fma_f32 v[22:23], v[2:3], v[62:63], v[20:21] neg_lo:[0,0,1] neg_hi:[0,0,1]
	v_pk_fma_f32 v[2:3], v[2:3], v[62:63], v[20:21] op_sel_hi:[1,0,1]
	v_pk_add_f32 v[18:19], v[18:19], v[120:121]
	v_mov_b32_e32 v23, v3
	v_pk_add_f32 v[2:3], v[18:19], v[22:23]
	v_mov_b32_e32 v18, v65
	v_pk_mul_f32 v[18:19], v[4:5], v[18:19] op_sel:[1,0] op_sel_hi:[0,0]
	v_pk_fma_f32 v[20:21], v[4:5], v[64:65], v[18:19] neg_lo:[0,0,1] neg_hi:[0,0,1]
	v_pk_fma_f32 v[4:5], v[4:5], v[64:65], v[18:19] op_sel_hi:[1,0,1]
	s_nop 0
	v_mov_b32_e32 v21, v5
	s_waitcnt vmcnt(3) lgkmcnt(2)
	v_pk_mul_f32 v[4:5], v[6:7], v[54:55] op_sel:[1,1] op_sel_hi:[0,1]
	v_pk_fma_f32 v[18:19], v[6:7], v[54:55], v[4:5] neg_lo:[0,0,1] neg_hi:[0,0,1]
	v_pk_fma_f32 v[4:5], v[6:7], v[54:55], v[4:5] op_sel_hi:[1,0,1]
	v_pk_add_f32 v[2:3], v[2:3], v[20:21]
	v_mov_b32_e32 v4, v57
	v_mov_b32_e32 v19, v5
	v_pk_mul_f32 v[4:5], v[8:9], v[4:5] op_sel:[1,0] op_sel_hi:[0,0]
	v_pk_fma_f32 v[6:7], v[8:9], v[56:57], v[4:5] neg_lo:[0,0,1] neg_hi:[0,0,1]
	v_pk_fma_f32 v[4:5], v[8:9], v[56:57], v[4:5] op_sel_hi:[1,0,1]
	v_pk_add_f32 v[2:3], v[2:3], v[18:19]
	v_mov_b32_e32 v7, v5
	s_waitcnt vmcnt(2) lgkmcnt(1)
	v_pk_mul_f32 v[4:5], v[10:11], v[42:43] op_sel:[1,1] op_sel_hi:[0,1]
	v_pk_add_f32 v[2:3], v[2:3], v[6:7]
	v_pk_fma_f32 v[6:7], v[10:11], v[42:43], v[4:5] neg_lo:[0,0,1] neg_hi:[0,0,1]
	v_pk_fma_f32 v[4:5], v[10:11], v[42:43], v[4:5] op_sel_hi:[1,0,1]
	s_nop 0
	v_mov_b32_e32 v4, v45
	v_mov_b32_e32 v7, v5
	v_pk_mul_f32 v[4:5], v[12:13], v[4:5] op_sel:[1,0] op_sel_hi:[0,0]
	v_pk_add_f32 v[2:3], v[2:3], v[6:7]
	v_pk_fma_f32 v[6:7], v[12:13], v[44:45], v[4:5] neg_lo:[0,0,1] neg_hi:[0,0,1]
	v_pk_fma_f32 v[4:5], v[12:13], v[44:45], v[4:5] op_sel_hi:[1,0,1]
	s_nop 0
	v_mov_b32_e32 v7, v5
	s_waitcnt vmcnt(1) lgkmcnt(0)
	v_pk_mul_f32 v[4:5], v[14:15], v[34:35] op_sel:[1,1] op_sel_hi:[0,1]
	v_pk_add_f32 v[2:3], v[2:3], v[6:7]
	v_pk_fma_f32 v[6:7], v[14:15], v[34:35], v[4:5] neg_lo:[0,0,1] neg_hi:[0,0,1]
	v_pk_fma_f32 v[4:5], v[14:15], v[34:35], v[4:5] op_sel_hi:[1,0,1]
	s_nop 0
	v_mov_b32_e32 v4, v37
	v_mov_b32_e32 v7, v5
	v_pk_mul_f32 v[4:5], v[16:17], v[4:5] op_sel:[1,0] op_sel_hi:[0,0]
	v_pk_add_f32 v[2:3], v[2:3], v[6:7]
	v_pk_fma_f32 v[6:7], v[16:17], v[36:37], v[4:5] neg_lo:[0,0,1] neg_hi:[0,0,1]
	v_pk_fma_f32 v[4:5], v[16:17], v[36:37], v[4:5] op_sel_hi:[1,0,1]
	s_nop 0
	v_mov_b32_e32 v7, v5
	v_pk_add_f32 v[2:3], v[2:3], v[6:7]
	s_waitcnt vmcnt(0)
	v_pk_add_f32 v[2:3], v[116:117], v[2:3] neg_lo:[0,1] neg_hi:[0,1]
	scratch_store_dwordx2 off, v[2:3], off offset:120
	s_and_saveexec_b64 s[0:1], vcc
	s_cbranch_execz .LBB47_273
; %bb.272:
	scratch_load_dwordx2 v[2:3], off, off offset:112
	v_mov_b32_e32 v4, 0
	v_mov_b32_e32 v5, v4
	scratch_store_dwordx2 off, v[4:5], off offset:112
	s_waitcnt vmcnt(1)
	ds_write_b64 v1, v[2:3]
.LBB47_273:
	s_or_b64 exec, exec, s[0:1]
	s_waitcnt lgkmcnt(0)
	; wave barrier
	scratch_load_dwordx4 v[2:5], off, off offset:120
	scratch_load_dwordx4 v[6:9], off, off offset:136
	;; [unrolled: 1-line block ×13, first 2 shown]
	v_mov_b32_e32 v106, 0
	scratch_load_dwordx2 v[124:125], off, off offset:112
	ds_read2_b64 v[54:57], v106 offset0:63 offset1:64
	ds_read2_b64 v[58:61], v106 offset0:65 offset1:66
	;; [unrolled: 1-line block ×14, first 2 shown]
	v_cmp_lt_u32_e32 vcc, 13, v0
	s_waitcnt vmcnt(13) lgkmcnt(13)
	v_mul_f32_e32 v107, v54, v3
	v_mul_f32_e32 v112, v56, v5
	v_fmac_f32_e32 v107, v55, v2
	s_waitcnt vmcnt(12) lgkmcnt(12)
	v_mul_f32_e32 v113, v58, v7
	v_fmac_f32_e32 v112, v57, v4
	v_add_f32_e32 v107, 0, v107
	v_mul_f32_e32 v114, v60, v9
	v_fmac_f32_e32 v113, v59, v6
	v_add_f32_e32 v107, v107, v112
	s_waitcnt vmcnt(11) lgkmcnt(11)
	v_mul_f32_e32 v115, v62, v11
	v_fmac_f32_e32 v114, v61, v8
	v_add_f32_e32 v107, v107, v113
	v_mul_f32_e32 v116, v64, v13
	v_fmac_f32_e32 v115, v63, v10
	v_add_f32_e32 v107, v107, v114
	;; [unrolled: 7-line block ×8, first 2 shown]
	s_waitcnt vmcnt(4) lgkmcnt(4)
	v_mul_f32_e32 v133, v90, v39
	v_fmac_f32_e32 v132, v89, v36
	v_add_f32_e32 v107, v107, v131
	v_fmac_f32_e32 v133, v91, v38
	v_add_f32_e32 v107, v107, v132
	v_add_f32_e32 v107, v107, v133
	scratch_load_dwordx4 v[112:115], off, off offset:328
	scratch_load_dwordx4 v[116:119], off, off offset:344
	;; [unrolled: 1-line block ×3, first 2 shown]
	scratch_load_dwordx2 v[132:133], off, off offset:376
	v_mul_f32_e32 v3, v55, v3
	v_fma_f32 v2, v54, v2, -v3
	v_mul_f32_e32 v3, v57, v5
	v_add_f32_e32 v2, 0, v2
	v_fma_f32 v3, v56, v4, -v3
	v_add_f32_e32 v2, v2, v3
	v_mul_f32_e32 v3, v59, v7
	v_fma_f32 v3, v58, v6, -v3
	v_add_f32_e32 v2, v2, v3
	v_mul_f32_e32 v3, v61, v9
	;; [unrolled: 3-line block ×18, first 2 shown]
	v_fma_f32 v3, v92, v40, -v3
	v_add_f32_e32 v2, v2, v3
	s_waitcnt vmcnt(7) lgkmcnt(3)
	v_mul_f32_e32 v3, v95, v43
	v_fma_f32 v3, v94, v42, -v3
	v_mul_f32_e32 v134, v92, v41
	v_add_f32_e32 v2, v2, v3
	v_mul_f32_e32 v3, v97, v45
	v_mul_f32_e32 v135, v94, v43
	v_fmac_f32_e32 v134, v93, v40
	v_fma_f32 v3, v96, v44, -v3
	v_mul_f32_e32 v136, v96, v45
	v_fmac_f32_e32 v135, v95, v42
	v_add_f32_e32 v107, v107, v134
	v_add_f32_e32 v2, v2, v3
	s_waitcnt vmcnt(6) lgkmcnt(2)
	v_mul_f32_e32 v3, v99, v47
	v_mul_f32_e32 v137, v98, v47
	v_fmac_f32_e32 v136, v97, v44
	v_add_f32_e32 v107, v107, v135
	v_fma_f32 v3, v98, v46, -v3
	v_mul_f32_e32 v127, v100, v49
	v_fmac_f32_e32 v137, v99, v46
	v_add_f32_e32 v107, v107, v136
	v_add_f32_e32 v130, v2, v3
	v_mul_f32_e32 v2, v101, v49
	s_waitcnt vmcnt(5)
	v_mov_b32_e32 v14, v53
	s_waitcnt lgkmcnt(1)
	v_mul_f32_e32 v129, v102, v51
	v_fmac_f32_e32 v127, v101, v48
	v_add_f32_e32 v131, v107, v137
	v_fma_f32 v126, v100, v48, -v2
	v_mul_f32_e32 v2, v103, v51
	v_pk_mul_f32 v[14:15], v[104:105], v[14:15] op_sel:[1,0] op_sel_hi:[0,0]
	v_fmac_f32_e32 v129, v103, v50
	v_fma_f32 v128, v102, v50, -v2
	v_pk_add_f32 v[12:13], v[130:131], v[126:127]
	v_pk_fma_f32 v[16:17], v[104:105], v[52:53], v[14:15] neg_lo:[0,0,1] neg_hi:[0,0,1]
	v_pk_fma_f32 v[14:15], v[104:105], v[52:53], v[14:15] op_sel_hi:[1,0,1]
	v_pk_add_f32 v[12:13], v[12:13], v[128:129]
	v_mov_b32_e32 v17, v15
	s_waitcnt vmcnt(3) lgkmcnt(0)
	v_pk_mul_f32 v[14:15], v[108:109], v[112:113] op_sel:[1,1] op_sel_hi:[0,1]
	v_pk_add_f32 v[12:13], v[12:13], v[16:17]
	v_pk_fma_f32 v[16:17], v[108:109], v[112:113], v[14:15] neg_lo:[0,0,1] neg_hi:[0,0,1]
	v_pk_fma_f32 v[14:15], v[108:109], v[112:113], v[14:15] op_sel_hi:[1,0,1]
	ds_read2_b64 v[2:5], v106 offset0:91 offset1:92
	ds_read2_b64 v[6:9], v106 offset0:93 offset1:94
	ds_read_b64 v[10:11], v106 offset:760
	v_mov_b32_e32 v14, v115
	v_mov_b32_e32 v17, v15
	v_pk_mul_f32 v[14:15], v[110:111], v[14:15] op_sel:[1,0] op_sel_hi:[0,0]
	v_pk_add_f32 v[12:13], v[12:13], v[16:17]
	v_pk_fma_f32 v[16:17], v[110:111], v[114:115], v[14:15] neg_lo:[0,0,1] neg_hi:[0,0,1]
	v_pk_fma_f32 v[14:15], v[110:111], v[114:115], v[14:15] op_sel_hi:[1,0,1]
	s_nop 0
	v_mov_b32_e32 v17, v15
	s_waitcnt vmcnt(2) lgkmcnt(2)
	v_pk_mul_f32 v[14:15], v[2:3], v[116:117] op_sel:[1,1] op_sel_hi:[0,1]
	v_pk_add_f32 v[12:13], v[12:13], v[16:17]
	v_pk_fma_f32 v[16:17], v[2:3], v[116:117], v[14:15] neg_lo:[0,0,1] neg_hi:[0,0,1]
	v_pk_fma_f32 v[2:3], v[2:3], v[116:117], v[14:15] op_sel_hi:[1,0,1]
	s_nop 0
	v_mov_b32_e32 v17, v3
	v_pk_add_f32 v[2:3], v[12:13], v[16:17]
	v_mov_b32_e32 v12, v119
	v_pk_mul_f32 v[12:13], v[4:5], v[12:13] op_sel:[1,0] op_sel_hi:[0,0]
	v_pk_fma_f32 v[14:15], v[4:5], v[118:119], v[12:13] neg_lo:[0,0,1] neg_hi:[0,0,1]
	v_pk_fma_f32 v[4:5], v[4:5], v[118:119], v[12:13] op_sel_hi:[1,0,1]
	s_nop 0
	v_mov_b32_e32 v15, v5
	s_waitcnt vmcnt(1) lgkmcnt(1)
	v_pk_mul_f32 v[4:5], v[6:7], v[120:121] op_sel:[1,1] op_sel_hi:[0,1]
	v_pk_fma_f32 v[12:13], v[6:7], v[120:121], v[4:5] neg_lo:[0,0,1] neg_hi:[0,0,1]
	v_pk_fma_f32 v[4:5], v[6:7], v[120:121], v[4:5] op_sel_hi:[1,0,1]
	v_pk_add_f32 v[2:3], v[2:3], v[14:15]
	v_mov_b32_e32 v4, v123
	v_mov_b32_e32 v13, v5
	v_pk_mul_f32 v[4:5], v[8:9], v[4:5] op_sel:[1,0] op_sel_hi:[0,0]
	v_pk_fma_f32 v[6:7], v[8:9], v[122:123], v[4:5] neg_lo:[0,0,1] neg_hi:[0,0,1]
	v_pk_fma_f32 v[4:5], v[8:9], v[122:123], v[4:5] op_sel_hi:[1,0,1]
	v_pk_add_f32 v[2:3], v[2:3], v[12:13]
	v_mov_b32_e32 v7, v5
	s_waitcnt vmcnt(0) lgkmcnt(0)
	v_pk_mul_f32 v[4:5], v[10:11], v[132:133] op_sel:[1,1] op_sel_hi:[0,1]
	v_pk_add_f32 v[2:3], v[2:3], v[6:7]
	v_pk_fma_f32 v[6:7], v[10:11], v[132:133], v[4:5] neg_lo:[0,0,1] neg_hi:[0,0,1]
	v_pk_fma_f32 v[4:5], v[10:11], v[132:133], v[4:5] op_sel_hi:[1,0,1]
	s_nop 0
	v_mov_b32_e32 v7, v5
	v_pk_add_f32 v[2:3], v[2:3], v[6:7]
	s_nop 0
	v_pk_add_f32 v[2:3], v[124:125], v[2:3] neg_lo:[0,1] neg_hi:[0,1]
	scratch_store_dwordx2 off, v[2:3], off offset:112
	s_and_saveexec_b64 s[0:1], vcc
	s_cbranch_execz .LBB47_275
; %bb.274:
	scratch_load_dwordx2 v[2:3], off, off offset:104
	v_mov_b32_e32 v107, v106
	scratch_store_dwordx2 off, v[106:107], off offset:104
	s_waitcnt vmcnt(1)
	ds_write_b64 v1, v[2:3]
.LBB47_275:
	s_or_b64 exec, exec, s[0:1]
	s_waitcnt lgkmcnt(0)
	; wave barrier
	scratch_load_dwordx4 v[2:5], off, off offset:112
	scratch_load_dwordx4 v[6:9], off, off offset:128
	scratch_load_dwordx4 v[10:13], off, off offset:144
	scratch_load_dwordx4 v[14:17], off, off offset:160
	scratch_load_dwordx4 v[18:21], off, off offset:176
	scratch_load_dwordx4 v[22:25], off, off offset:192
	scratch_load_dwordx4 v[26:29], off, off offset:208
	scratch_load_dwordx4 v[30:33], off, off offset:224
	scratch_load_dwordx4 v[34:37], off, off offset:240
	scratch_load_dwordx4 v[38:41], off, off offset:256
	scratch_load_dwordx4 v[42:45], off, off offset:272
	scratch_load_dwordx4 v[46:49], off, off offset:288
	scratch_load_dwordx4 v[50:53], off, off offset:304
	ds_read_b128 v[102:105], v106 offset:496
	ds_read_b128 v[98:101], v106 offset:512
	;; [unrolled: 1-line block ×14, first 2 shown]
	scratch_load_dwordx2 v[128:129], off, off offset:104
	v_cmp_lt_u32_e32 vcc, 12, v0
	s_waitcnt vmcnt(13) lgkmcnt(13)
	v_mul_f32_e32 v107, v102, v3
	v_mul_f32_e32 v112, v104, v5
	v_fmac_f32_e32 v107, v103, v2
	s_waitcnt vmcnt(12) lgkmcnt(12)
	v_mul_f32_e32 v113, v98, v7
	v_fmac_f32_e32 v112, v105, v4
	v_add_f32_e32 v107, 0, v107
	v_mul_f32_e32 v114, v100, v9
	v_fmac_f32_e32 v113, v99, v6
	v_add_f32_e32 v107, v107, v112
	s_waitcnt vmcnt(11) lgkmcnt(11)
	v_mul_f32_e32 v115, v94, v11
	v_fmac_f32_e32 v114, v101, v8
	v_add_f32_e32 v107, v107, v113
	v_mul_f32_e32 v116, v96, v13
	v_fmac_f32_e32 v115, v95, v10
	v_add_f32_e32 v107, v107, v114
	s_waitcnt vmcnt(10) lgkmcnt(10)
	v_mul_f32_e32 v117, v90, v15
	v_fmac_f32_e32 v116, v97, v12
	v_add_f32_e32 v107, v107, v115
	v_mul_f32_e32 v118, v92, v17
	v_fmac_f32_e32 v117, v91, v14
	v_add_f32_e32 v107, v107, v116
	s_waitcnt vmcnt(9) lgkmcnt(9)
	v_mul_f32_e32 v119, v86, v19
	v_fmac_f32_e32 v118, v93, v16
	v_add_f32_e32 v107, v107, v117
	v_mul_f32_e32 v120, v88, v21
	v_fmac_f32_e32 v119, v87, v18
	v_add_f32_e32 v107, v107, v118
	s_waitcnt vmcnt(8) lgkmcnt(8)
	v_mul_f32_e32 v121, v82, v23
	v_fmac_f32_e32 v120, v89, v20
	v_add_f32_e32 v107, v107, v119
	v_mul_f32_e32 v122, v84, v25
	v_fmac_f32_e32 v121, v83, v22
	v_add_f32_e32 v107, v107, v120
	s_waitcnt vmcnt(7) lgkmcnt(7)
	v_mul_f32_e32 v123, v78, v27
	v_fmac_f32_e32 v122, v85, v24
	v_add_f32_e32 v107, v107, v121
	v_mul_f32_e32 v124, v80, v29
	v_fmac_f32_e32 v123, v79, v26
	v_add_f32_e32 v107, v107, v122
	s_waitcnt vmcnt(6) lgkmcnt(6)
	v_mul_f32_e32 v125, v74, v31
	v_fmac_f32_e32 v124, v81, v28
	v_add_f32_e32 v107, v107, v123
	v_mul_f32_e32 v126, v76, v33
	v_fmac_f32_e32 v125, v75, v30
	v_add_f32_e32 v107, v107, v124
	s_waitcnt vmcnt(5) lgkmcnt(5)
	v_mul_f32_e32 v127, v70, v35
	v_fmac_f32_e32 v126, v77, v32
	v_add_f32_e32 v107, v107, v125
	v_fmac_f32_e32 v127, v71, v34
	v_add_f32_e32 v107, v107, v126
	v_add_f32_e32 v107, v107, v127
	scratch_load_dwordx4 v[112:115], off, off offset:320
	scratch_load_dwordx4 v[116:119], off, off offset:336
	;; [unrolled: 1-line block ×4, first 2 shown]
	v_mul_f32_e32 v3, v103, v3
	v_fma_f32 v2, v102, v2, -v3
	v_mul_f32_e32 v3, v105, v5
	v_add_f32_e32 v2, 0, v2
	v_fma_f32 v3, v104, v4, -v3
	v_add_f32_e32 v2, v2, v3
	v_mul_f32_e32 v3, v99, v7
	v_fma_f32 v3, v98, v6, -v3
	v_add_f32_e32 v2, v2, v3
	v_mul_f32_e32 v3, v101, v9
	;; [unrolled: 3-line block ×16, first 2 shown]
	v_fma_f32 v3, v72, v36, -v3
	v_add_f32_e32 v2, v2, v3
	s_waitcnt vmcnt(8) lgkmcnt(4)
	v_mul_f32_e32 v3, v67, v39
	v_fma_f32 v3, v66, v38, -v3
	v_add_f32_e32 v2, v2, v3
	v_mul_f32_e32 v3, v69, v41
	v_fma_f32 v3, v68, v40, -v3
	v_add_f32_e32 v2, v2, v3
	s_waitcnt vmcnt(7) lgkmcnt(3)
	v_mul_f32_e32 v3, v63, v43
	v_mul_f32_e32 v130, v72, v37
	v_fma_f32 v3, v62, v42, -v3
	v_mul_f32_e32 v132, v66, v39
	v_fmac_f32_e32 v130, v73, v36
	v_add_f32_e32 v2, v2, v3
	v_mul_f32_e32 v3, v65, v45
	v_mul_f32_e32 v134, v68, v41
	v_fmac_f32_e32 v132, v67, v38
	v_add_f32_e32 v107, v107, v130
	v_fma_f32 v3, v64, v44, -v3
	v_mul_f32_e32 v135, v62, v43
	v_fmac_f32_e32 v134, v69, v40
	v_add_f32_e32 v107, v107, v132
	v_add_f32_e32 v2, v2, v3
	s_waitcnt vmcnt(6) lgkmcnt(2)
	v_mul_f32_e32 v3, v59, v47
	v_mul_f32_e32 v136, v64, v45
	v_fmac_f32_e32 v135, v63, v42
	v_add_f32_e32 v107, v107, v134
	v_fma_f32 v3, v58, v46, -v3
	v_mul_f32_e32 v137, v58, v47
	v_fmac_f32_e32 v136, v65, v44
	v_add_f32_e32 v107, v107, v135
	v_add_f32_e32 v2, v2, v3
	v_mul_f32_e32 v3, v61, v49
	v_mul_f32_e32 v138, v60, v49
	v_fmac_f32_e32 v137, v59, v46
	v_add_f32_e32 v107, v107, v136
	v_fma_f32 v3, v60, v48, -v3
	s_waitcnt vmcnt(5) lgkmcnt(1)
	v_mul_f32_e32 v131, v54, v51
	v_fmac_f32_e32 v138, v61, v48
	v_add_f32_e32 v107, v107, v137
	v_add_f32_e32 v134, v2, v3
	v_mul_f32_e32 v2, v55, v51
	s_waitcnt vmcnt(3) lgkmcnt(0)
	v_pk_mul_f32 v[16:17], v[108:109], v[112:113] op_sel:[1,1] op_sel_hi:[0,1]
	v_mul_f32_e32 v133, v56, v53
	v_fmac_f32_e32 v131, v55, v50
	v_add_f32_e32 v135, v107, v138
	v_fma_f32 v130, v54, v50, -v2
	v_mul_f32_e32 v2, v57, v53
	v_pk_fma_f32 v[18:19], v[108:109], v[112:113], v[16:17] neg_lo:[0,0,1] neg_hi:[0,0,1]
	v_pk_fma_f32 v[16:17], v[108:109], v[112:113], v[16:17] op_sel_hi:[1,0,1]
	v_fmac_f32_e32 v133, v57, v52
	v_fma_f32 v132, v56, v52, -v2
	ds_read_b128 v[2:5], v106 offset:720
	ds_read_b128 v[6:9], v106 offset:736
	;; [unrolled: 1-line block ×3, first 2 shown]
	v_pk_add_f32 v[14:15], v[134:135], v[130:131]
	v_mov_b32_e32 v16, v115
	v_pk_add_f32 v[14:15], v[14:15], v[132:133]
	v_mov_b32_e32 v19, v17
	v_pk_mul_f32 v[16:17], v[110:111], v[16:17] op_sel:[1,0] op_sel_hi:[0,0]
	v_pk_add_f32 v[14:15], v[14:15], v[18:19]
	v_pk_fma_f32 v[18:19], v[110:111], v[114:115], v[16:17] neg_lo:[0,0,1] neg_hi:[0,0,1]
	v_pk_fma_f32 v[16:17], v[110:111], v[114:115], v[16:17] op_sel_hi:[1,0,1]
	s_nop 0
	v_mov_b32_e32 v19, v17
	s_waitcnt vmcnt(2) lgkmcnt(2)
	v_pk_mul_f32 v[16:17], v[2:3], v[116:117] op_sel:[1,1] op_sel_hi:[0,1]
	v_pk_add_f32 v[14:15], v[14:15], v[18:19]
	v_pk_fma_f32 v[18:19], v[2:3], v[116:117], v[16:17] neg_lo:[0,0,1] neg_hi:[0,0,1]
	v_pk_fma_f32 v[2:3], v[2:3], v[116:117], v[16:17] op_sel_hi:[1,0,1]
	s_nop 0
	v_mov_b32_e32 v19, v3
	v_pk_add_f32 v[2:3], v[14:15], v[18:19]
	v_mov_b32_e32 v14, v119
	v_pk_mul_f32 v[14:15], v[4:5], v[14:15] op_sel:[1,0] op_sel_hi:[0,0]
	v_pk_fma_f32 v[16:17], v[4:5], v[118:119], v[14:15] neg_lo:[0,0,1] neg_hi:[0,0,1]
	v_pk_fma_f32 v[4:5], v[4:5], v[118:119], v[14:15] op_sel_hi:[1,0,1]
	s_nop 0
	v_mov_b32_e32 v17, v5
	s_waitcnt vmcnt(1) lgkmcnt(1)
	v_pk_mul_f32 v[4:5], v[6:7], v[120:121] op_sel:[1,1] op_sel_hi:[0,1]
	v_pk_fma_f32 v[14:15], v[6:7], v[120:121], v[4:5] neg_lo:[0,0,1] neg_hi:[0,0,1]
	v_pk_fma_f32 v[4:5], v[6:7], v[120:121], v[4:5] op_sel_hi:[1,0,1]
	v_pk_add_f32 v[2:3], v[2:3], v[16:17]
	v_mov_b32_e32 v4, v123
	v_mov_b32_e32 v15, v5
	v_pk_mul_f32 v[4:5], v[8:9], v[4:5] op_sel:[1,0] op_sel_hi:[0,0]
	v_pk_fma_f32 v[6:7], v[8:9], v[122:123], v[4:5] neg_lo:[0,0,1] neg_hi:[0,0,1]
	v_pk_fma_f32 v[4:5], v[8:9], v[122:123], v[4:5] op_sel_hi:[1,0,1]
	v_pk_add_f32 v[2:3], v[2:3], v[14:15]
	v_mov_b32_e32 v7, v5
	s_waitcnt vmcnt(0) lgkmcnt(0)
	v_pk_mul_f32 v[4:5], v[10:11], v[124:125] op_sel:[1,1] op_sel_hi:[0,1]
	v_pk_add_f32 v[2:3], v[2:3], v[6:7]
	v_pk_fma_f32 v[6:7], v[10:11], v[124:125], v[4:5] neg_lo:[0,0,1] neg_hi:[0,0,1]
	v_pk_fma_f32 v[4:5], v[10:11], v[124:125], v[4:5] op_sel_hi:[1,0,1]
	s_nop 0
	v_mov_b32_e32 v4, v127
	v_mov_b32_e32 v7, v5
	v_pk_mul_f32 v[4:5], v[12:13], v[4:5] op_sel:[1,0] op_sel_hi:[0,0]
	v_pk_add_f32 v[2:3], v[2:3], v[6:7]
	v_pk_fma_f32 v[6:7], v[12:13], v[126:127], v[4:5] neg_lo:[0,0,1] neg_hi:[0,0,1]
	v_pk_fma_f32 v[4:5], v[12:13], v[126:127], v[4:5] op_sel_hi:[1,0,1]
	s_nop 0
	v_mov_b32_e32 v7, v5
	v_pk_add_f32 v[2:3], v[2:3], v[6:7]
	s_nop 0
	v_pk_add_f32 v[2:3], v[128:129], v[2:3] neg_lo:[0,1] neg_hi:[0,1]
	scratch_store_dwordx2 off, v[2:3], off offset:104
	s_and_saveexec_b64 s[0:1], vcc
	s_cbranch_execz .LBB47_277
; %bb.276:
	scratch_load_dwordx2 v[2:3], off, off offset:96
	v_mov_b32_e32 v4, 0
	v_mov_b32_e32 v5, v4
	scratch_store_dwordx2 off, v[4:5], off offset:96
	s_waitcnt vmcnt(1)
	ds_write_b64 v1, v[2:3]
.LBB47_277:
	s_or_b64 exec, exec, s[0:1]
	s_waitcnt lgkmcnt(0)
	; wave barrier
	scratch_load_dwordx4 v[2:5], off, off offset:104
	scratch_load_dwordx4 v[6:9], off, off offset:120
	;; [unrolled: 1-line block ×13, first 2 shown]
	v_mov_b32_e32 v114, 0
	scratch_load_dwordx4 v[54:57], off, off offset:312
	scratch_load_dwordx2 v[128:129], off, off offset:96
	ds_read2_b64 v[58:61], v114 offset0:61 offset1:62
	ds_read2_b64 v[62:65], v114 offset0:63 offset1:64
	;; [unrolled: 1-line block ×14, first 2 shown]
	v_cmp_lt_u32_e32 vcc, 11, v0
	s_waitcnt vmcnt(14) lgkmcnt(13)
	v_mul_f32_e32 v115, v58, v3
	v_mul_f32_e32 v116, v60, v5
	v_fmac_f32_e32 v115, v59, v2
	s_waitcnt vmcnt(13) lgkmcnt(12)
	v_mul_f32_e32 v117, v62, v7
	v_fmac_f32_e32 v116, v61, v4
	v_add_f32_e32 v115, 0, v115
	v_mul_f32_e32 v118, v64, v9
	v_fmac_f32_e32 v117, v63, v6
	v_add_f32_e32 v115, v115, v116
	s_waitcnt vmcnt(12) lgkmcnt(11)
	v_mul_f32_e32 v119, v66, v11
	v_fmac_f32_e32 v118, v65, v8
	v_add_f32_e32 v115, v115, v117
	v_mul_f32_e32 v120, v68, v13
	v_fmac_f32_e32 v119, v67, v10
	v_add_f32_e32 v115, v115, v118
	s_waitcnt vmcnt(11) lgkmcnt(10)
	v_mul_f32_e32 v121, v70, v15
	v_fmac_f32_e32 v120, v69, v12
	v_add_f32_e32 v115, v115, v119
	v_mul_f32_e32 v122, v72, v17
	v_fmac_f32_e32 v121, v71, v14
	v_add_f32_e32 v115, v115, v120
	s_waitcnt vmcnt(10) lgkmcnt(9)
	v_mul_f32_e32 v123, v74, v19
	v_fmac_f32_e32 v122, v73, v16
	v_add_f32_e32 v115, v115, v121
	v_mul_f32_e32 v124, v76, v21
	v_fmac_f32_e32 v123, v75, v18
	v_add_f32_e32 v115, v115, v122
	s_waitcnt vmcnt(9) lgkmcnt(8)
	v_mul_f32_e32 v125, v78, v23
	v_fmac_f32_e32 v124, v77, v20
	v_add_f32_e32 v115, v115, v123
	v_mul_f32_e32 v126, v80, v25
	v_fmac_f32_e32 v125, v79, v22
	v_add_f32_e32 v115, v115, v124
	s_waitcnt vmcnt(8) lgkmcnt(7)
	v_mul_f32_e32 v127, v82, v27
	v_fmac_f32_e32 v126, v81, v24
	v_add_f32_e32 v115, v115, v125
	v_mul_f32_e32 v130, v84, v29
	v_fmac_f32_e32 v127, v83, v26
	v_add_f32_e32 v115, v115, v126
	s_waitcnt vmcnt(7) lgkmcnt(6)
	v_mul_f32_e32 v131, v86, v31
	v_fmac_f32_e32 v130, v85, v28
	v_add_f32_e32 v115, v115, v127
	scratch_load_dwordx4 v[116:119], off, off offset:328
	v_mul_f32_e32 v132, v88, v33
	v_fmac_f32_e32 v131, v87, v30
	v_add_f32_e32 v115, v115, v130
	s_waitcnt vmcnt(7) lgkmcnt(5)
	v_mul_f32_e32 v133, v90, v35
	v_fmac_f32_e32 v132, v89, v32
	v_add_f32_e32 v115, v115, v131
	v_mul_f32_e32 v134, v92, v37
	v_fmac_f32_e32 v133, v91, v34
	v_add_f32_e32 v115, v115, v132
	s_waitcnt vmcnt(6) lgkmcnt(4)
	v_mul_f32_e32 v135, v94, v39
	v_fmac_f32_e32 v134, v93, v36
	v_add_f32_e32 v115, v115, v133
	;; [unrolled: 7-line block ×3, first 2 shown]
	v_fmac_f32_e32 v137, v99, v42
	v_add_f32_e32 v115, v115, v136
	v_add_f32_e32 v115, v115, v137
	scratch_load_dwordx4 v[120:123], off, off offset:344
	scratch_load_dwordx4 v[124:127], off, off offset:360
	scratch_load_dwordx2 v[136:137], off, off offset:376
	v_mul_f32_e32 v3, v59, v3
	v_fma_f32 v2, v58, v2, -v3
	v_mul_f32_e32 v3, v61, v5
	v_add_f32_e32 v2, 0, v2
	v_fma_f32 v3, v60, v4, -v3
	v_add_f32_e32 v2, v2, v3
	v_mul_f32_e32 v3, v63, v7
	v_fma_f32 v3, v62, v6, -v3
	v_add_f32_e32 v2, v2, v3
	v_mul_f32_e32 v3, v65, v9
	;; [unrolled: 3-line block ×20, first 2 shown]
	v_fma_f32 v3, v100, v44, -v3
	v_add_f32_e32 v2, v2, v3
	s_waitcnt vmcnt(7) lgkmcnt(2)
	v_mul_f32_e32 v3, v103, v47
	v_fma_f32 v3, v102, v46, -v3
	v_add_f32_e32 v2, v2, v3
	v_mul_f32_e32 v3, v105, v49
	v_mul_f32_e32 v138, v100, v45
	v_fma_f32 v3, v104, v48, -v3
	v_mul_f32_e32 v139, v102, v47
	v_fmac_f32_e32 v138, v101, v44
	v_add_f32_e32 v2, v2, v3
	s_waitcnt vmcnt(6) lgkmcnt(1)
	v_mul_f32_e32 v3, v107, v51
	v_mul_f32_e32 v140, v104, v49
	v_fmac_f32_e32 v139, v103, v46
	v_add_f32_e32 v115, v115, v138
	v_fma_f32 v3, v106, v50, -v3
	v_mul_f32_e32 v141, v106, v51
	v_fmac_f32_e32 v140, v105, v48
	v_add_f32_e32 v115, v115, v139
	v_add_f32_e32 v130, v2, v3
	v_mul_f32_e32 v2, v109, v53
	v_fmac_f32_e32 v141, v107, v50
	v_add_f32_e32 v115, v115, v140
	v_mul_f32_e32 v133, v108, v53
	v_fma_f32 v132, v108, v52, -v2
	s_waitcnt vmcnt(5) lgkmcnt(0)
	v_mul_f32_e32 v2, v111, v55
	v_mov_b32_e32 v18, v57
	v_add_f32_e32 v131, v115, v141
	v_fmac_f32_e32 v133, v109, v52
	v_mul_f32_e32 v135, v110, v55
	v_fma_f32 v134, v110, v54, -v2
	ds_read2_b64 v[2:5], v114 offset0:89 offset1:90
	ds_read2_b64 v[6:9], v114 offset0:91 offset1:92
	;; [unrolled: 1-line block ×3, first 2 shown]
	ds_read_b64 v[14:15], v114 offset:760
	v_pk_mul_f32 v[18:19], v[112:113], v[18:19] op_sel:[1,0] op_sel_hi:[0,0]
	v_fmac_f32_e32 v135, v111, v54
	v_pk_add_f32 v[16:17], v[130:131], v[132:133]
	v_pk_fma_f32 v[20:21], v[112:113], v[56:57], v[18:19] neg_lo:[0,0,1] neg_hi:[0,0,1]
	v_pk_fma_f32 v[18:19], v[112:113], v[56:57], v[18:19] op_sel_hi:[1,0,1]
	v_pk_add_f32 v[16:17], v[16:17], v[134:135]
	v_mov_b32_e32 v21, v19
	s_waitcnt vmcnt(3) lgkmcnt(3)
	v_pk_mul_f32 v[18:19], v[2:3], v[116:117] op_sel:[1,1] op_sel_hi:[0,1]
	v_pk_add_f32 v[16:17], v[16:17], v[20:21]
	v_pk_fma_f32 v[20:21], v[2:3], v[116:117], v[18:19] neg_lo:[0,0,1] neg_hi:[0,0,1]
	v_pk_fma_f32 v[2:3], v[2:3], v[116:117], v[18:19] op_sel_hi:[1,0,1]
	s_nop 0
	v_mov_b32_e32 v21, v3
	v_pk_add_f32 v[2:3], v[16:17], v[20:21]
	v_mov_b32_e32 v16, v119
	v_pk_mul_f32 v[16:17], v[4:5], v[16:17] op_sel:[1,0] op_sel_hi:[0,0]
	v_pk_fma_f32 v[18:19], v[4:5], v[118:119], v[16:17] neg_lo:[0,0,1] neg_hi:[0,0,1]
	v_pk_fma_f32 v[4:5], v[4:5], v[118:119], v[16:17] op_sel_hi:[1,0,1]
	s_nop 0
	v_mov_b32_e32 v19, v5
	s_waitcnt vmcnt(2) lgkmcnt(2)
	v_pk_mul_f32 v[4:5], v[6:7], v[120:121] op_sel:[1,1] op_sel_hi:[0,1]
	v_pk_fma_f32 v[16:17], v[6:7], v[120:121], v[4:5] neg_lo:[0,0,1] neg_hi:[0,0,1]
	v_pk_fma_f32 v[4:5], v[6:7], v[120:121], v[4:5] op_sel_hi:[1,0,1]
	v_pk_add_f32 v[2:3], v[2:3], v[18:19]
	v_mov_b32_e32 v4, v123
	v_mov_b32_e32 v17, v5
	v_pk_mul_f32 v[4:5], v[8:9], v[4:5] op_sel:[1,0] op_sel_hi:[0,0]
	v_pk_fma_f32 v[6:7], v[8:9], v[122:123], v[4:5] neg_lo:[0,0,1] neg_hi:[0,0,1]
	v_pk_fma_f32 v[4:5], v[8:9], v[122:123], v[4:5] op_sel_hi:[1,0,1]
	v_pk_add_f32 v[2:3], v[2:3], v[16:17]
	v_mov_b32_e32 v7, v5
	s_waitcnt vmcnt(1) lgkmcnt(1)
	v_pk_mul_f32 v[4:5], v[10:11], v[124:125] op_sel:[1,1] op_sel_hi:[0,1]
	v_pk_add_f32 v[2:3], v[2:3], v[6:7]
	v_pk_fma_f32 v[6:7], v[10:11], v[124:125], v[4:5] neg_lo:[0,0,1] neg_hi:[0,0,1]
	v_pk_fma_f32 v[4:5], v[10:11], v[124:125], v[4:5] op_sel_hi:[1,0,1]
	s_nop 0
	v_mov_b32_e32 v4, v127
	v_mov_b32_e32 v7, v5
	v_pk_mul_f32 v[4:5], v[12:13], v[4:5] op_sel:[1,0] op_sel_hi:[0,0]
	v_pk_add_f32 v[2:3], v[2:3], v[6:7]
	v_pk_fma_f32 v[6:7], v[12:13], v[126:127], v[4:5] neg_lo:[0,0,1] neg_hi:[0,0,1]
	v_pk_fma_f32 v[4:5], v[12:13], v[126:127], v[4:5] op_sel_hi:[1,0,1]
	s_nop 0
	v_mov_b32_e32 v7, v5
	s_waitcnt vmcnt(0) lgkmcnt(0)
	v_pk_mul_f32 v[4:5], v[14:15], v[136:137] op_sel:[1,1] op_sel_hi:[0,1]
	v_pk_add_f32 v[2:3], v[2:3], v[6:7]
	v_pk_fma_f32 v[6:7], v[14:15], v[136:137], v[4:5] neg_lo:[0,0,1] neg_hi:[0,0,1]
	v_pk_fma_f32 v[4:5], v[14:15], v[136:137], v[4:5] op_sel_hi:[1,0,1]
	s_nop 0
	v_mov_b32_e32 v7, v5
	v_pk_add_f32 v[2:3], v[2:3], v[6:7]
	s_nop 0
	v_pk_add_f32 v[2:3], v[128:129], v[2:3] neg_lo:[0,1] neg_hi:[0,1]
	scratch_store_dwordx2 off, v[2:3], off offset:96
	s_and_saveexec_b64 s[0:1], vcc
	s_cbranch_execz .LBB47_279
; %bb.278:
	scratch_load_dwordx2 v[2:3], off, off offset:88
	v_mov_b32_e32 v115, v114
	scratch_store_dwordx2 off, v[114:115], off offset:88
	s_waitcnt vmcnt(1)
	ds_write_b64 v1, v[2:3]
.LBB47_279:
	s_or_b64 exec, exec, s[0:1]
	s_waitcnt lgkmcnt(0)
	; wave barrier
	scratch_load_dwordx4 v[2:5], off, off offset:96
	scratch_load_dwordx4 v[6:9], off, off offset:112
	;; [unrolled: 1-line block ×13, first 2 shown]
	ds_read_b128 v[110:113], v114 offset:480
	ds_read_b128 v[106:109], v114 offset:496
	;; [unrolled: 1-line block ×14, first 2 shown]
	scratch_load_dwordx4 v[66:69], off, off offset:304
	scratch_load_dwordx2 v[132:133], off, off offset:88
	v_cmp_lt_u32_e32 vcc, 10, v0
	s_waitcnt vmcnt(14) lgkmcnt(13)
	v_mul_f32_e32 v115, v110, v3
	v_mul_f32_e32 v116, v112, v5
	v_fmac_f32_e32 v115, v111, v2
	s_waitcnt vmcnt(13) lgkmcnt(12)
	v_mul_f32_e32 v117, v106, v7
	v_fmac_f32_e32 v116, v113, v4
	v_add_f32_e32 v115, 0, v115
	v_mul_f32_e32 v118, v108, v9
	v_fmac_f32_e32 v117, v107, v6
	v_add_f32_e32 v115, v115, v116
	s_waitcnt vmcnt(12) lgkmcnt(11)
	v_mul_f32_e32 v119, v102, v11
	v_fmac_f32_e32 v118, v109, v8
	v_add_f32_e32 v115, v115, v117
	v_mul_f32_e32 v120, v104, v13
	v_fmac_f32_e32 v119, v103, v10
	v_add_f32_e32 v115, v115, v118
	;; [unrolled: 7-line block ×4, first 2 shown]
	s_waitcnt vmcnt(9) lgkmcnt(8)
	v_mul_f32_e32 v125, v90, v23
	v_fmac_f32_e32 v124, v97, v20
	v_add_f32_e32 v115, v115, v123
	scratch_load_dwordx4 v[116:119], off, off offset:320
	v_mul_f32_e32 v126, v92, v25
	v_fmac_f32_e32 v125, v91, v22
	v_add_f32_e32 v115, v115, v124
	s_waitcnt vmcnt(9) lgkmcnt(7)
	v_mul_f32_e32 v127, v86, v27
	v_fmac_f32_e32 v126, v93, v24
	v_add_f32_e32 v115, v115, v125
	v_mul_f32_e32 v128, v88, v29
	v_fmac_f32_e32 v127, v87, v26
	v_add_f32_e32 v115, v115, v126
	s_waitcnt vmcnt(8) lgkmcnt(6)
	v_mul_f32_e32 v129, v82, v31
	v_fmac_f32_e32 v128, v89, v28
	v_add_f32_e32 v115, v115, v127
	;; [unrolled: 7-line block ×3, first 2 shown]
	v_fmac_f32_e32 v131, v79, v34
	v_add_f32_e32 v115, v115, v130
	v_add_f32_e32 v115, v115, v131
	scratch_load_dwordx4 v[120:123], off, off offset:336
	scratch_load_dwordx4 v[124:127], off, off offset:352
	;; [unrolled: 1-line block ×3, first 2 shown]
	v_mul_f32_e32 v3, v111, v3
	v_fma_f32 v2, v110, v2, -v3
	v_mul_f32_e32 v3, v113, v5
	v_add_f32_e32 v2, 0, v2
	v_fma_f32 v3, v112, v4, -v3
	v_add_f32_e32 v2, v2, v3
	v_mul_f32_e32 v3, v107, v7
	v_fma_f32 v3, v106, v6, -v3
	v_add_f32_e32 v2, v2, v3
	v_mul_f32_e32 v3, v109, v9
	;; [unrolled: 3-line block ×16, first 2 shown]
	v_fma_f32 v3, v80, v36, -v3
	v_add_f32_e32 v2, v2, v3
	s_waitcnt vmcnt(9) lgkmcnt(4)
	v_mul_f32_e32 v3, v75, v39
	v_fma_f32 v3, v74, v38, -v3
	v_add_f32_e32 v2, v2, v3
	v_mul_f32_e32 v3, v77, v41
	v_fma_f32 v3, v76, v40, -v3
	v_add_f32_e32 v2, v2, v3
	s_waitcnt vmcnt(8) lgkmcnt(3)
	v_mul_f32_e32 v3, v71, v43
	v_fma_f32 v3, v70, v42, -v3
	v_add_f32_e32 v2, v2, v3
	v_mul_f32_e32 v3, v73, v45
	v_fma_f32 v3, v72, v44, -v3
	v_add_f32_e32 v2, v2, v3
	s_waitcnt vmcnt(7) lgkmcnt(2)
	v_mul_f32_e32 v3, v63, v47
	v_fma_f32 v3, v62, v46, -v3
	v_mul_f32_e32 v134, v80, v37
	v_add_f32_e32 v2, v2, v3
	v_mul_f32_e32 v3, v65, v49
	v_mul_f32_e32 v135, v74, v39
	v_fmac_f32_e32 v134, v81, v36
	v_fma_f32 v3, v64, v48, -v3
	v_mul_f32_e32 v136, v76, v41
	v_fmac_f32_e32 v135, v75, v38
	v_add_f32_e32 v115, v115, v134
	v_add_f32_e32 v2, v2, v3
	s_waitcnt vmcnt(6) lgkmcnt(1)
	v_mul_f32_e32 v3, v55, v51
	v_mul_f32_e32 v137, v70, v43
	v_fmac_f32_e32 v136, v77, v40
	v_add_f32_e32 v115, v115, v135
	v_fma_f32 v3, v54, v50, -v3
	v_mul_f32_e32 v138, v72, v45
	v_fmac_f32_e32 v137, v71, v42
	v_add_f32_e32 v115, v115, v136
	v_add_f32_e32 v2, v2, v3
	v_mul_f32_e32 v3, v57, v53
	v_mul_f32_e32 v139, v62, v47
	v_fmac_f32_e32 v138, v73, v44
	v_add_f32_e32 v115, v115, v137
	v_fma_f32 v3, v56, v52, -v3
	v_mul_f32_e32 v140, v64, v49
	v_fmac_f32_e32 v139, v63, v46
	v_add_f32_e32 v115, v115, v138
	v_add_f32_e32 v134, v2, v3
	s_waitcnt vmcnt(5) lgkmcnt(0)
	v_mul_f32_e32 v2, v59, v67
	v_mul_f32_e32 v141, v54, v51
	v_fmac_f32_e32 v140, v65, v48
	v_add_f32_e32 v115, v115, v139
	v_fma_f32 v136, v58, v66, -v2
	v_mul_f32_e32 v2, v61, v69
	v_mul_f32_e32 v142, v56, v53
	v_fmac_f32_e32 v141, v55, v50
	v_add_f32_e32 v115, v115, v140
	v_fma_f32 v138, v60, v68, -v2
	ds_read_b128 v[2:5], v114 offset:704
	ds_read_b128 v[6:9], v114 offset:720
	;; [unrolled: 1-line block ×4, first 2 shown]
	v_add_f32_e32 v115, v115, v141
	v_fmac_f32_e32 v142, v57, v52
	v_mul_f32_e32 v137, v58, v67
	v_add_f32_e32 v135, v115, v142
	v_fmac_f32_e32 v137, v59, v66
	v_mul_f32_e32 v139, v60, v69
	s_waitcnt vmcnt(3) lgkmcnt(3)
	v_pk_mul_f32 v[20:21], v[2:3], v[116:117] op_sel:[1,1] op_sel_hi:[0,1]
	v_fmac_f32_e32 v139, v61, v68
	v_pk_add_f32 v[18:19], v[134:135], v[136:137]
	v_pk_fma_f32 v[22:23], v[2:3], v[116:117], v[20:21] neg_lo:[0,0,1] neg_hi:[0,0,1]
	v_pk_fma_f32 v[2:3], v[2:3], v[116:117], v[20:21] op_sel_hi:[1,0,1]
	v_pk_add_f32 v[18:19], v[18:19], v[138:139]
	v_mov_b32_e32 v23, v3
	v_pk_add_f32 v[2:3], v[18:19], v[22:23]
	v_mov_b32_e32 v18, v119
	v_pk_mul_f32 v[18:19], v[4:5], v[18:19] op_sel:[1,0] op_sel_hi:[0,0]
	v_pk_fma_f32 v[20:21], v[4:5], v[118:119], v[18:19] neg_lo:[0,0,1] neg_hi:[0,0,1]
	v_pk_fma_f32 v[4:5], v[4:5], v[118:119], v[18:19] op_sel_hi:[1,0,1]
	s_nop 0
	v_mov_b32_e32 v21, v5
	s_waitcnt vmcnt(2) lgkmcnt(2)
	v_pk_mul_f32 v[4:5], v[6:7], v[120:121] op_sel:[1,1] op_sel_hi:[0,1]
	v_pk_fma_f32 v[18:19], v[6:7], v[120:121], v[4:5] neg_lo:[0,0,1] neg_hi:[0,0,1]
	v_pk_fma_f32 v[4:5], v[6:7], v[120:121], v[4:5] op_sel_hi:[1,0,1]
	v_pk_add_f32 v[2:3], v[2:3], v[20:21]
	v_mov_b32_e32 v4, v123
	v_mov_b32_e32 v19, v5
	v_pk_mul_f32 v[4:5], v[8:9], v[4:5] op_sel:[1,0] op_sel_hi:[0,0]
	v_pk_fma_f32 v[6:7], v[8:9], v[122:123], v[4:5] neg_lo:[0,0,1] neg_hi:[0,0,1]
	v_pk_fma_f32 v[4:5], v[8:9], v[122:123], v[4:5] op_sel_hi:[1,0,1]
	v_pk_add_f32 v[2:3], v[2:3], v[18:19]
	v_mov_b32_e32 v7, v5
	s_waitcnt vmcnt(1) lgkmcnt(1)
	v_pk_mul_f32 v[4:5], v[10:11], v[124:125] op_sel:[1,1] op_sel_hi:[0,1]
	v_pk_add_f32 v[2:3], v[2:3], v[6:7]
	v_pk_fma_f32 v[6:7], v[10:11], v[124:125], v[4:5] neg_lo:[0,0,1] neg_hi:[0,0,1]
	v_pk_fma_f32 v[4:5], v[10:11], v[124:125], v[4:5] op_sel_hi:[1,0,1]
	s_nop 0
	v_mov_b32_e32 v4, v127
	v_mov_b32_e32 v7, v5
	v_pk_mul_f32 v[4:5], v[12:13], v[4:5] op_sel:[1,0] op_sel_hi:[0,0]
	v_pk_add_f32 v[2:3], v[2:3], v[6:7]
	v_pk_fma_f32 v[6:7], v[12:13], v[126:127], v[4:5] neg_lo:[0,0,1] neg_hi:[0,0,1]
	v_pk_fma_f32 v[4:5], v[12:13], v[126:127], v[4:5] op_sel_hi:[1,0,1]
	s_nop 0
	v_mov_b32_e32 v7, v5
	s_waitcnt vmcnt(0) lgkmcnt(0)
	v_pk_mul_f32 v[4:5], v[14:15], v[128:129] op_sel:[1,1] op_sel_hi:[0,1]
	v_pk_add_f32 v[2:3], v[2:3], v[6:7]
	v_pk_fma_f32 v[6:7], v[14:15], v[128:129], v[4:5] neg_lo:[0,0,1] neg_hi:[0,0,1]
	v_pk_fma_f32 v[4:5], v[14:15], v[128:129], v[4:5] op_sel_hi:[1,0,1]
	s_nop 0
	v_mov_b32_e32 v4, v131
	v_mov_b32_e32 v7, v5
	v_pk_mul_f32 v[4:5], v[16:17], v[4:5] op_sel:[1,0] op_sel_hi:[0,0]
	v_pk_add_f32 v[2:3], v[2:3], v[6:7]
	v_pk_fma_f32 v[6:7], v[16:17], v[130:131], v[4:5] neg_lo:[0,0,1] neg_hi:[0,0,1]
	v_pk_fma_f32 v[4:5], v[16:17], v[130:131], v[4:5] op_sel_hi:[1,0,1]
	s_nop 0
	v_mov_b32_e32 v7, v5
	v_pk_add_f32 v[2:3], v[2:3], v[6:7]
	s_nop 0
	v_pk_add_f32 v[2:3], v[132:133], v[2:3] neg_lo:[0,1] neg_hi:[0,1]
	scratch_store_dwordx2 off, v[2:3], off offset:88
	s_and_saveexec_b64 s[0:1], vcc
	s_cbranch_execz .LBB47_281
; %bb.280:
	scratch_load_dwordx2 v[2:3], off, off offset:80
	v_mov_b32_e32 v4, 0
	v_mov_b32_e32 v5, v4
	scratch_store_dwordx2 off, v[4:5], off offset:80
	s_waitcnt vmcnt(1)
	ds_write_b64 v1, v[2:3]
.LBB47_281:
	s_or_b64 exec, exec, s[0:1]
	s_waitcnt lgkmcnt(0)
	; wave barrier
	scratch_load_dwordx4 v[2:5], off, off offset:88
	scratch_load_dwordx4 v[6:9], off, off offset:104
	;; [unrolled: 1-line block ×15, first 2 shown]
	scratch_load_dwordx2 v[140:141], off, off offset:80
	v_mov_b32_e32 v118, 0
	ds_read2_b64 v[62:65], v118 offset0:59 offset1:60
	ds_read2_b64 v[66:69], v118 offset0:61 offset1:62
	;; [unrolled: 1-line block ×14, first 2 shown]
	v_cmp_lt_u32_e32 vcc, 9, v0
	s_waitcnt vmcnt(15) lgkmcnt(13)
	v_mul_f32_e32 v119, v62, v3
	v_mul_f32_e32 v120, v64, v5
	v_fmac_f32_e32 v119, v63, v2
	s_waitcnt vmcnt(14) lgkmcnt(12)
	v_mul_f32_e32 v121, v66, v7
	v_fmac_f32_e32 v120, v65, v4
	v_add_f32_e32 v119, 0, v119
	v_mul_f32_e32 v122, v68, v9
	v_fmac_f32_e32 v121, v67, v6
	v_add_f32_e32 v119, v119, v120
	s_waitcnt vmcnt(13) lgkmcnt(11)
	v_mul_f32_e32 v123, v70, v11
	v_fmac_f32_e32 v122, v69, v8
	v_add_f32_e32 v119, v119, v121
	v_mul_f32_e32 v124, v72, v13
	v_fmac_f32_e32 v123, v71, v10
	v_add_f32_e32 v119, v119, v122
	;; [unrolled: 7-line block ×11, first 2 shown]
	s_waitcnt vmcnt(3) lgkmcnt(1)
	v_mul_f32_e32 v145, v110, v51
	v_fmac_f32_e32 v144, v109, v48
	v_add_f32_e32 v119, v119, v143
	v_add_f32_e32 v119, v119, v144
	v_fmac_f32_e32 v145, v111, v50
	v_mul_f32_e32 v120, v112, v53
	v_add_f32_e32 v119, v119, v145
	v_fmac_f32_e32 v120, v113, v52
	s_waitcnt vmcnt(2) lgkmcnt(0)
	v_mul_f32_e32 v124, v114, v55
	v_add_f32_e32 v119, v119, v120
	v_fmac_f32_e32 v124, v115, v54
	ds_read2_b64 v[120:123], v118 offset0:87 offset1:88
	v_add_f32_e32 v143, v119, v124
	ds_read2_b64 v[124:127], v118 offset0:89 offset1:90
	scratch_load_dwordx4 v[128:131], off, off offset:328
	scratch_load_dwordx4 v[132:135], off, off offset:344
	;; [unrolled: 1-line block ×3, first 2 shown]
	scratch_load_dwordx2 v[148:149], off, off offset:376
	v_mul_f32_e32 v3, v63, v3
	v_fma_f32 v2, v62, v2, -v3
	v_mul_f32_e32 v3, v65, v5
	v_add_f32_e32 v2, 0, v2
	v_fma_f32 v3, v64, v4, -v3
	v_add_f32_e32 v2, v2, v3
	v_mul_f32_e32 v3, v67, v7
	v_fma_f32 v3, v66, v6, -v3
	v_add_f32_e32 v2, v2, v3
	v_mul_f32_e32 v3, v69, v9
	;; [unrolled: 3-line block ×25, first 2 shown]
	v_fma_f32 v3, v114, v54, -v3
	v_mul_f32_e32 v145, v116, v57
	v_add_f32_e32 v142, v2, v3
	v_mul_f32_e32 v2, v117, v57
	s_waitcnt vmcnt(5)
	v_mov_b32_e32 v14, v61
	v_fmac_f32_e32 v145, v117, v56
	s_waitcnt lgkmcnt(1)
	v_mul_f32_e32 v147, v120, v59
	v_fma_f32 v144, v116, v56, -v2
	v_mul_f32_e32 v2, v121, v59
	v_pk_mul_f32 v[14:15], v[122:123], v[14:15] op_sel:[1,0] op_sel_hi:[0,0]
	v_fmac_f32_e32 v147, v121, v58
	v_fma_f32 v146, v120, v58, -v2
	v_pk_add_f32 v[12:13], v[142:143], v[144:145]
	v_pk_fma_f32 v[16:17], v[122:123], v[60:61], v[14:15] neg_lo:[0,0,1] neg_hi:[0,0,1]
	v_pk_fma_f32 v[14:15], v[122:123], v[60:61], v[14:15] op_sel_hi:[1,0,1]
	v_pk_add_f32 v[12:13], v[12:13], v[146:147]
	v_mov_b32_e32 v17, v15
	s_waitcnt vmcnt(3) lgkmcnt(0)
	v_pk_mul_f32 v[14:15], v[124:125], v[128:129] op_sel:[1,1] op_sel_hi:[0,1]
	v_pk_add_f32 v[12:13], v[12:13], v[16:17]
	v_pk_fma_f32 v[16:17], v[124:125], v[128:129], v[14:15] neg_lo:[0,0,1] neg_hi:[0,0,1]
	v_pk_fma_f32 v[14:15], v[124:125], v[128:129], v[14:15] op_sel_hi:[1,0,1]
	ds_read2_b64 v[2:5], v118 offset0:91 offset1:92
	ds_read2_b64 v[6:9], v118 offset0:93 offset1:94
	ds_read_b64 v[10:11], v118 offset:760
	v_mov_b32_e32 v14, v131
	v_mov_b32_e32 v17, v15
	v_pk_mul_f32 v[14:15], v[126:127], v[14:15] op_sel:[1,0] op_sel_hi:[0,0]
	v_pk_add_f32 v[12:13], v[12:13], v[16:17]
	v_pk_fma_f32 v[16:17], v[126:127], v[130:131], v[14:15] neg_lo:[0,0,1] neg_hi:[0,0,1]
	v_pk_fma_f32 v[14:15], v[126:127], v[130:131], v[14:15] op_sel_hi:[1,0,1]
	s_nop 0
	v_mov_b32_e32 v17, v15
	s_waitcnt vmcnt(2) lgkmcnt(2)
	v_pk_mul_f32 v[14:15], v[2:3], v[132:133] op_sel:[1,1] op_sel_hi:[0,1]
	v_pk_add_f32 v[12:13], v[12:13], v[16:17]
	v_pk_fma_f32 v[16:17], v[2:3], v[132:133], v[14:15] neg_lo:[0,0,1] neg_hi:[0,0,1]
	v_pk_fma_f32 v[2:3], v[2:3], v[132:133], v[14:15] op_sel_hi:[1,0,1]
	s_nop 0
	v_mov_b32_e32 v17, v3
	v_pk_add_f32 v[2:3], v[12:13], v[16:17]
	v_mov_b32_e32 v12, v135
	v_pk_mul_f32 v[12:13], v[4:5], v[12:13] op_sel:[1,0] op_sel_hi:[0,0]
	v_pk_fma_f32 v[14:15], v[4:5], v[134:135], v[12:13] neg_lo:[0,0,1] neg_hi:[0,0,1]
	v_pk_fma_f32 v[4:5], v[4:5], v[134:135], v[12:13] op_sel_hi:[1,0,1]
	s_nop 0
	v_mov_b32_e32 v15, v5
	s_waitcnt vmcnt(1) lgkmcnt(1)
	v_pk_mul_f32 v[4:5], v[6:7], v[136:137] op_sel:[1,1] op_sel_hi:[0,1]
	v_pk_fma_f32 v[12:13], v[6:7], v[136:137], v[4:5] neg_lo:[0,0,1] neg_hi:[0,0,1]
	v_pk_fma_f32 v[4:5], v[6:7], v[136:137], v[4:5] op_sel_hi:[1,0,1]
	v_pk_add_f32 v[2:3], v[2:3], v[14:15]
	v_mov_b32_e32 v4, v139
	v_mov_b32_e32 v13, v5
	v_pk_mul_f32 v[4:5], v[8:9], v[4:5] op_sel:[1,0] op_sel_hi:[0,0]
	v_pk_fma_f32 v[6:7], v[8:9], v[138:139], v[4:5] neg_lo:[0,0,1] neg_hi:[0,0,1]
	v_pk_fma_f32 v[4:5], v[8:9], v[138:139], v[4:5] op_sel_hi:[1,0,1]
	v_pk_add_f32 v[2:3], v[2:3], v[12:13]
	v_mov_b32_e32 v7, v5
	s_waitcnt vmcnt(0) lgkmcnt(0)
	v_pk_mul_f32 v[4:5], v[10:11], v[148:149] op_sel:[1,1] op_sel_hi:[0,1]
	v_pk_add_f32 v[2:3], v[2:3], v[6:7]
	v_pk_fma_f32 v[6:7], v[10:11], v[148:149], v[4:5] neg_lo:[0,0,1] neg_hi:[0,0,1]
	v_pk_fma_f32 v[4:5], v[10:11], v[148:149], v[4:5] op_sel_hi:[1,0,1]
	s_nop 0
	v_mov_b32_e32 v7, v5
	v_pk_add_f32 v[2:3], v[2:3], v[6:7]
	s_nop 0
	v_pk_add_f32 v[2:3], v[140:141], v[2:3] neg_lo:[0,1] neg_hi:[0,1]
	scratch_store_dwordx2 off, v[2:3], off offset:80
	s_and_saveexec_b64 s[0:1], vcc
	s_cbranch_execz .LBB47_283
; %bb.282:
	scratch_load_dwordx2 v[2:3], off, off offset:72
	v_mov_b32_e32 v119, v118
	scratch_store_dwordx2 off, v[118:119], off offset:72
	s_waitcnt vmcnt(1)
	ds_write_b64 v1, v[2:3]
.LBB47_283:
	s_or_b64 exec, exec, s[0:1]
	s_waitcnt lgkmcnt(0)
	; wave barrier
	scratch_load_dwordx4 v[2:5], off, off offset:80
	scratch_load_dwordx4 v[6:9], off, off offset:96
	;; [unrolled: 1-line block ×13, first 2 shown]
	ds_read_b128 v[114:117], v118 offset:464
	ds_read_b128 v[110:113], v118 offset:480
	;; [unrolled: 1-line block ×14, first 2 shown]
	scratch_load_dwordx4 v[62:65], off, off offset:288
	scratch_load_dwordx4 v[70:73], off, off offset:304
	scratch_load_dwordx2 v[144:145], off, off offset:72
	v_cmp_lt_u32_e32 vcc, 8, v0
	s_waitcnt vmcnt(15) lgkmcnt(13)
	v_mul_f32_e32 v119, v114, v3
	v_mul_f32_e32 v120, v116, v5
	v_fmac_f32_e32 v119, v115, v2
	s_waitcnt vmcnt(14) lgkmcnt(12)
	v_mul_f32_e32 v121, v110, v7
	v_fmac_f32_e32 v120, v117, v4
	v_add_f32_e32 v119, 0, v119
	v_mul_f32_e32 v122, v112, v9
	v_fmac_f32_e32 v121, v111, v6
	v_add_f32_e32 v119, v119, v120
	s_waitcnt vmcnt(13) lgkmcnt(11)
	v_mul_f32_e32 v123, v106, v11
	v_fmac_f32_e32 v122, v113, v8
	v_add_f32_e32 v119, v119, v121
	v_mul_f32_e32 v124, v108, v13
	v_fmac_f32_e32 v123, v107, v10
	v_add_f32_e32 v119, v119, v122
	;; [unrolled: 7-line block ×11, first 2 shown]
	s_waitcnt vmcnt(3) lgkmcnt(1)
	v_mul_f32_e32 v143, v54, v51
	v_fmac_f32_e32 v142, v69, v48
	v_add_f32_e32 v119, v119, v141
	v_fmac_f32_e32 v143, v55, v50
	v_add_f32_e32 v119, v119, v142
	v_mul_f32_e32 v120, v56, v53
	v_add_f32_e32 v119, v119, v143
	v_fmac_f32_e32 v120, v57, v52
	v_add_f32_e32 v119, v119, v120
	s_waitcnt vmcnt(2) lgkmcnt(0)
	v_mul_f32_e32 v120, v58, v63
	v_fmac_f32_e32 v120, v59, v62
	v_mul_f32_e32 v124, v60, v65
	v_add_f32_e32 v119, v119, v120
	v_fmac_f32_e32 v124, v61, v64
	ds_read_b128 v[120:123], v118 offset:688
	v_add_f32_e32 v147, v119, v124
	ds_read_b128 v[124:127], v118 offset:704
	scratch_load_dwordx4 v[128:131], off, off offset:320
	scratch_load_dwordx4 v[132:135], off, off offset:336
	;; [unrolled: 1-line block ×4, first 2 shown]
	v_mul_f32_e32 v3, v115, v3
	v_fma_f32 v2, v114, v2, -v3
	v_mul_f32_e32 v3, v117, v5
	v_add_f32_e32 v2, 0, v2
	v_fma_f32 v3, v116, v4, -v3
	v_add_f32_e32 v2, v2, v3
	v_mul_f32_e32 v3, v111, v7
	v_fma_f32 v3, v110, v6, -v3
	v_add_f32_e32 v2, v2, v3
	v_mul_f32_e32 v3, v113, v9
	;; [unrolled: 3-line block ×26, first 2 shown]
	v_fma_f32 v3, v60, v64, -v3
	s_waitcnt vmcnt(5) lgkmcnt(1)
	v_mul_f32_e32 v149, v120, v71
	v_add_f32_e32 v146, v2, v3
	v_mul_f32_e32 v2, v121, v71
	s_waitcnt vmcnt(3) lgkmcnt(0)
	v_pk_mul_f32 v[16:17], v[124:125], v[128:129] op_sel:[1,1] op_sel_hi:[0,1]
	v_fmac_f32_e32 v149, v121, v70
	v_mul_f32_e32 v151, v122, v73
	v_fma_f32 v148, v120, v70, -v2
	v_mul_f32_e32 v2, v123, v73
	v_pk_fma_f32 v[18:19], v[124:125], v[128:129], v[16:17] neg_lo:[0,0,1] neg_hi:[0,0,1]
	v_pk_fma_f32 v[16:17], v[124:125], v[128:129], v[16:17] op_sel_hi:[1,0,1]
	v_fmac_f32_e32 v151, v123, v72
	v_fma_f32 v150, v122, v72, -v2
	ds_read_b128 v[2:5], v118 offset:720
	ds_read_b128 v[6:9], v118 offset:736
	;; [unrolled: 1-line block ×3, first 2 shown]
	v_pk_add_f32 v[14:15], v[146:147], v[148:149]
	v_mov_b32_e32 v16, v131
	v_pk_add_f32 v[14:15], v[14:15], v[150:151]
	v_mov_b32_e32 v19, v17
	v_pk_mul_f32 v[16:17], v[126:127], v[16:17] op_sel:[1,0] op_sel_hi:[0,0]
	v_pk_add_f32 v[14:15], v[14:15], v[18:19]
	v_pk_fma_f32 v[18:19], v[126:127], v[130:131], v[16:17] neg_lo:[0,0,1] neg_hi:[0,0,1]
	v_pk_fma_f32 v[16:17], v[126:127], v[130:131], v[16:17] op_sel_hi:[1,0,1]
	s_nop 0
	v_mov_b32_e32 v19, v17
	s_waitcnt vmcnt(2) lgkmcnt(2)
	v_pk_mul_f32 v[16:17], v[2:3], v[132:133] op_sel:[1,1] op_sel_hi:[0,1]
	v_pk_add_f32 v[14:15], v[14:15], v[18:19]
	v_pk_fma_f32 v[18:19], v[2:3], v[132:133], v[16:17] neg_lo:[0,0,1] neg_hi:[0,0,1]
	v_pk_fma_f32 v[2:3], v[2:3], v[132:133], v[16:17] op_sel_hi:[1,0,1]
	s_nop 0
	v_mov_b32_e32 v19, v3
	v_pk_add_f32 v[2:3], v[14:15], v[18:19]
	v_mov_b32_e32 v14, v135
	v_pk_mul_f32 v[14:15], v[4:5], v[14:15] op_sel:[1,0] op_sel_hi:[0,0]
	v_pk_fma_f32 v[16:17], v[4:5], v[134:135], v[14:15] neg_lo:[0,0,1] neg_hi:[0,0,1]
	v_pk_fma_f32 v[4:5], v[4:5], v[134:135], v[14:15] op_sel_hi:[1,0,1]
	s_nop 0
	v_mov_b32_e32 v17, v5
	s_waitcnt vmcnt(1) lgkmcnt(1)
	v_pk_mul_f32 v[4:5], v[6:7], v[136:137] op_sel:[1,1] op_sel_hi:[0,1]
	v_pk_fma_f32 v[14:15], v[6:7], v[136:137], v[4:5] neg_lo:[0,0,1] neg_hi:[0,0,1]
	v_pk_fma_f32 v[4:5], v[6:7], v[136:137], v[4:5] op_sel_hi:[1,0,1]
	v_pk_add_f32 v[2:3], v[2:3], v[16:17]
	v_mov_b32_e32 v4, v139
	v_mov_b32_e32 v15, v5
	v_pk_mul_f32 v[4:5], v[8:9], v[4:5] op_sel:[1,0] op_sel_hi:[0,0]
	v_pk_fma_f32 v[6:7], v[8:9], v[138:139], v[4:5] neg_lo:[0,0,1] neg_hi:[0,0,1]
	v_pk_fma_f32 v[4:5], v[8:9], v[138:139], v[4:5] op_sel_hi:[1,0,1]
	v_pk_add_f32 v[2:3], v[2:3], v[14:15]
	v_mov_b32_e32 v7, v5
	s_waitcnt vmcnt(0) lgkmcnt(0)
	v_pk_mul_f32 v[4:5], v[10:11], v[140:141] op_sel:[1,1] op_sel_hi:[0,1]
	v_pk_add_f32 v[2:3], v[2:3], v[6:7]
	v_pk_fma_f32 v[6:7], v[10:11], v[140:141], v[4:5] neg_lo:[0,0,1] neg_hi:[0,0,1]
	v_pk_fma_f32 v[4:5], v[10:11], v[140:141], v[4:5] op_sel_hi:[1,0,1]
	s_nop 0
	v_mov_b32_e32 v4, v143
	v_mov_b32_e32 v7, v5
	v_pk_mul_f32 v[4:5], v[12:13], v[4:5] op_sel:[1,0] op_sel_hi:[0,0]
	v_pk_add_f32 v[2:3], v[2:3], v[6:7]
	v_pk_fma_f32 v[6:7], v[12:13], v[142:143], v[4:5] neg_lo:[0,0,1] neg_hi:[0,0,1]
	v_pk_fma_f32 v[4:5], v[12:13], v[142:143], v[4:5] op_sel_hi:[1,0,1]
	s_nop 0
	v_mov_b32_e32 v7, v5
	v_pk_add_f32 v[2:3], v[2:3], v[6:7]
	s_nop 0
	v_pk_add_f32 v[2:3], v[144:145], v[2:3] neg_lo:[0,1] neg_hi:[0,1]
	scratch_store_dwordx2 off, v[2:3], off offset:72
	s_and_saveexec_b64 s[0:1], vcc
	s_cbranch_execz .LBB47_285
; %bb.284:
	scratch_load_dwordx2 v[2:3], off, off offset:64
	v_mov_b32_e32 v4, 0
	v_mov_b32_e32 v5, v4
	scratch_store_dwordx2 off, v[4:5], off offset:64
	s_waitcnt vmcnt(1)
	ds_write_b64 v1, v[2:3]
.LBB47_285:
	s_or_b64 exec, exec, s[0:1]
	s_waitcnt lgkmcnt(0)
	; wave barrier
	scratch_load_dwordx4 v[2:5], off, off offset:72
	scratch_load_dwordx4 v[6:9], off, off offset:88
	;; [unrolled: 1-line block ×16, first 2 shown]
	scratch_load_dwordx2 v[144:145], off, off offset:64
	v_mov_b32_e32 v122, 0
	ds_read2_b64 v[66:69], v122 offset0:57 offset1:58
	ds_read2_b64 v[70:73], v122 offset0:59 offset1:60
	;; [unrolled: 1-line block ×14, first 2 shown]
	v_cmp_lt_u32_e32 vcc, 7, v0
	s_waitcnt vmcnt(16) lgkmcnt(13)
	v_mul_f32_e32 v123, v66, v3
	v_mul_f32_e32 v124, v68, v5
	v_fmac_f32_e32 v123, v67, v2
	s_waitcnt vmcnt(15) lgkmcnt(12)
	v_mul_f32_e32 v125, v70, v7
	v_fmac_f32_e32 v124, v69, v4
	v_add_f32_e32 v123, 0, v123
	v_mul_f32_e32 v126, v72, v9
	v_fmac_f32_e32 v125, v71, v6
	v_add_f32_e32 v123, v123, v124
	s_waitcnt vmcnt(14) lgkmcnt(11)
	v_mul_f32_e32 v127, v74, v11
	v_fmac_f32_e32 v126, v73, v8
	v_add_f32_e32 v123, v123, v125
	v_mul_f32_e32 v128, v76, v13
	v_fmac_f32_e32 v127, v75, v10
	v_add_f32_e32 v123, v123, v126
	;; [unrolled: 7-line block ×11, first 2 shown]
	v_fmac_f32_e32 v148, v113, v48
	v_add_f32_e32 v123, v123, v147
	s_waitcnt vmcnt(4) lgkmcnt(1)
	v_mul_f32_e32 v124, v114, v51
	v_add_f32_e32 v123, v123, v148
	v_fmac_f32_e32 v124, v115, v50
	v_add_f32_e32 v123, v123, v124
	v_mul_f32_e32 v124, v116, v53
	v_fmac_f32_e32 v124, v117, v52
	v_add_f32_e32 v123, v123, v124
	s_waitcnt vmcnt(3) lgkmcnt(0)
	v_mul_f32_e32 v124, v118, v55
	v_fmac_f32_e32 v124, v119, v54
	v_add_f32_e32 v123, v123, v124
	ds_read2_b64 v[124:127], v122 offset0:85 offset1:86
	v_mul_f32_e32 v128, v120, v57
	v_fmac_f32_e32 v128, v121, v56
	v_add_f32_e32 v123, v123, v128
	ds_read2_b64 v[128:131], v122 offset0:87 offset1:88
	s_waitcnt vmcnt(2) lgkmcnt(1)
	v_mul_f32_e32 v132, v124, v63
	v_fmac_f32_e32 v132, v125, v62
	v_add_f32_e32 v147, v123, v132
	scratch_load_dwordx4 v[132:135], off, off offset:328
	scratch_load_dwordx4 v[136:139], off, off offset:344
	;; [unrolled: 1-line block ×3, first 2 shown]
	scratch_load_dwordx2 v[152:153], off, off offset:376
	v_mul_f32_e32 v3, v67, v3
	v_fma_f32 v2, v66, v2, -v3
	v_mul_f32_e32 v3, v69, v5
	v_add_f32_e32 v2, 0, v2
	v_fma_f32 v3, v68, v4, -v3
	v_add_f32_e32 v2, v2, v3
	v_mul_f32_e32 v3, v71, v7
	v_fma_f32 v3, v70, v6, -v3
	v_add_f32_e32 v2, v2, v3
	v_mul_f32_e32 v3, v73, v9
	;; [unrolled: 3-line block ×28, first 2 shown]
	v_mul_f32_e32 v149, v126, v65
	v_fma_f32 v148, v126, v64, -v2
	s_waitcnt vmcnt(5) lgkmcnt(0)
	v_mul_f32_e32 v2, v129, v59
	v_mov_b32_e32 v18, v61
	v_fmac_f32_e32 v149, v127, v64
	v_mul_f32_e32 v151, v128, v59
	v_fma_f32 v150, v128, v58, -v2
	ds_read2_b64 v[2:5], v122 offset0:89 offset1:90
	ds_read2_b64 v[6:9], v122 offset0:91 offset1:92
	;; [unrolled: 1-line block ×3, first 2 shown]
	ds_read_b64 v[14:15], v122 offset:760
	v_pk_mul_f32 v[18:19], v[130:131], v[18:19] op_sel:[1,0] op_sel_hi:[0,0]
	v_fmac_f32_e32 v151, v129, v58
	v_pk_add_f32 v[16:17], v[146:147], v[148:149]
	v_pk_fma_f32 v[20:21], v[130:131], v[60:61], v[18:19] neg_lo:[0,0,1] neg_hi:[0,0,1]
	v_pk_fma_f32 v[18:19], v[130:131], v[60:61], v[18:19] op_sel_hi:[1,0,1]
	v_pk_add_f32 v[16:17], v[16:17], v[150:151]
	v_mov_b32_e32 v21, v19
	s_waitcnt vmcnt(3) lgkmcnt(3)
	v_pk_mul_f32 v[18:19], v[2:3], v[132:133] op_sel:[1,1] op_sel_hi:[0,1]
	v_pk_add_f32 v[16:17], v[16:17], v[20:21]
	v_pk_fma_f32 v[20:21], v[2:3], v[132:133], v[18:19] neg_lo:[0,0,1] neg_hi:[0,0,1]
	v_pk_fma_f32 v[2:3], v[2:3], v[132:133], v[18:19] op_sel_hi:[1,0,1]
	s_nop 0
	v_mov_b32_e32 v21, v3
	v_pk_add_f32 v[2:3], v[16:17], v[20:21]
	v_mov_b32_e32 v16, v135
	v_pk_mul_f32 v[16:17], v[4:5], v[16:17] op_sel:[1,0] op_sel_hi:[0,0]
	v_pk_fma_f32 v[18:19], v[4:5], v[134:135], v[16:17] neg_lo:[0,0,1] neg_hi:[0,0,1]
	v_pk_fma_f32 v[4:5], v[4:5], v[134:135], v[16:17] op_sel_hi:[1,0,1]
	s_nop 0
	v_mov_b32_e32 v19, v5
	s_waitcnt vmcnt(2) lgkmcnt(2)
	v_pk_mul_f32 v[4:5], v[6:7], v[136:137] op_sel:[1,1] op_sel_hi:[0,1]
	v_pk_fma_f32 v[16:17], v[6:7], v[136:137], v[4:5] neg_lo:[0,0,1] neg_hi:[0,0,1]
	v_pk_fma_f32 v[4:5], v[6:7], v[136:137], v[4:5] op_sel_hi:[1,0,1]
	v_pk_add_f32 v[2:3], v[2:3], v[18:19]
	v_mov_b32_e32 v4, v139
	v_mov_b32_e32 v17, v5
	v_pk_mul_f32 v[4:5], v[8:9], v[4:5] op_sel:[1,0] op_sel_hi:[0,0]
	v_pk_fma_f32 v[6:7], v[8:9], v[138:139], v[4:5] neg_lo:[0,0,1] neg_hi:[0,0,1]
	v_pk_fma_f32 v[4:5], v[8:9], v[138:139], v[4:5] op_sel_hi:[1,0,1]
	v_pk_add_f32 v[2:3], v[2:3], v[16:17]
	v_mov_b32_e32 v7, v5
	s_waitcnt vmcnt(1) lgkmcnt(1)
	v_pk_mul_f32 v[4:5], v[10:11], v[140:141] op_sel:[1,1] op_sel_hi:[0,1]
	v_pk_add_f32 v[2:3], v[2:3], v[6:7]
	v_pk_fma_f32 v[6:7], v[10:11], v[140:141], v[4:5] neg_lo:[0,0,1] neg_hi:[0,0,1]
	v_pk_fma_f32 v[4:5], v[10:11], v[140:141], v[4:5] op_sel_hi:[1,0,1]
	s_nop 0
	v_mov_b32_e32 v4, v143
	v_mov_b32_e32 v7, v5
	v_pk_mul_f32 v[4:5], v[12:13], v[4:5] op_sel:[1,0] op_sel_hi:[0,0]
	v_pk_add_f32 v[2:3], v[2:3], v[6:7]
	v_pk_fma_f32 v[6:7], v[12:13], v[142:143], v[4:5] neg_lo:[0,0,1] neg_hi:[0,0,1]
	v_pk_fma_f32 v[4:5], v[12:13], v[142:143], v[4:5] op_sel_hi:[1,0,1]
	s_nop 0
	v_mov_b32_e32 v7, v5
	s_waitcnt vmcnt(0) lgkmcnt(0)
	v_pk_mul_f32 v[4:5], v[14:15], v[152:153] op_sel:[1,1] op_sel_hi:[0,1]
	v_pk_add_f32 v[2:3], v[2:3], v[6:7]
	v_pk_fma_f32 v[6:7], v[14:15], v[152:153], v[4:5] neg_lo:[0,0,1] neg_hi:[0,0,1]
	v_pk_fma_f32 v[4:5], v[14:15], v[152:153], v[4:5] op_sel_hi:[1,0,1]
	s_nop 0
	v_mov_b32_e32 v7, v5
	v_pk_add_f32 v[2:3], v[2:3], v[6:7]
	s_nop 0
	v_pk_add_f32 v[2:3], v[144:145], v[2:3] neg_lo:[0,1] neg_hi:[0,1]
	scratch_store_dwordx2 off, v[2:3], off offset:64
	s_and_saveexec_b64 s[0:1], vcc
	s_cbranch_execz .LBB47_287
; %bb.286:
	scratch_load_dwordx2 v[2:3], off, off offset:56
	v_mov_b32_e32 v123, v122
	scratch_store_dwordx2 off, v[122:123], off offset:56
	s_waitcnt vmcnt(1)
	ds_write_b64 v1, v[2:3]
.LBB47_287:
	s_or_b64 exec, exec, s[0:1]
	s_waitcnt lgkmcnt(0)
	; wave barrier
	scratch_load_dwordx4 v[2:5], off, off offset:64
	scratch_load_dwordx4 v[6:9], off, off offset:80
	scratch_load_dwordx4 v[10:13], off, off offset:96
	scratch_load_dwordx4 v[14:17], off, off offset:112
	scratch_load_dwordx4 v[18:21], off, off offset:128
	scratch_load_dwordx4 v[22:25], off, off offset:144
	scratch_load_dwordx4 v[26:29], off, off offset:160
	scratch_load_dwordx4 v[30:33], off, off offset:176
	scratch_load_dwordx4 v[34:37], off, off offset:192
	scratch_load_dwordx4 v[38:41], off, off offset:208
	scratch_load_dwordx4 v[42:45], off, off offset:224
	scratch_load_dwordx4 v[46:49], off, off offset:240
	scratch_load_dwordx4 v[50:53], off, off offset:256
	ds_read_b128 v[118:121], v122 offset:448
	ds_read_b128 v[114:117], v122 offset:464
	;; [unrolled: 1-line block ×14, first 2 shown]
	scratch_load_dwordx4 v[62:65], off, off offset:272
	scratch_load_dwordx4 v[70:73], off, off offset:288
	;; [unrolled: 1-line block ×3, first 2 shown]
	scratch_load_dwordx2 v[148:149], off, off offset:56
	v_cmp_lt_u32_e32 vcc, 6, v0
	s_waitcnt vmcnt(16) lgkmcnt(13)
	v_mul_f32_e32 v123, v118, v3
	v_mul_f32_e32 v124, v120, v5
	v_fmac_f32_e32 v123, v119, v2
	s_waitcnt vmcnt(15) lgkmcnt(12)
	v_mul_f32_e32 v125, v114, v7
	v_fmac_f32_e32 v124, v121, v4
	v_add_f32_e32 v123, 0, v123
	v_mul_f32_e32 v126, v116, v9
	v_fmac_f32_e32 v125, v115, v6
	v_add_f32_e32 v123, v123, v124
	s_waitcnt vmcnt(14) lgkmcnt(11)
	v_mul_f32_e32 v127, v110, v11
	v_fmac_f32_e32 v126, v117, v8
	v_add_f32_e32 v123, v123, v125
	v_mul_f32_e32 v128, v112, v13
	v_fmac_f32_e32 v127, v111, v10
	v_add_f32_e32 v123, v123, v126
	;; [unrolled: 7-line block ×11, first 2 shown]
	s_waitcnt vmcnt(4) lgkmcnt(1)
	v_mul_f32_e32 v147, v54, v51
	v_fmac_f32_e32 v146, v69, v48
	v_add_f32_e32 v123, v123, v145
	v_add_f32_e32 v123, v123, v146
	v_fmac_f32_e32 v147, v55, v50
	v_mul_f32_e32 v124, v56, v53
	v_add_f32_e32 v123, v123, v147
	v_fmac_f32_e32 v124, v57, v52
	v_add_f32_e32 v123, v123, v124
	s_waitcnt vmcnt(3) lgkmcnt(0)
	v_mul_f32_e32 v124, v58, v63
	v_fmac_f32_e32 v124, v59, v62
	v_add_f32_e32 v123, v123, v124
	ds_read_b128 v[124:127], v122 offset:672
	v_mul_f32_e32 v128, v60, v65
	v_fmac_f32_e32 v128, v61, v64
	v_add_f32_e32 v123, v123, v128
	ds_read_b128 v[128:131], v122 offset:688
	s_waitcnt vmcnt(2) lgkmcnt(1)
	v_mul_f32_e32 v132, v124, v71
	v_fmac_f32_e32 v132, v125, v70
	v_add_f32_e32 v123, v123, v132
	v_mul_f32_e32 v132, v126, v73
	v_fmac_f32_e32 v132, v127, v72
	v_add_f32_e32 v151, v123, v132
	scratch_load_dwordx4 v[132:135], off, off offset:320
	scratch_load_dwordx4 v[136:139], off, off offset:336
	;; [unrolled: 1-line block ×4, first 2 shown]
	v_mul_f32_e32 v3, v119, v3
	v_fma_f32 v2, v118, v2, -v3
	v_mul_f32_e32 v3, v121, v5
	v_add_f32_e32 v2, 0, v2
	v_fma_f32 v3, v120, v4, -v3
	v_add_f32_e32 v2, v2, v3
	v_mul_f32_e32 v3, v115, v7
	v_fma_f32 v3, v114, v6, -v3
	v_add_f32_e32 v2, v2, v3
	v_mul_f32_e32 v3, v117, v9
	;; [unrolled: 3-line block ×28, first 2 shown]
	v_fma_f32 v3, v126, v72, -v3
	v_add_f32_e32 v150, v2, v3
	s_waitcnt vmcnt(5) lgkmcnt(0)
	v_mul_f32_e32 v2, v129, v79
	v_fma_f32 v152, v128, v78, -v2
	v_mul_f32_e32 v2, v131, v81
	v_fma_f32 v154, v130, v80, -v2
	ds_read_b128 v[2:5], v122 offset:704
	ds_read_b128 v[6:9], v122 offset:720
	;; [unrolled: 1-line block ×4, first 2 shown]
	v_mul_f32_e32 v153, v128, v79
	v_fmac_f32_e32 v153, v129, v78
	v_mul_f32_e32 v155, v130, v81
	s_waitcnt vmcnt(3) lgkmcnt(3)
	v_pk_mul_f32 v[20:21], v[2:3], v[132:133] op_sel:[1,1] op_sel_hi:[0,1]
	v_fmac_f32_e32 v155, v131, v80
	v_pk_add_f32 v[18:19], v[150:151], v[152:153]
	v_pk_fma_f32 v[22:23], v[2:3], v[132:133], v[20:21] neg_lo:[0,0,1] neg_hi:[0,0,1]
	v_pk_fma_f32 v[2:3], v[2:3], v[132:133], v[20:21] op_sel_hi:[1,0,1]
	v_pk_add_f32 v[18:19], v[18:19], v[154:155]
	v_mov_b32_e32 v23, v3
	v_pk_add_f32 v[2:3], v[18:19], v[22:23]
	v_mov_b32_e32 v18, v135
	v_pk_mul_f32 v[18:19], v[4:5], v[18:19] op_sel:[1,0] op_sel_hi:[0,0]
	v_pk_fma_f32 v[20:21], v[4:5], v[134:135], v[18:19] neg_lo:[0,0,1] neg_hi:[0,0,1]
	v_pk_fma_f32 v[4:5], v[4:5], v[134:135], v[18:19] op_sel_hi:[1,0,1]
	s_nop 0
	v_mov_b32_e32 v21, v5
	s_waitcnt vmcnt(2) lgkmcnt(2)
	v_pk_mul_f32 v[4:5], v[6:7], v[136:137] op_sel:[1,1] op_sel_hi:[0,1]
	v_pk_fma_f32 v[18:19], v[6:7], v[136:137], v[4:5] neg_lo:[0,0,1] neg_hi:[0,0,1]
	v_pk_fma_f32 v[4:5], v[6:7], v[136:137], v[4:5] op_sel_hi:[1,0,1]
	v_pk_add_f32 v[2:3], v[2:3], v[20:21]
	v_mov_b32_e32 v4, v139
	v_mov_b32_e32 v19, v5
	v_pk_mul_f32 v[4:5], v[8:9], v[4:5] op_sel:[1,0] op_sel_hi:[0,0]
	v_pk_fma_f32 v[6:7], v[8:9], v[138:139], v[4:5] neg_lo:[0,0,1] neg_hi:[0,0,1]
	v_pk_fma_f32 v[4:5], v[8:9], v[138:139], v[4:5] op_sel_hi:[1,0,1]
	v_pk_add_f32 v[2:3], v[2:3], v[18:19]
	v_mov_b32_e32 v7, v5
	s_waitcnt vmcnt(1) lgkmcnt(1)
	v_pk_mul_f32 v[4:5], v[10:11], v[140:141] op_sel:[1,1] op_sel_hi:[0,1]
	v_pk_add_f32 v[2:3], v[2:3], v[6:7]
	v_pk_fma_f32 v[6:7], v[10:11], v[140:141], v[4:5] neg_lo:[0,0,1] neg_hi:[0,0,1]
	v_pk_fma_f32 v[4:5], v[10:11], v[140:141], v[4:5] op_sel_hi:[1,0,1]
	s_nop 0
	v_mov_b32_e32 v4, v143
	v_mov_b32_e32 v7, v5
	v_pk_mul_f32 v[4:5], v[12:13], v[4:5] op_sel:[1,0] op_sel_hi:[0,0]
	v_pk_add_f32 v[2:3], v[2:3], v[6:7]
	v_pk_fma_f32 v[6:7], v[12:13], v[142:143], v[4:5] neg_lo:[0,0,1] neg_hi:[0,0,1]
	v_pk_fma_f32 v[4:5], v[12:13], v[142:143], v[4:5] op_sel_hi:[1,0,1]
	s_nop 0
	v_mov_b32_e32 v7, v5
	s_waitcnt vmcnt(0) lgkmcnt(0)
	v_pk_mul_f32 v[4:5], v[14:15], v[144:145] op_sel:[1,1] op_sel_hi:[0,1]
	v_pk_add_f32 v[2:3], v[2:3], v[6:7]
	v_pk_fma_f32 v[6:7], v[14:15], v[144:145], v[4:5] neg_lo:[0,0,1] neg_hi:[0,0,1]
	v_pk_fma_f32 v[4:5], v[14:15], v[144:145], v[4:5] op_sel_hi:[1,0,1]
	s_nop 0
	v_mov_b32_e32 v4, v147
	v_mov_b32_e32 v7, v5
	v_pk_mul_f32 v[4:5], v[16:17], v[4:5] op_sel:[1,0] op_sel_hi:[0,0]
	v_pk_add_f32 v[2:3], v[2:3], v[6:7]
	v_pk_fma_f32 v[6:7], v[16:17], v[146:147], v[4:5] neg_lo:[0,0,1] neg_hi:[0,0,1]
	v_pk_fma_f32 v[4:5], v[16:17], v[146:147], v[4:5] op_sel_hi:[1,0,1]
	s_nop 0
	v_mov_b32_e32 v7, v5
	v_pk_add_f32 v[2:3], v[2:3], v[6:7]
	s_nop 0
	v_pk_add_f32 v[2:3], v[148:149], v[2:3] neg_lo:[0,1] neg_hi:[0,1]
	scratch_store_dwordx2 off, v[2:3], off offset:56
	s_and_saveexec_b64 s[0:1], vcc
	s_cbranch_execz .LBB47_289
; %bb.288:
	scratch_load_dwordx2 v[2:3], off, off offset:48
	v_mov_b32_e32 v4, 0
	v_mov_b32_e32 v5, v4
	scratch_store_dwordx2 off, v[4:5], off offset:48
	s_waitcnt vmcnt(1)
	ds_write_b64 v1, v[2:3]
.LBB47_289:
	s_or_b64 exec, exec, s[0:1]
	s_waitcnt lgkmcnt(0)
	; wave barrier
	scratch_load_dwordx4 v[62:65], off, off offset:56
	scratch_load_dwordx4 v[66:69], off, off offset:72
	;; [unrolled: 1-line block ×17, first 2 shown]
	v_mov_b32_e32 v250, 0
	ds_read2_b64 v[114:117], v250 offset0:55 offset1:56
	ds_read2_b64 v[118:121], v250 offset0:57 offset1:58
	;; [unrolled: 1-line block ×13, first 2 shown]
	v_cmp_lt_u32_e32 vcc, 5, v0
	s_waitcnt vmcnt(16) lgkmcnt(12)
	v_mul_f32_e32 v6, v114, v63
	v_mul_f32_e32 v7, v116, v65
	v_fmac_f32_e32 v6, v115, v62
	s_waitcnt vmcnt(15) lgkmcnt(11)
	v_mul_f32_e32 v8, v118, v67
	v_fmac_f32_e32 v7, v117, v64
	v_add_f32_e32 v6, 0, v6
	v_mul_f32_e32 v9, v120, v69
	v_fmac_f32_e32 v8, v119, v66
	v_add_f32_e32 v6, v6, v7
	s_waitcnt vmcnt(14) lgkmcnt(10)
	v_mul_f32_e32 v10, v122, v71
	v_fmac_f32_e32 v9, v121, v68
	v_add_f32_e32 v6, v6, v8
	v_mul_f32_e32 v11, v124, v73
	v_fmac_f32_e32 v10, v123, v70
	v_add_f32_e32 v6, v6, v9
	;; [unrolled: 7-line block ×10, first 2 shown]
	s_waitcnt vmcnt(5) lgkmcnt(1)
	v_mul_f32_e32 v56, v46, v23
	v_fmac_f32_e32 v55, v255, v104
	v_add_f32_e32 v6, v6, v54
	ds_read2_b64 v[50:53], v250 offset0:81 offset1:82
	v_mul_f32_e32 v57, v48, v25
	v_fmac_f32_e32 v56, v47, v22
	v_add_f32_e32 v6, v6, v55
	s_waitcnt vmcnt(4) lgkmcnt(1)
	v_mul_f32_e32 v58, v42, v27
	v_fmac_f32_e32 v57, v49, v24
	v_add_f32_e32 v6, v6, v56
	v_add_f32_e32 v6, v6, v57
	v_fmac_f32_e32 v58, v43, v26
	v_mul_f32_e32 v7, v44, v29
	v_add_f32_e32 v6, v6, v58
	v_fmac_f32_e32 v7, v45, v28
	ds_read2_b64 v[54:57], v250 offset0:83 offset1:84
	v_add_f32_e32 v6, v6, v7
	s_waitcnt vmcnt(3) lgkmcnt(1)
	v_mul_f32_e32 v7, v50, v31
	v_fmac_f32_e32 v7, v51, v30
	v_add_f32_e32 v6, v6, v7
	v_mul_f32_e32 v7, v52, v33
	v_fmac_f32_e32 v7, v53, v32
	ds_read2_b64 v[58:61], v250 offset0:85 offset1:86
	ds_read2_b64 v[18:21], v250 offset0:87 offset1:88
	v_add_f32_e32 v6, v6, v7
	s_waitcnt vmcnt(2) lgkmcnt(2)
	v_mul_f32_e32 v7, v54, v35
	v_fmac_f32_e32 v7, v55, v34
	v_add_f32_e32 v6, v6, v7
	v_mul_f32_e32 v7, v56, v37
	v_fmac_f32_e32 v7, v57, v36
	v_add_f32_e32 v6, v6, v7
	s_waitcnt vmcnt(1) lgkmcnt(1)
	v_mul_f32_e32 v7, v58, v39
	v_fmac_f32_e32 v7, v59, v38
	v_add_f32_e32 v109, v6, v7
	scratch_load_dwordx4 v[14:17], off, off offset:328
	scratch_load_dwordx4 v[10:13], off, off offset:344
	;; [unrolled: 1-line block ×3, first 2 shown]
	scratch_load_dwordx2 v[106:107], off, off offset:376
	v_mul_f32_e32 v63, v115, v63
	v_mul_f32_e32 v23, v47, v23
	v_fma_f32 v62, v114, v62, -v63
	v_mul_f32_e32 v63, v117, v65
	v_fma_f32 v46, v46, v22, -v23
	scratch_load_dwordx2 v[22:23], off, off offset:48
	v_add_f32_e32 v62, 0, v62
	v_fma_f32 v63, v116, v64, -v63
	v_add_f32_e32 v62, v62, v63
	v_mul_f32_e32 v63, v119, v67
	v_fma_f32 v63, v118, v66, -v63
	v_add_f32_e32 v62, v62, v63
	v_mul_f32_e32 v63, v121, v69
	;; [unrolled: 3-line block ×21, first 2 shown]
	v_add_f32_e32 v46, v62, v46
	v_fma_f32 v24, v48, v24, -v25
	v_mul_f32_e32 v25, v43, v27
	v_add_f32_e32 v24, v46, v24
	v_fma_f32 v25, v42, v26, -v25
	v_add_f32_e32 v24, v24, v25
	v_mul_f32_e32 v25, v45, v29
	v_fma_f32 v25, v44, v28, -v25
	v_add_f32_e32 v24, v24, v25
	v_mul_f32_e32 v25, v51, v31
	;; [unrolled: 3-line block ×6, first 2 shown]
	v_fma_f32 v25, v58, v38, -v25
	v_mul_f32_e32 v111, v60, v41
	v_add_f32_e32 v108, v24, v25
	v_mul_f32_e32 v24, v61, v41
	s_waitcnt vmcnt(5)
	v_mov_b32_e32 v36, v5
	v_fmac_f32_e32 v111, v61, v40
	s_waitcnt lgkmcnt(0)
	v_mul_f32_e32 v113, v18, v3
	v_fma_f32 v110, v60, v40, -v24
	v_mul_f32_e32 v3, v19, v3
	v_pk_mul_f32 v[36:37], v[20:21], v[36:37] op_sel:[1,0] op_sel_hi:[0,0]
	v_fmac_f32_e32 v113, v19, v2
	v_fma_f32 v112, v18, v2, -v3
	ds_read2_b64 v[24:27], v250 offset0:89 offset1:90
	ds_read2_b64 v[28:31], v250 offset0:91 offset1:92
	;; [unrolled: 1-line block ×3, first 2 shown]
	ds_read_b64 v[2:3], v250 offset:760
	v_pk_add_f32 v[18:19], v[108:109], v[110:111]
	v_pk_fma_f32 v[38:39], v[20:21], v[4:5], v[36:37] neg_lo:[0,0,1] neg_hi:[0,0,1]
	v_pk_fma_f32 v[4:5], v[20:21], v[4:5], v[36:37] op_sel_hi:[1,0,1]
	v_pk_add_f32 v[18:19], v[18:19], v[112:113]
	v_mov_b32_e32 v39, v5
	v_pk_add_f32 v[4:5], v[18:19], v[38:39]
	s_waitcnt vmcnt(4) lgkmcnt(3)
	v_pk_mul_f32 v[18:19], v[24:25], v[14:15] op_sel:[1,1] op_sel_hi:[0,1]
	v_pk_fma_f32 v[20:21], v[24:25], v[14:15], v[18:19] neg_lo:[0,0,1] neg_hi:[0,0,1]
	v_pk_fma_f32 v[14:15], v[24:25], v[14:15], v[18:19] op_sel_hi:[1,0,1]
	s_nop 0
	v_mov_b32_e32 v14, v17
	v_mov_b32_e32 v21, v15
	v_pk_mul_f32 v[14:15], v[26:27], v[14:15] op_sel:[1,0] op_sel_hi:[0,0]
	v_pk_fma_f32 v[18:19], v[26:27], v[16:17], v[14:15] neg_lo:[0,0,1] neg_hi:[0,0,1]
	v_pk_fma_f32 v[14:15], v[26:27], v[16:17], v[14:15] op_sel_hi:[1,0,1]
	v_pk_add_f32 v[4:5], v[4:5], v[20:21]
	v_mov_b32_e32 v19, v15
	s_waitcnt vmcnt(3) lgkmcnt(2)
	v_pk_mul_f32 v[14:15], v[28:29], v[10:11] op_sel:[1,1] op_sel_hi:[0,1]
	v_pk_fma_f32 v[16:17], v[28:29], v[10:11], v[14:15] neg_lo:[0,0,1] neg_hi:[0,0,1]
	v_pk_fma_f32 v[10:11], v[28:29], v[10:11], v[14:15] op_sel_hi:[1,0,1]
	v_pk_add_f32 v[4:5], v[4:5], v[18:19]
	v_mov_b32_e32 v10, v13
	v_mov_b32_e32 v17, v11
	v_pk_mul_f32 v[10:11], v[30:31], v[10:11] op_sel:[1,0] op_sel_hi:[0,0]
	v_pk_fma_f32 v[14:15], v[30:31], v[12:13], v[10:11] neg_lo:[0,0,1] neg_hi:[0,0,1]
	v_pk_fma_f32 v[10:11], v[30:31], v[12:13], v[10:11] op_sel_hi:[1,0,1]
	v_pk_add_f32 v[4:5], v[4:5], v[16:17]
	v_mov_b32_e32 v15, v11
	s_waitcnt vmcnt(2) lgkmcnt(1)
	v_pk_mul_f32 v[10:11], v[32:33], v[6:7] op_sel:[1,1] op_sel_hi:[0,1]
	v_pk_fma_f32 v[12:13], v[32:33], v[6:7], v[10:11] neg_lo:[0,0,1] neg_hi:[0,0,1]
	v_pk_fma_f32 v[6:7], v[32:33], v[6:7], v[10:11] op_sel_hi:[1,0,1]
	v_pk_add_f32 v[4:5], v[4:5], v[14:15]
	;; [unrolled: 12-line block ×3, first 2 shown]
	v_mov_b32_e32 v9, v3
	v_pk_add_f32 v[2:3], v[4:5], v[8:9]
	s_waitcnt vmcnt(0)
	v_pk_add_f32 v[2:3], v[22:23], v[2:3] neg_lo:[0,1] neg_hi:[0,1]
	scratch_store_dwordx2 off, v[2:3], off offset:48
	s_and_saveexec_b64 s[0:1], vcc
	s_cbranch_execz .LBB47_291
; %bb.290:
	scratch_load_dwordx2 v[2:3], off, off offset:40
	v_mov_b32_e32 v251, v250
	scratch_store_dwordx2 off, v[250:251], off offset:40
	s_waitcnt vmcnt(1)
	ds_write_b64 v1, v[2:3]
.LBB47_291:
	s_or_b64 exec, exec, s[0:1]
	s_waitcnt lgkmcnt(0)
	; wave barrier
	scratch_load_dwordx4 v[58:61], off, off offset:48
	scratch_load_dwordx4 v[62:65], off, off offset:64
	;; [unrolled: 1-line block ×13, first 2 shown]
	ds_read_b128 v[150:153], v250 offset:432
	ds_read_b128 v[146:149], v250 offset:448
	;; [unrolled: 1-line block ×13, first 2 shown]
	scratch_load_dwordx4 v[26:29], off, off offset:256
	scratch_load_dwordx4 v[30:33], off, off offset:272
	;; [unrolled: 1-line block ×4, first 2 shown]
	v_cmp_lt_u32_e32 vcc, 4, v0
	ds_read_b128 v[54:57], v250 offset:688
	s_waitcnt vmcnt(16) lgkmcnt(13)
	v_mul_f32_e32 v2, v150, v59
	v_mul_f32_e32 v3, v152, v61
	v_fmac_f32_e32 v2, v151, v58
	s_waitcnt vmcnt(15) lgkmcnt(12)
	v_mul_f32_e32 v4, v146, v63
	v_fmac_f32_e32 v3, v153, v60
	v_add_f32_e32 v2, 0, v2
	v_mul_f32_e32 v5, v148, v65
	v_fmac_f32_e32 v4, v147, v62
	v_add_f32_e32 v2, v2, v3
	s_waitcnt vmcnt(14) lgkmcnt(11)
	v_mul_f32_e32 v6, v142, v67
	v_fmac_f32_e32 v5, v149, v64
	v_add_f32_e32 v2, v2, v4
	v_mul_f32_e32 v7, v144, v69
	v_fmac_f32_e32 v6, v143, v66
	v_add_f32_e32 v2, v2, v5
	;; [unrolled: 7-line block ×6, first 2 shown]
	s_waitcnt vmcnt(9) lgkmcnt(6)
	v_mul_f32_e32 v16, v122, v87
	v_fmac_f32_e32 v15, v129, v84
	v_add_f32_e32 v2, v2, v14
	v_mul_f32_e32 v59, v151, v59
	v_mul_f32_e32 v17, v124, v89
	v_fmac_f32_e32 v16, v123, v86
	v_add_f32_e32 v2, v2, v15
	v_fma_f32 v58, v150, v58, -v59
	v_mul_f32_e32 v59, v153, v61
	s_waitcnt vmcnt(8) lgkmcnt(5)
	v_mul_f32_e32 v42, v118, v91
	v_fmac_f32_e32 v17, v125, v88
	v_add_f32_e32 v2, v2, v16
	v_add_f32_e32 v58, 0, v58
	v_fma_f32 v59, v152, v60, -v59
	v_mul_f32_e32 v43, v120, v93
	v_fmac_f32_e32 v42, v119, v90
	v_add_f32_e32 v2, v2, v17
	v_add_f32_e32 v58, v58, v59
	v_mul_f32_e32 v59, v147, v63
	s_waitcnt vmcnt(7) lgkmcnt(4)
	v_mul_f32_e32 v44, v114, v95
	v_fmac_f32_e32 v43, v121, v92
	v_add_f32_e32 v2, v2, v42
	v_fma_f32 v59, v146, v62, -v59
	v_mul_f32_e32 v45, v116, v97
	v_fmac_f32_e32 v44, v115, v94
	v_add_f32_e32 v2, v2, v43
	v_add_f32_e32 v58, v58, v59
	v_mul_f32_e32 v59, v149, v65
	s_waitcnt vmcnt(6) lgkmcnt(3)
	v_mul_f32_e32 v46, v110, v99
	v_fmac_f32_e32 v45, v117, v96
	;; [unrolled: 10-line block ×3, first 2 shown]
	v_add_f32_e32 v2, v2, v46
	ds_read_b128 v[42:45], v250 offset:640
	v_fma_f32 v59, v142, v66, -v59
	v_mul_f32_e32 v49, v108, v105
	v_fmac_f32_e32 v48, v107, v102
	v_add_f32_e32 v2, v2, v47
	v_add_f32_e32 v58, v58, v59
	v_mul_f32_e32 v59, v145, v69
	s_waitcnt vmcnt(4) lgkmcnt(2)
	v_mul_f32_e32 v50, v22, v19
	v_fmac_f32_e32 v49, v109, v104
	v_add_f32_e32 v2, v2, v48
	v_fma_f32 v59, v144, v68, -v59
	v_fmac_f32_e32 v50, v23, v18
	v_add_f32_e32 v2, v2, v49
	v_mul_f32_e32 v3, v24, v21
	v_add_f32_e32 v58, v58, v59
	v_mul_f32_e32 v59, v139, v71
	v_add_f32_e32 v2, v2, v50
	v_fmac_f32_e32 v3, v25, v20
	ds_read_b128 v[46:49], v250 offset:656
	v_fma_f32 v59, v138, v70, -v59
	v_add_f32_e32 v2, v2, v3
	s_waitcnt vmcnt(3) lgkmcnt(1)
	v_mul_f32_e32 v3, v42, v27
	v_add_f32_e32 v58, v58, v59
	v_mul_f32_e32 v59, v141, v73
	v_fmac_f32_e32 v3, v43, v26
	v_fma_f32 v59, v140, v72, -v59
	v_add_f32_e32 v2, v2, v3
	v_mul_f32_e32 v3, v44, v29
	v_add_f32_e32 v58, v58, v59
	v_mul_f32_e32 v59, v135, v75
	v_fmac_f32_e32 v3, v45, v28
	ds_read_b128 v[50:53], v250 offset:672
	v_fma_f32 v59, v134, v74, -v59
	v_add_f32_e32 v2, v2, v3
	s_waitcnt vmcnt(2) lgkmcnt(1)
	v_mul_f32_e32 v3, v46, v31
	v_add_f32_e32 v58, v58, v59
	v_mul_f32_e32 v59, v137, v77
	v_fmac_f32_e32 v3, v47, v30
	v_fma_f32 v59, v136, v76, -v59
	v_add_f32_e32 v2, v2, v3
	v_mul_f32_e32 v3, v48, v33
	v_add_f32_e32 v58, v58, v59
	v_mul_f32_e32 v59, v131, v79
	v_fmac_f32_e32 v3, v49, v32
	v_fma_f32 v59, v130, v78, -v59
	v_add_f32_e32 v2, v2, v3
	s_waitcnt vmcnt(1) lgkmcnt(0)
	v_mul_f32_e32 v3, v50, v35
	v_add_f32_e32 v58, v58, v59
	v_mul_f32_e32 v59, v133, v81
	v_fmac_f32_e32 v3, v51, v34
	v_fma_f32 v59, v132, v80, -v59
	v_add_f32_e32 v2, v2, v3
	v_mul_f32_e32 v3, v52, v37
	v_add_f32_e32 v58, v58, v59
	v_mul_f32_e32 v59, v127, v83
	v_fmac_f32_e32 v3, v53, v36
	v_fma_f32 v59, v126, v82, -v59
	v_add_f32_e32 v253, v2, v3
	scratch_load_dwordx4 v[14:17], off, off offset:320
	scratch_load_dwordx4 v[10:13], off, off offset:336
	;; [unrolled: 1-line block ×4, first 2 shown]
	v_add_f32_e32 v58, v58, v59
	v_mul_f32_e32 v59, v129, v85
	v_fma_f32 v59, v128, v84, -v59
	v_add_f32_e32 v58, v58, v59
	v_mul_f32_e32 v59, v123, v87
	v_fma_f32 v59, v122, v86, -v59
	v_add_f32_e32 v58, v58, v59
	v_mul_f32_e32 v59, v125, v89
	v_fma_f32 v59, v124, v88, -v59
	v_add_f32_e32 v58, v58, v59
	v_mul_f32_e32 v59, v119, v91
	v_fma_f32 v59, v118, v90, -v59
	v_add_f32_e32 v58, v58, v59
	v_mul_f32_e32 v59, v121, v93
	v_fma_f32 v59, v120, v92, -v59
	v_add_f32_e32 v58, v58, v59
	v_mul_f32_e32 v59, v115, v95
	v_fma_f32 v59, v114, v94, -v59
	v_add_f32_e32 v58, v58, v59
	v_mul_f32_e32 v59, v117, v97
	v_fma_f32 v59, v116, v96, -v59
	v_add_f32_e32 v58, v58, v59
	v_mul_f32_e32 v59, v111, v99
	v_fma_f32 v59, v110, v98, -v59
	v_add_f32_e32 v58, v58, v59
	v_mul_f32_e32 v59, v113, v101
	v_fma_f32 v59, v112, v100, -v59
	v_add_f32_e32 v58, v58, v59
	v_mul_f32_e32 v59, v107, v103
	v_fma_f32 v59, v106, v102, -v59
	v_add_f32_e32 v60, v58, v59
	v_mul_f32_e32 v58, v109, v105
	v_fma_f32 v61, v108, v104, -v58
	scratch_load_dwordx2 v[58:59], off, off offset:40
	v_mul_f32_e32 v19, v23, v19
	v_add_f32_e32 v60, v60, v61
	v_fma_f32 v18, v22, v18, -v19
	v_mul_f32_e32 v19, v25, v21
	v_add_f32_e32 v18, v60, v18
	v_fma_f32 v19, v24, v20, -v19
	v_add_f32_e32 v18, v18, v19
	v_mul_f32_e32 v19, v43, v27
	v_fma_f32 v19, v42, v26, -v19
	v_add_f32_e32 v18, v18, v19
	v_mul_f32_e32 v19, v45, v29
	;; [unrolled: 3-line block ×6, first 2 shown]
	v_fma_f32 v19, v52, v36, -v19
	v_add_f32_e32 v252, v18, v19
	s_waitcnt vmcnt(5)
	v_mul_f32_e32 v18, v55, v39
	v_fma_f32 v254, v54, v38, -v18
	v_mul_f32_e32 v18, v57, v41
	v_fma_f32 v154, v56, v40, -v18
	ds_read_b128 v[18:21], v250 offset:704
	ds_read_b128 v[22:25], v250 offset:720
	;; [unrolled: 1-line block ×4, first 2 shown]
	v_mul_f32_e32 v255, v54, v39
	v_fmac_f32_e32 v255, v55, v38
	v_mul_f32_e32 v155, v56, v41
	v_fmac_f32_e32 v155, v57, v40
	v_pk_add_f32 v[34:35], v[252:253], v[254:255]
	s_waitcnt vmcnt(4) lgkmcnt(3)
	v_pk_mul_f32 v[36:37], v[18:19], v[14:15] op_sel:[1,1] op_sel_hi:[0,1]
	v_pk_fma_f32 v[38:39], v[18:19], v[14:15], v[36:37] neg_lo:[0,0,1] neg_hi:[0,0,1]
	v_pk_fma_f32 v[14:15], v[18:19], v[14:15], v[36:37] op_sel_hi:[1,0,1]
	v_mov_b32_e32 v18, v17
	v_pk_add_f32 v[34:35], v[34:35], v[154:155]
	v_mov_b32_e32 v39, v15
	v_pk_mul_f32 v[18:19], v[20:21], v[18:19] op_sel:[1,0] op_sel_hi:[0,0]
	v_pk_add_f32 v[14:15], v[34:35], v[38:39]
	v_pk_fma_f32 v[34:35], v[20:21], v[16:17], v[18:19] neg_lo:[0,0,1] neg_hi:[0,0,1]
	v_pk_fma_f32 v[16:17], v[20:21], v[16:17], v[18:19] op_sel_hi:[1,0,1]
	s_nop 0
	v_mov_b32_e32 v35, v17
	s_waitcnt vmcnt(3) lgkmcnt(2)
	v_pk_mul_f32 v[16:17], v[22:23], v[10:11] op_sel:[1,1] op_sel_hi:[0,1]
	v_pk_fma_f32 v[18:19], v[22:23], v[10:11], v[16:17] neg_lo:[0,0,1] neg_hi:[0,0,1]
	v_pk_fma_f32 v[10:11], v[22:23], v[10:11], v[16:17] op_sel_hi:[1,0,1]
	v_pk_add_f32 v[14:15], v[14:15], v[34:35]
	v_mov_b32_e32 v19, v11
	v_pk_add_f32 v[10:11], v[14:15], v[18:19]
	v_mov_b32_e32 v14, v13
	v_pk_mul_f32 v[14:15], v[24:25], v[14:15] op_sel:[1,0] op_sel_hi:[0,0]
	v_pk_fma_f32 v[16:17], v[24:25], v[12:13], v[14:15] neg_lo:[0,0,1] neg_hi:[0,0,1]
	v_pk_fma_f32 v[12:13], v[24:25], v[12:13], v[14:15] op_sel_hi:[1,0,1]
	s_nop 0
	v_mov_b32_e32 v17, v13
	s_waitcnt vmcnt(2) lgkmcnt(1)
	v_pk_mul_f32 v[12:13], v[26:27], v[6:7] op_sel:[1,1] op_sel_hi:[0,1]
	v_pk_fma_f32 v[14:15], v[26:27], v[6:7], v[12:13] neg_lo:[0,0,1] neg_hi:[0,0,1]
	v_pk_fma_f32 v[6:7], v[26:27], v[6:7], v[12:13] op_sel_hi:[1,0,1]
	v_pk_add_f32 v[10:11], v[10:11], v[16:17]
	v_mov_b32_e32 v15, v7
	v_pk_add_f32 v[6:7], v[10:11], v[14:15]
	v_mov_b32_e32 v10, v9
	v_pk_mul_f32 v[10:11], v[28:29], v[10:11] op_sel:[1,0] op_sel_hi:[0,0]
	;; [unrolled: 13-line block ×3, first 2 shown]
	v_pk_fma_f32 v[8:9], v[32:33], v[4:5], v[6:7] neg_lo:[0,0,1] neg_hi:[0,0,1]
	v_pk_fma_f32 v[4:5], v[32:33], v[4:5], v[6:7] op_sel_hi:[1,0,1]
	s_nop 0
	v_mov_b32_e32 v9, v5
	v_pk_add_f32 v[2:3], v[2:3], v[8:9]
	s_waitcnt vmcnt(0)
	v_pk_add_f32 v[2:3], v[58:59], v[2:3] neg_lo:[0,1] neg_hi:[0,1]
	scratch_store_dwordx2 off, v[2:3], off offset:40
	s_and_saveexec_b64 s[0:1], vcc
	s_cbranch_execz .LBB47_293
; %bb.292:
	scratch_load_dwordx2 v[2:3], off, off offset:32
	v_mov_b32_e32 v4, 0
	v_mov_b32_e32 v5, v4
	scratch_store_dwordx2 off, v[4:5], off offset:32
	s_waitcnt vmcnt(1)
	ds_write_b64 v1, v[2:3]
.LBB47_293:
	s_or_b64 exec, exec, s[0:1]
	s_waitcnt lgkmcnt(0)
	; wave barrier
	scratch_load_dwordx4 v[6:9], off, off offset:40
	scratch_load_dwordx4 v[14:17], off, off offset:56
	;; [unrolled: 1-line block ×10, first 2 shown]
	v_mov_b32_e32 v102, 0
	ds_read2_b64 v[2:5], v102 offset0:53 offset1:54
	scratch_load_dwordx4 v[86:89], off, off offset:200
	scratch_load_dwordx4 v[94:97], off, off offset:216
	;; [unrolled: 1-line block ×8, first 2 shown]
	v_cmp_lt_u32_e32 vcc, 3, v0
	s_waitcnt vmcnt(17) lgkmcnt(0)
	v_mul_f32_e32 v10, v2, v7
	v_fmac_f32_e32 v10, v3, v6
	v_mul_f32_e32 v11, v4, v9
	v_add_f32_e32 v10, 0, v10
	v_fmac_f32_e32 v11, v5, v8
	v_add_f32_e32 v18, v10, v11
	ds_read2_b64 v[10:13], v102 offset0:55 offset1:56
	v_mul_f32_e32 v3, v3, v7
	v_fma_f32 v2, v2, v6, -v3
	v_mul_f32_e32 v3, v5, v9
	v_add_f32_e32 v2, 0, v2
	s_waitcnt vmcnt(16) lgkmcnt(0)
	v_mul_f32_e32 v19, v10, v15
	v_fmac_f32_e32 v19, v11, v14
	v_add_f32_e32 v18, v18, v19
	v_mul_f32_e32 v19, v12, v17
	v_fmac_f32_e32 v19, v13, v16
	v_add_f32_e32 v26, v18, v19
	ds_read2_b64 v[18:21], v102 offset0:57 offset1:58
	v_fma_f32 v3, v4, v8, -v3
	v_add_f32_e32 v2, v2, v3
	v_mul_f32_e32 v3, v11, v15
	v_fma_f32 v3, v10, v14, -v3
	s_waitcnt vmcnt(15) lgkmcnt(0)
	v_mul_f32_e32 v27, v18, v23
	v_fmac_f32_e32 v27, v19, v22
	v_add_f32_e32 v26, v26, v27
	v_mul_f32_e32 v27, v20, v25
	v_fmac_f32_e32 v27, v21, v24
	v_add_f32_e32 v34, v26, v27
	ds_read2_b64 v[26:29], v102 offset0:59 offset1:60
	v_add_f32_e32 v2, v2, v3
	v_mul_f32_e32 v3, v13, v17
	v_fma_f32 v3, v12, v16, -v3
	v_add_f32_e32 v2, v2, v3
	s_waitcnt vmcnt(14) lgkmcnt(0)
	v_mul_f32_e32 v35, v26, v31
	v_fmac_f32_e32 v35, v27, v30
	v_add_f32_e32 v34, v34, v35
	v_mul_f32_e32 v35, v28, v33
	v_fmac_f32_e32 v35, v29, v32
	v_add_f32_e32 v42, v34, v35
	ds_read2_b64 v[34:37], v102 offset0:61 offset1:62
	v_mul_f32_e32 v3, v19, v23
	v_fma_f32 v3, v18, v22, -v3
	v_add_f32_e32 v2, v2, v3
	v_mul_f32_e32 v3, v21, v25
	s_waitcnt vmcnt(13) lgkmcnt(0)
	v_mul_f32_e32 v43, v34, v39
	v_fmac_f32_e32 v43, v35, v38
	v_add_f32_e32 v42, v42, v43
	v_mul_f32_e32 v43, v36, v41
	v_fmac_f32_e32 v43, v37, v40
	v_add_f32_e32 v50, v42, v43
	ds_read2_b64 v[42:45], v102 offset0:63 offset1:64
	v_fma_f32 v3, v20, v24, -v3
	v_add_f32_e32 v2, v2, v3
	v_mul_f32_e32 v3, v27, v31
	v_fma_f32 v3, v26, v30, -v3
	s_waitcnt vmcnt(12) lgkmcnt(0)
	v_mul_f32_e32 v51, v42, v47
	v_fmac_f32_e32 v51, v43, v46
	v_add_f32_e32 v50, v50, v51
	v_mul_f32_e32 v51, v44, v49
	v_fmac_f32_e32 v51, v45, v48
	v_add_f32_e32 v58, v50, v51
	ds_read2_b64 v[50:53], v102 offset0:65 offset1:66
	v_add_f32_e32 v2, v2, v3
	v_mul_f32_e32 v3, v29, v33
	v_fma_f32 v3, v28, v32, -v3
	v_add_f32_e32 v2, v2, v3
	s_waitcnt vmcnt(11) lgkmcnt(0)
	v_mul_f32_e32 v59, v50, v55
	v_fmac_f32_e32 v59, v51, v54
	v_add_f32_e32 v58, v58, v59
	v_mul_f32_e32 v59, v52, v57
	v_fmac_f32_e32 v59, v53, v56
	v_add_f32_e32 v66, v58, v59
	ds_read2_b64 v[58:61], v102 offset0:67 offset1:68
	v_mul_f32_e32 v3, v35, v39
	v_fma_f32 v3, v34, v38, -v3
	v_add_f32_e32 v2, v2, v3
	v_mul_f32_e32 v3, v37, v41
	;; [unrolled: 36-line block ×5, first 2 shown]
	s_waitcnt vmcnt(1) lgkmcnt(0)
	v_mul_f32_e32 v140, v132, v137
	v_fmac_f32_e32 v140, v133, v136
	v_add_f32_e32 v157, v103, v140
	ds_read2_b64 v[140:143], v102 offset0:87 offset1:88
	scratch_load_dwordx4 v[148:151], off, off offset:328
	scratch_load_dwordx4 v[152:155], off, off offset:344
	;; [unrolled: 1-line block ×3, first 2 shown]
	scratch_load_dwordx2 v[162:163], off, off offset:376
	v_fma_f32 v3, v84, v88, -v3
	v_add_f32_e32 v2, v2, v3
	v_mul_f32_e32 v3, v91, v95
	v_fma_f32 v3, v90, v94, -v3
	v_add_f32_e32 v2, v2, v3
	v_mul_f32_e32 v3, v93, v97
	;; [unrolled: 3-line block ×12, first 2 shown]
	v_mul_f32_e32 v159, v134, v139
	v_fma_f32 v158, v134, v138, -v2
	s_waitcnt vmcnt(4) lgkmcnt(0)
	v_mul_f32_e32 v2, v141, v145
	v_mov_b32_e32 v18, v147
	v_fmac_f32_e32 v159, v135, v138
	v_mul_f32_e32 v161, v140, v145
	v_fma_f32 v160, v140, v144, -v2
	ds_read2_b64 v[2:5], v102 offset0:89 offset1:90
	ds_read2_b64 v[6:9], v102 offset0:91 offset1:92
	;; [unrolled: 1-line block ×3, first 2 shown]
	ds_read_b64 v[14:15], v102 offset:760
	v_pk_mul_f32 v[18:19], v[142:143], v[18:19] op_sel:[1,0] op_sel_hi:[0,0]
	v_fmac_f32_e32 v161, v141, v144
	v_pk_add_f32 v[16:17], v[156:157], v[158:159]
	v_pk_fma_f32 v[20:21], v[142:143], v[146:147], v[18:19] neg_lo:[0,0,1] neg_hi:[0,0,1]
	v_pk_fma_f32 v[18:19], v[142:143], v[146:147], v[18:19] op_sel_hi:[1,0,1]
	v_pk_add_f32 v[16:17], v[16:17], v[160:161]
	v_mov_b32_e32 v21, v19
	v_pk_add_f32 v[16:17], v[16:17], v[20:21]
	s_waitcnt vmcnt(3) lgkmcnt(3)
	v_pk_mul_f32 v[18:19], v[2:3], v[148:149] op_sel:[1,1] op_sel_hi:[0,1]
	v_pk_fma_f32 v[20:21], v[2:3], v[148:149], v[18:19] neg_lo:[0,0,1] neg_hi:[0,0,1]
	v_pk_fma_f32 v[2:3], v[2:3], v[148:149], v[18:19] op_sel_hi:[1,0,1]
	s_nop 0
	v_mov_b32_e32 v21, v3
	v_pk_add_f32 v[2:3], v[16:17], v[20:21]
	v_mov_b32_e32 v16, v151
	v_pk_mul_f32 v[16:17], v[4:5], v[16:17] op_sel:[1,0] op_sel_hi:[0,0]
	v_pk_fma_f32 v[18:19], v[4:5], v[150:151], v[16:17] neg_lo:[0,0,1] neg_hi:[0,0,1]
	v_pk_fma_f32 v[4:5], v[4:5], v[150:151], v[16:17] op_sel_hi:[1,0,1]
	s_nop 0
	v_mov_b32_e32 v19, v5
	s_waitcnt vmcnt(2) lgkmcnt(2)
	v_pk_mul_f32 v[4:5], v[6:7], v[152:153] op_sel:[1,1] op_sel_hi:[0,1]
	v_pk_fma_f32 v[16:17], v[6:7], v[152:153], v[4:5] neg_lo:[0,0,1] neg_hi:[0,0,1]
	v_pk_fma_f32 v[4:5], v[6:7], v[152:153], v[4:5] op_sel_hi:[1,0,1]
	v_pk_add_f32 v[2:3], v[2:3], v[18:19]
	v_mov_b32_e32 v4, v155
	v_mov_b32_e32 v17, v5
	v_pk_mul_f32 v[4:5], v[8:9], v[4:5] op_sel:[1,0] op_sel_hi:[0,0]
	v_pk_fma_f32 v[6:7], v[8:9], v[154:155], v[4:5] neg_lo:[0,0,1] neg_hi:[0,0,1]
	v_pk_fma_f32 v[4:5], v[8:9], v[154:155], v[4:5] op_sel_hi:[1,0,1]
	v_pk_add_f32 v[2:3], v[2:3], v[16:17]
	v_mov_b32_e32 v7, v5
	s_waitcnt vmcnt(1) lgkmcnt(1)
	v_pk_mul_f32 v[4:5], v[10:11], v[250:251] op_sel:[1,1] op_sel_hi:[0,1]
	v_pk_add_f32 v[2:3], v[2:3], v[6:7]
	v_pk_fma_f32 v[6:7], v[10:11], v[250:251], v[4:5] neg_lo:[0,0,1] neg_hi:[0,0,1]
	v_pk_fma_f32 v[4:5], v[10:11], v[250:251], v[4:5] op_sel_hi:[1,0,1]
	s_nop 0
	v_mov_b32_e32 v4, v253
	v_mov_b32_e32 v7, v5
	v_pk_mul_f32 v[4:5], v[12:13], v[4:5] op_sel:[1,0] op_sel_hi:[0,0]
	v_pk_add_f32 v[2:3], v[2:3], v[6:7]
	v_pk_fma_f32 v[6:7], v[12:13], v[252:253], v[4:5] neg_lo:[0,0,1] neg_hi:[0,0,1]
	v_pk_fma_f32 v[4:5], v[12:13], v[252:253], v[4:5] op_sel_hi:[1,0,1]
	s_nop 0
	v_mov_b32_e32 v7, v5
	s_waitcnt vmcnt(0) lgkmcnt(0)
	v_pk_mul_f32 v[4:5], v[14:15], v[162:163] op_sel:[1,1] op_sel_hi:[0,1]
	v_pk_add_f32 v[2:3], v[2:3], v[6:7]
	v_pk_fma_f32 v[6:7], v[14:15], v[162:163], v[4:5] neg_lo:[0,0,1] neg_hi:[0,0,1]
	v_pk_fma_f32 v[4:5], v[14:15], v[162:163], v[4:5] op_sel_hi:[1,0,1]
	s_nop 0
	v_mov_b32_e32 v7, v5
	scratch_load_dwordx2 v[4:5], off, off offset:32
	v_pk_add_f32 v[2:3], v[2:3], v[6:7]
	s_waitcnt vmcnt(0)
	v_pk_add_f32 v[2:3], v[4:5], v[2:3] neg_lo:[0,1] neg_hi:[0,1]
	scratch_store_dwordx2 off, v[2:3], off offset:32
	s_and_saveexec_b64 s[0:1], vcc
	s_cbranch_execz .LBB47_295
; %bb.294:
	scratch_load_dwordx2 v[2:3], off, off offset:24
	v_mov_b32_e32 v103, v102
	scratch_store_dwordx2 off, v[102:103], off offset:24
	s_waitcnt vmcnt(1)
	ds_write_b64 v1, v[2:3]
.LBB47_295:
	s_or_b64 exec, exec, s[0:1]
	s_waitcnt lgkmcnt(0)
	; wave barrier
	ds_read_b128 v[14:17], v102 offset:416
	ds_read_b128 v[10:13], v102 offset:432
	;; [unrolled: 1-line block ×4, first 2 shown]
	scratch_load_dwordx4 v[18:21], off, off offset:32
	scratch_load_dwordx4 v[38:41], off, off offset:96
	;; [unrolled: 1-line block ×12, first 2 shown]
	v_cmp_lt_u32_e32 vcc, 2, v0
	scratch_load_dwordx4 v[46:49], off, off offset:112
	scratch_load_dwordx4 v[54:57], off, off offset:128
	;; [unrolled: 1-line block ×3, first 2 shown]
	s_waitcnt vmcnt(14) lgkmcnt(3)
	v_mul_f32_e32 v22, v14, v19
	v_fmac_f32_e32 v22, v15, v18
	v_mul_f32_e32 v23, v16, v21
	v_add_f32_e32 v22, 0, v22
	v_fmac_f32_e32 v23, v17, v20
	v_add_f32_e32 v26, v22, v23
	scratch_load_dwordx4 v[22:25], off, off offset:48
	v_mul_f32_e32 v15, v15, v19
	v_fma_f32 v14, v14, v18, -v15
	v_mul_f32_e32 v15, v17, v21
	v_add_f32_e32 v14, 0, v14
	v_fma_f32 v15, v16, v20, -v15
	v_add_f32_e32 v14, v14, v15
	s_waitcnt vmcnt(0) lgkmcnt(2)
	v_mul_f32_e32 v27, v10, v23
	v_fmac_f32_e32 v27, v11, v22
	v_add_f32_e32 v26, v26, v27
	v_mul_f32_e32 v27, v12, v25
	v_fmac_f32_e32 v27, v13, v24
	v_add_f32_e32 v30, v26, v27
	scratch_load_dwordx4 v[26:29], off, off offset:64
	v_mul_f32_e32 v11, v11, v23
	v_fma_f32 v10, v10, v22, -v11
	v_mul_f32_e32 v11, v13, v25
	v_add_f32_e32 v10, v14, v10
	v_fma_f32 v11, v12, v24, -v11
	v_add_f32_e32 v10, v10, v11
	s_waitcnt vmcnt(0) lgkmcnt(1)
	v_mul_f32_e32 v31, v6, v27
	v_fmac_f32_e32 v31, v7, v26
	v_add_f32_e32 v30, v30, v31
	v_mul_f32_e32 v31, v8, v29
	;; [unrolled: 14-line block ×3, first 2 shown]
	v_fmac_f32_e32 v35, v5, v32
	v_add_f32_e32 v42, v34, v35
	ds_read_b128 v[34:37], v102 offset:480
	v_mul_f32_e32 v3, v3, v31
	v_fma_f32 v2, v2, v30, -v3
	v_mul_f32_e32 v3, v5, v33
	v_add_f32_e32 v2, v6, v2
	s_waitcnt lgkmcnt(0)
	v_mul_f32_e32 v43, v34, v39
	v_fmac_f32_e32 v43, v35, v38
	v_add_f32_e32 v42, v42, v43
	v_mul_f32_e32 v43, v36, v41
	v_fmac_f32_e32 v43, v37, v40
	v_add_f32_e32 v50, v42, v43
	ds_read_b128 v[42:45], v102 offset:496
	v_fma_f32 v3, v4, v32, -v3
	v_add_f32_e32 v2, v2, v3
	v_mul_f32_e32 v3, v35, v39
	v_fma_f32 v3, v34, v38, -v3
	s_waitcnt lgkmcnt(0)
	v_mul_f32_e32 v51, v42, v47
	v_fmac_f32_e32 v51, v43, v46
	v_add_f32_e32 v50, v50, v51
	v_mul_f32_e32 v51, v44, v49
	v_fmac_f32_e32 v51, v45, v48
	v_add_f32_e32 v58, v50, v51
	ds_read_b128 v[50:53], v102 offset:512
	v_add_f32_e32 v2, v2, v3
	v_mul_f32_e32 v3, v37, v41
	v_fma_f32 v3, v36, v40, -v3
	v_add_f32_e32 v2, v2, v3
	s_waitcnt lgkmcnt(0)
	v_mul_f32_e32 v59, v50, v55
	v_fmac_f32_e32 v59, v51, v54
	v_add_f32_e32 v58, v58, v59
	v_mul_f32_e32 v59, v52, v57
	v_fmac_f32_e32 v59, v53, v56
	v_add_f32_e32 v66, v58, v59
	ds_read_b128 v[58:61], v102 offset:528
	v_mul_f32_e32 v3, v43, v47
	v_fma_f32 v3, v42, v46, -v3
	v_add_f32_e32 v2, v2, v3
	v_mul_f32_e32 v3, v45, v49
	s_waitcnt lgkmcnt(0)
	v_mul_f32_e32 v67, v58, v63
	v_fmac_f32_e32 v67, v59, v62
	v_add_f32_e32 v66, v66, v67
	v_mul_f32_e32 v67, v60, v65
	v_fmac_f32_e32 v67, v61, v64
	v_add_f32_e32 v74, v66, v67
	ds_read_b128 v[66:69], v102 offset:544
	v_fma_f32 v3, v44, v48, -v3
	v_add_f32_e32 v2, v2, v3
	v_mul_f32_e32 v3, v51, v55
	v_fma_f32 v3, v50, v54, -v3
	s_waitcnt lgkmcnt(0)
	v_mul_f32_e32 v75, v66, v71
	v_fmac_f32_e32 v75, v67, v70
	v_add_f32_e32 v74, v74, v75
	v_mul_f32_e32 v75, v68, v73
	v_fmac_f32_e32 v75, v69, v72
	v_add_f32_e32 v82, v74, v75
	ds_read_b128 v[74:77], v102 offset:560
	v_add_f32_e32 v2, v2, v3
	v_mul_f32_e32 v3, v53, v57
	v_fma_f32 v3, v52, v56, -v3
	v_add_f32_e32 v2, v2, v3
	s_waitcnt lgkmcnt(0)
	v_mul_f32_e32 v83, v74, v79
	v_fmac_f32_e32 v83, v75, v78
	v_add_f32_e32 v82, v82, v83
	v_mul_f32_e32 v83, v76, v81
	v_fmac_f32_e32 v83, v77, v80
	v_add_f32_e32 v90, v82, v83
	ds_read_b128 v[82:85], v102 offset:576
	v_mul_f32_e32 v3, v59, v63
	v_fma_f32 v3, v58, v62, -v3
	v_add_f32_e32 v2, v2, v3
	v_mul_f32_e32 v3, v61, v65
	;; [unrolled: 36-line block ×4, first 2 shown]
	s_waitcnt lgkmcnt(0)
	v_mul_f32_e32 v140, v132, v137
	v_fmac_f32_e32 v140, v133, v136
	v_add_f32_e32 v103, v103, v140
	v_mul_f32_e32 v140, v134, v139
	v_fmac_f32_e32 v140, v135, v138
	v_add_f32_e32 v161, v103, v140
	ds_read_b128 v[140:143], v102 offset:688
	scratch_load_dwordx4 v[148:151], off, off offset:320
	scratch_load_dwordx4 v[152:155], off, off offset:336
	;; [unrolled: 1-line block ×4, first 2 shown]
	v_fma_f32 v3, v92, v96, -v3
	v_add_f32_e32 v2, v2, v3
	v_mul_f32_e32 v3, v99, v105
	v_fma_f32 v3, v98, v104, -v3
	v_add_f32_e32 v2, v2, v3
	v_mul_f32_e32 v3, v101, v107
	;; [unrolled: 3-line block ×10, first 2 shown]
	v_fma_f32 v3, v134, v138, -v3
	v_add_f32_e32 v160, v2, v3
	s_waitcnt lgkmcnt(0)
	v_mul_f32_e32 v2, v141, v145
	v_fma_f32 v162, v140, v144, -v2
	v_mul_f32_e32 v2, v143, v147
	v_fma_f32 v164, v142, v146, -v2
	ds_read_b128 v[2:5], v102 offset:704
	ds_read_b128 v[6:9], v102 offset:720
	;; [unrolled: 1-line block ×4, first 2 shown]
	v_mul_f32_e32 v163, v140, v145
	v_fmac_f32_e32 v163, v141, v144
	v_mul_f32_e32 v165, v142, v147
	v_fmac_f32_e32 v165, v143, v146
	v_pk_add_f32 v[18:19], v[160:161], v[162:163]
	s_waitcnt vmcnt(3) lgkmcnt(3)
	v_pk_mul_f32 v[20:21], v[2:3], v[148:149] op_sel:[1,1] op_sel_hi:[0,1]
	v_pk_fma_f32 v[22:23], v[2:3], v[148:149], v[20:21] neg_lo:[0,0,1] neg_hi:[0,0,1]
	v_pk_fma_f32 v[2:3], v[2:3], v[148:149], v[20:21] op_sel_hi:[1,0,1]
	v_pk_add_f32 v[18:19], v[18:19], v[164:165]
	v_mov_b32_e32 v23, v3
	v_pk_add_f32 v[2:3], v[18:19], v[22:23]
	v_mov_b32_e32 v18, v151
	v_pk_mul_f32 v[18:19], v[4:5], v[18:19] op_sel:[1,0] op_sel_hi:[0,0]
	v_pk_fma_f32 v[20:21], v[4:5], v[150:151], v[18:19] neg_lo:[0,0,1] neg_hi:[0,0,1]
	v_pk_fma_f32 v[4:5], v[4:5], v[150:151], v[18:19] op_sel_hi:[1,0,1]
	s_nop 0
	v_mov_b32_e32 v21, v5
	s_waitcnt vmcnt(2) lgkmcnt(2)
	v_pk_mul_f32 v[4:5], v[6:7], v[152:153] op_sel:[1,1] op_sel_hi:[0,1]
	v_pk_fma_f32 v[18:19], v[6:7], v[152:153], v[4:5] neg_lo:[0,0,1] neg_hi:[0,0,1]
	v_pk_fma_f32 v[4:5], v[6:7], v[152:153], v[4:5] op_sel_hi:[1,0,1]
	v_pk_add_f32 v[2:3], v[2:3], v[20:21]
	v_mov_b32_e32 v4, v155
	v_mov_b32_e32 v19, v5
	v_pk_mul_f32 v[4:5], v[8:9], v[4:5] op_sel:[1,0] op_sel_hi:[0,0]
	v_pk_fma_f32 v[6:7], v[8:9], v[154:155], v[4:5] neg_lo:[0,0,1] neg_hi:[0,0,1]
	v_pk_fma_f32 v[4:5], v[8:9], v[154:155], v[4:5] op_sel_hi:[1,0,1]
	v_pk_add_f32 v[2:3], v[2:3], v[18:19]
	v_mov_b32_e32 v7, v5
	s_waitcnt vmcnt(1) lgkmcnt(1)
	v_pk_mul_f32 v[4:5], v[10:11], v[250:251] op_sel:[1,1] op_sel_hi:[0,1]
	v_pk_add_f32 v[2:3], v[2:3], v[6:7]
	v_pk_fma_f32 v[6:7], v[10:11], v[250:251], v[4:5] neg_lo:[0,0,1] neg_hi:[0,0,1]
	v_pk_fma_f32 v[4:5], v[10:11], v[250:251], v[4:5] op_sel_hi:[1,0,1]
	s_nop 0
	v_mov_b32_e32 v4, v253
	v_mov_b32_e32 v7, v5
	v_pk_mul_f32 v[4:5], v[12:13], v[4:5] op_sel:[1,0] op_sel_hi:[0,0]
	v_pk_add_f32 v[2:3], v[2:3], v[6:7]
	v_pk_fma_f32 v[6:7], v[12:13], v[252:253], v[4:5] neg_lo:[0,0,1] neg_hi:[0,0,1]
	v_pk_fma_f32 v[4:5], v[12:13], v[252:253], v[4:5] op_sel_hi:[1,0,1]
	s_nop 0
	v_mov_b32_e32 v7, v5
	s_waitcnt vmcnt(0) lgkmcnt(0)
	v_pk_mul_f32 v[4:5], v[14:15], v[156:157] op_sel:[1,1] op_sel_hi:[0,1]
	v_pk_add_f32 v[2:3], v[2:3], v[6:7]
	v_pk_fma_f32 v[6:7], v[14:15], v[156:157], v[4:5] neg_lo:[0,0,1] neg_hi:[0,0,1]
	v_pk_fma_f32 v[4:5], v[14:15], v[156:157], v[4:5] op_sel_hi:[1,0,1]
	s_nop 0
	v_mov_b32_e32 v4, v159
	v_mov_b32_e32 v7, v5
	v_pk_mul_f32 v[4:5], v[16:17], v[4:5] op_sel:[1,0] op_sel_hi:[0,0]
	v_pk_add_f32 v[2:3], v[2:3], v[6:7]
	v_pk_fma_f32 v[6:7], v[16:17], v[158:159], v[4:5] neg_lo:[0,0,1] neg_hi:[0,0,1]
	v_pk_fma_f32 v[4:5], v[16:17], v[158:159], v[4:5] op_sel_hi:[1,0,1]
	s_nop 0
	v_mov_b32_e32 v7, v5
	scratch_load_dwordx2 v[4:5], off, off offset:24
	v_pk_add_f32 v[2:3], v[2:3], v[6:7]
	s_waitcnt vmcnt(0)
	v_pk_add_f32 v[2:3], v[4:5], v[2:3] neg_lo:[0,1] neg_hi:[0,1]
	scratch_store_dwordx2 off, v[2:3], off offset:24
	s_and_saveexec_b64 s[0:1], vcc
	s_cbranch_execz .LBB47_297
; %bb.296:
	scratch_load_dwordx2 v[2:3], off, off offset:16
	v_mov_b32_e32 v4, 0
	v_mov_b32_e32 v5, v4
	scratch_store_dwordx2 off, v[4:5], off offset:16
	s_waitcnt vmcnt(1)
	ds_write_b64 v1, v[2:3]
.LBB47_297:
	s_or_b64 exec, exec, s[0:1]
	s_waitcnt lgkmcnt(0)
	; wave barrier
	scratch_load_dwordx4 v[6:9], off, off offset:24
	scratch_load_dwordx4 v[14:17], off, off offset:40
	;; [unrolled: 1-line block ×10, first 2 shown]
	v_mov_b32_e32 v110, 0
	ds_read2_b64 v[2:5], v110 offset0:51 offset1:52
	scratch_load_dwordx4 v[86:89], off, off offset:184
	scratch_load_dwordx4 v[94:97], off, off offset:200
	scratch_load_dwordx4 v[102:105], off, off offset:216
	scratch_load_dwordx4 v[112:115], off, off offset:232
	scratch_load_dwordx4 v[120:123], off, off offset:248
	scratch_load_dwordx4 v[128:131], off, off offset:264
	scratch_load_dwordx4 v[136:139], off, off offset:280
	scratch_load_dwordx4 v[144:147], off, off offset:296
	scratch_load_dwordx4 v[152:155], off, off offset:312
	v_cmp_lt_u32_e32 vcc, 1, v0
	s_waitcnt vmcnt(18) lgkmcnt(0)
	v_mul_f32_e32 v10, v2, v7
	v_fmac_f32_e32 v10, v3, v6
	v_mul_f32_e32 v11, v4, v9
	v_add_f32_e32 v10, 0, v10
	v_fmac_f32_e32 v11, v5, v8
	v_add_f32_e32 v18, v10, v11
	ds_read2_b64 v[10:13], v110 offset0:53 offset1:54
	v_mul_f32_e32 v3, v3, v7
	v_fma_f32 v2, v2, v6, -v3
	v_mul_f32_e32 v3, v5, v9
	v_add_f32_e32 v2, 0, v2
	s_waitcnt vmcnt(17) lgkmcnt(0)
	v_mul_f32_e32 v19, v10, v15
	v_fmac_f32_e32 v19, v11, v14
	v_add_f32_e32 v18, v18, v19
	v_mul_f32_e32 v19, v12, v17
	v_fmac_f32_e32 v19, v13, v16
	v_add_f32_e32 v26, v18, v19
	ds_read2_b64 v[18:21], v110 offset0:55 offset1:56
	v_fma_f32 v3, v4, v8, -v3
	v_add_f32_e32 v2, v2, v3
	v_mul_f32_e32 v3, v11, v15
	v_fma_f32 v3, v10, v14, -v3
	s_waitcnt vmcnt(16) lgkmcnt(0)
	v_mul_f32_e32 v27, v18, v23
	v_fmac_f32_e32 v27, v19, v22
	v_add_f32_e32 v26, v26, v27
	v_mul_f32_e32 v27, v20, v25
	v_fmac_f32_e32 v27, v21, v24
	v_add_f32_e32 v34, v26, v27
	ds_read2_b64 v[26:29], v110 offset0:57 offset1:58
	v_add_f32_e32 v2, v2, v3
	v_mul_f32_e32 v3, v13, v17
	v_fma_f32 v3, v12, v16, -v3
	v_add_f32_e32 v2, v2, v3
	s_waitcnt vmcnt(15) lgkmcnt(0)
	v_mul_f32_e32 v35, v26, v31
	v_fmac_f32_e32 v35, v27, v30
	v_add_f32_e32 v34, v34, v35
	v_mul_f32_e32 v35, v28, v33
	v_fmac_f32_e32 v35, v29, v32
	v_add_f32_e32 v42, v34, v35
	ds_read2_b64 v[34:37], v110 offset0:59 offset1:60
	v_mul_f32_e32 v3, v19, v23
	v_fma_f32 v3, v18, v22, -v3
	v_add_f32_e32 v2, v2, v3
	v_mul_f32_e32 v3, v21, v25
	s_waitcnt vmcnt(14) lgkmcnt(0)
	v_mul_f32_e32 v43, v34, v39
	v_fmac_f32_e32 v43, v35, v38
	v_add_f32_e32 v42, v42, v43
	v_mul_f32_e32 v43, v36, v41
	v_fmac_f32_e32 v43, v37, v40
	v_add_f32_e32 v50, v42, v43
	ds_read2_b64 v[42:45], v110 offset0:61 offset1:62
	v_fma_f32 v3, v20, v24, -v3
	v_add_f32_e32 v2, v2, v3
	v_mul_f32_e32 v3, v27, v31
	v_fma_f32 v3, v26, v30, -v3
	s_waitcnt vmcnt(13) lgkmcnt(0)
	v_mul_f32_e32 v51, v42, v47
	v_fmac_f32_e32 v51, v43, v46
	v_add_f32_e32 v50, v50, v51
	v_mul_f32_e32 v51, v44, v49
	v_fmac_f32_e32 v51, v45, v48
	v_add_f32_e32 v58, v50, v51
	ds_read2_b64 v[50:53], v110 offset0:63 offset1:64
	v_add_f32_e32 v2, v2, v3
	v_mul_f32_e32 v3, v29, v33
	v_fma_f32 v3, v28, v32, -v3
	v_add_f32_e32 v2, v2, v3
	s_waitcnt vmcnt(12) lgkmcnt(0)
	v_mul_f32_e32 v59, v50, v55
	v_fmac_f32_e32 v59, v51, v54
	v_add_f32_e32 v58, v58, v59
	v_mul_f32_e32 v59, v52, v57
	v_fmac_f32_e32 v59, v53, v56
	v_add_f32_e32 v66, v58, v59
	ds_read2_b64 v[58:61], v110 offset0:65 offset1:66
	v_mul_f32_e32 v3, v35, v39
	v_fma_f32 v3, v34, v38, -v3
	v_add_f32_e32 v2, v2, v3
	v_mul_f32_e32 v3, v37, v41
	;; [unrolled: 36-line block ×5, first 2 shown]
	s_waitcnt vmcnt(2) lgkmcnt(0)
	v_mul_f32_e32 v140, v132, v137
	v_fmac_f32_e32 v140, v133, v136
	v_add_f32_e32 v111, v111, v140
	v_mul_f32_e32 v140, v134, v139
	v_fmac_f32_e32 v140, v135, v138
	v_add_f32_e32 v111, v111, v140
	ds_read2_b64 v[140:143], v110 offset0:85 offset1:86
	v_fma_f32 v3, v84, v88, -v3
	v_add_f32_e32 v2, v2, v3
	v_mul_f32_e32 v3, v91, v95
	v_fma_f32 v3, v90, v94, -v3
	s_waitcnt vmcnt(1) lgkmcnt(0)
	v_mul_f32_e32 v148, v140, v145
	v_fmac_f32_e32 v148, v141, v144
	v_add_f32_e32 v165, v111, v148
	ds_read2_b64 v[148:151], v110 offset0:87 offset1:88
	scratch_load_dwordx4 v[156:159], off, off offset:328
	scratch_load_dwordx4 v[250:253], off, off offset:344
	scratch_load_dwordx4 v[160:163], off, off offset:360
	scratch_load_dwordx2 v[254:255], off, off offset:376
	v_add_f32_e32 v2, v2, v3
	v_mul_f32_e32 v3, v93, v97
	v_fma_f32 v3, v92, v96, -v3
	v_add_f32_e32 v2, v2, v3
	v_mul_f32_e32 v3, v99, v103
	v_fma_f32 v3, v98, v102, -v3
	;; [unrolled: 3-line block ×12, first 2 shown]
	v_add_f32_e32 v164, v2, v3
	v_mul_f32_e32 v2, v143, v147
	v_mul_f32_e32 v167, v142, v147
	v_fma_f32 v166, v142, v146, -v2
	s_waitcnt vmcnt(4) lgkmcnt(0)
	v_mul_f32_e32 v2, v149, v153
	v_mov_b32_e32 v18, v155
	v_fmac_f32_e32 v167, v143, v146
	v_mul_f32_e32 v169, v148, v153
	v_fma_f32 v168, v148, v152, -v2
	ds_read2_b64 v[2:5], v110 offset0:89 offset1:90
	ds_read2_b64 v[6:9], v110 offset0:91 offset1:92
	;; [unrolled: 1-line block ×3, first 2 shown]
	ds_read_b64 v[14:15], v110 offset:760
	v_pk_mul_f32 v[18:19], v[150:151], v[18:19] op_sel:[1,0] op_sel_hi:[0,0]
	v_fmac_f32_e32 v169, v149, v152
	v_pk_add_f32 v[16:17], v[164:165], v[166:167]
	v_pk_fma_f32 v[20:21], v[150:151], v[154:155], v[18:19] neg_lo:[0,0,1] neg_hi:[0,0,1]
	v_pk_fma_f32 v[18:19], v[150:151], v[154:155], v[18:19] op_sel_hi:[1,0,1]
	v_pk_add_f32 v[16:17], v[16:17], v[168:169]
	v_mov_b32_e32 v21, v19
	v_pk_add_f32 v[16:17], v[16:17], v[20:21]
	s_waitcnt vmcnt(3) lgkmcnt(3)
	v_pk_mul_f32 v[18:19], v[2:3], v[156:157] op_sel:[1,1] op_sel_hi:[0,1]
	v_pk_fma_f32 v[20:21], v[2:3], v[156:157], v[18:19] neg_lo:[0,0,1] neg_hi:[0,0,1]
	v_pk_fma_f32 v[2:3], v[2:3], v[156:157], v[18:19] op_sel_hi:[1,0,1]
	s_nop 0
	v_mov_b32_e32 v21, v3
	v_pk_add_f32 v[2:3], v[16:17], v[20:21]
	v_mov_b32_e32 v16, v159
	v_pk_mul_f32 v[16:17], v[4:5], v[16:17] op_sel:[1,0] op_sel_hi:[0,0]
	v_pk_fma_f32 v[18:19], v[4:5], v[158:159], v[16:17] neg_lo:[0,0,1] neg_hi:[0,0,1]
	v_pk_fma_f32 v[4:5], v[4:5], v[158:159], v[16:17] op_sel_hi:[1,0,1]
	s_nop 0
	v_mov_b32_e32 v19, v5
	s_waitcnt vmcnt(2) lgkmcnt(2)
	v_pk_mul_f32 v[4:5], v[6:7], v[250:251] op_sel:[1,1] op_sel_hi:[0,1]
	v_pk_fma_f32 v[16:17], v[6:7], v[250:251], v[4:5] neg_lo:[0,0,1] neg_hi:[0,0,1]
	v_pk_fma_f32 v[4:5], v[6:7], v[250:251], v[4:5] op_sel_hi:[1,0,1]
	v_pk_add_f32 v[2:3], v[2:3], v[18:19]
	v_mov_b32_e32 v4, v253
	v_mov_b32_e32 v17, v5
	v_pk_mul_f32 v[4:5], v[8:9], v[4:5] op_sel:[1,0] op_sel_hi:[0,0]
	v_pk_fma_f32 v[6:7], v[8:9], v[252:253], v[4:5] neg_lo:[0,0,1] neg_hi:[0,0,1]
	v_pk_fma_f32 v[4:5], v[8:9], v[252:253], v[4:5] op_sel_hi:[1,0,1]
	v_pk_add_f32 v[2:3], v[2:3], v[16:17]
	v_mov_b32_e32 v7, v5
	s_waitcnt vmcnt(1) lgkmcnt(1)
	v_pk_mul_f32 v[4:5], v[10:11], v[160:161] op_sel:[1,1] op_sel_hi:[0,1]
	v_pk_add_f32 v[2:3], v[2:3], v[6:7]
	v_pk_fma_f32 v[6:7], v[10:11], v[160:161], v[4:5] neg_lo:[0,0,1] neg_hi:[0,0,1]
	v_pk_fma_f32 v[4:5], v[10:11], v[160:161], v[4:5] op_sel_hi:[1,0,1]
	s_nop 0
	v_mov_b32_e32 v4, v163
	v_mov_b32_e32 v7, v5
	v_pk_mul_f32 v[4:5], v[12:13], v[4:5] op_sel:[1,0] op_sel_hi:[0,0]
	v_pk_add_f32 v[2:3], v[2:3], v[6:7]
	v_pk_fma_f32 v[6:7], v[12:13], v[162:163], v[4:5] neg_lo:[0,0,1] neg_hi:[0,0,1]
	v_pk_fma_f32 v[4:5], v[12:13], v[162:163], v[4:5] op_sel_hi:[1,0,1]
	s_nop 0
	v_mov_b32_e32 v7, v5
	s_waitcnt vmcnt(0) lgkmcnt(0)
	v_pk_mul_f32 v[4:5], v[14:15], v[254:255] op_sel:[1,1] op_sel_hi:[0,1]
	v_pk_add_f32 v[2:3], v[2:3], v[6:7]
	v_pk_fma_f32 v[6:7], v[14:15], v[254:255], v[4:5] neg_lo:[0,0,1] neg_hi:[0,0,1]
	v_pk_fma_f32 v[4:5], v[14:15], v[254:255], v[4:5] op_sel_hi:[1,0,1]
	s_nop 0
	v_mov_b32_e32 v7, v5
	scratch_load_dwordx2 v[4:5], off, off offset:16
	v_pk_add_f32 v[2:3], v[2:3], v[6:7]
	s_waitcnt vmcnt(0)
	v_pk_add_f32 v[2:3], v[4:5], v[2:3] neg_lo:[0,1] neg_hi:[0,1]
	scratch_store_dwordx2 off, v[2:3], off offset:16
	s_and_saveexec_b64 s[0:1], vcc
	s_cbranch_execz .LBB47_299
; %bb.298:
	scratch_load_dwordx2 v[2:3], off, off offset:8
	v_mov_b32_e32 v111, v110
	scratch_store_dwordx2 off, v[110:111], off offset:8
	s_waitcnt vmcnt(1)
	ds_write_b64 v1, v[2:3]
.LBB47_299:
	s_or_b64 exec, exec, s[0:1]
	s_waitcnt lgkmcnt(0)
	; wave barrier
	ds_read_b128 v[14:17], v110 offset:400
	ds_read_b128 v[10:13], v110 offset:416
	ds_read_b128 v[6:9], v110 offset:432
	ds_read_b128 v[2:5], v110 offset:448
	scratch_load_dwordx4 v[18:21], off, off offset:16
	scratch_load_dwordx4 v[38:41], off, off offset:80
	scratch_load_dwordx4 v[70:73], off, off offset:144
	scratch_load_dwordx4 v[78:81], off, off offset:160
	scratch_load_dwordx4 v[86:89], off, off offset:176
	scratch_load_dwordx4 v[94:97], off, off offset:192
	scratch_load_dwordx4 v[102:105], off, off offset:208
	scratch_load_dwordx4 v[112:115], off, off offset:224
	scratch_load_dwordx4 v[120:123], off, off offset:240
	scratch_load_dwordx4 v[128:131], off, off offset:256
	scratch_load_dwordx4 v[136:139], off, off offset:272
	scratch_load_dwordx4 v[144:147], off, off offset:288
	scratch_load_dwordx4 v[152:155], off, off offset:304
	v_cmp_ne_u32_e32 vcc, 0, v0
	scratch_load_dwordx4 v[46:49], off, off offset:96
	scratch_load_dwordx4 v[54:57], off, off offset:112
	;; [unrolled: 1-line block ×3, first 2 shown]
	s_waitcnt vmcnt(15) lgkmcnt(3)
	v_mul_f32_e32 v22, v14, v19
	v_fmac_f32_e32 v22, v15, v18
	v_mul_f32_e32 v23, v16, v21
	v_add_f32_e32 v22, 0, v22
	v_fmac_f32_e32 v23, v17, v20
	v_add_f32_e32 v26, v22, v23
	scratch_load_dwordx4 v[22:25], off, off offset:32
	v_mul_f32_e32 v15, v15, v19
	v_fma_f32 v14, v14, v18, -v15
	v_mul_f32_e32 v15, v17, v21
	v_add_f32_e32 v14, 0, v14
	v_fma_f32 v15, v16, v20, -v15
	v_add_f32_e32 v14, v14, v15
	s_waitcnt vmcnt(0) lgkmcnt(2)
	v_mul_f32_e32 v27, v10, v23
	v_fmac_f32_e32 v27, v11, v22
	v_add_f32_e32 v26, v26, v27
	v_mul_f32_e32 v27, v12, v25
	v_fmac_f32_e32 v27, v13, v24
	v_add_f32_e32 v30, v26, v27
	scratch_load_dwordx4 v[26:29], off, off offset:48
	v_mul_f32_e32 v11, v11, v23
	v_fma_f32 v10, v10, v22, -v11
	v_mul_f32_e32 v11, v13, v25
	v_add_f32_e32 v10, v14, v10
	v_fma_f32 v11, v12, v24, -v11
	v_add_f32_e32 v10, v10, v11
	s_waitcnt vmcnt(0) lgkmcnt(1)
	v_mul_f32_e32 v31, v6, v27
	v_fmac_f32_e32 v31, v7, v26
	v_add_f32_e32 v30, v30, v31
	v_mul_f32_e32 v31, v8, v29
	v_fmac_f32_e32 v31, v9, v28
	v_add_f32_e32 v34, v30, v31
	scratch_load_dwordx4 v[30:33], off, off offset:64
	v_mul_f32_e32 v7, v7, v27
	v_fma_f32 v6, v6, v26, -v7
	v_mul_f32_e32 v7, v9, v29
	v_add_f32_e32 v6, v10, v6
	v_fma_f32 v7, v8, v28, -v7
	v_add_f32_e32 v6, v6, v7
	s_waitcnt vmcnt(0) lgkmcnt(0)
	v_mul_f32_e32 v35, v2, v31
	v_fmac_f32_e32 v35, v3, v30
	v_add_f32_e32 v34, v34, v35
	v_mul_f32_e32 v35, v4, v33
	v_fmac_f32_e32 v35, v5, v32
	v_add_f32_e32 v42, v34, v35
	ds_read_b128 v[34:37], v110 offset:464
	v_mul_f32_e32 v3, v3, v31
	v_fma_f32 v2, v2, v30, -v3
	v_mul_f32_e32 v3, v5, v33
	v_add_f32_e32 v2, v6, v2
	s_waitcnt lgkmcnt(0)
	v_mul_f32_e32 v43, v34, v39
	v_fmac_f32_e32 v43, v35, v38
	v_add_f32_e32 v42, v42, v43
	v_mul_f32_e32 v43, v36, v41
	v_fmac_f32_e32 v43, v37, v40
	v_add_f32_e32 v50, v42, v43
	ds_read_b128 v[42:45], v110 offset:480
	v_fma_f32 v3, v4, v32, -v3
	v_add_f32_e32 v2, v2, v3
	v_mul_f32_e32 v3, v35, v39
	v_fma_f32 v3, v34, v38, -v3
	s_waitcnt lgkmcnt(0)
	v_mul_f32_e32 v51, v42, v47
	v_fmac_f32_e32 v51, v43, v46
	v_add_f32_e32 v50, v50, v51
	v_mul_f32_e32 v51, v44, v49
	v_fmac_f32_e32 v51, v45, v48
	v_add_f32_e32 v58, v50, v51
	ds_read_b128 v[50:53], v110 offset:496
	v_add_f32_e32 v2, v2, v3
	v_mul_f32_e32 v3, v37, v41
	v_fma_f32 v3, v36, v40, -v3
	v_add_f32_e32 v2, v2, v3
	s_waitcnt lgkmcnt(0)
	v_mul_f32_e32 v59, v50, v55
	v_fmac_f32_e32 v59, v51, v54
	v_add_f32_e32 v58, v58, v59
	v_mul_f32_e32 v59, v52, v57
	v_fmac_f32_e32 v59, v53, v56
	v_add_f32_e32 v66, v58, v59
	ds_read_b128 v[58:61], v110 offset:512
	v_mul_f32_e32 v3, v43, v47
	v_fma_f32 v3, v42, v46, -v3
	v_add_f32_e32 v2, v2, v3
	v_mul_f32_e32 v3, v45, v49
	s_waitcnt lgkmcnt(0)
	v_mul_f32_e32 v67, v58, v63
	v_fmac_f32_e32 v67, v59, v62
	v_add_f32_e32 v66, v66, v67
	v_mul_f32_e32 v67, v60, v65
	v_fmac_f32_e32 v67, v61, v64
	v_add_f32_e32 v74, v66, v67
	ds_read_b128 v[66:69], v110 offset:528
	v_fma_f32 v3, v44, v48, -v3
	v_add_f32_e32 v2, v2, v3
	v_mul_f32_e32 v3, v51, v55
	v_fma_f32 v3, v50, v54, -v3
	s_waitcnt lgkmcnt(0)
	v_mul_f32_e32 v75, v66, v71
	v_fmac_f32_e32 v75, v67, v70
	v_add_f32_e32 v74, v74, v75
	v_mul_f32_e32 v75, v68, v73
	v_fmac_f32_e32 v75, v69, v72
	v_add_f32_e32 v82, v74, v75
	ds_read_b128 v[74:77], v110 offset:544
	v_add_f32_e32 v2, v2, v3
	v_mul_f32_e32 v3, v53, v57
	v_fma_f32 v3, v52, v56, -v3
	v_add_f32_e32 v2, v2, v3
	s_waitcnt lgkmcnt(0)
	v_mul_f32_e32 v83, v74, v79
	v_fmac_f32_e32 v83, v75, v78
	v_add_f32_e32 v82, v82, v83
	v_mul_f32_e32 v83, v76, v81
	v_fmac_f32_e32 v83, v77, v80
	v_add_f32_e32 v90, v82, v83
	ds_read_b128 v[82:85], v110 offset:560
	v_mul_f32_e32 v3, v59, v63
	v_fma_f32 v3, v58, v62, -v3
	v_add_f32_e32 v2, v2, v3
	v_mul_f32_e32 v3, v61, v65
	s_waitcnt lgkmcnt(0)
	v_mul_f32_e32 v91, v82, v87
	v_fmac_f32_e32 v91, v83, v86
	v_add_f32_e32 v90, v90, v91
	v_mul_f32_e32 v91, v84, v89
	v_fmac_f32_e32 v91, v85, v88
	v_add_f32_e32 v98, v90, v91
	ds_read_b128 v[90:93], v110 offset:576
	v_fma_f32 v3, v60, v64, -v3
	v_add_f32_e32 v2, v2, v3
	v_mul_f32_e32 v3, v67, v71
	v_fma_f32 v3, v66, v70, -v3
	s_waitcnt lgkmcnt(0)
	v_mul_f32_e32 v99, v90, v95
	v_fmac_f32_e32 v99, v91, v94
	v_add_f32_e32 v98, v98, v99
	v_mul_f32_e32 v99, v92, v97
	v_fmac_f32_e32 v99, v93, v96
	v_add_f32_e32 v106, v98, v99
	ds_read_b128 v[98:101], v110 offset:592
	v_add_f32_e32 v2, v2, v3
	v_mul_f32_e32 v3, v69, v73
	v_fma_f32 v3, v68, v72, -v3
	v_add_f32_e32 v2, v2, v3
	s_waitcnt lgkmcnt(0)
	v_mul_f32_e32 v107, v98, v103
	v_fmac_f32_e32 v107, v99, v102
	v_add_f32_e32 v106, v106, v107
	v_mul_f32_e32 v107, v100, v105
	v_fmac_f32_e32 v107, v101, v104
	v_add_f32_e32 v111, v106, v107
	ds_read_b128 v[106:109], v110 offset:608
	v_mul_f32_e32 v3, v75, v79
	v_fma_f32 v3, v74, v78, -v3
	v_add_f32_e32 v2, v2, v3
	v_mul_f32_e32 v3, v77, v81
	s_waitcnt lgkmcnt(0)
	v_mul_f32_e32 v116, v106, v113
	v_fmac_f32_e32 v116, v107, v112
	v_add_f32_e32 v111, v111, v116
	v_mul_f32_e32 v116, v108, v115
	v_fmac_f32_e32 v116, v109, v114
	v_add_f32_e32 v111, v111, v116
	ds_read_b128 v[116:119], v110 offset:624
	v_fma_f32 v3, v76, v80, -v3
	v_add_f32_e32 v2, v2, v3
	v_mul_f32_e32 v3, v83, v87
	v_fma_f32 v3, v82, v86, -v3
	s_waitcnt lgkmcnt(0)
	v_mul_f32_e32 v124, v116, v121
	v_fmac_f32_e32 v124, v117, v120
	v_add_f32_e32 v111, v111, v124
	v_mul_f32_e32 v124, v118, v123
	v_fmac_f32_e32 v124, v119, v122
	v_add_f32_e32 v111, v111, v124
	ds_read_b128 v[124:127], v110 offset:640
	v_add_f32_e32 v2, v2, v3
	v_mul_f32_e32 v3, v85, v89
	v_fma_f32 v3, v84, v88, -v3
	v_add_f32_e32 v2, v2, v3
	s_waitcnt lgkmcnt(0)
	v_mul_f32_e32 v132, v124, v129
	v_fmac_f32_e32 v132, v125, v128
	v_add_f32_e32 v111, v111, v132
	v_mul_f32_e32 v132, v126, v131
	v_fmac_f32_e32 v132, v127, v130
	v_add_f32_e32 v111, v111, v132
	ds_read_b128 v[132:135], v110 offset:656
	v_mul_f32_e32 v3, v91, v95
	v_fma_f32 v3, v90, v94, -v3
	v_add_f32_e32 v2, v2, v3
	v_mul_f32_e32 v3, v93, v97
	s_waitcnt lgkmcnt(0)
	v_mul_f32_e32 v140, v132, v137
	v_fmac_f32_e32 v140, v133, v136
	v_add_f32_e32 v111, v111, v140
	v_mul_f32_e32 v140, v134, v139
	v_fmac_f32_e32 v140, v135, v138
	v_add_f32_e32 v111, v111, v140
	ds_read_b128 v[140:143], v110 offset:672
	v_fma_f32 v3, v92, v96, -v3
	v_add_f32_e32 v2, v2, v3
	v_mul_f32_e32 v3, v99, v103
	v_fma_f32 v3, v98, v102, -v3
	s_waitcnt lgkmcnt(0)
	v_mul_f32_e32 v148, v140, v145
	v_fmac_f32_e32 v148, v141, v144
	v_add_f32_e32 v111, v111, v148
	v_mul_f32_e32 v148, v142, v147
	v_fmac_f32_e32 v148, v143, v146
	v_add_f32_e32 v169, v111, v148
	ds_read_b128 v[148:151], v110 offset:688
	scratch_load_dwordx4 v[156:159], off, off offset:320
	scratch_load_dwordx4 v[160:163], off, off offset:336
	;; [unrolled: 1-line block ×4, first 2 shown]
	v_add_f32_e32 v2, v2, v3
	v_mul_f32_e32 v3, v101, v105
	v_fma_f32 v3, v100, v104, -v3
	v_add_f32_e32 v2, v2, v3
	v_mul_f32_e32 v3, v107, v113
	v_fma_f32 v3, v106, v112, -v3
	;; [unrolled: 3-line block ×11, first 2 shown]
	v_add_f32_e32 v168, v2, v3
	s_waitcnt lgkmcnt(0)
	v_mul_f32_e32 v2, v149, v153
	v_fma_f32 v254, v148, v152, -v2
	v_mul_f32_e32 v2, v151, v155
	v_fma_f32 v170, v150, v154, -v2
	ds_read_b128 v[2:5], v110 offset:704
	ds_read_b128 v[6:9], v110 offset:720
	;; [unrolled: 1-line block ×4, first 2 shown]
	v_mul_f32_e32 v255, v148, v153
	v_fmac_f32_e32 v255, v149, v152
	v_mul_f32_e32 v171, v150, v155
	v_fmac_f32_e32 v171, v151, v154
	v_pk_add_f32 v[18:19], v[168:169], v[254:255]
	s_waitcnt vmcnt(3) lgkmcnt(3)
	v_pk_mul_f32 v[20:21], v[2:3], v[156:157] op_sel:[1,1] op_sel_hi:[0,1]
	v_pk_fma_f32 v[22:23], v[2:3], v[156:157], v[20:21] neg_lo:[0,0,1] neg_hi:[0,0,1]
	v_pk_fma_f32 v[2:3], v[2:3], v[156:157], v[20:21] op_sel_hi:[1,0,1]
	v_pk_add_f32 v[18:19], v[18:19], v[170:171]
	v_mov_b32_e32 v23, v3
	v_pk_add_f32 v[2:3], v[18:19], v[22:23]
	v_mov_b32_e32 v18, v159
	v_pk_mul_f32 v[18:19], v[4:5], v[18:19] op_sel:[1,0] op_sel_hi:[0,0]
	v_pk_fma_f32 v[20:21], v[4:5], v[158:159], v[18:19] neg_lo:[0,0,1] neg_hi:[0,0,1]
	v_pk_fma_f32 v[4:5], v[4:5], v[158:159], v[18:19] op_sel_hi:[1,0,1]
	s_nop 0
	v_mov_b32_e32 v21, v5
	s_waitcnt vmcnt(2) lgkmcnt(2)
	v_pk_mul_f32 v[4:5], v[6:7], v[160:161] op_sel:[1,1] op_sel_hi:[0,1]
	v_pk_fma_f32 v[18:19], v[6:7], v[160:161], v[4:5] neg_lo:[0,0,1] neg_hi:[0,0,1]
	v_pk_fma_f32 v[4:5], v[6:7], v[160:161], v[4:5] op_sel_hi:[1,0,1]
	v_pk_add_f32 v[2:3], v[2:3], v[20:21]
	v_mov_b32_e32 v4, v163
	v_mov_b32_e32 v19, v5
	v_pk_mul_f32 v[4:5], v[8:9], v[4:5] op_sel:[1,0] op_sel_hi:[0,0]
	v_pk_fma_f32 v[6:7], v[8:9], v[162:163], v[4:5] neg_lo:[0,0,1] neg_hi:[0,0,1]
	v_pk_fma_f32 v[4:5], v[8:9], v[162:163], v[4:5] op_sel_hi:[1,0,1]
	v_pk_add_f32 v[2:3], v[2:3], v[18:19]
	v_mov_b32_e32 v7, v5
	s_waitcnt vmcnt(1) lgkmcnt(1)
	v_pk_mul_f32 v[4:5], v[10:11], v[250:251] op_sel:[1,1] op_sel_hi:[0,1]
	v_pk_add_f32 v[2:3], v[2:3], v[6:7]
	v_pk_fma_f32 v[6:7], v[10:11], v[250:251], v[4:5] neg_lo:[0,0,1] neg_hi:[0,0,1]
	v_pk_fma_f32 v[4:5], v[10:11], v[250:251], v[4:5] op_sel_hi:[1,0,1]
	s_nop 0
	v_mov_b32_e32 v4, v253
	v_mov_b32_e32 v7, v5
	v_pk_mul_f32 v[4:5], v[12:13], v[4:5] op_sel:[1,0] op_sel_hi:[0,0]
	v_pk_add_f32 v[2:3], v[2:3], v[6:7]
	v_pk_fma_f32 v[6:7], v[12:13], v[252:253], v[4:5] neg_lo:[0,0,1] neg_hi:[0,0,1]
	v_pk_fma_f32 v[4:5], v[12:13], v[252:253], v[4:5] op_sel_hi:[1,0,1]
	s_nop 0
	v_mov_b32_e32 v7, v5
	s_waitcnt vmcnt(0) lgkmcnt(0)
	v_pk_mul_f32 v[4:5], v[14:15], v[164:165] op_sel:[1,1] op_sel_hi:[0,1]
	v_pk_add_f32 v[2:3], v[2:3], v[6:7]
	v_pk_fma_f32 v[6:7], v[14:15], v[164:165], v[4:5] neg_lo:[0,0,1] neg_hi:[0,0,1]
	v_pk_fma_f32 v[4:5], v[14:15], v[164:165], v[4:5] op_sel_hi:[1,0,1]
	s_nop 0
	v_mov_b32_e32 v4, v167
	v_mov_b32_e32 v7, v5
	v_pk_mul_f32 v[4:5], v[16:17], v[4:5] op_sel:[1,0] op_sel_hi:[0,0]
	v_pk_add_f32 v[2:3], v[2:3], v[6:7]
	v_pk_fma_f32 v[6:7], v[16:17], v[166:167], v[4:5] neg_lo:[0,0,1] neg_hi:[0,0,1]
	v_pk_fma_f32 v[4:5], v[16:17], v[166:167], v[4:5] op_sel_hi:[1,0,1]
	s_nop 0
	v_mov_b32_e32 v7, v5
	scratch_load_dwordx2 v[4:5], off, off offset:8
	v_pk_add_f32 v[2:3], v[2:3], v[6:7]
	s_waitcnt vmcnt(0)
	v_pk_add_f32 v[2:3], v[4:5], v[2:3] neg_lo:[0,1] neg_hi:[0,1]
	scratch_store_dwordx2 off, v[2:3], off offset:8
	s_and_saveexec_b64 s[0:1], vcc
	s_cbranch_execz .LBB47_301
; %bb.300:
	scratch_load_dwordx2 v[2:3], off, off
	v_mov_b32_e32 v4, 0
	v_mov_b32_e32 v5, v4
	scratch_store_dwordx2 off, v[4:5], off
	s_waitcnt vmcnt(1)
	ds_write_b64 v1, v[2:3]
.LBB47_301:
	s_or_b64 exec, exec, s[0:1]
	s_waitcnt lgkmcnt(0)
	; wave barrier
	scratch_load_dwordx4 v[4:7], off, off offset:8
	scratch_load_dwordx4 v[12:15], off, off offset:24
	;; [unrolled: 1-line block ×10, first 2 shown]
	v_mov_b32_e32 v116, 0
	ds_read2_b64 v[0:3], v116 offset0:49 offset1:50
	scratch_load_dwordx4 v[84:87], off, off offset:168
	scratch_load_dwordx4 v[92:95], off, off offset:184
	;; [unrolled: 1-line block ×10, first 2 shown]
	s_and_b64 vcc, exec, s[18:19]
	s_waitcnt vmcnt(19) lgkmcnt(0)
	v_mul_f32_e32 v8, v0, v5
	v_fmac_f32_e32 v8, v1, v4
	v_mul_f32_e32 v9, v2, v7
	v_add_f32_e32 v8, 0, v8
	v_fmac_f32_e32 v9, v3, v6
	v_add_f32_e32 v16, v8, v9
	ds_read2_b64 v[8:11], v116 offset0:51 offset1:52
	v_mul_f32_e32 v1, v1, v5
	v_fma_f32 v0, v0, v4, -v1
	v_mul_f32_e32 v1, v3, v7
	v_add_f32_e32 v0, 0, v0
	s_waitcnt vmcnt(18) lgkmcnt(0)
	v_mul_f32_e32 v17, v8, v13
	v_fmac_f32_e32 v17, v9, v12
	v_add_f32_e32 v16, v16, v17
	v_mul_f32_e32 v17, v10, v15
	v_fmac_f32_e32 v17, v11, v14
	v_add_f32_e32 v24, v16, v17
	ds_read2_b64 v[16:19], v116 offset0:53 offset1:54
	v_fma_f32 v1, v2, v6, -v1
	v_add_f32_e32 v0, v0, v1
	v_mul_f32_e32 v1, v9, v13
	v_fma_f32 v1, v8, v12, -v1
	s_waitcnt vmcnt(17) lgkmcnt(0)
	v_mul_f32_e32 v25, v16, v21
	v_fmac_f32_e32 v25, v17, v20
	v_add_f32_e32 v24, v24, v25
	v_mul_f32_e32 v25, v18, v23
	v_fmac_f32_e32 v25, v19, v22
	v_add_f32_e32 v32, v24, v25
	ds_read2_b64 v[24:27], v116 offset0:55 offset1:56
	v_add_f32_e32 v0, v0, v1
	v_mul_f32_e32 v1, v11, v15
	v_fma_f32 v1, v10, v14, -v1
	v_add_f32_e32 v0, v0, v1
	s_waitcnt vmcnt(16) lgkmcnt(0)
	v_mul_f32_e32 v33, v24, v29
	v_fmac_f32_e32 v33, v25, v28
	v_add_f32_e32 v32, v32, v33
	v_mul_f32_e32 v33, v26, v31
	v_fmac_f32_e32 v33, v27, v30
	v_add_f32_e32 v40, v32, v33
	ds_read2_b64 v[32:35], v116 offset0:57 offset1:58
	v_mul_f32_e32 v1, v17, v21
	v_fma_f32 v1, v16, v20, -v1
	v_add_f32_e32 v0, v0, v1
	v_mul_f32_e32 v1, v19, v23
	s_waitcnt vmcnt(15) lgkmcnt(0)
	v_mul_f32_e32 v41, v32, v37
	v_fmac_f32_e32 v41, v33, v36
	v_add_f32_e32 v40, v40, v41
	v_mul_f32_e32 v41, v34, v39
	v_fmac_f32_e32 v41, v35, v38
	v_add_f32_e32 v48, v40, v41
	ds_read2_b64 v[40:43], v116 offset0:59 offset1:60
	v_fma_f32 v1, v18, v22, -v1
	v_add_f32_e32 v0, v0, v1
	v_mul_f32_e32 v1, v25, v29
	v_fma_f32 v1, v24, v28, -v1
	s_waitcnt vmcnt(14) lgkmcnt(0)
	v_mul_f32_e32 v49, v40, v45
	v_fmac_f32_e32 v49, v41, v44
	v_add_f32_e32 v48, v48, v49
	v_mul_f32_e32 v49, v42, v47
	v_fmac_f32_e32 v49, v43, v46
	v_add_f32_e32 v56, v48, v49
	ds_read2_b64 v[48:51], v116 offset0:61 offset1:62
	v_add_f32_e32 v0, v0, v1
	v_mul_f32_e32 v1, v27, v31
	v_fma_f32 v1, v26, v30, -v1
	v_add_f32_e32 v0, v0, v1
	s_waitcnt vmcnt(13) lgkmcnt(0)
	v_mul_f32_e32 v57, v48, v53
	v_fmac_f32_e32 v57, v49, v52
	v_add_f32_e32 v56, v56, v57
	v_mul_f32_e32 v57, v50, v55
	v_fmac_f32_e32 v57, v51, v54
	v_add_f32_e32 v64, v56, v57
	ds_read2_b64 v[56:59], v116 offset0:63 offset1:64
	v_mul_f32_e32 v1, v33, v37
	v_fma_f32 v1, v32, v36, -v1
	v_add_f32_e32 v0, v0, v1
	v_mul_f32_e32 v1, v35, v39
	s_waitcnt vmcnt(12) lgkmcnt(0)
	v_mul_f32_e32 v65, v56, v61
	v_fmac_f32_e32 v65, v57, v60
	v_add_f32_e32 v64, v64, v65
	v_mul_f32_e32 v65, v58, v63
	v_fmac_f32_e32 v65, v59, v62
	v_add_f32_e32 v72, v64, v65
	ds_read2_b64 v[64:67], v116 offset0:65 offset1:66
	v_fma_f32 v1, v34, v38, -v1
	v_add_f32_e32 v0, v0, v1
	v_mul_f32_e32 v1, v41, v45
	v_fma_f32 v1, v40, v44, -v1
	s_waitcnt vmcnt(11) lgkmcnt(0)
	v_mul_f32_e32 v73, v64, v69
	v_fmac_f32_e32 v73, v65, v68
	v_add_f32_e32 v72, v72, v73
	v_mul_f32_e32 v73, v66, v71
	v_fmac_f32_e32 v73, v67, v70
	v_add_f32_e32 v80, v72, v73
	ds_read2_b64 v[72:75], v116 offset0:67 offset1:68
	v_add_f32_e32 v0, v0, v1
	v_mul_f32_e32 v1, v43, v47
	v_fma_f32 v1, v42, v46, -v1
	v_add_f32_e32 v0, v0, v1
	s_waitcnt vmcnt(10) lgkmcnt(0)
	v_mul_f32_e32 v81, v72, v77
	v_fmac_f32_e32 v81, v73, v76
	v_add_f32_e32 v80, v80, v81
	v_mul_f32_e32 v81, v74, v79
	v_fmac_f32_e32 v81, v75, v78
	v_add_f32_e32 v88, v80, v81
	ds_read2_b64 v[80:83], v116 offset0:69 offset1:70
	v_mul_f32_e32 v1, v49, v53
	v_fma_f32 v1, v48, v52, -v1
	v_add_f32_e32 v0, v0, v1
	v_mul_f32_e32 v1, v51, v55
	s_waitcnt vmcnt(9) lgkmcnt(0)
	v_mul_f32_e32 v89, v80, v85
	v_fmac_f32_e32 v89, v81, v84
	v_add_f32_e32 v88, v88, v89
	v_mul_f32_e32 v89, v82, v87
	v_fmac_f32_e32 v89, v83, v86
	v_add_f32_e32 v96, v88, v89
	ds_read2_b64 v[88:91], v116 offset0:71 offset1:72
	v_fma_f32 v1, v50, v54, -v1
	v_add_f32_e32 v0, v0, v1
	v_mul_f32_e32 v1, v57, v61
	v_fma_f32 v1, v56, v60, -v1
	s_waitcnt vmcnt(8) lgkmcnt(0)
	v_mul_f32_e32 v97, v88, v93
	v_fmac_f32_e32 v97, v89, v92
	v_add_f32_e32 v96, v96, v97
	v_mul_f32_e32 v97, v90, v95
	v_fmac_f32_e32 v97, v91, v94
	v_add_f32_e32 v104, v96, v97
	ds_read2_b64 v[96:99], v116 offset0:73 offset1:74
	v_add_f32_e32 v0, v0, v1
	v_mul_f32_e32 v1, v59, v63
	v_fma_f32 v1, v58, v62, -v1
	v_add_f32_e32 v0, v0, v1
	s_waitcnt vmcnt(7) lgkmcnt(0)
	v_mul_f32_e32 v105, v96, v101
	v_fmac_f32_e32 v105, v97, v100
	v_add_f32_e32 v104, v104, v105
	v_mul_f32_e32 v105, v98, v103
	v_fmac_f32_e32 v105, v99, v102
	v_add_f32_e32 v112, v104, v105
	ds_read2_b64 v[104:107], v116 offset0:75 offset1:76
	v_mul_f32_e32 v1, v65, v69
	v_fma_f32 v1, v64, v68, -v1
	v_add_f32_e32 v0, v0, v1
	v_mul_f32_e32 v1, v67, v71
	s_waitcnt vmcnt(6) lgkmcnt(0)
	v_mul_f32_e32 v113, v104, v109
	v_fmac_f32_e32 v113, v105, v108
	v_add_f32_e32 v112, v112, v113
	v_mul_f32_e32 v113, v106, v111
	v_fmac_f32_e32 v113, v107, v110
	v_add_f32_e32 v117, v112, v113
	ds_read2_b64 v[112:115], v116 offset0:77 offset1:78
	v_fma_f32 v1, v66, v70, -v1
	v_add_f32_e32 v0, v0, v1
	v_mul_f32_e32 v1, v73, v77
	v_fma_f32 v1, v72, v76, -v1
	s_waitcnt vmcnt(5) lgkmcnt(0)
	v_mul_f32_e32 v122, v112, v119
	v_fmac_f32_e32 v122, v113, v118
	v_add_f32_e32 v117, v117, v122
	v_mul_f32_e32 v122, v114, v121
	v_fmac_f32_e32 v122, v115, v120
	v_add_f32_e32 v117, v117, v122
	ds_read2_b64 v[122:125], v116 offset0:79 offset1:80
	v_add_f32_e32 v0, v0, v1
	v_mul_f32_e32 v1, v75, v79
	v_fma_f32 v1, v74, v78, -v1
	v_add_f32_e32 v0, v0, v1
	s_waitcnt vmcnt(4) lgkmcnt(0)
	v_mul_f32_e32 v130, v122, v127
	v_fmac_f32_e32 v130, v123, v126
	v_add_f32_e32 v117, v117, v130
	v_mul_f32_e32 v130, v124, v129
	v_fmac_f32_e32 v130, v125, v128
	v_add_f32_e32 v117, v117, v130
	ds_read2_b64 v[130:133], v116 offset0:81 offset1:82
	v_mul_f32_e32 v1, v81, v85
	v_fma_f32 v1, v80, v84, -v1
	v_add_f32_e32 v0, v0, v1
	v_mul_f32_e32 v1, v83, v87
	s_waitcnt vmcnt(3) lgkmcnt(0)
	v_mul_f32_e32 v138, v130, v135
	v_fmac_f32_e32 v138, v131, v134
	v_add_f32_e32 v117, v117, v138
	v_mul_f32_e32 v138, v132, v137
	v_fmac_f32_e32 v138, v133, v136
	v_add_f32_e32 v117, v117, v138
	ds_read2_b64 v[138:141], v116 offset0:83 offset1:84
	v_fma_f32 v1, v82, v86, -v1
	v_add_f32_e32 v0, v0, v1
	v_mul_f32_e32 v1, v89, v93
	v_fma_f32 v1, v88, v92, -v1
	s_waitcnt vmcnt(2) lgkmcnt(0)
	v_mul_f32_e32 v146, v138, v143
	v_fmac_f32_e32 v146, v139, v142
	v_add_f32_e32 v117, v117, v146
	v_mul_f32_e32 v146, v140, v145
	v_fmac_f32_e32 v146, v141, v144
	v_add_f32_e32 v117, v117, v146
	ds_read2_b64 v[146:149], v116 offset0:85 offset1:86
	v_add_f32_e32 v0, v0, v1
	v_mul_f32_e32 v1, v91, v95
	v_fma_f32 v1, v90, v94, -v1
	v_add_f32_e32 v0, v0, v1
	s_waitcnt vmcnt(1) lgkmcnt(0)
	v_mul_f32_e32 v154, v146, v151
	v_fmac_f32_e32 v154, v147, v150
	v_add_f32_e32 v171, v117, v154
	ds_read2_b64 v[154:157], v116 offset0:87 offset1:88
	scratch_load_dwordx4 v[162:165], off, off offset:328
	scratch_load_dwordx4 v[250:253], off, off offset:344
	scratch_load_dwordx4 v[166:169], off, off offset:360
	scratch_load_dwordx2 v[174:175], off, off offset:376
	v_mul_f32_e32 v1, v97, v101
	v_fma_f32 v1, v96, v100, -v1
	v_add_f32_e32 v0, v0, v1
	v_mul_f32_e32 v1, v99, v103
	v_fma_f32 v1, v98, v102, -v1
	v_add_f32_e32 v0, v0, v1
	;; [unrolled: 3-line block ×13, first 2 shown]
	v_mul_f32_e32 v0, v149, v153
	v_mul_f32_e32 v255, v148, v153
	v_fma_f32 v254, v148, v152, -v0
	s_waitcnt vmcnt(4) lgkmcnt(0)
	v_mul_f32_e32 v0, v155, v159
	v_mov_b32_e32 v16, v161
	v_fmac_f32_e32 v255, v149, v152
	v_mul_f32_e32 v173, v154, v159
	v_fma_f32 v172, v154, v158, -v0
	ds_read2_b64 v[0:3], v116 offset0:89 offset1:90
	ds_read2_b64 v[4:7], v116 offset0:91 offset1:92
	;; [unrolled: 1-line block ×3, first 2 shown]
	ds_read_b64 v[12:13], v116 offset:760
	v_pk_mul_f32 v[16:17], v[156:157], v[16:17] op_sel:[1,0] op_sel_hi:[0,0]
	v_fmac_f32_e32 v173, v155, v158
	v_pk_add_f32 v[14:15], v[170:171], v[254:255]
	v_pk_fma_f32 v[18:19], v[156:157], v[160:161], v[16:17] neg_lo:[0,0,1] neg_hi:[0,0,1]
	v_pk_fma_f32 v[16:17], v[156:157], v[160:161], v[16:17] op_sel_hi:[1,0,1]
	v_pk_add_f32 v[14:15], v[14:15], v[172:173]
	v_mov_b32_e32 v19, v17
	v_pk_add_f32 v[14:15], v[14:15], v[18:19]
	s_waitcnt vmcnt(3) lgkmcnt(3)
	v_pk_mul_f32 v[16:17], v[0:1], v[162:163] op_sel:[1,1] op_sel_hi:[0,1]
	v_pk_fma_f32 v[18:19], v[0:1], v[162:163], v[16:17] neg_lo:[0,0,1] neg_hi:[0,0,1]
	v_pk_fma_f32 v[0:1], v[0:1], v[162:163], v[16:17] op_sel_hi:[1,0,1]
	s_nop 0
	v_mov_b32_e32 v19, v1
	v_pk_add_f32 v[0:1], v[14:15], v[18:19]
	v_mov_b32_e32 v14, v165
	v_pk_mul_f32 v[14:15], v[2:3], v[14:15] op_sel:[1,0] op_sel_hi:[0,0]
	v_pk_fma_f32 v[16:17], v[2:3], v[164:165], v[14:15] neg_lo:[0,0,1] neg_hi:[0,0,1]
	v_pk_fma_f32 v[2:3], v[2:3], v[164:165], v[14:15] op_sel_hi:[1,0,1]
	s_nop 0
	v_mov_b32_e32 v17, v3
	s_waitcnt vmcnt(2) lgkmcnt(2)
	v_pk_mul_f32 v[2:3], v[4:5], v[250:251] op_sel:[1,1] op_sel_hi:[0,1]
	v_pk_fma_f32 v[14:15], v[4:5], v[250:251], v[2:3] neg_lo:[0,0,1] neg_hi:[0,0,1]
	v_pk_fma_f32 v[2:3], v[4:5], v[250:251], v[2:3] op_sel_hi:[1,0,1]
	v_pk_add_f32 v[0:1], v[0:1], v[16:17]
	v_mov_b32_e32 v2, v253
	v_mov_b32_e32 v15, v3
	v_pk_mul_f32 v[2:3], v[6:7], v[2:3] op_sel:[1,0] op_sel_hi:[0,0]
	v_pk_fma_f32 v[4:5], v[6:7], v[252:253], v[2:3] neg_lo:[0,0,1] neg_hi:[0,0,1]
	v_pk_fma_f32 v[2:3], v[6:7], v[252:253], v[2:3] op_sel_hi:[1,0,1]
	v_pk_add_f32 v[0:1], v[0:1], v[14:15]
	v_mov_b32_e32 v5, v3
	s_waitcnt vmcnt(1) lgkmcnt(1)
	v_pk_mul_f32 v[2:3], v[8:9], v[166:167] op_sel:[1,1] op_sel_hi:[0,1]
	v_pk_add_f32 v[0:1], v[0:1], v[4:5]
	v_pk_fma_f32 v[4:5], v[8:9], v[166:167], v[2:3] neg_lo:[0,0,1] neg_hi:[0,0,1]
	v_pk_fma_f32 v[2:3], v[8:9], v[166:167], v[2:3] op_sel_hi:[1,0,1]
	s_nop 0
	v_mov_b32_e32 v2, v169
	v_mov_b32_e32 v5, v3
	v_pk_mul_f32 v[2:3], v[10:11], v[2:3] op_sel:[1,0] op_sel_hi:[0,0]
	v_pk_add_f32 v[0:1], v[0:1], v[4:5]
	v_pk_fma_f32 v[4:5], v[10:11], v[168:169], v[2:3] neg_lo:[0,0,1] neg_hi:[0,0,1]
	v_pk_fma_f32 v[2:3], v[10:11], v[168:169], v[2:3] op_sel_hi:[1,0,1]
	s_nop 0
	v_mov_b32_e32 v5, v3
	s_waitcnt vmcnt(0) lgkmcnt(0)
	v_pk_mul_f32 v[2:3], v[12:13], v[174:175] op_sel:[1,1] op_sel_hi:[0,1]
	v_pk_add_f32 v[0:1], v[0:1], v[4:5]
	v_pk_fma_f32 v[4:5], v[12:13], v[174:175], v[2:3] neg_lo:[0,0,1] neg_hi:[0,0,1]
	v_pk_fma_f32 v[2:3], v[12:13], v[174:175], v[2:3] op_sel_hi:[1,0,1]
	s_nop 0
	v_mov_b32_e32 v5, v3
	scratch_load_dwordx2 v[2:3], off, off
	v_pk_add_f32 v[0:1], v[0:1], v[4:5]
	s_waitcnt vmcnt(0)
	v_pk_add_f32 v[0:1], v[2:3], v[0:1] neg_lo:[0,1] neg_hi:[0,1]
	scratch_store_dwordx2 off, v[0:1], off
	s_cbranch_vccz .LBB47_396
; %bb.302:
	global_load_dword v0, v116, s[16:17] offset:184
	s_waitcnt vmcnt(0)
	v_readfirstlane_b32 s0, v0
	s_add_i32 s0, s0, -1
	s_cmp_lg_u32 s0, 46
	s_cbranch_scc0 .LBB47_304
; %bb.303:
	s_lshl_b32 s0, s0, 3
	s_nop 0
	scratch_load_dwordx2 v[0:1], off, s0
	scratch_load_dwordx2 v[2:3], off, off offset:368
	s_waitcnt vmcnt(1)
	scratch_store_dwordx2 off, v[0:1], off offset:368
	s_waitcnt vmcnt(1)
	scratch_store_dwordx2 off, v[2:3], s0
.LBB47_304:
	v_mov_b32_e32 v0, 0
	global_load_dword v1, v0, s[16:17] offset:180
	s_waitcnt vmcnt(0)
	v_readfirstlane_b32 s0, v1
	s_add_i32 s0, s0, -1
	s_cmp_eq_u32 s0, 45
	s_cbranch_scc1 .LBB47_306
; %bb.305:
	s_lshl_b32 s0, s0, 3
	s_nop 0
	scratch_load_dwordx2 v[2:3], off, s0
	scratch_load_dwordx2 v[4:5], off, off offset:360
	s_waitcnt vmcnt(1)
	scratch_store_dwordx2 off, v[2:3], off offset:360
	s_waitcnt vmcnt(1)
	scratch_store_dwordx2 off, v[4:5], s0
.LBB47_306:
	global_load_dword v0, v0, s[16:17] offset:176
	s_waitcnt vmcnt(0)
	v_readfirstlane_b32 s0, v0
	s_add_i32 s0, s0, -1
	s_cmp_eq_u32 s0, 44
	s_cbranch_scc1 .LBB47_308
; %bb.307:
	s_lshl_b32 s0, s0, 3
	s_nop 0
	scratch_load_dwordx2 v[0:1], off, s0
	scratch_load_dwordx2 v[2:3], off, off offset:352
	s_waitcnt vmcnt(1)
	scratch_store_dwordx2 off, v[0:1], off offset:352
	s_waitcnt vmcnt(1)
	scratch_store_dwordx2 off, v[2:3], s0
.LBB47_308:
	v_mov_b32_e32 v0, 0
	global_load_dword v1, v0, s[16:17] offset:172
	s_waitcnt vmcnt(0)
	v_readfirstlane_b32 s0, v1
	s_add_i32 s0, s0, -1
	s_cmp_eq_u32 s0, 43
	s_cbranch_scc1 .LBB47_310
; %bb.309:
	s_lshl_b32 s0, s0, 3
	s_nop 0
	scratch_load_dwordx2 v[2:3], off, s0
	scratch_load_dwordx2 v[4:5], off, off offset:344
	s_waitcnt vmcnt(1)
	scratch_store_dwordx2 off, v[2:3], off offset:344
	s_waitcnt vmcnt(1)
	scratch_store_dwordx2 off, v[4:5], s0
.LBB47_310:
	global_load_dword v0, v0, s[16:17] offset:168
	s_waitcnt vmcnt(0)
	v_readfirstlane_b32 s0, v0
	s_add_i32 s0, s0, -1
	s_cmp_eq_u32 s0, 42
	s_cbranch_scc1 .LBB47_312
; %bb.311:
	s_lshl_b32 s0, s0, 3
	s_nop 0
	scratch_load_dwordx2 v[0:1], off, s0
	scratch_load_dwordx2 v[2:3], off, off offset:336
	s_waitcnt vmcnt(1)
	scratch_store_dwordx2 off, v[0:1], off offset:336
	s_waitcnt vmcnt(1)
	scratch_store_dwordx2 off, v[2:3], s0
.LBB47_312:
	;; [unrolled: 33-line block ×22, first 2 shown]
	v_mov_b32_e32 v0, 0
	global_load_dword v1, v0, s[16:17] offset:4
	s_waitcnt vmcnt(0)
	v_readfirstlane_b32 s0, v1
	s_add_i32 s0, s0, -1
	s_cmp_eq_u32 s0, 1
	s_cbranch_scc1 .LBB47_394
; %bb.393:
	s_lshl_b32 s0, s0, 3
	s_nop 0
	scratch_load_dwordx2 v[2:3], off, s0
	scratch_load_dwordx2 v[4:5], off, off offset:8
	s_waitcnt vmcnt(1)
	scratch_store_dwordx2 off, v[2:3], off offset:8
	s_waitcnt vmcnt(1)
	scratch_store_dwordx2 off, v[4:5], s0
.LBB47_394:
	global_load_dword v2, v0, s[16:17]
	s_nop 0
	scratch_load_dwordx2 v[0:1], off, off
	s_waitcnt vmcnt(1)
	v_readfirstlane_b32 s0, v2
	s_add_i32 s0, s0, -1
	s_cmp_eq_u32 s0, 0
	s_cbranch_scc1 .LBB47_396
; %bb.395:
	s_lshl_b32 s0, s0, 3
	s_nop 0
	scratch_load_dwordx2 v[2:3], off, s0
	s_waitcnt vmcnt(0)
	scratch_store_dwordx2 off, v[2:3], off
	scratch_store_dwordx2 off, v[0:1], s0
	scratch_load_dwordx2 v[0:1], off, off
.LBB47_396:
	s_nop 0
	scratch_load_dwordx4 v[4:7], off, off offset:8
	scratch_load_dwordx4 v[8:11], off, off offset:24
	;; [unrolled: 1-line block ×23, first 2 shown]
	scratch_load_dwordx2 v[2:3], off, off offset:376
	v_accvgpr_read_b32 v97, a1
	v_accvgpr_read_b32 v96, a0
	s_waitcnt vmcnt(24)
	global_store_dwordx2 v[96:97], v[0:1], off
	v_accvgpr_read_b32 v0, a2
	v_accvgpr_read_b32 v1, a3
	s_waitcnt vmcnt(24)
	global_store_dwordx2 v[0:1], v[4:5], off
	v_accvgpr_read_b32 v0, a4
	v_accvgpr_read_b32 v1, a5
	global_store_dwordx2 v[0:1], v[6:7], off
	v_accvgpr_read_b32 v0, a6
	v_accvgpr_read_b32 v1, a7
	s_waitcnt vmcnt(25)
	global_store_dwordx2 v[0:1], v[8:9], off
	v_accvgpr_read_b32 v0, a8
	v_accvgpr_read_b32 v1, a9
	;; [unrolled: 7-line block ×5, first 2 shown]
	global_store_dwordx2 v[0:1], v[22:23], off
	s_waitcnt vmcnt(29)
	global_store_dwordx2 v[176:177], v[24:25], off
	global_store_dwordx2 v[178:179], v[26:27], off
	s_waitcnt vmcnt(30)
	global_store_dwordx2 v[180:181], v[28:29], off
	;; [unrolled: 3-line block ×19, first 2 shown]
	s_endpgm
	.section	.rodata,"a",@progbits
	.p2align	6, 0x0
	.amdhsa_kernel _ZN9rocsolver6v33100L18getri_kernel_smallILi48E19rocblas_complex_numIfEPS3_EEvT1_iilPiilS6_bb
		.amdhsa_group_segment_fixed_size 772
		.amdhsa_private_segment_fixed_size 400
		.amdhsa_kernarg_size 60
		.amdhsa_user_sgpr_count 2
		.amdhsa_user_sgpr_dispatch_ptr 0
		.amdhsa_user_sgpr_queue_ptr 0
		.amdhsa_user_sgpr_kernarg_segment_ptr 1
		.amdhsa_user_sgpr_dispatch_id 0
		.amdhsa_user_sgpr_kernarg_preload_length 0
		.amdhsa_user_sgpr_kernarg_preload_offset 0
		.amdhsa_user_sgpr_private_segment_size 0
		.amdhsa_uses_dynamic_stack 0
		.amdhsa_enable_private_segment 1
		.amdhsa_system_sgpr_workgroup_id_x 1
		.amdhsa_system_sgpr_workgroup_id_y 0
		.amdhsa_system_sgpr_workgroup_id_z 0
		.amdhsa_system_sgpr_workgroup_info 0
		.amdhsa_system_vgpr_workitem_id 0
		.amdhsa_next_free_vgpr 278
		.amdhsa_next_free_sgpr 20
		.amdhsa_accum_offset 256
		.amdhsa_reserve_vcc 1
		.amdhsa_float_round_mode_32 0
		.amdhsa_float_round_mode_16_64 0
		.amdhsa_float_denorm_mode_32 3
		.amdhsa_float_denorm_mode_16_64 3
		.amdhsa_dx10_clamp 1
		.amdhsa_ieee_mode 1
		.amdhsa_fp16_overflow 0
		.amdhsa_tg_split 0
		.amdhsa_exception_fp_ieee_invalid_op 0
		.amdhsa_exception_fp_denorm_src 0
		.amdhsa_exception_fp_ieee_div_zero 0
		.amdhsa_exception_fp_ieee_overflow 0
		.amdhsa_exception_fp_ieee_underflow 0
		.amdhsa_exception_fp_ieee_inexact 0
		.amdhsa_exception_int_div_zero 0
	.end_amdhsa_kernel
	.section	.text._ZN9rocsolver6v33100L18getri_kernel_smallILi48E19rocblas_complex_numIfEPS3_EEvT1_iilPiilS6_bb,"axG",@progbits,_ZN9rocsolver6v33100L18getri_kernel_smallILi48E19rocblas_complex_numIfEPS3_EEvT1_iilPiilS6_bb,comdat
.Lfunc_end47:
	.size	_ZN9rocsolver6v33100L18getri_kernel_smallILi48E19rocblas_complex_numIfEPS3_EEvT1_iilPiilS6_bb, .Lfunc_end47-_ZN9rocsolver6v33100L18getri_kernel_smallILi48E19rocblas_complex_numIfEPS3_EEvT1_iilPiilS6_bb
                                        ; -- End function
	.set _ZN9rocsolver6v33100L18getri_kernel_smallILi48E19rocblas_complex_numIfEPS3_EEvT1_iilPiilS6_bb.num_vgpr, 256
	.set _ZN9rocsolver6v33100L18getri_kernel_smallILi48E19rocblas_complex_numIfEPS3_EEvT1_iilPiilS6_bb.num_agpr, 22
	.set _ZN9rocsolver6v33100L18getri_kernel_smallILi48E19rocblas_complex_numIfEPS3_EEvT1_iilPiilS6_bb.numbered_sgpr, 20
	.set _ZN9rocsolver6v33100L18getri_kernel_smallILi48E19rocblas_complex_numIfEPS3_EEvT1_iilPiilS6_bb.num_named_barrier, 0
	.set _ZN9rocsolver6v33100L18getri_kernel_smallILi48E19rocblas_complex_numIfEPS3_EEvT1_iilPiilS6_bb.private_seg_size, 400
	.set _ZN9rocsolver6v33100L18getri_kernel_smallILi48E19rocblas_complex_numIfEPS3_EEvT1_iilPiilS6_bb.uses_vcc, 1
	.set _ZN9rocsolver6v33100L18getri_kernel_smallILi48E19rocblas_complex_numIfEPS3_EEvT1_iilPiilS6_bb.uses_flat_scratch, 0
	.set _ZN9rocsolver6v33100L18getri_kernel_smallILi48E19rocblas_complex_numIfEPS3_EEvT1_iilPiilS6_bb.has_dyn_sized_stack, 0
	.set _ZN9rocsolver6v33100L18getri_kernel_smallILi48E19rocblas_complex_numIfEPS3_EEvT1_iilPiilS6_bb.has_recursion, 0
	.set _ZN9rocsolver6v33100L18getri_kernel_smallILi48E19rocblas_complex_numIfEPS3_EEvT1_iilPiilS6_bb.has_indirect_call, 0
	.section	.AMDGPU.csdata,"",@progbits
; Kernel info:
; codeLenInByte = 68380
; TotalNumSgprs: 26
; NumVgprs: 256
; NumAgprs: 22
; TotalNumVgprs: 278
; ScratchSize: 400
; MemoryBound: 0
; FloatMode: 240
; IeeeMode: 1
; LDSByteSize: 772 bytes/workgroup (compile time only)
; SGPRBlocks: 3
; VGPRBlocks: 34
; NumSGPRsForWavesPerEU: 26
; NumVGPRsForWavesPerEU: 278
; AccumOffset: 256
; Occupancy: 1
; WaveLimiterHint : 1
; COMPUTE_PGM_RSRC2:SCRATCH_EN: 1
; COMPUTE_PGM_RSRC2:USER_SGPR: 2
; COMPUTE_PGM_RSRC2:TRAP_HANDLER: 0
; COMPUTE_PGM_RSRC2:TGID_X_EN: 1
; COMPUTE_PGM_RSRC2:TGID_Y_EN: 0
; COMPUTE_PGM_RSRC2:TGID_Z_EN: 0
; COMPUTE_PGM_RSRC2:TIDIG_COMP_CNT: 0
; COMPUTE_PGM_RSRC3_GFX90A:ACCUM_OFFSET: 63
; COMPUTE_PGM_RSRC3_GFX90A:TG_SPLIT: 0
	.section	.text._ZN9rocsolver6v33100L18getri_kernel_smallILi49E19rocblas_complex_numIfEPS3_EEvT1_iilPiilS6_bb,"axG",@progbits,_ZN9rocsolver6v33100L18getri_kernel_smallILi49E19rocblas_complex_numIfEPS3_EEvT1_iilPiilS6_bb,comdat
	.globl	_ZN9rocsolver6v33100L18getri_kernel_smallILi49E19rocblas_complex_numIfEPS3_EEvT1_iilPiilS6_bb ; -- Begin function _ZN9rocsolver6v33100L18getri_kernel_smallILi49E19rocblas_complex_numIfEPS3_EEvT1_iilPiilS6_bb
	.p2align	8
	.type	_ZN9rocsolver6v33100L18getri_kernel_smallILi49E19rocblas_complex_numIfEPS3_EEvT1_iilPiilS6_bb,@function
_ZN9rocsolver6v33100L18getri_kernel_smallILi49E19rocblas_complex_numIfEPS3_EEvT1_iilPiilS6_bb: ; @_ZN9rocsolver6v33100L18getri_kernel_smallILi49E19rocblas_complex_numIfEPS3_EEvT1_iilPiilS6_bb
; %bb.0:
	v_cmp_gt_u32_e32 vcc, 49, v0
	s_and_saveexec_b64 s[4:5], vcc
	s_cbranch_execz .LBB48_210
; %bb.1:
	s_load_dword s8, s[0:1], 0x38
	s_load_dwordx4 s[12:15], s[0:1], 0x10
	s_load_dwordx4 s[4:7], s[0:1], 0x28
                                        ; implicit-def: $sgpr16_sgpr17
	s_waitcnt lgkmcnt(0)
	s_bitcmp1_b32 s8, 8
	s_cselect_b64 s[18:19], -1, 0
	s_ashr_i32 s3, s2, 31
	s_bfe_u32 s8, s8, 0x10008
	s_cmp_eq_u32 s8, 0
	s_cbranch_scc1 .LBB48_3
; %bb.2:
	s_load_dword s8, s[0:1], 0x20
	s_mul_i32 s9, s4, s3
	s_mul_hi_u32 s10, s4, s2
	s_mul_i32 s5, s5, s2
	s_add_i32 s10, s10, s9
	s_add_i32 s5, s10, s5
	s_mul_i32 s4, s4, s2
	s_waitcnt lgkmcnt(0)
	s_ashr_i32 s9, s8, 31
	s_lshl_b64 s[4:5], s[4:5], 2
	s_add_u32 s10, s14, s4
	s_addc_u32 s11, s15, s5
	s_lshl_b64 s[4:5], s[8:9], 2
	s_add_u32 s16, s10, s4
	s_addc_u32 s17, s11, s5
.LBB48_3:
	s_load_dwordx4 s[8:11], s[0:1], 0x0
	s_load_dword s4, s[0:1], 0x38
	s_mul_i32 s5, s12, s3
	s_mul_hi_u32 s14, s12, s2
	s_add_i32 s5, s14, s5
	s_waitcnt lgkmcnt(0)
	s_ashr_i32 s1, s10, 31
	s_mov_b32 s0, s10
	s_mul_i32 s10, s13, s2
	s_add_i32 s13, s5, s10
	s_mul_i32 s12, s12, s2
	s_lshl_b64 s[12:13], s[12:13], 3
	s_add_u32 s5, s8, s12
	s_addc_u32 s8, s9, s13
	s_lshl_b64 s[0:1], s[0:1], 3
	s_add_u32 s0, s5, s0
	s_addc_u32 s1, s8, s1
	v_lshlrev_b32_e32 v2, 3, v0
	v_mov_b32_e32 v3, 0
	v_lshl_add_u64 v[6:7], s[0:1], 0, v[2:3]
	s_ashr_i32 s9, s11, 31
	s_mov_b32 s8, s11
	v_accvgpr_write_b32 a0, v6
	s_add_i32 s5, s11, s11
	v_accvgpr_write_b32 a1, v7
	v_lshl_add_u64 v[8:9], s[8:9], 3, v[6:7]
	v_add_u32_e32 v6, s5, v0
	v_ashrrev_i32_e32 v7, 31, v6
	v_lshl_add_u64 v[10:11], v[6:7], 3, s[0:1]
	v_add_u32_e32 v6, s11, v6
	v_add_u32_e32 v14, s11, v6
	v_ashrrev_i32_e32 v7, 31, v6
	v_ashrrev_i32_e32 v15, 31, v14
	v_lshl_add_u64 v[12:13], v[6:7], 3, s[0:1]
	v_lshl_add_u64 v[16:17], v[14:15], 3, s[0:1]
	v_add_u32_e32 v14, s11, v14
	v_accvgpr_write_b32 a2, v8
	v_accvgpr_write_b32 a4, v10
	;; [unrolled: 1-line block ×4, first 2 shown]
	v_ashrrev_i32_e32 v15, 31, v14
	global_load_dwordx2 v[4:5], v2, s[0:1]
	global_load_dwordx2 v[6:7], v[8:9], off
	v_accvgpr_write_b32 a3, v9
	v_accvgpr_write_b32 a5, v11
	global_load_dwordx2 v[8:9], v[10:11], off
	v_accvgpr_write_b32 a7, v13
	global_load_dwordx2 v[10:11], v[12:13], off
	;; [unrolled: 2-line block ×3, first 2 shown]
	v_lshl_add_u64 v[16:17], v[14:15], 3, s[0:1]
	v_add_u32_e32 v14, s11, v14
	v_ashrrev_i32_e32 v15, 31, v14
	v_lshl_add_u64 v[18:19], v[14:15], 3, s[0:1]
	v_add_u32_e32 v14, s11, v14
	v_add_u32_e32 v22, s11, v14
	v_ashrrev_i32_e32 v23, 31, v22
	v_lshl_add_u64 v[24:25], v[22:23], 3, s[0:1]
	v_add_u32_e32 v22, s11, v22
	v_ashrrev_i32_e32 v23, 31, v22
	v_ashrrev_i32_e32 v15, 31, v14
	v_lshl_add_u64 v[26:27], v[22:23], 3, s[0:1]
	v_add_u32_e32 v22, s11, v22
	v_lshl_add_u64 v[20:21], v[14:15], 3, s[0:1]
	v_ashrrev_i32_e32 v23, 31, v22
	v_accvgpr_write_b32 a10, v16
	v_accvgpr_write_b32 a12, v18
	;; [unrolled: 1-line block ×4, first 2 shown]
	v_lshl_add_u64 v[28:29], v[22:23], 3, s[0:1]
	v_add_u32_e32 v22, s11, v22
	v_accvgpr_write_b32 a11, v17
	global_load_dwordx2 v[14:15], v[16:17], off
	v_accvgpr_write_b32 a13, v19
	global_load_dwordx2 v[16:17], v[18:19], off
	;; [unrolled: 2-line block ×4, first 2 shown]
	v_add_u32_e32 v24, s11, v22
	v_ashrrev_i32_e32 v25, 31, v24
	v_lshl_add_u64 v[32:33], v[24:25], 3, s[0:1]
	v_add_u32_e32 v24, s11, v24
	v_ashrrev_i32_e32 v25, 31, v24
	v_lshl_add_u64 v[148:149], v[24:25], 3, s[0:1]
	;; [unrolled: 3-line block ×35, first 2 shown]
	v_add_u32_e32 v24, s11, v24
	v_ashrrev_i32_e32 v23, 31, v22
	v_ashrrev_i32_e32 v25, 31, v24
	v_lshl_add_u64 v[30:31], v[22:23], 3, s[0:1]
	v_lshl_add_u64 v[216:217], v[24:25], 3, s[0:1]
	v_add_u32_e32 v24, s11, v24
	v_accvgpr_write_b32 a18, v26
	v_accvgpr_write_b32 a20, v28
	;; [unrolled: 1-line block ×4, first 2 shown]
	v_ashrrev_i32_e32 v25, 31, v24
	v_accvgpr_write_b32 a19, v27
	global_load_dwordx2 v[22:23], v[26:27], off
	v_accvgpr_write_b32 a21, v29
	global_load_dwordx2 v[26:27], v[28:29], off
	;; [unrolled: 2-line block ×4, first 2 shown]
	s_nop 0
	global_load_dwordx2 v[32:33], v[148:149], off
	global_load_dwordx2 v[34:35], v[150:151], off
	;; [unrolled: 1-line block ×32, first 2 shown]
	v_lshl_add_u64 v[218:219], v[24:25], 3, s[0:1]
	global_load_dwordx2 v[96:97], v[212:213], off
	global_load_dwordx2 v[98:99], v[214:215], off
	global_load_dwordx2 v[100:101], v[216:217], off
	global_load_dwordx2 v[24:25], v[218:219], off
	s_bitcmp0_b32 s4, 0
	s_mov_b64 s[4:5], -1
	s_waitcnt vmcnt(47)
	scratch_store_dwordx4 off, v[4:7], off
	s_waitcnt vmcnt(46)
	scratch_store_dwordx4 off, v[8:11], off offset:16
	s_waitcnt vmcnt(45)
	scratch_store_dwordx4 off, v[12:15], off offset:32
	;; [unrolled: 2-line block ×23, first 2 shown]
	s_waitcnt vmcnt(24)
	scratch_store_dwordx2 off, v[24:25], off offset:384
	s_cbranch_scc1 .LBB48_208
; %bb.4:
	v_cmp_eq_u32_e64 s[0:1], 0, v0
	s_and_saveexec_b64 s[4:5], s[0:1]
; %bb.5:
	v_mov_b32_e32 v1, 0
	ds_write_b32 v1, v1 offset:392
; %bb.6:
	s_or_b64 exec, exec, s[4:5]
	s_waitcnt lgkmcnt(0)
	; wave barrier
	scratch_load_dwordx2 v[4:5], v2, off
	s_waitcnt vmcnt(0)
	v_cmp_eq_f32_e32 vcc, 0, v4
	v_cmp_eq_f32_e64 s[4:5], 0, v5
	s_and_b64 s[4:5], vcc, s[4:5]
	s_and_saveexec_b64 s[8:9], s[4:5]
	s_cbranch_execz .LBB48_10
; %bb.7:
	v_mov_b32_e32 v1, 0
	ds_read_b32 v4, v1 offset:392
	v_add_u32_e32 v3, 1, v0
	s_waitcnt lgkmcnt(0)
	v_readfirstlane_b32 s4, v4
	s_cmp_eq_u32 s4, 0
	s_cselect_b64 s[10:11], -1, 0
	v_cmp_gt_i32_e32 vcc, s4, v3
	s_or_b64 s[10:11], s[10:11], vcc
	s_and_b64 exec, exec, s[10:11]
	s_cbranch_execz .LBB48_10
; %bb.8:
	s_mov_b64 s[10:11], 0
	v_mov_b32_e32 v4, s4
.LBB48_9:                               ; =>This Inner Loop Header: Depth=1
	ds_cmpst_rtn_b32 v4, v1, v4, v3 offset:392
	s_waitcnt lgkmcnt(0)
	v_cmp_ne_u32_e32 vcc, 0, v4
	v_cmp_le_i32_e64 s[4:5], v4, v3
	s_and_b64 s[4:5], vcc, s[4:5]
	s_and_b64 s[4:5], exec, s[4:5]
	s_or_b64 s[10:11], s[4:5], s[10:11]
	s_andn2_b64 exec, exec, s[10:11]
	s_cbranch_execnz .LBB48_9
.LBB48_10:
	s_or_b64 exec, exec, s[8:9]
	v_mov_b32_e32 v3, 0
	; wave barrier
	ds_read_b32 v1, v3 offset:392
	s_and_saveexec_b64 s[4:5], s[0:1]
	s_cbranch_execz .LBB48_12
; %bb.11:
	s_lshl_b64 s[8:9], s[2:3], 2
	s_add_u32 s8, s6, s8
	s_addc_u32 s9, s7, s9
	s_waitcnt lgkmcnt(0)
	global_store_dword v3, v1, s[8:9]
.LBB48_12:
	s_or_b64 exec, exec, s[4:5]
	s_waitcnt lgkmcnt(0)
	v_cmp_ne_u32_e32 vcc, 0, v1
	s_mov_b64 s[4:5], 0
	s_cbranch_vccnz .LBB48_208
; %bb.13:
	v_mov_b32_e32 v3, v2
	scratch_load_dwordx2 v[4:5], v3, off
                                        ; implicit-def: $vgpr7
                                        ; implicit-def: $vgpr8
	s_waitcnt vmcnt(0)
	v_cmp_ngt_f32_e64 s[4:5], |v4|, |v5|
	s_and_saveexec_b64 s[8:9], s[4:5]
	s_xor_b64 s[4:5], exec, s[8:9]
	s_cbranch_execz .LBB48_15
; %bb.14:
	v_div_scale_f32 v1, s[8:9], v5, v5, v4
	v_rcp_f32_e32 v6, v1
	v_div_scale_f32 v7, vcc, v4, v5, v4
	v_fma_f32 v8, -v1, v6, 1.0
	v_fmac_f32_e32 v6, v8, v6
	v_mul_f32_e32 v8, v7, v6
	v_fma_f32 v9, -v1, v8, v7
	v_fmac_f32_e32 v8, v9, v6
	v_fma_f32 v1, -v1, v8, v7
	v_div_fmas_f32 v1, v1, v6, v8
	v_div_fixup_f32 v1, v1, v5, v4
	v_fmac_f32_e32 v5, v4, v1
	v_div_scale_f32 v4, s[8:9], v5, v5, -1.0
	v_rcp_f32_e32 v6, v4
	s_nop 0
	v_fma_f32 v7, -v4, v6, 1.0
	v_fmac_f32_e32 v6, v7, v6
	v_div_scale_f32 v7, vcc, -1.0, v5, -1.0
	v_mul_f32_e32 v8, v7, v6
	v_fma_f32 v9, -v4, v8, v7
	v_fmac_f32_e32 v8, v9, v6
	v_fma_f32 v4, -v4, v8, v7
	v_div_fmas_f32 v4, v4, v6, v8
	v_div_fixup_f32 v7, v4, v5, -1.0
	v_mul_f32_e32 v8, v1, v7
	v_xor_b32_e32 v6, 0x80000000, v8
                                        ; implicit-def: $vgpr4_vgpr5
.LBB48_15:
	s_andn2_saveexec_b64 s[4:5], s[4:5]
	s_cbranch_execz .LBB48_17
; %bb.16:
	v_div_scale_f32 v1, s[8:9], v4, v4, v5
	v_rcp_f32_e32 v6, v1
	v_div_scale_f32 v7, vcc, v5, v4, v5
	v_fma_f32 v8, -v1, v6, 1.0
	v_fmac_f32_e32 v6, v8, v6
	v_mul_f32_e32 v8, v7, v6
	v_fma_f32 v9, -v1, v8, v7
	v_fmac_f32_e32 v8, v9, v6
	v_fma_f32 v1, -v1, v8, v7
	v_div_fmas_f32 v1, v1, v6, v8
	v_div_fixup_f32 v1, v1, v4, v5
	v_fmac_f32_e32 v4, v5, v1
	v_div_scale_f32 v5, s[8:9], v4, v4, 1.0
	v_rcp_f32_e32 v6, v5
	s_nop 0
	v_fma_f32 v7, -v5, v6, 1.0
	v_fmac_f32_e32 v6, v7, v6
	v_div_scale_f32 v7, vcc, 1.0, v4, 1.0
	v_mul_f32_e32 v8, v7, v6
	v_fma_f32 v9, -v5, v8, v7
	v_fmac_f32_e32 v8, v9, v6
	v_fma_f32 v5, -v5, v8, v7
	v_div_fmas_f32 v5, v5, v6, v8
	v_div_fixup_f32 v6, v5, v4, 1.0
	v_xor_b32_e32 v8, 0x80000000, v6
	v_mul_f32_e64 v7, v1, -v6
.LBB48_17:
	s_or_b64 exec, exec, s[4:5]
	scratch_store_dwordx2 v3, v[6:7], off
	scratch_load_dwordx2 v[4:5], off, off offset:8
	v_xor_b32_e32 v9, 0x80000000, v7
	v_add_u32_e32 v1, 0x190, v2
	s_waitcnt vmcnt(0)
	ds_write2_b64 v2, v[8:9], v[4:5] offset1:50
	s_waitcnt lgkmcnt(0)
	; wave barrier
	s_and_saveexec_b64 s[4:5], s[0:1]
	s_cbranch_execz .LBB48_19
; %bb.18:
	scratch_load_dwordx2 v[4:5], v3, off
	ds_read_b64 v[6:7], v1
	v_mov_b32_e32 v8, 0
	ds_read_b64 v[8:9], v8 offset:8
	s_waitcnt vmcnt(0) lgkmcnt(1)
	v_pk_mul_f32 v[10:11], v[6:7], v[4:5] op_sel:[1,1] op_sel_hi:[0,1]
	v_pk_fma_f32 v[12:13], v[6:7], v[4:5], v[10:11] neg_lo:[0,0,1] neg_hi:[0,0,1]
	v_pk_fma_f32 v[4:5], v[6:7], v[4:5], v[10:11] op_sel_hi:[1,0,1]
	s_nop 0
	v_mov_b32_e32 v13, v5
	v_pk_add_f32 v[4:5], v[12:13], 0 op_sel_hi:[1,0]
	s_waitcnt lgkmcnt(0)
	v_pk_mul_f32 v[6:7], v[4:5], v[8:9] op_sel:[1,1] op_sel_hi:[0,1]
	v_pk_fma_f32 v[10:11], v[4:5], v[8:9], v[6:7] neg_lo:[0,0,1] neg_hi:[0,0,1]
	v_pk_fma_f32 v[4:5], v[4:5], v[8:9], v[6:7] op_sel_hi:[1,0,1]
	s_nop 0
	v_mov_b32_e32 v11, v5
	scratch_store_dwordx2 off, v[10:11], off offset:8
.LBB48_19:
	s_or_b64 exec, exec, s[4:5]
	; wave barrier
	scratch_load_dwordx2 v[4:5], off, off offset:16
	v_cmp_gt_u32_e32 vcc, 2, v0
	s_waitcnt vmcnt(0)
	ds_write_b64 v1, v[4:5]
	s_waitcnt lgkmcnt(0)
	; wave barrier
	s_and_saveexec_b64 s[4:5], vcc
	s_cbranch_execz .LBB48_23
; %bb.20:
	scratch_load_dwordx2 v[4:5], v3, off
	ds_read_b64 v[6:7], v1
	s_waitcnt vmcnt(0) lgkmcnt(0)
	v_pk_mul_f32 v[8:9], v[6:7], v[4:5] op_sel:[1,1] op_sel_hi:[0,1]
	v_pk_fma_f32 v[10:11], v[6:7], v[4:5], v[8:9] neg_lo:[0,0,1] neg_hi:[0,0,1]
	v_pk_fma_f32 v[4:5], v[6:7], v[4:5], v[8:9] op_sel_hi:[1,0,1]
	s_nop 0
	v_mov_b32_e32 v11, v5
	v_pk_add_f32 v[4:5], v[10:11], 0 op_sel_hi:[1,0]
	s_and_saveexec_b64 s[8:9], s[0:1]
	s_cbranch_execz .LBB48_22
; %bb.21:
	scratch_load_dwordx2 v[6:7], off, off offset:8
	v_mov_b32_e32 v3, 0
	ds_read_b64 v[8:9], v3 offset:408
	s_waitcnt vmcnt(0) lgkmcnt(0)
	v_pk_mul_f32 v[10:11], v[8:9], v[6:7] op_sel:[1,1] op_sel_hi:[0,1]
	v_pk_fma_f32 v[12:13], v[8:9], v[6:7], v[10:11] neg_lo:[0,0,1] neg_hi:[0,0,1]
	v_pk_fma_f32 v[6:7], v[8:9], v[6:7], v[10:11] op_sel_hi:[1,0,1]
	s_nop 0
	v_mov_b32_e32 v13, v7
	v_pk_add_f32 v[4:5], v[4:5], v[12:13]
.LBB48_22:
	s_or_b64 exec, exec, s[8:9]
	v_mov_b32_e32 v3, 0
	ds_read_b64 v[6:7], v3 offset:16
	s_waitcnt lgkmcnt(0)
	v_pk_mul_f32 v[8:9], v[4:5], v[6:7] op_sel:[1,1] op_sel_hi:[0,1]
	v_pk_fma_f32 v[10:11], v[4:5], v[6:7], v[8:9] neg_lo:[0,0,1] neg_hi:[0,0,1]
	v_pk_fma_f32 v[4:5], v[4:5], v[6:7], v[8:9] op_sel_hi:[1,0,1]
	s_nop 0
	v_mov_b32_e32 v11, v5
	scratch_store_dwordx2 off, v[10:11], off offset:16
.LBB48_23:
	s_or_b64 exec, exec, s[4:5]
	; wave barrier
	scratch_load_dwordx2 v[4:5], off, off offset:24
	v_cmp_gt_u32_e32 vcc, 3, v0
	v_add_u32_e32 v6, -1, v0
	s_waitcnt vmcnt(0)
	ds_write_b64 v1, v[4:5]
	s_waitcnt lgkmcnt(0)
	; wave barrier
	s_and_saveexec_b64 s[0:1], vcc
	s_cbranch_execz .LBB48_27
; %bb.24:
	v_mov_b32_e32 v4, 0
	v_add_u32_e32 v3, -1, v0
	v_add_u32_e32 v7, 0x190, v2
	v_mov_b32_e32 v8, v2
	s_mov_b64 s[4:5], 0
	v_mov_b32_e32 v5, v4
.LBB48_25:                              ; =>This Inner Loop Header: Depth=1
	scratch_load_dwordx2 v[10:11], v8, off
	ds_read_b64 v[12:13], v7
	v_add_u32_e32 v3, 1, v3
	v_cmp_lt_u32_e32 vcc, 1, v3
	v_add_u32_e32 v7, 8, v7
	v_add_u32_e32 v8, 8, v8
	s_or_b64 s[4:5], vcc, s[4:5]
	s_waitcnt vmcnt(0) lgkmcnt(0)
	v_pk_mul_f32 v[14:15], v[12:13], v[10:11] op_sel:[1,1] op_sel_hi:[0,1]
	v_pk_fma_f32 v[16:17], v[12:13], v[10:11], v[14:15] neg_lo:[0,0,1] neg_hi:[0,0,1]
	v_pk_fma_f32 v[10:11], v[12:13], v[10:11], v[14:15] op_sel_hi:[1,0,1]
	s_nop 0
	v_mov_b32_e32 v17, v11
	v_pk_add_f32 v[4:5], v[4:5], v[16:17]
	s_andn2_b64 exec, exec, s[4:5]
	s_cbranch_execnz .LBB48_25
; %bb.26:
	s_or_b64 exec, exec, s[4:5]
	v_mov_b32_e32 v3, 0
	ds_read_b64 v[8:9], v3 offset:24
	s_waitcnt lgkmcnt(0)
	v_pk_mul_f32 v[10:11], v[4:5], v[8:9] op_sel:[1,1] op_sel_hi:[0,1]
	v_pk_fma_f32 v[12:13], v[4:5], v[8:9], v[10:11] neg_lo:[0,0,1] neg_hi:[0,0,1]
	v_pk_fma_f32 v[4:5], v[4:5], v[8:9], v[10:11] op_sel_hi:[1,0,1]
	s_nop 0
	v_mov_b32_e32 v13, v5
	scratch_store_dwordx2 off, v[12:13], off offset:24
.LBB48_27:
	s_or_b64 exec, exec, s[0:1]
	; wave barrier
	scratch_load_dwordx2 v[4:5], off, off offset:32
	v_cmp_gt_u32_e32 vcc, 4, v0
	s_waitcnt vmcnt(0)
	ds_write_b64 v1, v[4:5]
	s_waitcnt lgkmcnt(0)
	; wave barrier
	s_and_saveexec_b64 s[0:1], vcc
	s_cbranch_execz .LBB48_31
; %bb.28:
	v_mov_b32_e32 v4, 0
	v_add_u32_e32 v3, -1, v0
	v_add_u32_e32 v7, 0x190, v2
	v_mov_b32_e32 v8, v2
	s_mov_b64 s[4:5], 0
	v_mov_b32_e32 v5, v4
.LBB48_29:                              ; =>This Inner Loop Header: Depth=1
	scratch_load_dwordx2 v[10:11], v8, off
	ds_read_b64 v[12:13], v7
	v_add_u32_e32 v3, 1, v3
	v_cmp_lt_u32_e32 vcc, 2, v3
	v_add_u32_e32 v7, 8, v7
	v_add_u32_e32 v8, 8, v8
	s_or_b64 s[4:5], vcc, s[4:5]
	s_waitcnt vmcnt(0) lgkmcnt(0)
	v_pk_mul_f32 v[14:15], v[12:13], v[10:11] op_sel:[1,1] op_sel_hi:[0,1]
	v_pk_fma_f32 v[16:17], v[12:13], v[10:11], v[14:15] neg_lo:[0,0,1] neg_hi:[0,0,1]
	v_pk_fma_f32 v[10:11], v[12:13], v[10:11], v[14:15] op_sel_hi:[1,0,1]
	s_nop 0
	v_mov_b32_e32 v17, v11
	v_pk_add_f32 v[4:5], v[4:5], v[16:17]
	s_andn2_b64 exec, exec, s[4:5]
	s_cbranch_execnz .LBB48_29
; %bb.30:
	s_or_b64 exec, exec, s[4:5]
	v_mov_b32_e32 v3, 0
	ds_read_b64 v[8:9], v3 offset:32
	s_waitcnt lgkmcnt(0)
	v_pk_mul_f32 v[10:11], v[4:5], v[8:9] op_sel:[1,1] op_sel_hi:[0,1]
	v_pk_fma_f32 v[12:13], v[4:5], v[8:9], v[10:11] neg_lo:[0,0,1] neg_hi:[0,0,1]
	v_pk_fma_f32 v[4:5], v[4:5], v[8:9], v[10:11] op_sel_hi:[1,0,1]
	s_nop 0
	v_mov_b32_e32 v13, v5
	scratch_store_dwordx2 off, v[12:13], off offset:32
.LBB48_31:
	s_or_b64 exec, exec, s[0:1]
	; wave barrier
	scratch_load_dwordx2 v[4:5], off, off offset:40
	v_cmp_gt_u32_e32 vcc, 5, v0
	;; [unrolled: 46-line block ×19, first 2 shown]
	s_waitcnt vmcnt(0)
	ds_write_b64 v1, v[4:5]
	s_waitcnt lgkmcnt(0)
	; wave barrier
	s_and_saveexec_b64 s[0:1], vcc
	s_cbranch_execz .LBB48_103
; %bb.100:
	v_mov_b32_e32 v4, 0
	v_add_u32_e32 v3, -1, v0
	v_add_u32_e32 v7, 0x190, v2
	v_mov_b32_e32 v8, v2
	s_mov_b64 s[4:5], 0
	v_mov_b32_e32 v5, v4
.LBB48_101:                             ; =>This Inner Loop Header: Depth=1
	scratch_load_dwordx2 v[10:11], v8, off
	ds_read_b64 v[12:13], v7
	v_add_u32_e32 v3, 1, v3
	v_cmp_lt_u32_e32 vcc, 20, v3
	v_add_u32_e32 v7, 8, v7
	v_add_u32_e32 v8, 8, v8
	s_or_b64 s[4:5], vcc, s[4:5]
	s_waitcnt vmcnt(0) lgkmcnt(0)
	v_pk_mul_f32 v[14:15], v[12:13], v[10:11] op_sel:[1,1] op_sel_hi:[0,1]
	v_pk_fma_f32 v[16:17], v[12:13], v[10:11], v[14:15] neg_lo:[0,0,1] neg_hi:[0,0,1]
	v_pk_fma_f32 v[10:11], v[12:13], v[10:11], v[14:15] op_sel_hi:[1,0,1]
	s_nop 0
	v_mov_b32_e32 v17, v11
	v_pk_add_f32 v[4:5], v[4:5], v[16:17]
	s_andn2_b64 exec, exec, s[4:5]
	s_cbranch_execnz .LBB48_101
; %bb.102:
	s_or_b64 exec, exec, s[4:5]
	v_mov_b32_e32 v3, 0
	ds_read_b64 v[8:9], v3 offset:176
	s_waitcnt lgkmcnt(0)
	v_pk_mul_f32 v[10:11], v[4:5], v[8:9] op_sel:[1,1] op_sel_hi:[0,1]
	v_pk_fma_f32 v[12:13], v[4:5], v[8:9], v[10:11] neg_lo:[0,0,1] neg_hi:[0,0,1]
	v_pk_fma_f32 v[4:5], v[4:5], v[8:9], v[10:11] op_sel_hi:[1,0,1]
	s_nop 0
	v_mov_b32_e32 v13, v5
	scratch_store_dwordx2 off, v[12:13], off offset:176
.LBB48_103:
	s_or_b64 exec, exec, s[0:1]
	; wave barrier
	scratch_load_dwordx2 v[4:5], off, off offset:184
	v_cmp_gt_u32_e32 vcc, 23, v0
	s_waitcnt vmcnt(0)
	ds_write_b64 v1, v[4:5]
	s_waitcnt lgkmcnt(0)
	; wave barrier
	s_and_saveexec_b64 s[0:1], vcc
	s_cbranch_execz .LBB48_107
; %bb.104:
	v_mov_b32_e32 v4, 0
	v_add_u32_e32 v3, -1, v0
	v_add_u32_e32 v7, 0x190, v2
	v_mov_b32_e32 v8, v2
	s_mov_b64 s[4:5], 0
	v_mov_b32_e32 v5, v4
.LBB48_105:                             ; =>This Inner Loop Header: Depth=1
	scratch_load_dwordx2 v[10:11], v8, off
	ds_read_b64 v[12:13], v7
	v_add_u32_e32 v3, 1, v3
	v_cmp_lt_u32_e32 vcc, 21, v3
	v_add_u32_e32 v7, 8, v7
	v_add_u32_e32 v8, 8, v8
	s_or_b64 s[4:5], vcc, s[4:5]
	s_waitcnt vmcnt(0) lgkmcnt(0)
	v_pk_mul_f32 v[14:15], v[12:13], v[10:11] op_sel:[1,1] op_sel_hi:[0,1]
	v_pk_fma_f32 v[16:17], v[12:13], v[10:11], v[14:15] neg_lo:[0,0,1] neg_hi:[0,0,1]
	v_pk_fma_f32 v[10:11], v[12:13], v[10:11], v[14:15] op_sel_hi:[1,0,1]
	s_nop 0
	v_mov_b32_e32 v17, v11
	v_pk_add_f32 v[4:5], v[4:5], v[16:17]
	s_andn2_b64 exec, exec, s[4:5]
	s_cbranch_execnz .LBB48_105
; %bb.106:
	s_or_b64 exec, exec, s[4:5]
	v_mov_b32_e32 v3, 0
	ds_read_b64 v[8:9], v3 offset:184
	s_waitcnt lgkmcnt(0)
	v_pk_mul_f32 v[10:11], v[4:5], v[8:9] op_sel:[1,1] op_sel_hi:[0,1]
	v_pk_fma_f32 v[12:13], v[4:5], v[8:9], v[10:11] neg_lo:[0,0,1] neg_hi:[0,0,1]
	v_pk_fma_f32 v[4:5], v[4:5], v[8:9], v[10:11] op_sel_hi:[1,0,1]
	s_nop 0
	v_mov_b32_e32 v13, v5
	scratch_store_dwordx2 off, v[12:13], off offset:184
.LBB48_107:
	s_or_b64 exec, exec, s[0:1]
	; wave barrier
	scratch_load_dwordx2 v[4:5], off, off offset:192
	v_cmp_gt_u32_e32 vcc, 24, v0
	;; [unrolled: 46-line block ×25, first 2 shown]
	s_waitcnt vmcnt(0)
	ds_write_b64 v1, v[4:5]
	s_waitcnt lgkmcnt(0)
	; wave barrier
	s_and_saveexec_b64 s[0:1], vcc
	s_cbranch_execz .LBB48_203
; %bb.200:
	v_mov_b32_e32 v4, 0
	v_add_u32_e32 v3, -1, v0
	v_add_u32_e32 v7, 0x190, v2
	v_mov_b32_e32 v8, v2
	s_mov_b64 s[4:5], 0
	v_mov_b32_e32 v5, v4
.LBB48_201:                             ; =>This Inner Loop Header: Depth=1
	scratch_load_dwordx2 v[10:11], v8, off
	ds_read_b64 v[12:13], v7
	v_add_u32_e32 v3, 1, v3
	v_cmp_lt_u32_e32 vcc, 45, v3
	v_add_u32_e32 v7, 8, v7
	v_add_u32_e32 v8, 8, v8
	s_or_b64 s[4:5], vcc, s[4:5]
	s_waitcnt vmcnt(0) lgkmcnt(0)
	v_pk_mul_f32 v[14:15], v[12:13], v[10:11] op_sel:[1,1] op_sel_hi:[0,1]
	v_pk_fma_f32 v[16:17], v[12:13], v[10:11], v[14:15] neg_lo:[0,0,1] neg_hi:[0,0,1]
	v_pk_fma_f32 v[10:11], v[12:13], v[10:11], v[14:15] op_sel_hi:[1,0,1]
	s_nop 0
	v_mov_b32_e32 v17, v11
	v_pk_add_f32 v[4:5], v[4:5], v[16:17]
	s_andn2_b64 exec, exec, s[4:5]
	s_cbranch_execnz .LBB48_201
; %bb.202:
	s_or_b64 exec, exec, s[4:5]
	v_mov_b32_e32 v3, 0
	ds_read_b64 v[8:9], v3 offset:376
	s_waitcnt lgkmcnt(0)
	v_pk_mul_f32 v[10:11], v[4:5], v[8:9] op_sel:[1,1] op_sel_hi:[0,1]
	v_pk_fma_f32 v[12:13], v[4:5], v[8:9], v[10:11] neg_lo:[0,0,1] neg_hi:[0,0,1]
	v_pk_fma_f32 v[4:5], v[4:5], v[8:9], v[10:11] op_sel_hi:[1,0,1]
	s_nop 0
	v_mov_b32_e32 v13, v5
	scratch_store_dwordx2 off, v[12:13], off offset:376
.LBB48_203:
	s_or_b64 exec, exec, s[0:1]
	; wave barrier
	scratch_load_dwordx2 v[4:5], off, off offset:384
	v_cmp_ne_u32_e32 vcc, 48, v0
	s_waitcnt vmcnt(0)
	ds_write_b64 v1, v[4:5]
	s_waitcnt lgkmcnt(0)
	; wave barrier
	s_and_saveexec_b64 s[0:1], vcc
	s_cbranch_execz .LBB48_207
; %bb.204:
	v_add_u32_e32 v1, 0x190, v2
	v_mov_b32_e32 v4, v2
	v_mov_b32_e32 v2, 0
	s_mov_b64 s[4:5], 0
	v_mov_b32_e32 v3, v2
.LBB48_205:                             ; =>This Inner Loop Header: Depth=1
	scratch_load_dwordx2 v[8:9], v4, off
	ds_read_b64 v[10:11], v1
	v_add_u32_e32 v6, 1, v6
	v_cmp_lt_u32_e32 vcc, 46, v6
	v_add_u32_e32 v1, 8, v1
	v_add_u32_e32 v4, 8, v4
	s_or_b64 s[4:5], vcc, s[4:5]
	s_waitcnt vmcnt(0) lgkmcnt(0)
	v_pk_mul_f32 v[12:13], v[10:11], v[8:9] op_sel:[1,1] op_sel_hi:[0,1]
	v_pk_fma_f32 v[14:15], v[10:11], v[8:9], v[12:13] neg_lo:[0,0,1] neg_hi:[0,0,1]
	v_pk_fma_f32 v[8:9], v[10:11], v[8:9], v[12:13] op_sel_hi:[1,0,1]
	s_nop 0
	v_mov_b32_e32 v15, v9
	v_pk_add_f32 v[2:3], v[2:3], v[14:15]
	s_andn2_b64 exec, exec, s[4:5]
	s_cbranch_execnz .LBB48_205
; %bb.206:
	s_or_b64 exec, exec, s[4:5]
	v_mov_b32_e32 v1, 0
	ds_read_b64 v[4:5], v1 offset:384
	s_waitcnt lgkmcnt(0)
	v_pk_mul_f32 v[6:7], v[2:3], v[4:5] op_sel:[1,1] op_sel_hi:[0,1]
	v_pk_fma_f32 v[8:9], v[2:3], v[4:5], v[6:7] neg_lo:[0,0,1] neg_hi:[0,0,1]
	v_pk_fma_f32 v[2:3], v[2:3], v[4:5], v[6:7] op_sel_hi:[1,0,1]
	s_nop 0
	v_mov_b32_e32 v9, v3
	scratch_store_dwordx2 off, v[8:9], off offset:384
.LBB48_207:
	s_or_b64 exec, exec, s[0:1]
	s_mov_b64 s[4:5], -1
	; wave barrier
.LBB48_208:
	s_and_b64 vcc, exec, s[4:5]
	s_cbranch_vccz .LBB48_210
; %bb.209:
	s_lshl_b64 s[0:1], s[2:3], 2
	s_add_u32 s0, s6, s0
	s_addc_u32 s1, s7, s1
	v_mov_b32_e32 v1, 0
	global_load_dword v1, v1, s[0:1]
	s_waitcnt vmcnt(0)
	v_cmp_ne_u32_e32 vcc, 0, v1
	s_cbranch_vccz .LBB48_211
.LBB48_210:
	s_endpgm
.LBB48_211:
	v_mov_b32_e32 v1, 0x190
	v_lshl_add_u32 v1, v0, 3, v1
	v_cmp_eq_u32_e32 vcc, 48, v0
	s_and_saveexec_b64 s[0:1], vcc
	s_cbranch_execz .LBB48_213
; %bb.212:
	scratch_load_dwordx2 v[2:3], off, off offset:376
	v_mov_b32_e32 v4, 0
	v_mov_b32_e32 v5, v4
	scratch_store_dwordx2 off, v[4:5], off offset:376
	s_waitcnt vmcnt(1)
	ds_write_b64 v1, v[2:3]
.LBB48_213:
	s_or_b64 exec, exec, s[0:1]
	s_waitcnt lgkmcnt(0)
	; wave barrier
	scratch_load_dwordx2 v[4:5], off, off offset:384
	scratch_load_dwordx2 v[6:7], off, off offset:376
	v_mov_b32_e32 v2, 0
	ds_read_b64 v[8:9], v2 offset:784
	v_cmp_lt_u32_e32 vcc, 46, v0
	s_waitcnt vmcnt(1) lgkmcnt(0)
	v_pk_mul_f32 v[10:11], v[8:9], v[4:5] op_sel:[1,1] op_sel_hi:[0,1]
	v_pk_fma_f32 v[12:13], v[8:9], v[4:5], v[10:11] neg_lo:[0,0,1] neg_hi:[0,0,1]
	v_pk_fma_f32 v[4:5], v[8:9], v[4:5], v[10:11] op_sel_hi:[1,0,1]
	s_nop 0
	v_mov_b32_e32 v13, v5
	v_pk_add_f32 v[4:5], v[12:13], 0 op_sel_hi:[1,0]
	s_waitcnt vmcnt(0)
	v_pk_add_f32 v[4:5], v[6:7], v[4:5] neg_lo:[0,1] neg_hi:[0,1]
	scratch_store_dwordx2 off, v[4:5], off offset:376
	s_and_saveexec_b64 s[0:1], vcc
	s_cbranch_execz .LBB48_215
; %bb.214:
	scratch_load_dwordx2 v[4:5], off, off offset:368
	v_mov_b32_e32 v3, v2
	scratch_store_dwordx2 off, v[2:3], off offset:368
	s_waitcnt vmcnt(1)
	ds_write_b64 v1, v[4:5]
.LBB48_215:
	s_or_b64 exec, exec, s[0:1]
	s_waitcnt lgkmcnt(0)
	; wave barrier
	scratch_load_dwordx4 v[4:7], off, off offset:376
	scratch_load_dwordx2 v[12:13], off, off offset:368
	ds_read2_b64 v[8:11], v2 offset0:97 offset1:98
	v_cmp_lt_u32_e32 vcc, 45, v0
	s_waitcnt vmcnt(1) lgkmcnt(0)
	v_pk_mul_f32 v[2:3], v[8:9], v[4:5] op_sel:[1,1] op_sel_hi:[0,1]
	v_mov_b32_e32 v14, v7
	v_pk_fma_f32 v[16:17], v[8:9], v[4:5], v[2:3] neg_lo:[0,0,1] neg_hi:[0,0,1]
	v_pk_fma_f32 v[2:3], v[8:9], v[4:5], v[2:3] op_sel_hi:[1,0,1]
	v_pk_mul_f32 v[4:5], v[10:11], v[14:15] op_sel:[1,0] op_sel_hi:[0,0]
	v_mov_b32_e32 v17, v3
	v_pk_fma_f32 v[2:3], v[10:11], v[6:7], v[4:5] neg_lo:[0,0,1] neg_hi:[0,0,1]
	v_pk_fma_f32 v[4:5], v[10:11], v[6:7], v[4:5] op_sel_hi:[1,0,1]
	v_pk_add_f32 v[6:7], v[16:17], 0 op_sel_hi:[1,0]
	v_mov_b32_e32 v3, v5
	v_pk_add_f32 v[2:3], v[6:7], v[2:3]
	s_waitcnt vmcnt(0)
	v_pk_add_f32 v[2:3], v[12:13], v[2:3] neg_lo:[0,1] neg_hi:[0,1]
	scratch_store_dwordx2 off, v[2:3], off offset:368
	s_and_saveexec_b64 s[0:1], vcc
	s_cbranch_execz .LBB48_217
; %bb.216:
	scratch_load_dwordx2 v[2:3], off, off offset:360
	v_mov_b32_e32 v4, 0
	v_mov_b32_e32 v5, v4
	scratch_store_dwordx2 off, v[4:5], off offset:360
	s_waitcnt vmcnt(1)
	ds_write_b64 v1, v[2:3]
.LBB48_217:
	s_or_b64 exec, exec, s[0:1]
	s_waitcnt lgkmcnt(0)
	; wave barrier
	scratch_load_dwordx4 v[4:7], off, off offset:368
	scratch_load_dwordx2 v[12:13], off, off offset:384
	scratch_load_dwordx2 v[14:15], off, off offset:360
	v_mov_b32_e32 v2, 0
	ds_read_b128 v[8:11], v2 offset:768
	ds_read_b64 v[16:17], v2 offset:784
	v_cmp_lt_u32_e32 vcc, 44, v0
	s_waitcnt vmcnt(2) lgkmcnt(1)
	v_pk_mul_f32 v[18:19], v[8:9], v[4:5] op_sel:[1,1] op_sel_hi:[0,1]
	v_mov_b32_e32 v20, v7
	v_pk_fma_f32 v[24:25], v[8:9], v[4:5], v[18:19] neg_lo:[0,0,1] neg_hi:[0,0,1]
	v_pk_fma_f32 v[4:5], v[8:9], v[4:5], v[18:19] op_sel_hi:[1,0,1]
	v_pk_mul_f32 v[8:9], v[10:11], v[20:21] op_sel:[1,0] op_sel_hi:[0,0]
	s_waitcnt vmcnt(1) lgkmcnt(0)
	v_pk_mul_f32 v[22:23], v[16:17], v[12:13] op_sel:[1,1] op_sel_hi:[0,1]
	v_mov_b32_e32 v25, v5
	v_pk_fma_f32 v[4:5], v[10:11], v[6:7], v[8:9] neg_lo:[0,0,1] neg_hi:[0,0,1]
	v_pk_fma_f32 v[6:7], v[10:11], v[6:7], v[8:9] op_sel_hi:[1,0,1]
	v_pk_fma_f32 v[18:19], v[16:17], v[12:13], v[22:23] neg_lo:[0,0,1] neg_hi:[0,0,1]
	v_pk_fma_f32 v[12:13], v[16:17], v[12:13], v[22:23] op_sel_hi:[1,0,1]
	v_pk_add_f32 v[8:9], v[24:25], 0 op_sel_hi:[1,0]
	v_mov_b32_e32 v5, v7
	v_mov_b32_e32 v19, v13
	v_pk_add_f32 v[4:5], v[8:9], v[4:5]
	s_nop 0
	v_pk_add_f32 v[4:5], v[4:5], v[18:19]
	s_waitcnt vmcnt(0)
	v_pk_add_f32 v[4:5], v[14:15], v[4:5] neg_lo:[0,1] neg_hi:[0,1]
	scratch_store_dwordx2 off, v[4:5], off offset:360
	s_and_saveexec_b64 s[0:1], vcc
	s_cbranch_execz .LBB48_219
; %bb.218:
	scratch_load_dwordx2 v[4:5], off, off offset:352
	v_mov_b32_e32 v3, v2
	scratch_store_dwordx2 off, v[2:3], off offset:352
	s_waitcnt vmcnt(1)
	ds_write_b64 v1, v[4:5]
.LBB48_219:
	s_or_b64 exec, exec, s[0:1]
	s_waitcnt lgkmcnt(0)
	; wave barrier
	scratch_load_dwordx4 v[4:7], off, off offset:360
	scratch_load_dwordx4 v[8:11], off, off offset:376
	scratch_load_dwordx2 v[20:21], off, off offset:352
	ds_read2_b64 v[12:15], v2 offset0:95 offset1:96
	ds_read2_b64 v[16:19], v2 offset0:97 offset1:98
	v_cmp_lt_u32_e32 vcc, 43, v0
	s_waitcnt vmcnt(2) lgkmcnt(1)
	v_pk_mul_f32 v[2:3], v[12:13], v[4:5] op_sel:[1,1] op_sel_hi:[0,1]
	v_mov_b32_e32 v22, v7
	s_waitcnt vmcnt(1) lgkmcnt(0)
	v_pk_mul_f32 v[24:25], v[16:17], v[8:9] op_sel:[1,1] op_sel_hi:[0,1]
	v_mov_b32_e32 v26, v11
	v_pk_fma_f32 v[28:29], v[12:13], v[4:5], v[2:3] neg_lo:[0,0,1] neg_hi:[0,0,1]
	v_pk_fma_f32 v[2:3], v[12:13], v[4:5], v[2:3] op_sel_hi:[1,0,1]
	v_pk_mul_f32 v[4:5], v[14:15], v[22:23] op_sel:[1,0] op_sel_hi:[0,0]
	v_pk_fma_f32 v[12:13], v[16:17], v[8:9], v[24:25] neg_lo:[0,0,1] neg_hi:[0,0,1]
	v_pk_fma_f32 v[8:9], v[16:17], v[8:9], v[24:25] op_sel_hi:[1,0,1]
	v_pk_mul_f32 v[16:17], v[18:19], v[26:27] op_sel:[1,0] op_sel_hi:[0,0]
	v_mov_b32_e32 v29, v3
	v_pk_fma_f32 v[2:3], v[14:15], v[6:7], v[4:5] neg_lo:[0,0,1] neg_hi:[0,0,1]
	v_pk_fma_f32 v[4:5], v[14:15], v[6:7], v[4:5] op_sel_hi:[1,0,1]
	v_mov_b32_e32 v13, v9
	v_pk_fma_f32 v[6:7], v[18:19], v[10:11], v[16:17] neg_lo:[0,0,1] neg_hi:[0,0,1]
	v_pk_fma_f32 v[8:9], v[18:19], v[10:11], v[16:17] op_sel_hi:[1,0,1]
	v_pk_add_f32 v[10:11], v[28:29], 0 op_sel_hi:[1,0]
	v_mov_b32_e32 v3, v5
	v_pk_add_f32 v[2:3], v[10:11], v[2:3]
	v_mov_b32_e32 v7, v9
	v_pk_add_f32 v[2:3], v[2:3], v[12:13]
	s_nop 0
	v_pk_add_f32 v[2:3], v[2:3], v[6:7]
	s_waitcnt vmcnt(0)
	v_pk_add_f32 v[2:3], v[20:21], v[2:3] neg_lo:[0,1] neg_hi:[0,1]
	scratch_store_dwordx2 off, v[2:3], off offset:352
	s_and_saveexec_b64 s[0:1], vcc
	s_cbranch_execz .LBB48_221
; %bb.220:
	scratch_load_dwordx2 v[2:3], off, off offset:344
	v_mov_b32_e32 v4, 0
	v_mov_b32_e32 v5, v4
	scratch_store_dwordx2 off, v[4:5], off offset:344
	s_waitcnt vmcnt(1)
	ds_write_b64 v1, v[2:3]
.LBB48_221:
	s_or_b64 exec, exec, s[0:1]
	s_waitcnt lgkmcnt(0)
	; wave barrier
	scratch_load_dwordx4 v[4:7], off, off offset:352
	scratch_load_dwordx4 v[8:11], off, off offset:368
	scratch_load_dwordx2 v[20:21], off, off offset:384
	v_mov_b32_e32 v2, 0
	ds_read_b128 v[12:15], v2 offset:752
	ds_read_b128 v[16:19], v2 offset:768
	ds_read_b64 v[22:23], v2 offset:784
	v_cmp_lt_u32_e32 vcc, 42, v0
	s_waitcnt vmcnt(2) lgkmcnt(2)
	v_pk_mul_f32 v[24:25], v[12:13], v[4:5] op_sel:[1,1] op_sel_hi:[0,1]
	v_pk_fma_f32 v[26:27], v[12:13], v[4:5], v[24:25] neg_lo:[0,0,1] neg_hi:[0,0,1]
	v_pk_fma_f32 v[4:5], v[12:13], v[4:5], v[24:25] op_sel_hi:[1,0,1]
	v_mov_b32_e32 v12, v7
	v_pk_mul_f32 v[12:13], v[14:15], v[12:13] op_sel:[1,0] op_sel_hi:[0,0]
	v_pk_fma_f32 v[24:25], v[14:15], v[6:7], v[12:13] neg_lo:[0,0,1] neg_hi:[0,0,1]
	v_pk_fma_f32 v[6:7], v[14:15], v[6:7], v[12:13] op_sel_hi:[1,0,1]
	v_mov_b32_e32 v27, v5
	v_mov_b32_e32 v25, v7
	s_waitcnt vmcnt(1) lgkmcnt(1)
	v_pk_mul_f32 v[6:7], v[16:17], v[8:9] op_sel:[1,1] op_sel_hi:[0,1]
	v_pk_fma_f32 v[12:13], v[16:17], v[8:9], v[6:7] neg_lo:[0,0,1] neg_hi:[0,0,1]
	v_pk_fma_f32 v[6:7], v[16:17], v[8:9], v[6:7] op_sel_hi:[1,0,1]
	v_pk_add_f32 v[4:5], v[26:27], 0 op_sel_hi:[1,0]
	v_mov_b32_e32 v6, v11
	v_mov_b32_e32 v13, v7
	v_pk_mul_f32 v[6:7], v[18:19], v[6:7] op_sel:[1,0] op_sel_hi:[0,0]
	v_pk_add_f32 v[4:5], v[4:5], v[24:25]
	v_pk_fma_f32 v[8:9], v[18:19], v[10:11], v[6:7] neg_lo:[0,0,1] neg_hi:[0,0,1]
	v_pk_fma_f32 v[6:7], v[18:19], v[10:11], v[6:7] op_sel_hi:[1,0,1]
	v_pk_add_f32 v[4:5], v[4:5], v[12:13]
	v_mov_b32_e32 v9, v7
	s_waitcnt vmcnt(0) lgkmcnt(0)
	v_pk_mul_f32 v[6:7], v[22:23], v[20:21] op_sel:[1,1] op_sel_hi:[0,1]
	v_pk_add_f32 v[4:5], v[4:5], v[8:9]
	v_pk_fma_f32 v[8:9], v[22:23], v[20:21], v[6:7] neg_lo:[0,0,1] neg_hi:[0,0,1]
	v_pk_fma_f32 v[6:7], v[22:23], v[20:21], v[6:7] op_sel_hi:[1,0,1]
	s_nop 0
	v_mov_b32_e32 v9, v7
	scratch_load_dwordx2 v[6:7], off, off offset:344
	v_pk_add_f32 v[4:5], v[4:5], v[8:9]
	s_waitcnt vmcnt(0)
	v_pk_add_f32 v[4:5], v[6:7], v[4:5] neg_lo:[0,1] neg_hi:[0,1]
	scratch_store_dwordx2 off, v[4:5], off offset:344
	s_and_saveexec_b64 s[0:1], vcc
	s_cbranch_execz .LBB48_223
; %bb.222:
	scratch_load_dwordx2 v[4:5], off, off offset:336
	v_mov_b32_e32 v3, v2
	scratch_store_dwordx2 off, v[2:3], off offset:336
	s_waitcnt vmcnt(1)
	ds_write_b64 v1, v[4:5]
.LBB48_223:
	s_or_b64 exec, exec, s[0:1]
	s_waitcnt lgkmcnt(0)
	; wave barrier
	scratch_load_dwordx4 v[4:7], off, off offset:344
	scratch_load_dwordx4 v[8:11], off, off offset:360
	;; [unrolled: 1-line block ×3, first 2 shown]
	scratch_load_dwordx2 v[28:29], off, off offset:336
	ds_read2_b64 v[16:19], v2 offset0:93 offset1:94
	ds_read2_b64 v[20:23], v2 offset0:95 offset1:96
	;; [unrolled: 1-line block ×3, first 2 shown]
	v_cmp_lt_u32_e32 vcc, 41, v0
	s_waitcnt vmcnt(3) lgkmcnt(2)
	v_pk_mul_f32 v[2:3], v[16:17], v[4:5] op_sel:[1,1] op_sel_hi:[0,1]
	v_mov_b32_e32 v30, v7
	s_waitcnt vmcnt(2) lgkmcnt(1)
	v_pk_mul_f32 v[32:33], v[20:21], v[8:9] op_sel:[1,1] op_sel_hi:[0,1]
	v_mov_b32_e32 v34, v11
	;; [unrolled: 3-line block ×3, first 2 shown]
	v_pk_fma_f32 v[40:41], v[16:17], v[4:5], v[2:3] neg_lo:[0,0,1] neg_hi:[0,0,1]
	v_pk_fma_f32 v[2:3], v[16:17], v[4:5], v[2:3] op_sel_hi:[1,0,1]
	v_pk_mul_f32 v[4:5], v[18:19], v[30:31] op_sel:[1,0] op_sel_hi:[0,0]
	v_pk_fma_f32 v[16:17], v[20:21], v[8:9], v[32:33] neg_lo:[0,0,1] neg_hi:[0,0,1]
	v_pk_fma_f32 v[8:9], v[20:21], v[8:9], v[32:33] op_sel_hi:[1,0,1]
	v_pk_mul_f32 v[20:21], v[22:23], v[34:35] op_sel:[1,0] op_sel_hi:[0,0]
	;; [unrolled: 3-line block ×3, first 2 shown]
	v_mov_b32_e32 v41, v3
	v_pk_fma_f32 v[2:3], v[18:19], v[6:7], v[4:5] neg_lo:[0,0,1] neg_hi:[0,0,1]
	v_pk_fma_f32 v[4:5], v[18:19], v[6:7], v[4:5] op_sel_hi:[1,0,1]
	v_mov_b32_e32 v17, v9
	v_pk_fma_f32 v[6:7], v[22:23], v[10:11], v[20:21] neg_lo:[0,0,1] neg_hi:[0,0,1]
	v_pk_fma_f32 v[8:9], v[22:23], v[10:11], v[20:21] op_sel_hi:[1,0,1]
	;; [unrolled: 3-line block ×3, first 2 shown]
	v_pk_add_f32 v[14:15], v[40:41], 0 op_sel_hi:[1,0]
	v_mov_b32_e32 v3, v5
	v_pk_add_f32 v[2:3], v[14:15], v[2:3]
	v_mov_b32_e32 v7, v9
	v_pk_add_f32 v[2:3], v[2:3], v[16:17]
	;; [unrolled: 2-line block ×3, first 2 shown]
	s_nop 0
	v_pk_add_f32 v[2:3], v[2:3], v[30:31]
	s_nop 0
	v_pk_add_f32 v[2:3], v[2:3], v[10:11]
	s_waitcnt vmcnt(0)
	v_pk_add_f32 v[2:3], v[28:29], v[2:3] neg_lo:[0,1] neg_hi:[0,1]
	scratch_store_dwordx2 off, v[2:3], off offset:336
	s_and_saveexec_b64 s[0:1], vcc
	s_cbranch_execz .LBB48_225
; %bb.224:
	scratch_load_dwordx2 v[2:3], off, off offset:328
	v_mov_b32_e32 v4, 0
	v_mov_b32_e32 v5, v4
	scratch_store_dwordx2 off, v[4:5], off offset:328
	s_waitcnt vmcnt(1)
	ds_write_b64 v1, v[2:3]
.LBB48_225:
	s_or_b64 exec, exec, s[0:1]
	s_waitcnt lgkmcnt(0)
	; wave barrier
	scratch_load_dwordx4 v[4:7], off, off offset:336
	scratch_load_dwordx4 v[8:11], off, off offset:352
	scratch_load_dwordx4 v[12:15], off, off offset:368
	scratch_load_dwordx2 v[28:29], off, off offset:384
	scratch_load_dwordx2 v[30:31], off, off offset:328
	v_mov_b32_e32 v2, 0
	ds_read_b128 v[16:19], v2 offset:736
	ds_read_b128 v[20:23], v2 offset:752
	;; [unrolled: 1-line block ×3, first 2 shown]
	ds_read_b64 v[32:33], v2 offset:784
	v_cmp_lt_u32_e32 vcc, 40, v0
	s_waitcnt vmcnt(4) lgkmcnt(3)
	v_pk_mul_f32 v[34:35], v[16:17], v[4:5] op_sel:[1,1] op_sel_hi:[0,1]
	v_mov_b32_e32 v36, v7
	v_pk_fma_f32 v[48:49], v[16:17], v[4:5], v[34:35] neg_lo:[0,0,1] neg_hi:[0,0,1]
	v_pk_fma_f32 v[4:5], v[16:17], v[4:5], v[34:35] op_sel_hi:[1,0,1]
	v_pk_mul_f32 v[16:17], v[18:19], v[36:37] op_sel:[1,0] op_sel_hi:[0,0]
	s_waitcnt vmcnt(3) lgkmcnt(2)
	v_pk_mul_f32 v[38:39], v[20:21], v[8:9] op_sel:[1,1] op_sel_hi:[0,1]
	v_mov_b32_e32 v40, v11
	v_mov_b32_e32 v49, v5
	v_pk_fma_f32 v[4:5], v[18:19], v[6:7], v[16:17] neg_lo:[0,0,1] neg_hi:[0,0,1]
	v_pk_fma_f32 v[6:7], v[18:19], v[6:7], v[16:17] op_sel_hi:[1,0,1]
	v_pk_fma_f32 v[34:35], v[20:21], v[8:9], v[38:39] neg_lo:[0,0,1] neg_hi:[0,0,1]
	v_pk_fma_f32 v[8:9], v[20:21], v[8:9], v[38:39] op_sel_hi:[1,0,1]
	v_pk_mul_f32 v[20:21], v[22:23], v[40:41] op_sel:[1,0] op_sel_hi:[0,0]
	v_pk_add_f32 v[16:17], v[48:49], 0 op_sel_hi:[1,0]
	v_mov_b32_e32 v5, v7
	s_waitcnt vmcnt(2) lgkmcnt(1)
	v_pk_mul_f32 v[42:43], v[24:25], v[12:13] op_sel:[1,1] op_sel_hi:[0,1]
	v_mov_b32_e32 v44, v15
	v_mov_b32_e32 v35, v9
	v_pk_fma_f32 v[8:9], v[22:23], v[10:11], v[20:21] neg_lo:[0,0,1] neg_hi:[0,0,1]
	v_pk_fma_f32 v[10:11], v[22:23], v[10:11], v[20:21] op_sel_hi:[1,0,1]
	v_pk_add_f32 v[4:5], v[16:17], v[4:5]
	v_pk_fma_f32 v[36:37], v[24:25], v[12:13], v[42:43] neg_lo:[0,0,1] neg_hi:[0,0,1]
	v_pk_fma_f32 v[12:13], v[24:25], v[12:13], v[42:43] op_sel_hi:[1,0,1]
	v_pk_mul_f32 v[24:25], v[26:27], v[44:45] op_sel:[1,0] op_sel_hi:[0,0]
	v_mov_b32_e32 v9, v11
	v_pk_add_f32 v[4:5], v[4:5], v[34:35]
	s_waitcnt vmcnt(1) lgkmcnt(0)
	v_pk_mul_f32 v[46:47], v[32:33], v[28:29] op_sel:[1,1] op_sel_hi:[0,1]
	v_mov_b32_e32 v37, v13
	v_pk_fma_f32 v[12:13], v[26:27], v[14:15], v[24:25] neg_lo:[0,0,1] neg_hi:[0,0,1]
	v_pk_fma_f32 v[14:15], v[26:27], v[14:15], v[24:25] op_sel_hi:[1,0,1]
	v_pk_add_f32 v[4:5], v[4:5], v[8:9]
	v_pk_fma_f32 v[38:39], v[32:33], v[28:29], v[46:47] neg_lo:[0,0,1] neg_hi:[0,0,1]
	v_pk_fma_f32 v[28:29], v[32:33], v[28:29], v[46:47] op_sel_hi:[1,0,1]
	v_mov_b32_e32 v13, v15
	v_pk_add_f32 v[4:5], v[4:5], v[36:37]
	v_mov_b32_e32 v39, v29
	v_pk_add_f32 v[4:5], v[4:5], v[12:13]
	s_nop 0
	v_pk_add_f32 v[4:5], v[4:5], v[38:39]
	s_waitcnt vmcnt(0)
	v_pk_add_f32 v[4:5], v[30:31], v[4:5] neg_lo:[0,1] neg_hi:[0,1]
	scratch_store_dwordx2 off, v[4:5], off offset:328
	s_and_saveexec_b64 s[0:1], vcc
	s_cbranch_execz .LBB48_227
; %bb.226:
	scratch_load_dwordx2 v[4:5], off, off offset:320
	v_mov_b32_e32 v3, v2
	scratch_store_dwordx2 off, v[2:3], off offset:320
	s_waitcnt vmcnt(1)
	ds_write_b64 v1, v[4:5]
.LBB48_227:
	s_or_b64 exec, exec, s[0:1]
	s_waitcnt lgkmcnt(0)
	; wave barrier
	scratch_load_dwordx4 v[4:7], off, off offset:328
	scratch_load_dwordx4 v[8:11], off, off offset:344
	;; [unrolled: 1-line block ×4, first 2 shown]
	scratch_load_dwordx2 v[36:37], off, off offset:320
	ds_read2_b64 v[20:23], v2 offset0:91 offset1:92
	ds_read2_b64 v[24:27], v2 offset0:93 offset1:94
	;; [unrolled: 1-line block ×4, first 2 shown]
	v_cmp_lt_u32_e32 vcc, 39, v0
	s_waitcnt vmcnt(4) lgkmcnt(3)
	v_pk_mul_f32 v[2:3], v[20:21], v[4:5] op_sel:[1,1] op_sel_hi:[0,1]
	v_mov_b32_e32 v38, v7
	s_waitcnt vmcnt(3) lgkmcnt(2)
	v_pk_mul_f32 v[40:41], v[24:25], v[8:9] op_sel:[1,1] op_sel_hi:[0,1]
	v_mov_b32_e32 v42, v11
	s_waitcnt vmcnt(2) lgkmcnt(1)
	v_pk_mul_f32 v[44:45], v[28:29], v[12:13] op_sel:[1,1] op_sel_hi:[0,1]
	v_mov_b32_e32 v46, v15
	s_waitcnt vmcnt(1) lgkmcnt(0)
	v_pk_mul_f32 v[48:49], v[32:33], v[16:17] op_sel:[1,1] op_sel_hi:[0,1]
	v_mov_b32_e32 v50, v19
	v_pk_fma_f32 v[52:53], v[20:21], v[4:5], v[2:3] neg_lo:[0,0,1] neg_hi:[0,0,1]
	v_pk_fma_f32 v[2:3], v[20:21], v[4:5], v[2:3] op_sel_hi:[1,0,1]
	v_pk_mul_f32 v[4:5], v[22:23], v[38:39] op_sel:[1,0] op_sel_hi:[0,0]
	v_pk_fma_f32 v[20:21], v[24:25], v[8:9], v[40:41] neg_lo:[0,0,1] neg_hi:[0,0,1]
	v_pk_fma_f32 v[8:9], v[24:25], v[8:9], v[40:41] op_sel_hi:[1,0,1]
	v_pk_mul_f32 v[24:25], v[26:27], v[42:43] op_sel:[1,0] op_sel_hi:[0,0]
	;; [unrolled: 3-line block ×4, first 2 shown]
	v_mov_b32_e32 v53, v3
	v_pk_fma_f32 v[2:3], v[22:23], v[6:7], v[4:5] neg_lo:[0,0,1] neg_hi:[0,0,1]
	v_pk_fma_f32 v[4:5], v[22:23], v[6:7], v[4:5] op_sel_hi:[1,0,1]
	v_mov_b32_e32 v21, v9
	v_pk_fma_f32 v[6:7], v[26:27], v[10:11], v[24:25] neg_lo:[0,0,1] neg_hi:[0,0,1]
	v_pk_fma_f32 v[8:9], v[26:27], v[10:11], v[24:25] op_sel_hi:[1,0,1]
	;; [unrolled: 3-line block ×4, first 2 shown]
	v_pk_add_f32 v[18:19], v[52:53], 0 op_sel_hi:[1,0]
	v_mov_b32_e32 v3, v5
	v_pk_add_f32 v[2:3], v[18:19], v[2:3]
	v_mov_b32_e32 v7, v9
	v_pk_add_f32 v[2:3], v[2:3], v[20:21]
	;; [unrolled: 2-line block ×4, first 2 shown]
	s_nop 0
	v_pk_add_f32 v[2:3], v[2:3], v[10:11]
	s_nop 0
	v_pk_add_f32 v[2:3], v[2:3], v[40:41]
	;; [unrolled: 2-line block ×3, first 2 shown]
	s_waitcnt vmcnt(0)
	v_pk_add_f32 v[2:3], v[36:37], v[2:3] neg_lo:[0,1] neg_hi:[0,1]
	scratch_store_dwordx2 off, v[2:3], off offset:320
	s_and_saveexec_b64 s[0:1], vcc
	s_cbranch_execz .LBB48_229
; %bb.228:
	scratch_load_dwordx2 v[2:3], off, off offset:312
	v_mov_b32_e32 v4, 0
	v_mov_b32_e32 v5, v4
	scratch_store_dwordx2 off, v[4:5], off offset:312
	s_waitcnt vmcnt(1)
	ds_write_b64 v1, v[2:3]
.LBB48_229:
	s_or_b64 exec, exec, s[0:1]
	s_waitcnt lgkmcnt(0)
	; wave barrier
	scratch_load_dwordx4 v[4:7], off, off offset:320
	scratch_load_dwordx4 v[8:11], off, off offset:336
	scratch_load_dwordx4 v[12:15], off, off offset:352
	scratch_load_dwordx4 v[16:19], off, off offset:368
	scratch_load_dwordx2 v[36:37], off, off offset:384
	scratch_load_dwordx2 v[38:39], off, off offset:312
	v_mov_b32_e32 v2, 0
	ds_read_b128 v[20:23], v2 offset:720
	ds_read_b128 v[24:27], v2 offset:736
	;; [unrolled: 1-line block ×4, first 2 shown]
	ds_read_b64 v[40:41], v2 offset:784
	v_cmp_lt_u32_e32 vcc, 38, v0
	s_waitcnt vmcnt(5) lgkmcnt(4)
	v_mul_f32_e32 v43, v20, v5
	v_mul_f32_e32 v3, v21, v5
	v_mov_b32_e32 v44, v7
	s_waitcnt vmcnt(4) lgkmcnt(3)
	v_pk_mul_f32 v[46:47], v[24:25], v[8:9] op_sel:[1,1] op_sel_hi:[0,1]
	v_mov_b32_e32 v48, v11
	s_waitcnt vmcnt(1) lgkmcnt(0)
	v_pk_mul_f32 v[58:59], v[40:41], v[36:37] op_sel:[1,1] op_sel_hi:[0,1]
	v_fmac_f32_e32 v43, v21, v4
	v_fma_f32 v42, v20, v4, -v3
	v_pk_mul_f32 v[4:5], v[22:23], v[44:45] op_sel:[1,0] op_sel_hi:[0,0]
	v_pk_fma_f32 v[20:21], v[24:25], v[8:9], v[46:47] neg_lo:[0,0,1] neg_hi:[0,0,1]
	v_pk_fma_f32 v[8:9], v[24:25], v[8:9], v[46:47] op_sel_hi:[1,0,1]
	v_pk_mul_f32 v[24:25], v[26:27], v[48:49] op_sel:[1,0] op_sel_hi:[0,0]
	v_pk_fma_f32 v[48:49], v[40:41], v[36:37], v[58:59] neg_lo:[0,0,1] neg_hi:[0,0,1]
	v_pk_fma_f32 v[36:37], v[40:41], v[36:37], v[58:59] op_sel_hi:[1,0,1]
	v_pk_add_f32 v[40:41], v[42:43], 0 op_sel_hi:[1,0]
	v_pk_fma_f32 v[42:43], v[22:23], v[6:7], v[4:5] neg_lo:[0,0,1] neg_hi:[0,0,1]
	v_pk_fma_f32 v[4:5], v[22:23], v[6:7], v[4:5] op_sel_hi:[1,0,1]
	v_pk_mul_f32 v[50:51], v[28:29], v[12:13] op_sel:[1,1] op_sel_hi:[0,1]
	v_mov_b32_e32 v43, v5
	v_mov_b32_e32 v52, v15
	;; [unrolled: 1-line block ×3, first 2 shown]
	v_pk_fma_f32 v[6:7], v[26:27], v[10:11], v[24:25] neg_lo:[0,0,1] neg_hi:[0,0,1]
	v_pk_fma_f32 v[8:9], v[26:27], v[10:11], v[24:25] op_sel_hi:[1,0,1]
	v_pk_add_f32 v[4:5], v[40:41], v[42:43]
	v_pk_fma_f32 v[44:45], v[28:29], v[12:13], v[50:51] neg_lo:[0,0,1] neg_hi:[0,0,1]
	v_pk_fma_f32 v[12:13], v[28:29], v[12:13], v[50:51] op_sel_hi:[1,0,1]
	v_pk_mul_f32 v[28:29], v[30:31], v[52:53] op_sel:[1,0] op_sel_hi:[0,0]
	v_mov_b32_e32 v7, v9
	v_pk_add_f32 v[4:5], v[4:5], v[20:21]
	v_pk_mul_f32 v[54:55], v[32:33], v[16:17] op_sel:[1,1] op_sel_hi:[0,1]
	v_mov_b32_e32 v56, v19
	v_mov_b32_e32 v45, v13
	v_pk_fma_f32 v[10:11], v[30:31], v[14:15], v[28:29] neg_lo:[0,0,1] neg_hi:[0,0,1]
	v_pk_fma_f32 v[12:13], v[30:31], v[14:15], v[28:29] op_sel_hi:[1,0,1]
	v_pk_add_f32 v[4:5], v[4:5], v[6:7]
	v_pk_fma_f32 v[46:47], v[32:33], v[16:17], v[54:55] neg_lo:[0,0,1] neg_hi:[0,0,1]
	v_pk_fma_f32 v[16:17], v[32:33], v[16:17], v[54:55] op_sel_hi:[1,0,1]
	v_pk_mul_f32 v[32:33], v[34:35], v[56:57] op_sel:[1,0] op_sel_hi:[0,0]
	v_mov_b32_e32 v11, v13
	v_pk_add_f32 v[4:5], v[4:5], v[44:45]
	v_mov_b32_e32 v47, v17
	v_pk_fma_f32 v[14:15], v[34:35], v[18:19], v[32:33] neg_lo:[0,0,1] neg_hi:[0,0,1]
	v_pk_fma_f32 v[16:17], v[34:35], v[18:19], v[32:33] op_sel_hi:[1,0,1]
	v_pk_add_f32 v[4:5], v[4:5], v[10:11]
	v_mov_b32_e32 v15, v17
	v_pk_add_f32 v[4:5], v[4:5], v[46:47]
	v_mov_b32_e32 v49, v37
	v_pk_add_f32 v[4:5], v[4:5], v[14:15]
	s_nop 0
	v_pk_add_f32 v[4:5], v[4:5], v[48:49]
	s_waitcnt vmcnt(0)
	v_pk_add_f32 v[4:5], v[38:39], v[4:5] neg_lo:[0,1] neg_hi:[0,1]
	scratch_store_dwordx2 off, v[4:5], off offset:312
	s_and_saveexec_b64 s[0:1], vcc
	s_cbranch_execz .LBB48_231
; %bb.230:
	scratch_load_dwordx2 v[4:5], off, off offset:304
	v_mov_b32_e32 v3, v2
	scratch_store_dwordx2 off, v[2:3], off offset:304
	s_waitcnt vmcnt(1)
	ds_write_b64 v1, v[4:5]
.LBB48_231:
	s_or_b64 exec, exec, s[0:1]
	s_waitcnt lgkmcnt(0)
	; wave barrier
	scratch_load_dwordx4 v[4:7], off, off offset:312
	scratch_load_dwordx4 v[8:11], off, off offset:328
	;; [unrolled: 1-line block ×5, first 2 shown]
	scratch_load_dwordx2 v[44:45], off, off offset:304
	ds_read2_b64 v[24:27], v2 offset0:89 offset1:90
	ds_read2_b64 v[28:31], v2 offset0:91 offset1:92
	;; [unrolled: 1-line block ×5, first 2 shown]
	v_cmp_lt_u32_e32 vcc, 37, v0
	s_waitcnt vmcnt(5) lgkmcnt(4)
	v_mul_f32_e32 v3, v24, v5
	v_mul_f32_e32 v2, v25, v5
	v_mul_f32_e32 v47, v26, v7
	v_mul_f32_e32 v5, v27, v7
	s_waitcnt vmcnt(4) lgkmcnt(3)
	v_pk_mul_f32 v[48:49], v[28:29], v[8:9] op_sel:[1,1] op_sel_hi:[0,1]
	v_mov_b32_e32 v50, v11
	v_fmac_f32_e32 v3, v25, v4
	v_fma_f32 v2, v24, v4, -v2
	v_fmac_f32_e32 v47, v27, v6
	v_fma_f32 v46, v26, v6, -v5
	v_pk_fma_f32 v[4:5], v[28:29], v[8:9], v[48:49] neg_lo:[0,0,1] neg_hi:[0,0,1]
	v_pk_fma_f32 v[6:7], v[28:29], v[8:9], v[48:49] op_sel_hi:[1,0,1]
	v_pk_mul_f32 v[8:9], v[30:31], v[50:51] op_sel:[1,0] op_sel_hi:[0,0]
	v_pk_add_f32 v[2:3], v[2:3], 0 op_sel_hi:[1,0]
	s_waitcnt vmcnt(3) lgkmcnt(2)
	v_pk_mul_f32 v[52:53], v[32:33], v[12:13] op_sel:[1,1] op_sel_hi:[0,1]
	v_mov_b32_e32 v54, v15
	v_mov_b32_e32 v5, v7
	v_pk_fma_f32 v[6:7], v[30:31], v[10:11], v[8:9] neg_lo:[0,0,1] neg_hi:[0,0,1]
	v_pk_fma_f32 v[8:9], v[30:31], v[10:11], v[8:9] op_sel_hi:[1,0,1]
	v_pk_add_f32 v[2:3], v[2:3], v[46:47]
	v_pk_fma_f32 v[24:25], v[32:33], v[12:13], v[52:53] neg_lo:[0,0,1] neg_hi:[0,0,1]
	v_pk_fma_f32 v[12:13], v[32:33], v[12:13], v[52:53] op_sel_hi:[1,0,1]
	v_pk_mul_f32 v[26:27], v[34:35], v[54:55] op_sel:[1,0] op_sel_hi:[0,0]
	v_mov_b32_e32 v7, v9
	v_pk_add_f32 v[2:3], v[2:3], v[4:5]
	s_waitcnt vmcnt(2) lgkmcnt(1)
	v_pk_mul_f32 v[56:57], v[36:37], v[16:17] op_sel:[1,1] op_sel_hi:[0,1]
	v_mov_b32_e32 v58, v19
	v_mov_b32_e32 v25, v13
	v_pk_fma_f32 v[10:11], v[34:35], v[14:15], v[26:27] neg_lo:[0,0,1] neg_hi:[0,0,1]
	v_pk_fma_f32 v[12:13], v[34:35], v[14:15], v[26:27] op_sel_hi:[1,0,1]
	v_pk_add_f32 v[2:3], v[2:3], v[6:7]
	v_pk_fma_f32 v[28:29], v[36:37], v[16:17], v[56:57] neg_lo:[0,0,1] neg_hi:[0,0,1]
	v_pk_fma_f32 v[16:17], v[36:37], v[16:17], v[56:57] op_sel_hi:[1,0,1]
	v_pk_mul_f32 v[32:33], v[38:39], v[58:59] op_sel:[1,0] op_sel_hi:[0,0]
	v_mov_b32_e32 v11, v13
	v_pk_add_f32 v[2:3], v[2:3], v[24:25]
	;; [unrolled: 12-line block ×3, first 2 shown]
	v_mov_b32_e32 v37, v21
	v_pk_fma_f32 v[18:19], v[42:43], v[22:23], v[40:41] neg_lo:[0,0,1] neg_hi:[0,0,1]
	v_pk_fma_f32 v[20:21], v[42:43], v[22:23], v[40:41] op_sel_hi:[1,0,1]
	v_pk_add_f32 v[2:3], v[2:3], v[14:15]
	v_mov_b32_e32 v19, v21
	v_pk_add_f32 v[2:3], v[2:3], v[36:37]
	s_nop 0
	v_pk_add_f32 v[2:3], v[2:3], v[18:19]
	s_waitcnt vmcnt(0)
	v_pk_add_f32 v[2:3], v[44:45], v[2:3] neg_lo:[0,1] neg_hi:[0,1]
	scratch_store_dwordx2 off, v[2:3], off offset:304
	s_and_saveexec_b64 s[0:1], vcc
	s_cbranch_execz .LBB48_233
; %bb.232:
	scratch_load_dwordx2 v[2:3], off, off offset:296
	v_mov_b32_e32 v4, 0
	v_mov_b32_e32 v5, v4
	scratch_store_dwordx2 off, v[4:5], off offset:296
	s_waitcnt vmcnt(1)
	ds_write_b64 v1, v[2:3]
.LBB48_233:
	s_or_b64 exec, exec, s[0:1]
	s_waitcnt lgkmcnt(0)
	; wave barrier
	scratch_load_dwordx4 v[4:7], off, off offset:304
	scratch_load_dwordx4 v[8:11], off, off offset:320
	;; [unrolled: 1-line block ×5, first 2 shown]
	scratch_load_dwordx2 v[44:45], off, off offset:384
	scratch_load_dwordx2 v[46:47], off, off offset:296
	v_mov_b32_e32 v2, 0
	ds_read_b128 v[24:27], v2 offset:704
	ds_read_b128 v[28:31], v2 offset:720
	;; [unrolled: 1-line block ×5, first 2 shown]
	ds_read_b64 v[48:49], v2 offset:784
	v_cmp_lt_u32_e32 vcc, 36, v0
	s_waitcnt vmcnt(6) lgkmcnt(5)
	v_mul_f32_e32 v3, v24, v5
	v_mul_f32_e32 v5, v25, v5
	;; [unrolled: 1-line block ×3, first 2 shown]
	s_waitcnt vmcnt(5) lgkmcnt(4)
	v_mul_f32_e32 v53, v28, v9
	v_mul_f32_e32 v7, v27, v7
	;; [unrolled: 1-line block ×3, first 2 shown]
	v_mov_b32_e32 v54, v11
	s_waitcnt vmcnt(3) lgkmcnt(2)
	v_pk_mul_f32 v[60:61], v[36:37], v[16:17] op_sel:[1,1] op_sel_hi:[0,1]
	s_waitcnt vmcnt(2) lgkmcnt(1)
	v_pk_mul_f32 v[64:65], v[40:41], v[20:21] op_sel:[1,1] op_sel_hi:[0,1]
	;; [unrolled: 2-line block ×3, first 2 shown]
	v_fmac_f32_e32 v3, v25, v4
	v_fma_f32 v55, v24, v4, -v5
	v_fmac_f32_e32 v51, v27, v6
	v_fmac_f32_e32 v53, v29, v8
	v_fma_f32 v50, v26, v6, -v7
	v_fma_f32 v52, v28, v8, -v9
	v_pk_mul_f32 v[4:5], v[30:31], v[54:55] op_sel:[1,0] op_sel_hi:[0,0]
	v_pk_fma_f32 v[24:25], v[36:37], v[16:17], v[60:61] neg_lo:[0,0,1] neg_hi:[0,0,1]
	v_pk_fma_f32 v[16:17], v[36:37], v[16:17], v[60:61] op_sel_hi:[1,0,1]
	v_pk_fma_f32 v[28:29], v[40:41], v[20:21], v[64:65] neg_lo:[0,0,1] neg_hi:[0,0,1]
	v_pk_fma_f32 v[20:21], v[40:41], v[20:21], v[64:65] op_sel_hi:[1,0,1]
	;; [unrolled: 2-line block ×3, first 2 shown]
	v_add_f32_e32 v45, 0, v3
	v_add_f32_e32 v44, 0, v55
	v_pk_mul_f32 v[56:57], v[32:33], v[12:13] op_sel:[1,1] op_sel_hi:[0,1]
	v_mov_b32_e32 v58, v15
	v_pk_fma_f32 v[48:49], v[30:31], v[10:11], v[4:5] neg_lo:[0,0,1] neg_hi:[0,0,1]
	v_pk_fma_f32 v[4:5], v[30:31], v[10:11], v[4:5] op_sel_hi:[1,0,1]
	v_mov_b32_e32 v29, v21
	v_pk_add_f32 v[20:21], v[44:45], v[50:51]
	v_pk_fma_f32 v[6:7], v[32:33], v[12:13], v[56:57] neg_lo:[0,0,1] neg_hi:[0,0,1]
	v_pk_fma_f32 v[8:9], v[32:33], v[12:13], v[56:57] op_sel_hi:[1,0,1]
	v_pk_mul_f32 v[12:13], v[34:35], v[58:59] op_sel:[1,0] op_sel_hi:[0,0]
	v_mov_b32_e32 v49, v5
	v_pk_add_f32 v[4:5], v[20:21], v[52:53]
	v_mov_b32_e32 v62, v19
	v_mov_b32_e32 v7, v9
	v_pk_fma_f32 v[8:9], v[34:35], v[14:15], v[12:13] neg_lo:[0,0,1] neg_hi:[0,0,1]
	v_pk_fma_f32 v[10:11], v[34:35], v[14:15], v[12:13] op_sel_hi:[1,0,1]
	v_pk_add_f32 v[4:5], v[4:5], v[48:49]
	v_pk_mul_f32 v[26:27], v[38:39], v[62:63] op_sel:[1,0] op_sel_hi:[0,0]
	v_mov_b32_e32 v9, v11
	v_pk_add_f32 v[4:5], v[4:5], v[6:7]
	v_mov_b32_e32 v66, v23
	v_mov_b32_e32 v25, v17
	v_pk_fma_f32 v[12:13], v[38:39], v[18:19], v[26:27] neg_lo:[0,0,1] neg_hi:[0,0,1]
	v_pk_fma_f32 v[14:15], v[38:39], v[18:19], v[26:27] op_sel_hi:[1,0,1]
	v_pk_add_f32 v[4:5], v[4:5], v[8:9]
	v_pk_mul_f32 v[32:33], v[42:43], v[66:67] op_sel:[1,0] op_sel_hi:[0,0]
	v_mov_b32_e32 v13, v15
	v_pk_add_f32 v[4:5], v[4:5], v[24:25]
	v_pk_fma_f32 v[16:17], v[42:43], v[22:23], v[32:33] neg_lo:[0,0,1] neg_hi:[0,0,1]
	v_pk_fma_f32 v[18:19], v[42:43], v[22:23], v[32:33] op_sel_hi:[1,0,1]
	v_pk_add_f32 v[4:5], v[4:5], v[12:13]
	v_mov_b32_e32 v17, v19
	v_pk_add_f32 v[4:5], v[4:5], v[28:29]
	v_mov_b32_e32 v37, v41
	v_pk_add_f32 v[4:5], v[4:5], v[16:17]
	s_nop 0
	v_pk_add_f32 v[4:5], v[4:5], v[36:37]
	s_waitcnt vmcnt(0)
	v_pk_add_f32 v[4:5], v[46:47], v[4:5] neg_lo:[0,1] neg_hi:[0,1]
	scratch_store_dwordx2 off, v[4:5], off offset:296
	s_and_saveexec_b64 s[0:1], vcc
	s_cbranch_execz .LBB48_235
; %bb.234:
	scratch_load_dwordx2 v[4:5], off, off offset:288
	v_mov_b32_e32 v3, v2
	scratch_store_dwordx2 off, v[2:3], off offset:288
	s_waitcnt vmcnt(1)
	ds_write_b64 v1, v[4:5]
.LBB48_235:
	s_or_b64 exec, exec, s[0:1]
	s_waitcnt lgkmcnt(0)
	; wave barrier
	scratch_load_dwordx4 v[4:7], off, off offset:296
	scratch_load_dwordx4 v[8:11], off, off offset:312
	;; [unrolled: 1-line block ×6, first 2 shown]
	scratch_load_dwordx2 v[52:53], off, off offset:288
	ds_read2_b64 v[28:31], v2 offset0:87 offset1:88
	ds_read2_b64 v[32:35], v2 offset0:89 offset1:90
	;; [unrolled: 1-line block ×6, first 2 shown]
	v_cmp_lt_u32_e32 vcc, 35, v0
	s_waitcnt vmcnt(6) lgkmcnt(5)
	v_mul_f32_e32 v59, v28, v5
	v_mul_f32_e32 v63, v30, v7
	s_waitcnt vmcnt(5) lgkmcnt(4)
	v_mul_f32_e32 v3, v32, v9
	v_mul_f32_e32 v2, v29, v5
	v_mul_f32_e32 v5, v31, v7
	v_mul_f32_e32 v7, v33, v9
	s_waitcnt vmcnt(1) lgkmcnt(0)
	v_pk_mul_f32 v[68:69], v[48:49], v[24:25] op_sel:[1,1] op_sel_hi:[0,1]
	v_pk_mul_f32 v[56:57], v[36:37], v[12:13] op_sel:[1,1] op_sel_hi:[0,1]
	v_fmac_f32_e32 v59, v29, v4
	v_fmac_f32_e32 v3, v33, v8
	v_fma_f32 v67, v28, v4, -v2
	v_fma_f32 v2, v32, v8, -v7
	v_pk_fma_f32 v[32:33], v[48:49], v[24:25], v[68:69] neg_lo:[0,0,1] neg_hi:[0,0,1]
	v_pk_fma_f32 v[24:25], v[48:49], v[24:25], v[68:69] op_sel_hi:[1,0,1]
	v_fmac_f32_e32 v63, v31, v6
	v_fma_f32 v71, v30, v6, -v5
	v_pk_fma_f32 v[4:5], v[36:37], v[12:13], v[56:57] neg_lo:[0,0,1] neg_hi:[0,0,1]
	v_pk_fma_f32 v[6:7], v[36:37], v[12:13], v[56:57] op_sel_hi:[1,0,1]
	v_add_f32_e32 v24, 0, v59
	v_add_f32_e32 v36, 0, v67
	v_mul_f32_e32 v55, v34, v11
	v_mul_f32_e32 v9, v35, v11
	v_mov_b32_e32 v58, v15
	v_mov_b32_e32 v33, v25
	v_add_f32_e32 v25, v24, v63
	v_add_f32_e32 v24, v36, v71
	v_fmac_f32_e32 v55, v35, v10
	v_fma_f32 v54, v34, v10, -v9
	v_pk_mul_f32 v[8:9], v[38:39], v[58:59] op_sel:[1,0] op_sel_hi:[0,0]
	v_pk_add_f32 v[2:3], v[24:25], v[2:3]
	v_pk_mul_f32 v[60:61], v[40:41], v[16:17] op_sel:[1,1] op_sel_hi:[0,1]
	v_mov_b32_e32 v62, v19
	v_mov_b32_e32 v5, v7
	v_pk_fma_f32 v[6:7], v[38:39], v[14:15], v[8:9] neg_lo:[0,0,1] neg_hi:[0,0,1]
	v_pk_fma_f32 v[8:9], v[38:39], v[14:15], v[8:9] op_sel_hi:[1,0,1]
	v_pk_add_f32 v[2:3], v[2:3], v[54:55]
	v_pk_fma_f32 v[10:11], v[40:41], v[16:17], v[60:61] neg_lo:[0,0,1] neg_hi:[0,0,1]
	v_pk_fma_f32 v[12:13], v[40:41], v[16:17], v[60:61] op_sel_hi:[1,0,1]
	v_pk_mul_f32 v[16:17], v[42:43], v[62:63] op_sel:[1,0] op_sel_hi:[0,0]
	v_mov_b32_e32 v7, v9
	v_pk_add_f32 v[2:3], v[2:3], v[4:5]
	v_pk_mul_f32 v[64:65], v[44:45], v[20:21] op_sel:[1,1] op_sel_hi:[0,1]
	v_mov_b32_e32 v66, v23
	v_mov_b32_e32 v11, v13
	v_pk_fma_f32 v[12:13], v[42:43], v[18:19], v[16:17] neg_lo:[0,0,1] neg_hi:[0,0,1]
	v_pk_fma_f32 v[14:15], v[42:43], v[18:19], v[16:17] op_sel_hi:[1,0,1]
	v_pk_add_f32 v[2:3], v[2:3], v[6:7]
	v_pk_fma_f32 v[28:29], v[44:45], v[20:21], v[64:65] neg_lo:[0,0,1] neg_hi:[0,0,1]
	v_pk_fma_f32 v[20:21], v[44:45], v[20:21], v[64:65] op_sel_hi:[1,0,1]
	v_pk_mul_f32 v[30:31], v[46:47], v[66:67] op_sel:[1,0] op_sel_hi:[0,0]
	v_mov_b32_e32 v13, v15
	v_pk_add_f32 v[2:3], v[2:3], v[10:11]
	v_mov_b32_e32 v70, v27
	v_mov_b32_e32 v29, v21
	v_pk_fma_f32 v[16:17], v[46:47], v[22:23], v[30:31] neg_lo:[0,0,1] neg_hi:[0,0,1]
	v_pk_fma_f32 v[18:19], v[46:47], v[22:23], v[30:31] op_sel_hi:[1,0,1]
	v_pk_add_f32 v[2:3], v[2:3], v[12:13]
	v_pk_mul_f32 v[34:35], v[50:51], v[70:71] op_sel:[1,0] op_sel_hi:[0,0]
	v_mov_b32_e32 v17, v19
	v_pk_add_f32 v[2:3], v[2:3], v[28:29]
	v_pk_fma_f32 v[20:21], v[50:51], v[26:27], v[34:35] neg_lo:[0,0,1] neg_hi:[0,0,1]
	v_pk_fma_f32 v[22:23], v[50:51], v[26:27], v[34:35] op_sel_hi:[1,0,1]
	v_pk_add_f32 v[2:3], v[2:3], v[16:17]
	v_mov_b32_e32 v21, v23
	v_pk_add_f32 v[2:3], v[2:3], v[32:33]
	s_nop 0
	v_pk_add_f32 v[2:3], v[2:3], v[20:21]
	s_waitcnt vmcnt(0)
	v_pk_add_f32 v[2:3], v[52:53], v[2:3] neg_lo:[0,1] neg_hi:[0,1]
	scratch_store_dwordx2 off, v[2:3], off offset:288
	s_and_saveexec_b64 s[0:1], vcc
	s_cbranch_execz .LBB48_237
; %bb.236:
	scratch_load_dwordx2 v[2:3], off, off offset:280
	v_mov_b32_e32 v4, 0
	v_mov_b32_e32 v5, v4
	scratch_store_dwordx2 off, v[4:5], off offset:280
	s_waitcnt vmcnt(1)
	ds_write_b64 v1, v[2:3]
.LBB48_237:
	s_or_b64 exec, exec, s[0:1]
	v_mov_b32_e32 v2, 0
	s_waitcnt lgkmcnt(0)
	; wave barrier
	ds_read_b128 v[4:7], v2 offset:688
	ds_read_b128 v[8:11], v2 offset:704
	;; [unrolled: 1-line block ×4, first 2 shown]
	scratch_load_dwordx4 v[20:23], off, off offset:288
	v_cmp_lt_u32_e32 vcc, 34, v0
	s_waitcnt vmcnt(0) lgkmcnt(3)
	v_mul_f32_e32 v3, v4, v21
	v_fmac_f32_e32 v3, v5, v20
	v_mul_f32_e32 v24, v6, v23
	v_add_f32_e32 v3, 0, v3
	v_fmac_f32_e32 v24, v7, v22
	v_add_f32_e32 v3, v3, v24
	scratch_load_dwordx4 v[24:27], off, off offset:304
	s_waitcnt vmcnt(0) lgkmcnt(2)
	v_mul_f32_e32 v28, v8, v25
	v_fmac_f32_e32 v28, v9, v24
	v_add_f32_e32 v45, v3, v28
	scratch_load_dwordx4 v[28:31], off, off offset:320
	scratch_load_dwordx4 v[32:35], off, off offset:336
	;; [unrolled: 1-line block ×4, first 2 shown]
	scratch_load_dwordx2 v[50:51], off, off offset:384
	v_mul_f32_e32 v3, v5, v21
	v_fma_f32 v3, v4, v20, -v3
	v_mul_f32_e32 v4, v7, v23
	v_add_f32_e32 v3, 0, v3
	v_fma_f32 v4, v6, v22, -v4
	v_add_f32_e32 v3, v3, v4
	v_mul_f32_e32 v4, v9, v25
	v_fma_f32 v4, v8, v24, -v4
	v_mul_f32_e32 v47, v10, v27
	v_add_f32_e32 v44, v3, v4
	v_mul_f32_e32 v3, v11, v27
	v_fmac_f32_e32 v47, v11, v26
	v_fma_f32 v46, v10, v26, -v3
	v_pk_add_f32 v[20:21], v[44:45], v[46:47]
	s_waitcnt vmcnt(4)
	v_mov_b32_e32 v22, v31
	s_waitcnt lgkmcnt(1)
	v_mul_f32_e32 v49, v12, v29
	v_mul_f32_e32 v3, v13, v29
	v_pk_mul_f32 v[22:23], v[14:15], v[22:23] op_sel:[1,0] op_sel_hi:[0,0]
	v_fmac_f32_e32 v49, v13, v28
	v_fma_f32 v48, v12, v28, -v3
	v_pk_fma_f32 v[24:25], v[14:15], v[30:31], v[22:23] neg_lo:[0,0,1] neg_hi:[0,0,1]
	v_pk_fma_f32 v[14:15], v[14:15], v[30:31], v[22:23] op_sel_hi:[1,0,1]
	v_pk_add_f32 v[20:21], v[20:21], v[48:49]
	v_mov_b32_e32 v25, v15
	v_pk_add_f32 v[14:15], v[20:21], v[24:25]
	s_waitcnt vmcnt(3) lgkmcnt(0)
	v_pk_mul_f32 v[20:21], v[16:17], v[32:33] op_sel:[1,1] op_sel_hi:[0,1]
	v_pk_fma_f32 v[22:23], v[16:17], v[32:33], v[20:21] neg_lo:[0,0,1] neg_hi:[0,0,1]
	v_pk_fma_f32 v[16:17], v[16:17], v[32:33], v[20:21] op_sel_hi:[1,0,1]
	ds_read_b128 v[4:7], v2 offset:752
	ds_read_b128 v[8:11], v2 offset:768
	ds_read_b64 v[12:13], v2 offset:784
	v_mov_b32_e32 v16, v35
	v_mov_b32_e32 v23, v17
	v_pk_mul_f32 v[16:17], v[18:19], v[16:17] op_sel:[1,0] op_sel_hi:[0,0]
	v_pk_fma_f32 v[20:21], v[18:19], v[34:35], v[16:17] neg_lo:[0,0,1] neg_hi:[0,0,1]
	v_pk_fma_f32 v[16:17], v[18:19], v[34:35], v[16:17] op_sel_hi:[1,0,1]
	v_pk_add_f32 v[14:15], v[14:15], v[22:23]
	v_mov_b32_e32 v21, v17
	s_waitcnt vmcnt(2) lgkmcnt(2)
	v_pk_mul_f32 v[16:17], v[4:5], v[36:37] op_sel:[1,1] op_sel_hi:[0,1]
	v_pk_fma_f32 v[18:19], v[4:5], v[36:37], v[16:17] neg_lo:[0,0,1] neg_hi:[0,0,1]
	v_pk_fma_f32 v[4:5], v[4:5], v[36:37], v[16:17] op_sel_hi:[1,0,1]
	v_pk_add_f32 v[14:15], v[14:15], v[20:21]
	v_mov_b32_e32 v19, v5
	v_pk_add_f32 v[4:5], v[14:15], v[18:19]
	v_mov_b32_e32 v14, v39
	v_pk_mul_f32 v[14:15], v[6:7], v[14:15] op_sel:[1,0] op_sel_hi:[0,0]
	v_pk_fma_f32 v[16:17], v[6:7], v[38:39], v[14:15] neg_lo:[0,0,1] neg_hi:[0,0,1]
	v_pk_fma_f32 v[6:7], v[6:7], v[38:39], v[14:15] op_sel_hi:[1,0,1]
	s_nop 0
	v_mov_b32_e32 v17, v7
	s_waitcnt vmcnt(1) lgkmcnt(1)
	v_pk_mul_f32 v[6:7], v[8:9], v[40:41] op_sel:[1,1] op_sel_hi:[0,1]
	v_pk_fma_f32 v[14:15], v[8:9], v[40:41], v[6:7] neg_lo:[0,0,1] neg_hi:[0,0,1]
	v_pk_fma_f32 v[6:7], v[8:9], v[40:41], v[6:7] op_sel_hi:[1,0,1]
	v_pk_add_f32 v[4:5], v[4:5], v[16:17]
	v_mov_b32_e32 v6, v43
	v_mov_b32_e32 v15, v7
	v_pk_mul_f32 v[6:7], v[10:11], v[6:7] op_sel:[1,0] op_sel_hi:[0,0]
	v_pk_fma_f32 v[8:9], v[10:11], v[42:43], v[6:7] neg_lo:[0,0,1] neg_hi:[0,0,1]
	v_pk_fma_f32 v[6:7], v[10:11], v[42:43], v[6:7] op_sel_hi:[1,0,1]
	v_pk_add_f32 v[4:5], v[4:5], v[14:15]
	v_mov_b32_e32 v9, v7
	s_waitcnt vmcnt(0) lgkmcnt(0)
	v_pk_mul_f32 v[6:7], v[12:13], v[50:51] op_sel:[1,1] op_sel_hi:[0,1]
	v_pk_add_f32 v[4:5], v[4:5], v[8:9]
	v_pk_fma_f32 v[8:9], v[12:13], v[50:51], v[6:7] neg_lo:[0,0,1] neg_hi:[0,0,1]
	v_pk_fma_f32 v[6:7], v[12:13], v[50:51], v[6:7] op_sel_hi:[1,0,1]
	s_nop 0
	v_mov_b32_e32 v9, v7
	scratch_load_dwordx2 v[6:7], off, off offset:280
	v_pk_add_f32 v[4:5], v[4:5], v[8:9]
	s_waitcnt vmcnt(0)
	v_pk_add_f32 v[4:5], v[6:7], v[4:5] neg_lo:[0,1] neg_hi:[0,1]
	scratch_store_dwordx2 off, v[4:5], off offset:280
	s_and_saveexec_b64 s[0:1], vcc
	s_cbranch_execz .LBB48_239
; %bb.238:
	scratch_load_dwordx2 v[4:5], off, off offset:272
	v_mov_b32_e32 v3, v2
	scratch_store_dwordx2 off, v[2:3], off offset:272
	s_waitcnt vmcnt(1)
	ds_write_b64 v1, v[4:5]
.LBB48_239:
	s_or_b64 exec, exec, s[0:1]
	s_waitcnt lgkmcnt(0)
	; wave barrier
	scratch_load_dwordx4 v[8:11], off, off offset:280
	scratch_load_dwordx4 v[16:19], off, off offset:296
	ds_read2_b64 v[4:7], v2 offset0:85 offset1:86
	scratch_load_dwordx4 v[24:27], off, off offset:312
	v_cmp_lt_u32_e32 vcc, 33, v0
	s_waitcnt vmcnt(2) lgkmcnt(0)
	v_mul_f32_e32 v3, v4, v9
	v_fmac_f32_e32 v3, v5, v8
	v_mul_f32_e32 v12, v6, v11
	v_add_f32_e32 v3, 0, v3
	v_fmac_f32_e32 v12, v7, v10
	v_add_f32_e32 v3, v3, v12
	ds_read2_b64 v[12:15], v2 offset0:87 offset1:88
	s_waitcnt vmcnt(1) lgkmcnt(0)
	v_mul_f32_e32 v20, v12, v17
	v_fmac_f32_e32 v20, v13, v16
	v_add_f32_e32 v3, v3, v20
	v_mul_f32_e32 v20, v14, v19
	v_fmac_f32_e32 v20, v15, v18
	v_add_f32_e32 v45, v3, v20
	ds_read2_b64 v[20:23], v2 offset0:89 offset1:90
	scratch_load_dwordx4 v[28:31], off, off offset:328
	scratch_load_dwordx4 v[32:35], off, off offset:344
	;; [unrolled: 1-line block ×4, first 2 shown]
	v_mul_f32_e32 v3, v5, v9
	v_fma_f32 v3, v4, v8, -v3
	v_mul_f32_e32 v4, v7, v11
	v_add_f32_e32 v3, 0, v3
	v_fma_f32 v4, v6, v10, -v4
	v_add_f32_e32 v3, v3, v4
	v_mul_f32_e32 v4, v13, v17
	v_fma_f32 v4, v12, v16, -v4
	v_add_f32_e32 v3, v3, v4
	v_mul_f32_e32 v4, v15, v19
	v_fma_f32 v4, v14, v18, -v4
	v_add_f32_e32 v44, v3, v4
	ds_read2_b64 v[4:7], v2 offset0:91 offset1:92
	ds_read2_b64 v[8:11], v2 offset0:93 offset1:94
	;; [unrolled: 1-line block ×4, first 2 shown]
	s_waitcnt vmcnt(4) lgkmcnt(4)
	v_mul_f32_e32 v47, v20, v25
	v_mul_f32_e32 v3, v21, v25
	v_fmac_f32_e32 v47, v21, v24
	v_mul_f32_e32 v49, v22, v27
	v_fma_f32 v46, v20, v24, -v3
	v_mul_f32_e32 v3, v23, v27
	v_fmac_f32_e32 v49, v23, v26
	v_fma_f32 v48, v22, v26, -v3
	v_pk_add_f32 v[2:3], v[44:45], v[46:47]
	s_waitcnt vmcnt(3) lgkmcnt(3)
	v_pk_mul_f32 v[20:21], v[4:5], v[28:29] op_sel:[1,1] op_sel_hi:[0,1]
	v_pk_fma_f32 v[22:23], v[4:5], v[28:29], v[20:21] neg_lo:[0,0,1] neg_hi:[0,0,1]
	v_pk_fma_f32 v[4:5], v[4:5], v[28:29], v[20:21] op_sel_hi:[1,0,1]
	v_pk_add_f32 v[2:3], v[2:3], v[48:49]
	v_mov_b32_e32 v4, v31
	v_mov_b32_e32 v23, v5
	v_pk_mul_f32 v[4:5], v[6:7], v[4:5] op_sel:[1,0] op_sel_hi:[0,0]
	v_pk_fma_f32 v[20:21], v[6:7], v[30:31], v[4:5] neg_lo:[0,0,1] neg_hi:[0,0,1]
	v_pk_fma_f32 v[4:5], v[6:7], v[30:31], v[4:5] op_sel_hi:[1,0,1]
	v_pk_add_f32 v[2:3], v[2:3], v[22:23]
	v_mov_b32_e32 v21, v5
	s_waitcnt vmcnt(2) lgkmcnt(2)
	v_pk_mul_f32 v[4:5], v[8:9], v[32:33] op_sel:[1,1] op_sel_hi:[0,1]
	v_pk_fma_f32 v[6:7], v[8:9], v[32:33], v[4:5] neg_lo:[0,0,1] neg_hi:[0,0,1]
	v_pk_fma_f32 v[4:5], v[8:9], v[32:33], v[4:5] op_sel_hi:[1,0,1]
	v_pk_add_f32 v[2:3], v[2:3], v[20:21]
	v_mov_b32_e32 v4, v35
	v_mov_b32_e32 v7, v5
	v_pk_mul_f32 v[4:5], v[10:11], v[4:5] op_sel:[1,0] op_sel_hi:[0,0]
	v_pk_add_f32 v[2:3], v[2:3], v[6:7]
	v_pk_fma_f32 v[6:7], v[10:11], v[34:35], v[4:5] neg_lo:[0,0,1] neg_hi:[0,0,1]
	v_pk_fma_f32 v[4:5], v[10:11], v[34:35], v[4:5] op_sel_hi:[1,0,1]
	s_nop 0
	v_mov_b32_e32 v7, v5
	s_waitcnt vmcnt(1) lgkmcnt(1)
	v_pk_mul_f32 v[4:5], v[12:13], v[36:37] op_sel:[1,1] op_sel_hi:[0,1]
	v_pk_add_f32 v[2:3], v[2:3], v[6:7]
	v_pk_fma_f32 v[6:7], v[12:13], v[36:37], v[4:5] neg_lo:[0,0,1] neg_hi:[0,0,1]
	v_pk_fma_f32 v[4:5], v[12:13], v[36:37], v[4:5] op_sel_hi:[1,0,1]
	s_nop 0
	v_mov_b32_e32 v4, v39
	v_mov_b32_e32 v7, v5
	v_pk_mul_f32 v[4:5], v[14:15], v[4:5] op_sel:[1,0] op_sel_hi:[0,0]
	v_pk_add_f32 v[2:3], v[2:3], v[6:7]
	v_pk_fma_f32 v[6:7], v[14:15], v[38:39], v[4:5] neg_lo:[0,0,1] neg_hi:[0,0,1]
	v_pk_fma_f32 v[4:5], v[14:15], v[38:39], v[4:5] op_sel_hi:[1,0,1]
	s_nop 0
	v_mov_b32_e32 v7, v5
	s_waitcnt vmcnt(0) lgkmcnt(0)
	v_pk_mul_f32 v[4:5], v[16:17], v[40:41] op_sel:[1,1] op_sel_hi:[0,1]
	v_pk_add_f32 v[2:3], v[2:3], v[6:7]
	v_pk_fma_f32 v[6:7], v[16:17], v[40:41], v[4:5] neg_lo:[0,0,1] neg_hi:[0,0,1]
	v_pk_fma_f32 v[4:5], v[16:17], v[40:41], v[4:5] op_sel_hi:[1,0,1]
	s_nop 0
	v_mov_b32_e32 v4, v43
	v_mov_b32_e32 v7, v5
	v_pk_mul_f32 v[4:5], v[18:19], v[4:5] op_sel:[1,0] op_sel_hi:[0,0]
	v_pk_add_f32 v[2:3], v[2:3], v[6:7]
	v_pk_fma_f32 v[6:7], v[18:19], v[42:43], v[4:5] neg_lo:[0,0,1] neg_hi:[0,0,1]
	v_pk_fma_f32 v[4:5], v[18:19], v[42:43], v[4:5] op_sel_hi:[1,0,1]
	s_nop 0
	v_mov_b32_e32 v7, v5
	scratch_load_dwordx2 v[4:5], off, off offset:272
	v_pk_add_f32 v[2:3], v[2:3], v[6:7]
	s_waitcnt vmcnt(0)
	v_pk_add_f32 v[2:3], v[4:5], v[2:3] neg_lo:[0,1] neg_hi:[0,1]
	scratch_store_dwordx2 off, v[2:3], off offset:272
	s_and_saveexec_b64 s[0:1], vcc
	s_cbranch_execz .LBB48_241
; %bb.240:
	scratch_load_dwordx2 v[2:3], off, off offset:264
	v_mov_b32_e32 v4, 0
	v_mov_b32_e32 v5, v4
	scratch_store_dwordx2 off, v[4:5], off offset:264
	s_waitcnt vmcnt(1)
	ds_write_b64 v1, v[2:3]
.LBB48_241:
	s_or_b64 exec, exec, s[0:1]
	v_mov_b32_e32 v2, 0
	s_waitcnt lgkmcnt(0)
	; wave barrier
	ds_read_b128 v[4:7], v2 offset:672
	ds_read_b128 v[8:11], v2 offset:688
	;; [unrolled: 1-line block ×4, first 2 shown]
	scratch_load_dwordx4 v[20:23], off, off offset:272
	v_cmp_lt_u32_e32 vcc, 32, v0
	s_waitcnt vmcnt(0) lgkmcnt(3)
	v_mul_f32_e32 v3, v4, v21
	v_fmac_f32_e32 v3, v5, v20
	v_mul_f32_e32 v24, v6, v23
	v_add_f32_e32 v3, 0, v3
	v_fmac_f32_e32 v24, v7, v22
	v_add_f32_e32 v3, v3, v24
	scratch_load_dwordx4 v[24:27], off, off offset:288
	s_waitcnt vmcnt(0) lgkmcnt(2)
	v_mul_f32_e32 v28, v8, v25
	v_fmac_f32_e32 v28, v9, v24
	v_add_f32_e32 v3, v3, v28
	v_mul_f32_e32 v28, v10, v27
	v_fmac_f32_e32 v28, v11, v26
	v_add_f32_e32 v3, v3, v28
	scratch_load_dwordx4 v[28:31], off, off offset:304
	s_waitcnt vmcnt(0) lgkmcnt(1)
	v_mul_f32_e32 v32, v12, v29
	v_fmac_f32_e32 v32, v13, v28
	v_add_f32_e32 v49, v3, v32
	scratch_load_dwordx4 v[32:35], off, off offset:320
	scratch_load_dwordx4 v[36:39], off, off offset:336
	;; [unrolled: 1-line block ×4, first 2 shown]
	scratch_load_dwordx2 v[54:55], off, off offset:384
	v_mul_f32_e32 v3, v5, v21
	v_fma_f32 v3, v4, v20, -v3
	v_mul_f32_e32 v4, v7, v23
	v_add_f32_e32 v3, 0, v3
	v_fma_f32 v4, v6, v22, -v4
	v_add_f32_e32 v3, v3, v4
	v_mul_f32_e32 v4, v9, v25
	v_fma_f32 v4, v8, v24, -v4
	v_add_f32_e32 v3, v3, v4
	v_mul_f32_e32 v4, v11, v27
	v_fma_f32 v4, v10, v26, -v4
	v_add_f32_e32 v3, v3, v4
	v_mul_f32_e32 v4, v13, v29
	v_fma_f32 v4, v12, v28, -v4
	v_mul_f32_e32 v51, v14, v31
	v_add_f32_e32 v48, v3, v4
	v_mul_f32_e32 v3, v15, v31
	v_fmac_f32_e32 v51, v15, v30
	v_fma_f32 v50, v14, v30, -v3
	v_pk_add_f32 v[20:21], v[48:49], v[50:51]
	s_waitcnt vmcnt(4)
	v_mov_b32_e32 v22, v35
	s_waitcnt lgkmcnt(0)
	v_mul_f32_e32 v53, v16, v33
	v_mul_f32_e32 v3, v17, v33
	v_pk_mul_f32 v[22:23], v[18:19], v[22:23] op_sel:[1,0] op_sel_hi:[0,0]
	v_fmac_f32_e32 v53, v17, v32
	v_fma_f32 v52, v16, v32, -v3
	ds_read_b128 v[4:7], v2 offset:736
	ds_read_b128 v[8:11], v2 offset:752
	;; [unrolled: 1-line block ×3, first 2 shown]
	ds_read_b64 v[16:17], v2 offset:784
	v_pk_fma_f32 v[24:25], v[18:19], v[34:35], v[22:23] neg_lo:[0,0,1] neg_hi:[0,0,1]
	v_pk_fma_f32 v[18:19], v[18:19], v[34:35], v[22:23] op_sel_hi:[1,0,1]
	v_pk_add_f32 v[20:21], v[20:21], v[52:53]
	v_mov_b32_e32 v25, v19
	v_pk_add_f32 v[18:19], v[20:21], v[24:25]
	s_waitcnt vmcnt(3) lgkmcnt(3)
	v_pk_mul_f32 v[20:21], v[4:5], v[36:37] op_sel:[1,1] op_sel_hi:[0,1]
	v_pk_fma_f32 v[22:23], v[4:5], v[36:37], v[20:21] neg_lo:[0,0,1] neg_hi:[0,0,1]
	v_pk_fma_f32 v[4:5], v[4:5], v[36:37], v[20:21] op_sel_hi:[1,0,1]
	s_nop 0
	v_mov_b32_e32 v23, v5
	v_pk_add_f32 v[4:5], v[18:19], v[22:23]
	v_mov_b32_e32 v18, v39
	v_pk_mul_f32 v[18:19], v[6:7], v[18:19] op_sel:[1,0] op_sel_hi:[0,0]
	v_pk_fma_f32 v[20:21], v[6:7], v[38:39], v[18:19] neg_lo:[0,0,1] neg_hi:[0,0,1]
	v_pk_fma_f32 v[6:7], v[6:7], v[38:39], v[18:19] op_sel_hi:[1,0,1]
	s_nop 0
	v_mov_b32_e32 v21, v7
	s_waitcnt vmcnt(2) lgkmcnt(2)
	v_pk_mul_f32 v[6:7], v[8:9], v[40:41] op_sel:[1,1] op_sel_hi:[0,1]
	v_pk_fma_f32 v[18:19], v[8:9], v[40:41], v[6:7] neg_lo:[0,0,1] neg_hi:[0,0,1]
	v_pk_fma_f32 v[6:7], v[8:9], v[40:41], v[6:7] op_sel_hi:[1,0,1]
	v_pk_add_f32 v[4:5], v[4:5], v[20:21]
	v_mov_b32_e32 v6, v43
	v_mov_b32_e32 v19, v7
	v_pk_mul_f32 v[6:7], v[10:11], v[6:7] op_sel:[1,0] op_sel_hi:[0,0]
	v_pk_fma_f32 v[8:9], v[10:11], v[42:43], v[6:7] neg_lo:[0,0,1] neg_hi:[0,0,1]
	v_pk_fma_f32 v[6:7], v[10:11], v[42:43], v[6:7] op_sel_hi:[1,0,1]
	v_pk_add_f32 v[4:5], v[4:5], v[18:19]
	v_mov_b32_e32 v9, v7
	s_waitcnt vmcnt(1) lgkmcnt(1)
	v_pk_mul_f32 v[6:7], v[12:13], v[44:45] op_sel:[1,1] op_sel_hi:[0,1]
	v_pk_add_f32 v[4:5], v[4:5], v[8:9]
	v_pk_fma_f32 v[8:9], v[12:13], v[44:45], v[6:7] neg_lo:[0,0,1] neg_hi:[0,0,1]
	v_pk_fma_f32 v[6:7], v[12:13], v[44:45], v[6:7] op_sel_hi:[1,0,1]
	s_nop 0
	v_mov_b32_e32 v6, v47
	v_mov_b32_e32 v9, v7
	v_pk_mul_f32 v[6:7], v[14:15], v[6:7] op_sel:[1,0] op_sel_hi:[0,0]
	v_pk_add_f32 v[4:5], v[4:5], v[8:9]
	v_pk_fma_f32 v[8:9], v[14:15], v[46:47], v[6:7] neg_lo:[0,0,1] neg_hi:[0,0,1]
	v_pk_fma_f32 v[6:7], v[14:15], v[46:47], v[6:7] op_sel_hi:[1,0,1]
	s_nop 0
	v_mov_b32_e32 v9, v7
	s_waitcnt vmcnt(0) lgkmcnt(0)
	v_pk_mul_f32 v[6:7], v[16:17], v[54:55] op_sel:[1,1] op_sel_hi:[0,1]
	v_pk_add_f32 v[4:5], v[4:5], v[8:9]
	v_pk_fma_f32 v[8:9], v[16:17], v[54:55], v[6:7] neg_lo:[0,0,1] neg_hi:[0,0,1]
	v_pk_fma_f32 v[6:7], v[16:17], v[54:55], v[6:7] op_sel_hi:[1,0,1]
	s_nop 0
	v_mov_b32_e32 v9, v7
	scratch_load_dwordx2 v[6:7], off, off offset:264
	v_pk_add_f32 v[4:5], v[4:5], v[8:9]
	s_waitcnt vmcnt(0)
	v_pk_add_f32 v[4:5], v[6:7], v[4:5] neg_lo:[0,1] neg_hi:[0,1]
	scratch_store_dwordx2 off, v[4:5], off offset:264
	s_and_saveexec_b64 s[0:1], vcc
	s_cbranch_execz .LBB48_243
; %bb.242:
	scratch_load_dwordx2 v[4:5], off, off offset:256
	v_mov_b32_e32 v3, v2
	scratch_store_dwordx2 off, v[2:3], off offset:256
	s_waitcnt vmcnt(1)
	ds_write_b64 v1, v[4:5]
.LBB48_243:
	s_or_b64 exec, exec, s[0:1]
	s_waitcnt lgkmcnt(0)
	; wave barrier
	scratch_load_dwordx4 v[8:11], off, off offset:264
	scratch_load_dwordx4 v[16:19], off, off offset:280
	scratch_load_dwordx4 v[24:27], off, off offset:296
	scratch_load_dwordx4 v[32:35], off, off offset:312
	ds_read2_b64 v[4:7], v2 offset0:83 offset1:84
	v_cmp_lt_u32_e32 vcc, 31, v0
	s_waitcnt vmcnt(3) lgkmcnt(0)
	v_mul_f32_e32 v3, v4, v9
	v_fmac_f32_e32 v3, v5, v8
	v_mul_f32_e32 v12, v6, v11
	v_add_f32_e32 v3, 0, v3
	v_fmac_f32_e32 v12, v7, v10
	v_add_f32_e32 v3, v3, v12
	ds_read2_b64 v[12:15], v2 offset0:85 offset1:86
	s_waitcnt vmcnt(2) lgkmcnt(0)
	v_mul_f32_e32 v20, v12, v17
	v_fmac_f32_e32 v20, v13, v16
	v_add_f32_e32 v3, v3, v20
	v_mul_f32_e32 v20, v14, v19
	v_fmac_f32_e32 v20, v15, v18
	v_add_f32_e32 v3, v3, v20
	ds_read2_b64 v[20:23], v2 offset0:87 offset1:88
	s_waitcnt vmcnt(1) lgkmcnt(0)
	v_mul_f32_e32 v28, v20, v25
	v_fmac_f32_e32 v28, v21, v24
	v_add_f32_e32 v3, v3, v28
	v_mul_f32_e32 v28, v22, v27
	v_fmac_f32_e32 v28, v23, v26
	v_add_f32_e32 v53, v3, v28
	ds_read2_b64 v[28:31], v2 offset0:89 offset1:90
	scratch_load_dwordx4 v[36:39], off, off offset:328
	scratch_load_dwordx4 v[40:43], off, off offset:344
	;; [unrolled: 1-line block ×4, first 2 shown]
	v_mul_f32_e32 v3, v5, v9
	v_fma_f32 v3, v4, v8, -v3
	v_mul_f32_e32 v4, v7, v11
	v_add_f32_e32 v3, 0, v3
	v_fma_f32 v4, v6, v10, -v4
	v_add_f32_e32 v3, v3, v4
	v_mul_f32_e32 v4, v13, v17
	v_fma_f32 v4, v12, v16, -v4
	v_add_f32_e32 v3, v3, v4
	v_mul_f32_e32 v4, v15, v19
	;; [unrolled: 3-line block ×4, first 2 shown]
	v_fma_f32 v4, v22, v26, -v4
	v_add_f32_e32 v52, v3, v4
	ds_read2_b64 v[4:7], v2 offset0:91 offset1:92
	ds_read2_b64 v[8:11], v2 offset0:93 offset1:94
	;; [unrolled: 1-line block ×4, first 2 shown]
	s_waitcnt vmcnt(4) lgkmcnt(4)
	v_mul_f32_e32 v55, v28, v33
	v_mul_f32_e32 v3, v29, v33
	v_fmac_f32_e32 v55, v29, v32
	v_mul_f32_e32 v57, v30, v35
	v_fma_f32 v54, v28, v32, -v3
	v_mul_f32_e32 v3, v31, v35
	v_fmac_f32_e32 v57, v31, v34
	v_fma_f32 v56, v30, v34, -v3
	v_pk_add_f32 v[2:3], v[52:53], v[54:55]
	s_waitcnt vmcnt(3) lgkmcnt(3)
	v_pk_mul_f32 v[20:21], v[4:5], v[36:37] op_sel:[1,1] op_sel_hi:[0,1]
	v_pk_fma_f32 v[22:23], v[4:5], v[36:37], v[20:21] neg_lo:[0,0,1] neg_hi:[0,0,1]
	v_pk_fma_f32 v[4:5], v[4:5], v[36:37], v[20:21] op_sel_hi:[1,0,1]
	v_pk_add_f32 v[2:3], v[2:3], v[56:57]
	v_mov_b32_e32 v4, v39
	v_mov_b32_e32 v23, v5
	v_pk_mul_f32 v[4:5], v[6:7], v[4:5] op_sel:[1,0] op_sel_hi:[0,0]
	v_pk_fma_f32 v[20:21], v[6:7], v[38:39], v[4:5] neg_lo:[0,0,1] neg_hi:[0,0,1]
	v_pk_fma_f32 v[4:5], v[6:7], v[38:39], v[4:5] op_sel_hi:[1,0,1]
	v_pk_add_f32 v[2:3], v[2:3], v[22:23]
	v_mov_b32_e32 v21, v5
	s_waitcnt vmcnt(2) lgkmcnt(2)
	v_pk_mul_f32 v[4:5], v[8:9], v[40:41] op_sel:[1,1] op_sel_hi:[0,1]
	v_pk_fma_f32 v[6:7], v[8:9], v[40:41], v[4:5] neg_lo:[0,0,1] neg_hi:[0,0,1]
	v_pk_fma_f32 v[4:5], v[8:9], v[40:41], v[4:5] op_sel_hi:[1,0,1]
	v_pk_add_f32 v[2:3], v[2:3], v[20:21]
	v_mov_b32_e32 v4, v43
	v_mov_b32_e32 v7, v5
	v_pk_mul_f32 v[4:5], v[10:11], v[4:5] op_sel:[1,0] op_sel_hi:[0,0]
	v_pk_add_f32 v[2:3], v[2:3], v[6:7]
	v_pk_fma_f32 v[6:7], v[10:11], v[42:43], v[4:5] neg_lo:[0,0,1] neg_hi:[0,0,1]
	v_pk_fma_f32 v[4:5], v[10:11], v[42:43], v[4:5] op_sel_hi:[1,0,1]
	s_nop 0
	v_mov_b32_e32 v7, v5
	s_waitcnt vmcnt(1) lgkmcnt(1)
	v_pk_mul_f32 v[4:5], v[12:13], v[44:45] op_sel:[1,1] op_sel_hi:[0,1]
	v_pk_add_f32 v[2:3], v[2:3], v[6:7]
	v_pk_fma_f32 v[6:7], v[12:13], v[44:45], v[4:5] neg_lo:[0,0,1] neg_hi:[0,0,1]
	v_pk_fma_f32 v[4:5], v[12:13], v[44:45], v[4:5] op_sel_hi:[1,0,1]
	s_nop 0
	v_mov_b32_e32 v4, v47
	v_mov_b32_e32 v7, v5
	v_pk_mul_f32 v[4:5], v[14:15], v[4:5] op_sel:[1,0] op_sel_hi:[0,0]
	v_pk_add_f32 v[2:3], v[2:3], v[6:7]
	v_pk_fma_f32 v[6:7], v[14:15], v[46:47], v[4:5] neg_lo:[0,0,1] neg_hi:[0,0,1]
	v_pk_fma_f32 v[4:5], v[14:15], v[46:47], v[4:5] op_sel_hi:[1,0,1]
	s_nop 0
	v_mov_b32_e32 v7, v5
	s_waitcnt vmcnt(0) lgkmcnt(0)
	v_pk_mul_f32 v[4:5], v[16:17], v[48:49] op_sel:[1,1] op_sel_hi:[0,1]
	v_pk_add_f32 v[2:3], v[2:3], v[6:7]
	v_pk_fma_f32 v[6:7], v[16:17], v[48:49], v[4:5] neg_lo:[0,0,1] neg_hi:[0,0,1]
	v_pk_fma_f32 v[4:5], v[16:17], v[48:49], v[4:5] op_sel_hi:[1,0,1]
	s_nop 0
	v_mov_b32_e32 v4, v51
	v_mov_b32_e32 v7, v5
	v_pk_mul_f32 v[4:5], v[18:19], v[4:5] op_sel:[1,0] op_sel_hi:[0,0]
	v_pk_add_f32 v[2:3], v[2:3], v[6:7]
	v_pk_fma_f32 v[6:7], v[18:19], v[50:51], v[4:5] neg_lo:[0,0,1] neg_hi:[0,0,1]
	v_pk_fma_f32 v[4:5], v[18:19], v[50:51], v[4:5] op_sel_hi:[1,0,1]
	s_nop 0
	v_mov_b32_e32 v7, v5
	scratch_load_dwordx2 v[4:5], off, off offset:256
	v_pk_add_f32 v[2:3], v[2:3], v[6:7]
	s_waitcnt vmcnt(0)
	v_pk_add_f32 v[2:3], v[4:5], v[2:3] neg_lo:[0,1] neg_hi:[0,1]
	scratch_store_dwordx2 off, v[2:3], off offset:256
	s_and_saveexec_b64 s[0:1], vcc
	s_cbranch_execz .LBB48_245
; %bb.244:
	scratch_load_dwordx2 v[2:3], off, off offset:248
	v_mov_b32_e32 v4, 0
	v_mov_b32_e32 v5, v4
	scratch_store_dwordx2 off, v[4:5], off offset:248
	s_waitcnt vmcnt(1)
	ds_write_b64 v1, v[2:3]
.LBB48_245:
	s_or_b64 exec, exec, s[0:1]
	v_mov_b32_e32 v2, 0
	s_waitcnt lgkmcnt(0)
	; wave barrier
	ds_read_b128 v[4:7], v2 offset:656
	ds_read_b128 v[8:11], v2 offset:672
	;; [unrolled: 1-line block ×4, first 2 shown]
	scratch_load_dwordx4 v[20:23], off, off offset:256
	scratch_load_dwordx4 v[40:43], off, off offset:320
	v_cmp_lt_u32_e32 vcc, 30, v0
	s_waitcnt vmcnt(1) lgkmcnt(3)
	v_mul_f32_e32 v3, v4, v21
	v_fmac_f32_e32 v3, v5, v20
	v_mul_f32_e32 v24, v6, v23
	v_add_f32_e32 v3, 0, v3
	v_fmac_f32_e32 v24, v7, v22
	v_add_f32_e32 v3, v3, v24
	scratch_load_dwordx4 v[24:27], off, off offset:272
	s_waitcnt vmcnt(0) lgkmcnt(2)
	v_mul_f32_e32 v28, v8, v25
	v_fmac_f32_e32 v28, v9, v24
	v_add_f32_e32 v3, v3, v28
	v_mul_f32_e32 v28, v10, v27
	v_fmac_f32_e32 v28, v11, v26
	v_add_f32_e32 v3, v3, v28
	scratch_load_dwordx4 v[28:31], off, off offset:288
	s_waitcnt vmcnt(0) lgkmcnt(1)
	v_mul_f32_e32 v32, v12, v29
	v_fmac_f32_e32 v32, v13, v28
	v_add_f32_e32 v3, v3, v32
	v_mul_f32_e32 v32, v14, v31
	v_fmac_f32_e32 v32, v15, v30
	v_add_f32_e32 v3, v3, v32
	scratch_load_dwordx4 v[32:35], off, off offset:304
	s_waitcnt vmcnt(0) lgkmcnt(0)
	v_mul_f32_e32 v36, v16, v33
	v_fmac_f32_e32 v36, v17, v32
	v_add_f32_e32 v57, v3, v36
	ds_read_b128 v[36:39], v2 offset:720
	scratch_load_dwordx4 v[44:47], off, off offset:336
	scratch_load_dwordx4 v[48:51], off, off offset:352
	;; [unrolled: 1-line block ×3, first 2 shown]
	scratch_load_dwordx2 v[62:63], off, off offset:384
	v_mul_f32_e32 v3, v5, v21
	v_fma_f32 v3, v4, v20, -v3
	v_mul_f32_e32 v4, v7, v23
	v_add_f32_e32 v3, 0, v3
	v_fma_f32 v4, v6, v22, -v4
	v_add_f32_e32 v3, v3, v4
	v_mul_f32_e32 v4, v9, v25
	v_fma_f32 v4, v8, v24, -v4
	v_add_f32_e32 v3, v3, v4
	v_mul_f32_e32 v4, v11, v27
	;; [unrolled: 3-line block ×5, first 2 shown]
	v_fma_f32 v4, v16, v32, -v4
	v_mul_f32_e32 v59, v18, v35
	v_add_f32_e32 v56, v3, v4
	v_mul_f32_e32 v3, v19, v35
	v_mov_b32_e32 v20, v43
	v_fmac_f32_e32 v59, v19, v34
	s_waitcnt lgkmcnt(0)
	v_mul_f32_e32 v61, v36, v41
	v_fma_f32 v58, v18, v34, -v3
	v_mul_f32_e32 v3, v37, v41
	ds_read_b128 v[4:7], v2 offset:736
	ds_read_b128 v[8:11], v2 offset:752
	;; [unrolled: 1-line block ×3, first 2 shown]
	ds_read_b64 v[16:17], v2 offset:784
	v_pk_mul_f32 v[20:21], v[38:39], v[20:21] op_sel:[1,0] op_sel_hi:[0,0]
	v_fmac_f32_e32 v61, v37, v40
	v_fma_f32 v60, v36, v40, -v3
	v_pk_add_f32 v[18:19], v[56:57], v[58:59]
	v_pk_fma_f32 v[22:23], v[38:39], v[42:43], v[20:21] neg_lo:[0,0,1] neg_hi:[0,0,1]
	v_pk_fma_f32 v[20:21], v[38:39], v[42:43], v[20:21] op_sel_hi:[1,0,1]
	v_pk_add_f32 v[18:19], v[18:19], v[60:61]
	v_mov_b32_e32 v23, v21
	v_pk_add_f32 v[18:19], v[18:19], v[22:23]
	s_waitcnt vmcnt(3) lgkmcnt(3)
	v_pk_mul_f32 v[20:21], v[4:5], v[44:45] op_sel:[1,1] op_sel_hi:[0,1]
	v_pk_fma_f32 v[22:23], v[4:5], v[44:45], v[20:21] neg_lo:[0,0,1] neg_hi:[0,0,1]
	v_pk_fma_f32 v[4:5], v[4:5], v[44:45], v[20:21] op_sel_hi:[1,0,1]
	s_nop 0
	v_mov_b32_e32 v23, v5
	v_pk_add_f32 v[4:5], v[18:19], v[22:23]
	v_mov_b32_e32 v18, v47
	v_pk_mul_f32 v[18:19], v[6:7], v[18:19] op_sel:[1,0] op_sel_hi:[0,0]
	v_pk_fma_f32 v[20:21], v[6:7], v[46:47], v[18:19] neg_lo:[0,0,1] neg_hi:[0,0,1]
	v_pk_fma_f32 v[6:7], v[6:7], v[46:47], v[18:19] op_sel_hi:[1,0,1]
	s_nop 0
	v_mov_b32_e32 v21, v7
	s_waitcnt vmcnt(2) lgkmcnt(2)
	v_pk_mul_f32 v[6:7], v[8:9], v[48:49] op_sel:[1,1] op_sel_hi:[0,1]
	v_pk_fma_f32 v[18:19], v[8:9], v[48:49], v[6:7] neg_lo:[0,0,1] neg_hi:[0,0,1]
	v_pk_fma_f32 v[6:7], v[8:9], v[48:49], v[6:7] op_sel_hi:[1,0,1]
	v_pk_add_f32 v[4:5], v[4:5], v[20:21]
	v_mov_b32_e32 v6, v51
	v_mov_b32_e32 v19, v7
	v_pk_mul_f32 v[6:7], v[10:11], v[6:7] op_sel:[1,0] op_sel_hi:[0,0]
	v_pk_fma_f32 v[8:9], v[10:11], v[50:51], v[6:7] neg_lo:[0,0,1] neg_hi:[0,0,1]
	v_pk_fma_f32 v[6:7], v[10:11], v[50:51], v[6:7] op_sel_hi:[1,0,1]
	v_pk_add_f32 v[4:5], v[4:5], v[18:19]
	v_mov_b32_e32 v9, v7
	s_waitcnt vmcnt(1) lgkmcnt(1)
	v_pk_mul_f32 v[6:7], v[12:13], v[52:53] op_sel:[1,1] op_sel_hi:[0,1]
	v_pk_add_f32 v[4:5], v[4:5], v[8:9]
	v_pk_fma_f32 v[8:9], v[12:13], v[52:53], v[6:7] neg_lo:[0,0,1] neg_hi:[0,0,1]
	v_pk_fma_f32 v[6:7], v[12:13], v[52:53], v[6:7] op_sel_hi:[1,0,1]
	s_nop 0
	v_mov_b32_e32 v6, v55
	v_mov_b32_e32 v9, v7
	v_pk_mul_f32 v[6:7], v[14:15], v[6:7] op_sel:[1,0] op_sel_hi:[0,0]
	v_pk_add_f32 v[4:5], v[4:5], v[8:9]
	v_pk_fma_f32 v[8:9], v[14:15], v[54:55], v[6:7] neg_lo:[0,0,1] neg_hi:[0,0,1]
	v_pk_fma_f32 v[6:7], v[14:15], v[54:55], v[6:7] op_sel_hi:[1,0,1]
	s_nop 0
	v_mov_b32_e32 v9, v7
	s_waitcnt vmcnt(0) lgkmcnt(0)
	v_pk_mul_f32 v[6:7], v[16:17], v[62:63] op_sel:[1,1] op_sel_hi:[0,1]
	v_pk_add_f32 v[4:5], v[4:5], v[8:9]
	v_pk_fma_f32 v[8:9], v[16:17], v[62:63], v[6:7] neg_lo:[0,0,1] neg_hi:[0,0,1]
	v_pk_fma_f32 v[6:7], v[16:17], v[62:63], v[6:7] op_sel_hi:[1,0,1]
	s_nop 0
	v_mov_b32_e32 v9, v7
	scratch_load_dwordx2 v[6:7], off, off offset:248
	v_pk_add_f32 v[4:5], v[4:5], v[8:9]
	s_waitcnt vmcnt(0)
	v_pk_add_f32 v[4:5], v[6:7], v[4:5] neg_lo:[0,1] neg_hi:[0,1]
	scratch_store_dwordx2 off, v[4:5], off offset:248
	s_and_saveexec_b64 s[0:1], vcc
	s_cbranch_execz .LBB48_247
; %bb.246:
	scratch_load_dwordx2 v[4:5], off, off offset:240
	v_mov_b32_e32 v3, v2
	scratch_store_dwordx2 off, v[2:3], off offset:240
	s_waitcnt vmcnt(1)
	ds_write_b64 v1, v[4:5]
.LBB48_247:
	s_or_b64 exec, exec, s[0:1]
	s_waitcnt lgkmcnt(0)
	; wave barrier
	scratch_load_dwordx4 v[8:11], off, off offset:248
	scratch_load_dwordx4 v[16:19], off, off offset:264
	;; [unrolled: 1-line block ×4, first 2 shown]
	ds_read2_b64 v[4:7], v2 offset0:81 offset1:82
	scratch_load_dwordx4 v[40:43], off, off offset:312
	v_cmp_lt_u32_e32 vcc, 29, v0
	s_waitcnt vmcnt(4) lgkmcnt(0)
	v_mul_f32_e32 v3, v4, v9
	v_fmac_f32_e32 v3, v5, v8
	v_mul_f32_e32 v12, v6, v11
	v_add_f32_e32 v3, 0, v3
	v_fmac_f32_e32 v12, v7, v10
	v_add_f32_e32 v3, v3, v12
	ds_read2_b64 v[12:15], v2 offset0:83 offset1:84
	s_waitcnt vmcnt(3) lgkmcnt(0)
	v_mul_f32_e32 v20, v12, v17
	v_fmac_f32_e32 v20, v13, v16
	v_add_f32_e32 v3, v3, v20
	v_mul_f32_e32 v20, v14, v19
	v_fmac_f32_e32 v20, v15, v18
	v_add_f32_e32 v3, v3, v20
	ds_read2_b64 v[20:23], v2 offset0:85 offset1:86
	s_waitcnt vmcnt(2) lgkmcnt(0)
	v_mul_f32_e32 v28, v20, v25
	v_fmac_f32_e32 v28, v21, v24
	v_add_f32_e32 v3, v3, v28
	v_mul_f32_e32 v28, v22, v27
	;; [unrolled: 8-line block ×3, first 2 shown]
	v_fmac_f32_e32 v36, v31, v34
	v_add_f32_e32 v61, v3, v36
	ds_read2_b64 v[36:39], v2 offset0:89 offset1:90
	scratch_load_dwordx4 v[44:47], off, off offset:328
	scratch_load_dwordx4 v[48:51], off, off offset:344
	;; [unrolled: 1-line block ×4, first 2 shown]
	v_mul_f32_e32 v3, v5, v9
	v_fma_f32 v3, v4, v8, -v3
	v_mul_f32_e32 v4, v7, v11
	v_add_f32_e32 v3, 0, v3
	v_fma_f32 v4, v6, v10, -v4
	v_add_f32_e32 v3, v3, v4
	v_mul_f32_e32 v4, v13, v17
	v_fma_f32 v4, v12, v16, -v4
	v_add_f32_e32 v3, v3, v4
	v_mul_f32_e32 v4, v15, v19
	;; [unrolled: 3-line block ×6, first 2 shown]
	v_fma_f32 v4, v30, v34, -v4
	v_add_f32_e32 v60, v3, v4
	ds_read2_b64 v[4:7], v2 offset0:91 offset1:92
	ds_read2_b64 v[8:11], v2 offset0:93 offset1:94
	;; [unrolled: 1-line block ×4, first 2 shown]
	s_waitcnt vmcnt(4) lgkmcnt(4)
	v_mul_f32_e32 v63, v36, v41
	v_mul_f32_e32 v3, v37, v41
	v_fmac_f32_e32 v63, v37, v40
	v_mul_f32_e32 v65, v38, v43
	v_fma_f32 v62, v36, v40, -v3
	v_mul_f32_e32 v3, v39, v43
	v_fmac_f32_e32 v65, v39, v42
	v_fma_f32 v64, v38, v42, -v3
	v_pk_add_f32 v[2:3], v[60:61], v[62:63]
	s_waitcnt vmcnt(3) lgkmcnt(3)
	v_pk_mul_f32 v[20:21], v[4:5], v[44:45] op_sel:[1,1] op_sel_hi:[0,1]
	v_pk_fma_f32 v[22:23], v[4:5], v[44:45], v[20:21] neg_lo:[0,0,1] neg_hi:[0,0,1]
	v_pk_fma_f32 v[4:5], v[4:5], v[44:45], v[20:21] op_sel_hi:[1,0,1]
	v_pk_add_f32 v[2:3], v[2:3], v[64:65]
	v_mov_b32_e32 v4, v47
	v_mov_b32_e32 v23, v5
	v_pk_mul_f32 v[4:5], v[6:7], v[4:5] op_sel:[1,0] op_sel_hi:[0,0]
	v_pk_fma_f32 v[20:21], v[6:7], v[46:47], v[4:5] neg_lo:[0,0,1] neg_hi:[0,0,1]
	v_pk_fma_f32 v[4:5], v[6:7], v[46:47], v[4:5] op_sel_hi:[1,0,1]
	v_pk_add_f32 v[2:3], v[2:3], v[22:23]
	v_mov_b32_e32 v21, v5
	s_waitcnt vmcnt(2) lgkmcnt(2)
	v_pk_mul_f32 v[4:5], v[8:9], v[48:49] op_sel:[1,1] op_sel_hi:[0,1]
	v_pk_fma_f32 v[6:7], v[8:9], v[48:49], v[4:5] neg_lo:[0,0,1] neg_hi:[0,0,1]
	v_pk_fma_f32 v[4:5], v[8:9], v[48:49], v[4:5] op_sel_hi:[1,0,1]
	v_pk_add_f32 v[2:3], v[2:3], v[20:21]
	v_mov_b32_e32 v4, v51
	v_mov_b32_e32 v7, v5
	v_pk_mul_f32 v[4:5], v[10:11], v[4:5] op_sel:[1,0] op_sel_hi:[0,0]
	v_pk_add_f32 v[2:3], v[2:3], v[6:7]
	v_pk_fma_f32 v[6:7], v[10:11], v[50:51], v[4:5] neg_lo:[0,0,1] neg_hi:[0,0,1]
	v_pk_fma_f32 v[4:5], v[10:11], v[50:51], v[4:5] op_sel_hi:[1,0,1]
	s_nop 0
	v_mov_b32_e32 v7, v5
	s_waitcnt vmcnt(1) lgkmcnt(1)
	v_pk_mul_f32 v[4:5], v[12:13], v[52:53] op_sel:[1,1] op_sel_hi:[0,1]
	v_pk_add_f32 v[2:3], v[2:3], v[6:7]
	v_pk_fma_f32 v[6:7], v[12:13], v[52:53], v[4:5] neg_lo:[0,0,1] neg_hi:[0,0,1]
	v_pk_fma_f32 v[4:5], v[12:13], v[52:53], v[4:5] op_sel_hi:[1,0,1]
	s_nop 0
	v_mov_b32_e32 v4, v55
	v_mov_b32_e32 v7, v5
	v_pk_mul_f32 v[4:5], v[14:15], v[4:5] op_sel:[1,0] op_sel_hi:[0,0]
	v_pk_add_f32 v[2:3], v[2:3], v[6:7]
	v_pk_fma_f32 v[6:7], v[14:15], v[54:55], v[4:5] neg_lo:[0,0,1] neg_hi:[0,0,1]
	v_pk_fma_f32 v[4:5], v[14:15], v[54:55], v[4:5] op_sel_hi:[1,0,1]
	s_nop 0
	v_mov_b32_e32 v7, v5
	s_waitcnt vmcnt(0) lgkmcnt(0)
	v_pk_mul_f32 v[4:5], v[16:17], v[56:57] op_sel:[1,1] op_sel_hi:[0,1]
	v_pk_add_f32 v[2:3], v[2:3], v[6:7]
	v_pk_fma_f32 v[6:7], v[16:17], v[56:57], v[4:5] neg_lo:[0,0,1] neg_hi:[0,0,1]
	v_pk_fma_f32 v[4:5], v[16:17], v[56:57], v[4:5] op_sel_hi:[1,0,1]
	s_nop 0
	v_mov_b32_e32 v4, v59
	v_mov_b32_e32 v7, v5
	v_pk_mul_f32 v[4:5], v[18:19], v[4:5] op_sel:[1,0] op_sel_hi:[0,0]
	v_pk_add_f32 v[2:3], v[2:3], v[6:7]
	v_pk_fma_f32 v[6:7], v[18:19], v[58:59], v[4:5] neg_lo:[0,0,1] neg_hi:[0,0,1]
	v_pk_fma_f32 v[4:5], v[18:19], v[58:59], v[4:5] op_sel_hi:[1,0,1]
	s_nop 0
	v_mov_b32_e32 v7, v5
	scratch_load_dwordx2 v[4:5], off, off offset:240
	v_pk_add_f32 v[2:3], v[2:3], v[6:7]
	s_waitcnt vmcnt(0)
	v_pk_add_f32 v[2:3], v[4:5], v[2:3] neg_lo:[0,1] neg_hi:[0,1]
	scratch_store_dwordx2 off, v[2:3], off offset:240
	s_and_saveexec_b64 s[0:1], vcc
	s_cbranch_execz .LBB48_249
; %bb.248:
	scratch_load_dwordx2 v[2:3], off, off offset:232
	v_mov_b32_e32 v4, 0
	v_mov_b32_e32 v5, v4
	scratch_store_dwordx2 off, v[4:5], off offset:232
	s_waitcnt vmcnt(1)
	ds_write_b64 v1, v[2:3]
.LBB48_249:
	s_or_b64 exec, exec, s[0:1]
	v_mov_b32_e32 v2, 0
	s_waitcnt lgkmcnt(0)
	; wave barrier
	ds_read_b128 v[4:7], v2 offset:640
	ds_read_b128 v[8:11], v2 offset:656
	;; [unrolled: 1-line block ×4, first 2 shown]
	scratch_load_dwordx4 v[20:23], off, off offset:240
	scratch_load_dwordx4 v[40:43], off, off offset:304
	v_cmp_lt_u32_e32 vcc, 28, v0
	scratch_load_dwordx4 v[48:51], off, off offset:320
	s_waitcnt vmcnt(2) lgkmcnt(3)
	v_mul_f32_e32 v3, v4, v21
	v_fmac_f32_e32 v3, v5, v20
	v_mul_f32_e32 v24, v6, v23
	v_add_f32_e32 v3, 0, v3
	v_fmac_f32_e32 v24, v7, v22
	v_add_f32_e32 v3, v3, v24
	scratch_load_dwordx4 v[24:27], off, off offset:256
	s_waitcnt vmcnt(0) lgkmcnt(2)
	v_mul_f32_e32 v28, v8, v25
	v_fmac_f32_e32 v28, v9, v24
	v_add_f32_e32 v3, v3, v28
	v_mul_f32_e32 v28, v10, v27
	v_fmac_f32_e32 v28, v11, v26
	v_add_f32_e32 v3, v3, v28
	scratch_load_dwordx4 v[28:31], off, off offset:272
	s_waitcnt vmcnt(0) lgkmcnt(1)
	v_mul_f32_e32 v32, v12, v29
	v_fmac_f32_e32 v32, v13, v28
	v_add_f32_e32 v3, v3, v32
	v_mul_f32_e32 v32, v14, v31
	;; [unrolled: 8-line block ×3, first 2 shown]
	v_fmac_f32_e32 v36, v19, v34
	v_add_f32_e32 v3, v3, v36
	ds_read_b128 v[36:39], v2 offset:704
	s_waitcnt lgkmcnt(0)
	v_mul_f32_e32 v44, v36, v41
	v_fmac_f32_e32 v44, v37, v40
	v_add_f32_e32 v65, v3, v44
	ds_read_b128 v[44:47], v2 offset:720
	scratch_load_dwordx4 v[52:55], off, off offset:336
	scratch_load_dwordx4 v[56:59], off, off offset:352
	;; [unrolled: 1-line block ×3, first 2 shown]
	scratch_load_dwordx2 v[70:71], off, off offset:384
	v_mul_f32_e32 v3, v5, v21
	v_fma_f32 v3, v4, v20, -v3
	v_mul_f32_e32 v4, v7, v23
	v_add_f32_e32 v3, 0, v3
	v_fma_f32 v4, v6, v22, -v4
	v_add_f32_e32 v3, v3, v4
	v_mul_f32_e32 v4, v9, v25
	v_fma_f32 v4, v8, v24, -v4
	v_add_f32_e32 v3, v3, v4
	v_mul_f32_e32 v4, v11, v27
	;; [unrolled: 3-line block ×7, first 2 shown]
	v_fma_f32 v4, v36, v40, -v4
	v_mul_f32_e32 v67, v38, v43
	v_add_f32_e32 v64, v3, v4
	v_mul_f32_e32 v3, v39, v43
	v_mov_b32_e32 v20, v51
	v_fmac_f32_e32 v67, v39, v42
	s_waitcnt lgkmcnt(0)
	v_mul_f32_e32 v69, v44, v49
	v_fma_f32 v66, v38, v42, -v3
	v_mul_f32_e32 v3, v45, v49
	ds_read_b128 v[4:7], v2 offset:736
	ds_read_b128 v[8:11], v2 offset:752
	;; [unrolled: 1-line block ×3, first 2 shown]
	ds_read_b64 v[16:17], v2 offset:784
	v_pk_mul_f32 v[20:21], v[46:47], v[20:21] op_sel:[1,0] op_sel_hi:[0,0]
	v_fmac_f32_e32 v69, v45, v48
	v_fma_f32 v68, v44, v48, -v3
	v_pk_add_f32 v[18:19], v[64:65], v[66:67]
	v_pk_fma_f32 v[22:23], v[46:47], v[50:51], v[20:21] neg_lo:[0,0,1] neg_hi:[0,0,1]
	v_pk_fma_f32 v[20:21], v[46:47], v[50:51], v[20:21] op_sel_hi:[1,0,1]
	v_pk_add_f32 v[18:19], v[18:19], v[68:69]
	v_mov_b32_e32 v23, v21
	v_pk_add_f32 v[18:19], v[18:19], v[22:23]
	s_waitcnt vmcnt(3) lgkmcnt(3)
	v_pk_mul_f32 v[20:21], v[4:5], v[52:53] op_sel:[1,1] op_sel_hi:[0,1]
	v_pk_fma_f32 v[22:23], v[4:5], v[52:53], v[20:21] neg_lo:[0,0,1] neg_hi:[0,0,1]
	v_pk_fma_f32 v[4:5], v[4:5], v[52:53], v[20:21] op_sel_hi:[1,0,1]
	s_nop 0
	v_mov_b32_e32 v23, v5
	v_pk_add_f32 v[4:5], v[18:19], v[22:23]
	v_mov_b32_e32 v18, v55
	v_pk_mul_f32 v[18:19], v[6:7], v[18:19] op_sel:[1,0] op_sel_hi:[0,0]
	v_pk_fma_f32 v[20:21], v[6:7], v[54:55], v[18:19] neg_lo:[0,0,1] neg_hi:[0,0,1]
	v_pk_fma_f32 v[6:7], v[6:7], v[54:55], v[18:19] op_sel_hi:[1,0,1]
	s_nop 0
	v_mov_b32_e32 v21, v7
	s_waitcnt vmcnt(2) lgkmcnt(2)
	v_pk_mul_f32 v[6:7], v[8:9], v[56:57] op_sel:[1,1] op_sel_hi:[0,1]
	v_pk_fma_f32 v[18:19], v[8:9], v[56:57], v[6:7] neg_lo:[0,0,1] neg_hi:[0,0,1]
	v_pk_fma_f32 v[6:7], v[8:9], v[56:57], v[6:7] op_sel_hi:[1,0,1]
	v_pk_add_f32 v[4:5], v[4:5], v[20:21]
	v_mov_b32_e32 v6, v59
	v_mov_b32_e32 v19, v7
	v_pk_mul_f32 v[6:7], v[10:11], v[6:7] op_sel:[1,0] op_sel_hi:[0,0]
	v_pk_fma_f32 v[8:9], v[10:11], v[58:59], v[6:7] neg_lo:[0,0,1] neg_hi:[0,0,1]
	v_pk_fma_f32 v[6:7], v[10:11], v[58:59], v[6:7] op_sel_hi:[1,0,1]
	v_pk_add_f32 v[4:5], v[4:5], v[18:19]
	v_mov_b32_e32 v9, v7
	s_waitcnt vmcnt(1) lgkmcnt(1)
	v_pk_mul_f32 v[6:7], v[12:13], v[60:61] op_sel:[1,1] op_sel_hi:[0,1]
	v_pk_add_f32 v[4:5], v[4:5], v[8:9]
	v_pk_fma_f32 v[8:9], v[12:13], v[60:61], v[6:7] neg_lo:[0,0,1] neg_hi:[0,0,1]
	v_pk_fma_f32 v[6:7], v[12:13], v[60:61], v[6:7] op_sel_hi:[1,0,1]
	s_nop 0
	v_mov_b32_e32 v6, v63
	v_mov_b32_e32 v9, v7
	v_pk_mul_f32 v[6:7], v[14:15], v[6:7] op_sel:[1,0] op_sel_hi:[0,0]
	v_pk_add_f32 v[4:5], v[4:5], v[8:9]
	v_pk_fma_f32 v[8:9], v[14:15], v[62:63], v[6:7] neg_lo:[0,0,1] neg_hi:[0,0,1]
	v_pk_fma_f32 v[6:7], v[14:15], v[62:63], v[6:7] op_sel_hi:[1,0,1]
	s_nop 0
	v_mov_b32_e32 v9, v7
	s_waitcnt vmcnt(0) lgkmcnt(0)
	v_pk_mul_f32 v[6:7], v[16:17], v[70:71] op_sel:[1,1] op_sel_hi:[0,1]
	v_pk_add_f32 v[4:5], v[4:5], v[8:9]
	v_pk_fma_f32 v[8:9], v[16:17], v[70:71], v[6:7] neg_lo:[0,0,1] neg_hi:[0,0,1]
	v_pk_fma_f32 v[6:7], v[16:17], v[70:71], v[6:7] op_sel_hi:[1,0,1]
	s_nop 0
	v_mov_b32_e32 v9, v7
	scratch_load_dwordx2 v[6:7], off, off offset:232
	v_pk_add_f32 v[4:5], v[4:5], v[8:9]
	s_waitcnt vmcnt(0)
	v_pk_add_f32 v[4:5], v[6:7], v[4:5] neg_lo:[0,1] neg_hi:[0,1]
	scratch_store_dwordx2 off, v[4:5], off offset:232
	s_and_saveexec_b64 s[0:1], vcc
	s_cbranch_execz .LBB48_251
; %bb.250:
	scratch_load_dwordx2 v[4:5], off, off offset:224
	v_mov_b32_e32 v3, v2
	scratch_store_dwordx2 off, v[2:3], off offset:224
	s_waitcnt vmcnt(1)
	ds_write_b64 v1, v[4:5]
.LBB48_251:
	s_or_b64 exec, exec, s[0:1]
	s_waitcnt lgkmcnt(0)
	; wave barrier
	scratch_load_dwordx4 v[4:7], off, off offset:232
	scratch_load_dwordx4 v[8:11], off, off offset:248
	;; [unrolled: 1-line block ×7, first 2 shown]
	ds_read2_b64 v[32:35], v2 offset0:79 offset1:80
	ds_read2_b64 v[36:39], v2 offset0:81 offset1:82
	;; [unrolled: 1-line block ×6, first 2 shown]
	scratch_load_dwordx4 v[56:59], off, off offset:344
	scratch_load_dwordx4 v[60:63], off, off offset:360
	;; [unrolled: 1-line block ×3, first 2 shown]
	ds_read2_b64 v[68:71], v2 offset0:91 offset1:92
	ds_read2_b64 v[72:75], v2 offset0:93 offset1:94
	;; [unrolled: 1-line block ×4, first 2 shown]
	scratch_load_dwordx2 v[2:3], off, off offset:224
	v_cmp_lt_u32_e32 vcc, 27, v0
	s_waitcnt vmcnt(10) lgkmcnt(9)
	v_mul_f32_e32 v90, v32, v5
	v_mul_f32_e32 v5, v33, v5
	;; [unrolled: 1-line block ×3, first 2 shown]
	s_waitcnt vmcnt(9) lgkmcnt(8)
	v_mul_f32_e32 v92, v36, v9
	s_waitcnt vmcnt(8) lgkmcnt(7)
	v_mul_f32_e32 v95, v42, v15
	v_mul_f32_e32 v7, v35, v7
	v_mul_f32_e32 v9, v37, v9
	v_mul_f32_e32 v15, v43, v15
	v_fmac_f32_e32 v90, v33, v4
	v_fma_f32 v4, v32, v4, -v5
	v_fmac_f32_e32 v91, v35, v6
	v_fmac_f32_e32 v95, v43, v14
	v_fma_f32 v5, v34, v6, -v7
	v_fma_f32 v6, v36, v8, -v9
	;; [unrolled: 1-line block ×3, first 2 shown]
	v_add_f32_e32 v14, 0, v90
	v_add_f32_e32 v4, 0, v4
	v_mul_f32_e32 v93, v38, v11
	v_mul_f32_e32 v11, v39, v11
	v_fmac_f32_e32 v92, v37, v8
	v_add_f32_e32 v14, v14, v91
	v_add_f32_e32 v4, v4, v5
	v_mul_f32_e32 v94, v40, v13
	v_mul_f32_e32 v13, v41, v13
	v_fmac_f32_e32 v93, v39, v10
	v_fma_f32 v7, v38, v10, -v11
	v_add_f32_e32 v5, v14, v92
	v_add_f32_e32 v4, v4, v6
	v_fmac_f32_e32 v94, v41, v12
	v_fma_f32 v8, v40, v12, -v13
	v_add_f32_e32 v5, v5, v93
	v_add_f32_e32 v4, v4, v7
	s_waitcnt vmcnt(7) lgkmcnt(6)
	v_mul_f32_e32 v96, v44, v17
	v_mul_f32_e32 v17, v45, v17
	v_add_f32_e32 v5, v5, v94
	v_add_f32_e32 v4, v4, v8
	v_mul_f32_e32 v97, v46, v19
	v_mul_f32_e32 v19, v47, v19
	v_fmac_f32_e32 v96, v45, v16
	v_fma_f32 v10, v44, v16, -v17
	v_add_f32_e32 v5, v5, v95
	v_add_f32_e32 v4, v4, v9
	s_waitcnt vmcnt(6) lgkmcnt(5)
	v_mul_f32_e32 v98, v48, v21
	v_mul_f32_e32 v21, v49, v21
	v_fmac_f32_e32 v97, v47, v18
	v_fma_f32 v11, v46, v18, -v19
	v_add_f32_e32 v5, v5, v96
	v_add_f32_e32 v4, v4, v10
	v_mul_f32_e32 v99, v50, v23
	v_mul_f32_e32 v23, v51, v23
	v_fmac_f32_e32 v98, v49, v20
	v_fma_f32 v12, v48, v20, -v21
	v_add_f32_e32 v5, v5, v97
	v_add_f32_e32 v4, v4, v11
	s_waitcnt vmcnt(5) lgkmcnt(4)
	v_mul_f32_e32 v85, v52, v25
	v_mul_f32_e32 v25, v53, v25
	v_fmac_f32_e32 v99, v51, v22
	v_fma_f32 v13, v50, v22, -v23
	v_add_f32_e32 v5, v5, v98
	v_add_f32_e32 v4, v4, v12
	v_mul_f32_e32 v87, v54, v27
	v_mul_f32_e32 v27, v55, v27
	s_waitcnt vmcnt(4) lgkmcnt(3)
	v_pk_mul_f32 v[88:89], v[68:69], v[28:29] op_sel:[1,1] op_sel_hi:[0,1]
	v_fmac_f32_e32 v85, v53, v24
	v_fma_f32 v84, v52, v24, -v25
	v_add_f32_e32 v5, v5, v99
	v_add_f32_e32 v4, v4, v13
	v_fmac_f32_e32 v87, v55, v26
	v_fma_f32 v86, v54, v26, -v27
	v_pk_add_f32 v[4:5], v[4:5], v[84:85]
	v_pk_fma_f32 v[6:7], v[68:69], v[28:29], v[88:89] neg_lo:[0,0,1] neg_hi:[0,0,1]
	v_pk_fma_f32 v[8:9], v[68:69], v[28:29], v[88:89] op_sel_hi:[1,0,1]
	v_pk_add_f32 v[4:5], v[4:5], v[86:87]
	v_mov_b32_e32 v7, v9
	v_pk_add_f32 v[4:5], v[4:5], v[6:7]
	v_mov_b32_e32 v6, v31
	v_pk_mul_f32 v[6:7], v[70:71], v[6:7] op_sel:[1,0] op_sel_hi:[0,0]
	v_pk_fma_f32 v[8:9], v[70:71], v[30:31], v[6:7] neg_lo:[0,0,1] neg_hi:[0,0,1]
	v_pk_fma_f32 v[6:7], v[70:71], v[30:31], v[6:7] op_sel_hi:[1,0,1]
	s_nop 0
	v_mov_b32_e32 v9, v7
	s_waitcnt vmcnt(3) lgkmcnt(2)
	v_pk_mul_f32 v[6:7], v[72:73], v[56:57] op_sel:[1,1] op_sel_hi:[0,1]
	v_pk_add_f32 v[4:5], v[4:5], v[8:9]
	v_pk_fma_f32 v[8:9], v[72:73], v[56:57], v[6:7] neg_lo:[0,0,1] neg_hi:[0,0,1]
	v_pk_fma_f32 v[6:7], v[72:73], v[56:57], v[6:7] op_sel_hi:[1,0,1]
	s_nop 0
	v_mov_b32_e32 v6, v59
	v_mov_b32_e32 v9, v7
	v_pk_mul_f32 v[6:7], v[74:75], v[6:7] op_sel:[1,0] op_sel_hi:[0,0]
	v_pk_add_f32 v[4:5], v[4:5], v[8:9]
	v_pk_fma_f32 v[8:9], v[74:75], v[58:59], v[6:7] neg_lo:[0,0,1] neg_hi:[0,0,1]
	v_pk_fma_f32 v[6:7], v[74:75], v[58:59], v[6:7] op_sel_hi:[1,0,1]
	s_nop 0
	v_mov_b32_e32 v9, v7
	s_waitcnt vmcnt(2) lgkmcnt(1)
	v_pk_mul_f32 v[6:7], v[76:77], v[60:61] op_sel:[1,1] op_sel_hi:[0,1]
	v_pk_add_f32 v[4:5], v[4:5], v[8:9]
	v_pk_fma_f32 v[8:9], v[76:77], v[60:61], v[6:7] neg_lo:[0,0,1] neg_hi:[0,0,1]
	v_pk_fma_f32 v[6:7], v[76:77], v[60:61], v[6:7] op_sel_hi:[1,0,1]
	s_nop 0
	v_mov_b32_e32 v6, v63
	v_mov_b32_e32 v9, v7
	v_pk_mul_f32 v[6:7], v[78:79], v[6:7] op_sel:[1,0] op_sel_hi:[0,0]
	v_pk_add_f32 v[4:5], v[4:5], v[8:9]
	;; [unrolled: 14-line block ×3, first 2 shown]
	v_pk_fma_f32 v[8:9], v[82:83], v[66:67], v[6:7] neg_lo:[0,0,1] neg_hi:[0,0,1]
	v_pk_fma_f32 v[6:7], v[82:83], v[66:67], v[6:7] op_sel_hi:[1,0,1]
	s_nop 0
	v_mov_b32_e32 v9, v7
	v_pk_add_f32 v[4:5], v[4:5], v[8:9]
	s_waitcnt vmcnt(0)
	v_pk_add_f32 v[2:3], v[2:3], v[4:5] neg_lo:[0,1] neg_hi:[0,1]
	scratch_store_dwordx2 off, v[2:3], off offset:224
	s_and_saveexec_b64 s[0:1], vcc
	s_cbranch_execz .LBB48_253
; %bb.252:
	scratch_load_dwordx2 v[2:3], off, off offset:216
	v_mov_b32_e32 v4, 0
	v_mov_b32_e32 v5, v4
	scratch_store_dwordx2 off, v[4:5], off offset:216
	s_waitcnt vmcnt(1)
	ds_write_b64 v1, v[2:3]
.LBB48_253:
	s_or_b64 exec, exec, s[0:1]
	s_waitcnt lgkmcnt(0)
	; wave barrier
	scratch_load_dwordx4 v[2:5], off, off offset:224
	scratch_load_dwordx4 v[6:9], off, off offset:240
	;; [unrolled: 1-line block ×10, first 2 shown]
	scratch_load_dwordx2 v[76:77], off, off offset:384
	scratch_load_dwordx2 v[78:79], off, off offset:216
	v_mov_b32_e32 v10, 0
	ds_read_b128 v[44:47], v10 offset:624
	ds_read_b128 v[48:51], v10 offset:640
	;; [unrolled: 1-line block ×8, first 2 shown]
	v_cmp_lt_u32_e32 vcc, 26, v0
	s_waitcnt vmcnt(11) lgkmcnt(7)
	v_mul_f32_e32 v11, v44, v3
	v_mul_f32_e32 v3, v45, v3
	;; [unrolled: 1-line block ×4, first 2 shown]
	v_fmac_f32_e32 v11, v45, v2
	v_fma_f32 v2, v44, v2, -v3
	s_waitcnt vmcnt(10) lgkmcnt(6)
	v_mul_f32_e32 v82, v48, v7
	v_mul_f32_e32 v7, v49, v7
	v_fma_f32 v3, v46, v4, -v5
	v_add_f32_e32 v2, 0, v2
	v_mul_f32_e32 v84, v50, v9
	v_mul_f32_e32 v9, v51, v9
	v_fmac_f32_e32 v80, v47, v4
	v_fma_f32 v4, v48, v6, -v7
	v_add_f32_e32 v11, 0, v11
	v_add_f32_e32 v2, v2, v3
	s_waitcnt vmcnt(9) lgkmcnt(5)
	v_mul_f32_e32 v85, v52, v13
	v_mul_f32_e32 v13, v53, v13
	v_fmac_f32_e32 v82, v49, v6
	v_fma_f32 v5, v50, v8, -v9
	v_add_f32_e32 v11, v11, v80
	v_add_f32_e32 v2, v2, v4
	v_mul_f32_e32 v86, v54, v15
	v_mul_f32_e32 v15, v55, v15
	v_fmac_f32_e32 v84, v51, v8
	v_fma_f32 v6, v52, v12, -v13
	v_add_f32_e32 v3, v11, v82
	v_add_f32_e32 v2, v2, v5
	s_waitcnt vmcnt(8) lgkmcnt(4)
	v_mul_f32_e32 v87, v56, v17
	v_mul_f32_e32 v17, v57, v17
	v_fmac_f32_e32 v85, v53, v12
	v_fma_f32 v7, v54, v14, -v15
	v_add_f32_e32 v3, v3, v84
	v_add_f32_e32 v2, v2, v6
	v_mul_f32_e32 v88, v58, v19
	v_mul_f32_e32 v19, v59, v19
	v_fmac_f32_e32 v86, v55, v14
	v_fma_f32 v8, v56, v16, -v17
	v_add_f32_e32 v3, v3, v85
	v_add_f32_e32 v2, v2, v7
	s_waitcnt vmcnt(7) lgkmcnt(3)
	v_mul_f32_e32 v89, v60, v21
	v_mul_f32_e32 v21, v61, v21
	v_fmac_f32_e32 v87, v57, v16
	v_fma_f32 v9, v58, v18, -v19
	v_add_f32_e32 v3, v3, v86
	v_add_f32_e32 v2, v2, v8
	v_mul_f32_e32 v90, v62, v23
	v_mul_f32_e32 v23, v63, v23
	v_fmac_f32_e32 v88, v59, v18
	v_fma_f32 v12, v60, v20, -v21
	v_add_f32_e32 v3, v3, v87
	v_add_f32_e32 v2, v2, v9
	s_waitcnt vmcnt(6) lgkmcnt(2)
	v_mul_f32_e32 v91, v64, v25
	v_mul_f32_e32 v25, v65, v25
	v_fmac_f32_e32 v89, v61, v20
	v_fma_f32 v13, v62, v22, -v23
	v_add_f32_e32 v3, v3, v88
	v_add_f32_e32 v2, v2, v12
	v_fmac_f32_e32 v90, v63, v22
	v_fma_f32 v14, v64, v24, -v25
	v_add_f32_e32 v3, v3, v89
	v_add_f32_e32 v2, v2, v13
	v_mul_f32_e32 v81, v66, v27
	v_fmac_f32_e32 v91, v65, v24
	v_add_f32_e32 v3, v3, v90
	v_add_f32_e32 v12, v2, v14
	v_mul_f32_e32 v2, v67, v27
	s_waitcnt vmcnt(5)
	v_mov_b32_e32 v16, v31
	s_waitcnt lgkmcnt(1)
	v_mul_f32_e32 v83, v68, v29
	v_fmac_f32_e32 v81, v67, v26
	v_add_f32_e32 v13, v3, v91
	v_fma_f32 v80, v66, v26, -v2
	v_mul_f32_e32 v2, v69, v29
	v_pk_mul_f32 v[16:17], v[70:71], v[16:17] op_sel:[1,0] op_sel_hi:[0,0]
	v_fmac_f32_e32 v83, v69, v28
	v_fma_f32 v82, v68, v28, -v2
	v_pk_add_f32 v[12:13], v[12:13], v[80:81]
	v_pk_fma_f32 v[18:19], v[70:71], v[30:31], v[16:17] neg_lo:[0,0,1] neg_hi:[0,0,1]
	v_pk_fma_f32 v[16:17], v[70:71], v[30:31], v[16:17] op_sel_hi:[1,0,1]
	v_pk_add_f32 v[12:13], v[12:13], v[82:83]
	v_mov_b32_e32 v19, v17
	s_waitcnt vmcnt(4) lgkmcnt(0)
	v_pk_mul_f32 v[16:17], v[72:73], v[32:33] op_sel:[1,1] op_sel_hi:[0,1]
	v_pk_add_f32 v[12:13], v[12:13], v[18:19]
	v_pk_fma_f32 v[18:19], v[72:73], v[32:33], v[16:17] neg_lo:[0,0,1] neg_hi:[0,0,1]
	v_pk_fma_f32 v[16:17], v[72:73], v[32:33], v[16:17] op_sel_hi:[1,0,1]
	ds_read_b128 v[2:5], v10 offset:752
	ds_read_b128 v[6:9], v10 offset:768
	ds_read_b64 v[14:15], v10 offset:784
	v_mov_b32_e32 v16, v35
	v_mov_b32_e32 v19, v17
	v_pk_mul_f32 v[16:17], v[74:75], v[16:17] op_sel:[1,0] op_sel_hi:[0,0]
	v_pk_add_f32 v[12:13], v[12:13], v[18:19]
	v_pk_fma_f32 v[18:19], v[74:75], v[34:35], v[16:17] neg_lo:[0,0,1] neg_hi:[0,0,1]
	v_pk_fma_f32 v[16:17], v[74:75], v[34:35], v[16:17] op_sel_hi:[1,0,1]
	s_nop 0
	v_mov_b32_e32 v19, v17
	s_waitcnt vmcnt(3) lgkmcnt(2)
	v_pk_mul_f32 v[16:17], v[2:3], v[36:37] op_sel:[1,1] op_sel_hi:[0,1]
	v_pk_add_f32 v[12:13], v[12:13], v[18:19]
	v_pk_fma_f32 v[18:19], v[2:3], v[36:37], v[16:17] neg_lo:[0,0,1] neg_hi:[0,0,1]
	v_pk_fma_f32 v[2:3], v[2:3], v[36:37], v[16:17] op_sel_hi:[1,0,1]
	s_nop 0
	v_mov_b32_e32 v19, v3
	v_pk_add_f32 v[2:3], v[12:13], v[18:19]
	v_mov_b32_e32 v12, v39
	v_pk_mul_f32 v[12:13], v[4:5], v[12:13] op_sel:[1,0] op_sel_hi:[0,0]
	v_pk_fma_f32 v[16:17], v[4:5], v[38:39], v[12:13] neg_lo:[0,0,1] neg_hi:[0,0,1]
	v_pk_fma_f32 v[4:5], v[4:5], v[38:39], v[12:13] op_sel_hi:[1,0,1]
	s_nop 0
	v_mov_b32_e32 v17, v5
	s_waitcnt vmcnt(2) lgkmcnt(1)
	v_pk_mul_f32 v[4:5], v[6:7], v[40:41] op_sel:[1,1] op_sel_hi:[0,1]
	v_pk_fma_f32 v[12:13], v[6:7], v[40:41], v[4:5] neg_lo:[0,0,1] neg_hi:[0,0,1]
	v_pk_fma_f32 v[4:5], v[6:7], v[40:41], v[4:5] op_sel_hi:[1,0,1]
	v_pk_add_f32 v[2:3], v[2:3], v[16:17]
	v_mov_b32_e32 v4, v43
	v_mov_b32_e32 v13, v5
	v_pk_mul_f32 v[4:5], v[8:9], v[4:5] op_sel:[1,0] op_sel_hi:[0,0]
	v_pk_fma_f32 v[6:7], v[8:9], v[42:43], v[4:5] neg_lo:[0,0,1] neg_hi:[0,0,1]
	v_pk_fma_f32 v[4:5], v[8:9], v[42:43], v[4:5] op_sel_hi:[1,0,1]
	v_pk_add_f32 v[2:3], v[2:3], v[12:13]
	v_mov_b32_e32 v7, v5
	s_waitcnt vmcnt(1) lgkmcnt(0)
	v_pk_mul_f32 v[4:5], v[14:15], v[76:77] op_sel:[1,1] op_sel_hi:[0,1]
	v_pk_add_f32 v[2:3], v[2:3], v[6:7]
	v_pk_fma_f32 v[6:7], v[14:15], v[76:77], v[4:5] neg_lo:[0,0,1] neg_hi:[0,0,1]
	v_pk_fma_f32 v[4:5], v[14:15], v[76:77], v[4:5] op_sel_hi:[1,0,1]
	s_nop 0
	v_mov_b32_e32 v7, v5
	v_pk_add_f32 v[2:3], v[2:3], v[6:7]
	s_waitcnt vmcnt(0)
	v_pk_add_f32 v[2:3], v[78:79], v[2:3] neg_lo:[0,1] neg_hi:[0,1]
	scratch_store_dwordx2 off, v[2:3], off offset:216
	s_and_saveexec_b64 s[0:1], vcc
	s_cbranch_execz .LBB48_255
; %bb.254:
	scratch_load_dwordx2 v[2:3], off, off offset:208
	v_mov_b32_e32 v11, v10
	scratch_store_dwordx2 off, v[10:11], off offset:208
	s_waitcnt vmcnt(1)
	ds_write_b64 v1, v[2:3]
.LBB48_255:
	s_or_b64 exec, exec, s[0:1]
	s_waitcnt lgkmcnt(0)
	; wave barrier
	scratch_load_dwordx4 v[6:9], off, off offset:216
	scratch_load_dwordx4 v[12:15], off, off offset:232
	;; [unrolled: 1-line block ×7, first 2 shown]
	ds_read2_b64 v[36:39], v10 offset0:77 offset1:78
	ds_read2_b64 v[40:43], v10 offset0:79 offset1:80
	;; [unrolled: 1-line block ×6, first 2 shown]
	scratch_load_dwordx4 v[60:63], off, off offset:328
	scratch_load_dwordx4 v[64:67], off, off offset:344
	;; [unrolled: 1-line block ×4, first 2 shown]
	ds_read2_b64 v[72:75], v10 offset0:89 offset1:90
	ds_read2_b64 v[76:79], v10 offset0:91 offset1:92
	scratch_load_dwordx2 v[80:81], off, off offset:208
	v_cmp_lt_u32_e32 vcc, 25, v0
	s_waitcnt vmcnt(11) lgkmcnt(7)
	v_mul_f32_e32 v11, v36, v7
	v_mul_f32_e32 v82, v38, v9
	v_mul_f32_e32 v7, v37, v7
	v_fmac_f32_e32 v11, v37, v6
	s_waitcnt vmcnt(10) lgkmcnt(6)
	v_mul_f32_e32 v84, v40, v13
	v_mul_f32_e32 v9, v39, v9
	v_fmac_f32_e32 v82, v39, v8
	v_fma_f32 v6, v36, v6, -v7
	v_add_f32_e32 v11, 0, v11
	v_mul_f32_e32 v86, v42, v15
	v_fmac_f32_e32 v84, v41, v12
	v_fma_f32 v7, v38, v8, -v9
	v_add_f32_e32 v6, 0, v6
	v_add_f32_e32 v11, v11, v82
	s_waitcnt vmcnt(9) lgkmcnt(5)
	v_mul_f32_e32 v87, v44, v17
	v_mul_f32_e32 v13, v41, v13
	v_fmac_f32_e32 v86, v43, v14
	v_add_f32_e32 v6, v6, v7
	v_add_f32_e32 v7, v11, v84
	v_mul_f32_e32 v88, v46, v19
	v_mul_f32_e32 v15, v43, v15
	v_fmac_f32_e32 v87, v45, v16
	v_fma_f32 v8, v40, v12, -v13
	v_add_f32_e32 v7, v7, v86
	s_waitcnt vmcnt(8) lgkmcnt(4)
	v_mul_f32_e32 v89, v48, v21
	v_mul_f32_e32 v17, v45, v17
	v_fmac_f32_e32 v88, v47, v18
	v_fma_f32 v9, v42, v14, -v15
	v_add_f32_e32 v6, v6, v8
	v_add_f32_e32 v7, v7, v87
	v_mul_f32_e32 v90, v50, v23
	v_mul_f32_e32 v19, v47, v19
	v_fmac_f32_e32 v89, v49, v20
	v_fma_f32 v12, v44, v16, -v17
	v_add_f32_e32 v6, v6, v9
	v_add_f32_e32 v7, v7, v88
	s_waitcnt vmcnt(7) lgkmcnt(3)
	v_mul_f32_e32 v91, v52, v25
	v_mul_f32_e32 v21, v49, v21
	v_fmac_f32_e32 v90, v51, v22
	v_fma_f32 v13, v46, v18, -v19
	v_add_f32_e32 v6, v6, v12
	v_add_f32_e32 v7, v7, v89
	v_mul_f32_e32 v92, v54, v27
	v_mul_f32_e32 v23, v51, v23
	v_fmac_f32_e32 v91, v53, v24
	v_fma_f32 v14, v48, v20, -v21
	v_add_f32_e32 v6, v6, v13
	;; [unrolled: 13-line block ×3, first 2 shown]
	v_add_f32_e32 v7, v7, v92
	v_mul_f32_e32 v29, v57, v29
	v_fmac_f32_e32 v94, v59, v30
	v_fma_f32 v17, v54, v26, -v27
	v_add_f32_e32 v6, v6, v16
	v_add_f32_e32 v7, v7, v93
	v_fma_f32 v18, v56, v28, -v29
	v_add_f32_e32 v6, v6, v17
	v_add_f32_e32 v21, v7, v94
	v_mul_f32_e32 v7, v59, v31
	v_add_f32_e32 v6, v6, v18
	v_fma_f32 v7, v58, v30, -v7
	s_waitcnt vmcnt(5) lgkmcnt(1)
	v_mul_f32_e32 v83, v72, v33
	v_add_f32_e32 v20, v6, v7
	v_mul_f32_e32 v6, v73, v33
	v_fmac_f32_e32 v83, v73, v32
	v_fma_f32 v82, v72, v32, -v6
	v_mul_f32_e32 v6, v75, v35
	v_fma_f32 v84, v74, v34, -v6
	ds_read2_b64 v[6:9], v10 offset0:93 offset1:94
	ds_read2_b64 v[12:15], v10 offset0:95 offset1:96
	;; [unrolled: 1-line block ×3, first 2 shown]
	v_pk_add_f32 v[10:11], v[20:21], v[82:83]
	s_waitcnt vmcnt(4) lgkmcnt(3)
	v_pk_mul_f32 v[20:21], v[76:77], v[60:61] op_sel:[1,1] op_sel_hi:[0,1]
	v_mul_f32_e32 v85, v74, v35
	v_pk_fma_f32 v[22:23], v[76:77], v[60:61], v[20:21] neg_lo:[0,0,1] neg_hi:[0,0,1]
	v_pk_fma_f32 v[20:21], v[76:77], v[60:61], v[20:21] op_sel_hi:[1,0,1]
	v_fmac_f32_e32 v85, v75, v34
	v_mov_b32_e32 v20, v63
	v_pk_add_f32 v[10:11], v[10:11], v[84:85]
	v_mov_b32_e32 v23, v21
	v_pk_mul_f32 v[20:21], v[78:79], v[20:21] op_sel:[1,0] op_sel_hi:[0,0]
	v_pk_add_f32 v[10:11], v[10:11], v[22:23]
	v_pk_fma_f32 v[22:23], v[78:79], v[62:63], v[20:21] neg_lo:[0,0,1] neg_hi:[0,0,1]
	v_pk_fma_f32 v[20:21], v[78:79], v[62:63], v[20:21] op_sel_hi:[1,0,1]
	s_nop 0
	v_mov_b32_e32 v23, v21
	s_waitcnt vmcnt(3) lgkmcnt(2)
	v_pk_mul_f32 v[20:21], v[6:7], v[64:65] op_sel:[1,1] op_sel_hi:[0,1]
	v_pk_add_f32 v[10:11], v[10:11], v[22:23]
	v_pk_fma_f32 v[22:23], v[6:7], v[64:65], v[20:21] neg_lo:[0,0,1] neg_hi:[0,0,1]
	v_pk_fma_f32 v[6:7], v[6:7], v[64:65], v[20:21] op_sel_hi:[1,0,1]
	s_nop 0
	v_mov_b32_e32 v23, v7
	v_pk_add_f32 v[6:7], v[10:11], v[22:23]
	v_mov_b32_e32 v10, v67
	v_pk_mul_f32 v[10:11], v[8:9], v[10:11] op_sel:[1,0] op_sel_hi:[0,0]
	v_pk_fma_f32 v[20:21], v[8:9], v[66:67], v[10:11] neg_lo:[0,0,1] neg_hi:[0,0,1]
	v_pk_fma_f32 v[8:9], v[8:9], v[66:67], v[10:11] op_sel_hi:[1,0,1]
	s_nop 0
	v_mov_b32_e32 v21, v9
	s_waitcnt vmcnt(2) lgkmcnt(1)
	v_pk_mul_f32 v[8:9], v[12:13], v[68:69] op_sel:[1,1] op_sel_hi:[0,1]
	v_pk_fma_f32 v[10:11], v[12:13], v[68:69], v[8:9] neg_lo:[0,0,1] neg_hi:[0,0,1]
	v_pk_fma_f32 v[8:9], v[12:13], v[68:69], v[8:9] op_sel_hi:[1,0,1]
	v_pk_add_f32 v[6:7], v[6:7], v[20:21]
	v_mov_b32_e32 v8, v71
	v_mov_b32_e32 v11, v9
	v_pk_mul_f32 v[8:9], v[14:15], v[8:9] op_sel:[1,0] op_sel_hi:[0,0]
	v_pk_add_f32 v[6:7], v[6:7], v[10:11]
	v_pk_fma_f32 v[10:11], v[14:15], v[70:71], v[8:9] neg_lo:[0,0,1] neg_hi:[0,0,1]
	v_pk_fma_f32 v[8:9], v[14:15], v[70:71], v[8:9] op_sel_hi:[1,0,1]
	s_nop 0
	v_mov_b32_e32 v11, v9
	s_waitcnt vmcnt(1) lgkmcnt(0)
	v_pk_mul_f32 v[8:9], v[16:17], v[2:3] op_sel:[1,1] op_sel_hi:[0,1]
	v_pk_add_f32 v[6:7], v[6:7], v[10:11]
	v_pk_fma_f32 v[10:11], v[16:17], v[2:3], v[8:9] neg_lo:[0,0,1] neg_hi:[0,0,1]
	v_pk_fma_f32 v[2:3], v[16:17], v[2:3], v[8:9] op_sel_hi:[1,0,1]
	s_nop 0
	v_mov_b32_e32 v11, v3
	v_pk_add_f32 v[2:3], v[6:7], v[10:11]
	v_mov_b32_e32 v6, v5
	v_pk_mul_f32 v[6:7], v[18:19], v[6:7] op_sel:[1,0] op_sel_hi:[0,0]
	v_pk_fma_f32 v[8:9], v[18:19], v[4:5], v[6:7] neg_lo:[0,0,1] neg_hi:[0,0,1]
	v_pk_fma_f32 v[4:5], v[18:19], v[4:5], v[6:7] op_sel_hi:[1,0,1]
	s_nop 0
	v_mov_b32_e32 v9, v5
	v_pk_add_f32 v[2:3], v[2:3], v[8:9]
	s_waitcnt vmcnt(0)
	v_pk_add_f32 v[2:3], v[80:81], v[2:3] neg_lo:[0,1] neg_hi:[0,1]
	scratch_store_dwordx2 off, v[2:3], off offset:208
	s_and_saveexec_b64 s[0:1], vcc
	s_cbranch_execz .LBB48_257
; %bb.256:
	scratch_load_dwordx2 v[2:3], off, off offset:200
	v_mov_b32_e32 v4, 0
	v_mov_b32_e32 v5, v4
	scratch_store_dwordx2 off, v[4:5], off offset:200
	s_waitcnt vmcnt(1)
	ds_write_b64 v1, v[2:3]
.LBB48_257:
	s_or_b64 exec, exec, s[0:1]
	s_waitcnt lgkmcnt(0)
	; wave barrier
	scratch_load_dwordx4 v[6:9], off, off offset:208
	scratch_load_dwordx4 v[14:17], off, off offset:224
	;; [unrolled: 1-line block ×11, first 2 shown]
	scratch_load_dwordx2 v[22:23], off, off offset:384
	scratch_load_dwordx2 v[36:37], off, off offset:200
	v_mov_b32_e32 v38, 0
	ds_read_b128 v[52:55], v38 offset:608
	ds_read_b128 v[56:59], v38 offset:624
	;; [unrolled: 1-line block ×8, first 2 shown]
	v_cmp_lt_u32_e32 vcc, 24, v0
	s_waitcnt vmcnt(12) lgkmcnt(7)
	v_mul_f32_e32 v39, v52, v7
	v_mul_f32_e32 v84, v54, v9
	;; [unrolled: 1-line block ×3, first 2 shown]
	v_fmac_f32_e32 v39, v53, v6
	s_waitcnt vmcnt(8) lgkmcnt(3)
	v_mul_f32_e32 v93, v68, v19
	v_mul_f32_e32 v19, v69, v19
	v_mul_f32_e32 v86, v56, v15
	v_mul_f32_e32 v9, v55, v9
	v_fmac_f32_e32 v84, v55, v8
	v_fmac_f32_e32 v93, v69, v18
	v_fma_f32 v6, v52, v6, -v7
	v_fma_f32 v18, v68, v18, -v19
	v_add_f32_e32 v19, 0, v39
	v_mul_f32_e32 v88, v58, v17
	v_fmac_f32_e32 v86, v57, v14
	v_fma_f32 v7, v54, v8, -v9
	v_add_f32_e32 v6, 0, v6
	v_add_f32_e32 v19, v19, v84
	v_mul_f32_e32 v89, v60, v25
	v_fmac_f32_e32 v88, v59, v16
	v_add_f32_e32 v6, v6, v7
	v_add_f32_e32 v7, v19, v86
	v_mul_f32_e32 v90, v62, v27
	v_fmac_f32_e32 v89, v61, v24
	v_add_f32_e32 v7, v7, v88
	v_mul_f32_e32 v91, v64, v29
	v_mul_f32_e32 v15, v57, v15
	v_fmac_f32_e32 v90, v63, v26
	v_add_f32_e32 v7, v7, v89
	v_mul_f32_e32 v92, v66, v31
	v_mul_f32_e32 v17, v59, v17
	v_fmac_f32_e32 v91, v65, v28
	v_fma_f32 v8, v56, v14, -v15
	v_add_f32_e32 v7, v7, v90
	v_mul_f32_e32 v25, v61, v25
	v_fmac_f32_e32 v92, v67, v30
	v_fma_f32 v9, v58, v16, -v17
	v_add_f32_e32 v6, v6, v8
	v_add_f32_e32 v7, v7, v91
	v_mul_f32_e32 v94, v70, v21
	v_mul_f32_e32 v27, v63, v27
	v_fma_f32 v14, v60, v24, -v25
	v_add_f32_e32 v6, v6, v9
	v_add_f32_e32 v7, v7, v92
	s_waitcnt vmcnt(7) lgkmcnt(2)
	v_mul_f32_e32 v95, v72, v33
	v_mul_f32_e32 v29, v65, v29
	v_fmac_f32_e32 v94, v71, v20
	v_fma_f32 v15, v62, v26, -v27
	v_add_f32_e32 v6, v6, v14
	v_add_f32_e32 v7, v7, v93
	v_mul_f32_e32 v96, v74, v35
	v_mul_f32_e32 v31, v67, v31
	v_fmac_f32_e32 v95, v73, v32
	v_fma_f32 v16, v64, v28, -v29
	v_add_f32_e32 v6, v6, v15
	v_add_f32_e32 v7, v7, v94
	s_waitcnt vmcnt(6) lgkmcnt(1)
	v_mul_f32_e32 v97, v76, v41
	v_fmac_f32_e32 v96, v75, v34
	v_fma_f32 v17, v66, v30, -v31
	v_add_f32_e32 v6, v6, v16
	v_add_f32_e32 v7, v7, v95
	v_mul_f32_e32 v21, v71, v21
	v_fmac_f32_e32 v97, v77, v40
	v_add_f32_e32 v6, v6, v17
	v_add_f32_e32 v7, v7, v96
	;; [unrolled: 1-line block ×4, first 2 shown]
	v_fma_f32 v7, v70, v20, -v21
	v_add_f32_e32 v6, v6, v7
	v_mul_f32_e32 v7, v73, v33
	v_fma_f32 v7, v72, v32, -v7
	v_add_f32_e32 v6, v6, v7
	v_mul_f32_e32 v7, v75, v35
	;; [unrolled: 3-line block ×4, first 2 shown]
	v_mul_f32_e32 v85, v78, v43
	v_fma_f32 v84, v78, v42, -v6
	s_waitcnt vmcnt(5) lgkmcnt(0)
	v_mul_f32_e32 v6, v81, v45
	v_mov_b32_e32 v28, v47
	v_mul_f32_e32 v87, v80, v45
	v_fmac_f32_e32 v85, v79, v42
	v_fma_f32 v86, v80, v44, -v6
	ds_read_b128 v[6:9], v38 offset:736
	ds_read_b128 v[14:17], v38 offset:752
	;; [unrolled: 1-line block ×3, first 2 shown]
	ds_read_b64 v[26:27], v38 offset:784
	v_pk_mul_f32 v[28:29], v[82:83], v[28:29] op_sel:[1,0] op_sel_hi:[0,0]
	v_fmac_f32_e32 v87, v81, v44
	v_pk_add_f32 v[24:25], v[24:25], v[84:85]
	v_pk_fma_f32 v[30:31], v[82:83], v[46:47], v[28:29] neg_lo:[0,0,1] neg_hi:[0,0,1]
	v_pk_fma_f32 v[28:29], v[82:83], v[46:47], v[28:29] op_sel_hi:[1,0,1]
	v_pk_add_f32 v[24:25], v[24:25], v[86:87]
	v_mov_b32_e32 v31, v29
	s_waitcnt vmcnt(4) lgkmcnt(3)
	v_pk_mul_f32 v[28:29], v[6:7], v[48:49] op_sel:[1,1] op_sel_hi:[0,1]
	v_pk_add_f32 v[24:25], v[24:25], v[30:31]
	v_pk_fma_f32 v[30:31], v[6:7], v[48:49], v[28:29] neg_lo:[0,0,1] neg_hi:[0,0,1]
	v_pk_fma_f32 v[6:7], v[6:7], v[48:49], v[28:29] op_sel_hi:[1,0,1]
	s_nop 0
	v_mov_b32_e32 v31, v7
	v_pk_add_f32 v[6:7], v[24:25], v[30:31]
	v_mov_b32_e32 v24, v51
	v_pk_mul_f32 v[24:25], v[8:9], v[24:25] op_sel:[1,0] op_sel_hi:[0,0]
	v_pk_fma_f32 v[28:29], v[8:9], v[50:51], v[24:25] neg_lo:[0,0,1] neg_hi:[0,0,1]
	v_pk_fma_f32 v[8:9], v[8:9], v[50:51], v[24:25] op_sel_hi:[1,0,1]
	s_nop 0
	v_mov_b32_e32 v29, v9
	s_waitcnt vmcnt(3) lgkmcnt(2)
	v_pk_mul_f32 v[8:9], v[14:15], v[10:11] op_sel:[1,1] op_sel_hi:[0,1]
	v_pk_fma_f32 v[24:25], v[14:15], v[10:11], v[8:9] neg_lo:[0,0,1] neg_hi:[0,0,1]
	v_pk_fma_f32 v[8:9], v[14:15], v[10:11], v[8:9] op_sel_hi:[1,0,1]
	v_pk_add_f32 v[6:7], v[6:7], v[28:29]
	v_mov_b32_e32 v8, v13
	v_mov_b32_e32 v25, v9
	v_pk_mul_f32 v[8:9], v[16:17], v[8:9] op_sel:[1,0] op_sel_hi:[0,0]
	v_pk_fma_f32 v[10:11], v[16:17], v[12:13], v[8:9] neg_lo:[0,0,1] neg_hi:[0,0,1]
	v_pk_fma_f32 v[8:9], v[16:17], v[12:13], v[8:9] op_sel_hi:[1,0,1]
	v_pk_add_f32 v[6:7], v[6:7], v[24:25]
	v_mov_b32_e32 v11, v9
	s_waitcnt vmcnt(2) lgkmcnt(1)
	v_pk_mul_f32 v[8:9], v[18:19], v[2:3] op_sel:[1,1] op_sel_hi:[0,1]
	v_pk_add_f32 v[6:7], v[6:7], v[10:11]
	v_pk_fma_f32 v[10:11], v[18:19], v[2:3], v[8:9] neg_lo:[0,0,1] neg_hi:[0,0,1]
	v_pk_fma_f32 v[2:3], v[18:19], v[2:3], v[8:9] op_sel_hi:[1,0,1]
	s_nop 0
	v_mov_b32_e32 v11, v3
	v_pk_add_f32 v[2:3], v[6:7], v[10:11]
	v_mov_b32_e32 v6, v5
	v_pk_mul_f32 v[6:7], v[20:21], v[6:7] op_sel:[1,0] op_sel_hi:[0,0]
	v_pk_fma_f32 v[8:9], v[20:21], v[4:5], v[6:7] neg_lo:[0,0,1] neg_hi:[0,0,1]
	v_pk_fma_f32 v[4:5], v[20:21], v[4:5], v[6:7] op_sel_hi:[1,0,1]
	s_nop 0
	v_mov_b32_e32 v9, v5
	s_waitcnt vmcnt(1) lgkmcnt(0)
	v_pk_mul_f32 v[4:5], v[26:27], v[22:23] op_sel:[1,1] op_sel_hi:[0,1]
	v_pk_fma_f32 v[6:7], v[26:27], v[22:23], v[4:5] neg_lo:[0,0,1] neg_hi:[0,0,1]
	v_pk_fma_f32 v[4:5], v[26:27], v[22:23], v[4:5] op_sel_hi:[1,0,1]
	v_pk_add_f32 v[2:3], v[2:3], v[8:9]
	v_mov_b32_e32 v7, v5
	v_pk_add_f32 v[2:3], v[2:3], v[6:7]
	s_waitcnt vmcnt(0)
	v_pk_add_f32 v[2:3], v[36:37], v[2:3] neg_lo:[0,1] neg_hi:[0,1]
	scratch_store_dwordx2 off, v[2:3], off offset:200
	s_and_saveexec_b64 s[0:1], vcc
	s_cbranch_execz .LBB48_259
; %bb.258:
	scratch_load_dwordx2 v[2:3], off, off offset:192
	v_mov_b32_e32 v39, v38
	scratch_store_dwordx2 off, v[38:39], off offset:192
	s_waitcnt vmcnt(1)
	ds_write_b64 v1, v[2:3]
.LBB48_259:
	s_or_b64 exec, exec, s[0:1]
	s_waitcnt lgkmcnt(0)
	; wave barrier
	scratch_load_dwordx4 v[2:5], off, off offset:200
	scratch_load_dwordx4 v[14:17], off, off offset:216
	;; [unrolled: 1-line block ×8, first 2 shown]
	ds_read2_b64 v[48:51], v38 offset0:75 offset1:76
	ds_read2_b64 v[52:55], v38 offset0:77 offset1:78
	;; [unrolled: 1-line block ×8, first 2 shown]
	scratch_load_dwordx4 v[80:83], off, off offset:328
	scratch_load_dwordx4 v[26:29], off, off offset:344
	;; [unrolled: 1-line block ×4, first 2 shown]
	scratch_load_dwordx2 v[84:85], off, off offset:192
	v_cmp_lt_u32_e32 vcc, 23, v0
	s_waitcnt vmcnt(12) lgkmcnt(7)
	v_mul_f32_e32 v39, v48, v3
	v_mul_f32_e32 v86, v50, v5
	;; [unrolled: 1-line block ×3, first 2 shown]
	v_fmac_f32_e32 v39, v49, v2
	s_waitcnt vmcnt(8) lgkmcnt(3)
	v_mul_f32_e32 v95, v64, v19
	v_mul_f32_e32 v19, v65, v19
	;; [unrolled: 1-line block ×4, first 2 shown]
	v_fmac_f32_e32 v86, v51, v4
	v_fmac_f32_e32 v95, v65, v18
	v_fma_f32 v2, v48, v2, -v3
	v_fma_f32 v18, v64, v18, -v19
	v_add_f32_e32 v19, 0, v39
	v_mul_f32_e32 v90, v54, v17
	v_fmac_f32_e32 v88, v53, v14
	v_fma_f32 v3, v50, v4, -v5
	v_add_f32_e32 v2, 0, v2
	v_add_f32_e32 v19, v19, v86
	v_mul_f32_e32 v91, v56, v31
	v_fmac_f32_e32 v90, v55, v16
	v_add_f32_e32 v2, v2, v3
	v_add_f32_e32 v3, v19, v88
	v_mul_f32_e32 v92, v58, v33
	v_fmac_f32_e32 v91, v57, v30
	v_add_f32_e32 v3, v3, v90
	v_mul_f32_e32 v93, v60, v41
	v_fmac_f32_e32 v92, v59, v32
	;; [unrolled: 3-line block ×4, first 2 shown]
	v_add_f32_e32 v3, v3, v93
	v_mul_f32_e32 v96, v66, v21
	v_mul_f32_e32 v17, v55, v17
	v_fma_f32 v4, v52, v14, -v15
	v_add_f32_e32 v3, v3, v94
	s_waitcnt vmcnt(7) lgkmcnt(2)
	v_mul_f32_e32 v97, v68, v23
	v_mul_f32_e32 v31, v57, v31
	v_fmac_f32_e32 v96, v67, v20
	v_fma_f32 v5, v54, v16, -v17
	v_add_f32_e32 v2, v2, v4
	v_add_f32_e32 v3, v3, v95
	v_mul_f32_e32 v98, v70, v25
	v_mul_f32_e32 v33, v59, v33
	v_fmac_f32_e32 v97, v69, v22
	v_fma_f32 v14, v56, v30, -v31
	v_add_f32_e32 v2, v2, v5
	v_add_f32_e32 v3, v3, v96
	s_waitcnt vmcnt(6) lgkmcnt(1)
	v_mul_f32_e32 v99, v72, v35
	v_mul_f32_e32 v41, v61, v41
	v_fmac_f32_e32 v98, v71, v24
	v_fma_f32 v15, v58, v32, -v33
	v_add_f32_e32 v2, v2, v14
	v_add_f32_e32 v3, v3, v97
	v_mul_f32_e32 v100, v74, v37
	v_mul_f32_e32 v43, v63, v43
	v_fmac_f32_e32 v99, v73, v34
	v_fma_f32 v16, v60, v40, -v41
	v_add_f32_e32 v2, v2, v15
	v_add_f32_e32 v3, v3, v98
	v_fmac_f32_e32 v100, v75, v36
	v_fma_f32 v17, v62, v42, -v43
	v_add_f32_e32 v2, v2, v16
	v_add_f32_e32 v3, v3, v99
	;; [unrolled: 1-line block ×4, first 2 shown]
	v_mul_f32_e32 v3, v67, v21
	v_add_f32_e32 v2, v2, v18
	v_fma_f32 v3, v66, v20, -v3
	v_add_f32_e32 v2, v2, v3
	v_mul_f32_e32 v3, v69, v23
	v_fma_f32 v3, v68, v22, -v3
	v_add_f32_e32 v2, v2, v3
	v_mul_f32_e32 v3, v71, v25
	;; [unrolled: 3-line block ×4, first 2 shown]
	v_fma_f32 v3, v74, v36, -v3
	v_add_f32_e32 v30, v2, v3
	s_waitcnt vmcnt(5) lgkmcnt(0)
	v_mul_f32_e32 v2, v77, v45
	v_fma_f32 v86, v76, v44, -v2
	v_mul_f32_e32 v2, v79, v47
	v_fma_f32 v88, v78, v46, -v2
	ds_read2_b64 v[2:5], v38 offset0:91 offset1:92
	ds_read2_b64 v[14:17], v38 offset0:93 offset1:94
	;; [unrolled: 1-line block ×4, first 2 shown]
	v_mul_f32_e32 v87, v76, v45
	v_mul_f32_e32 v89, v78, v47
	v_fmac_f32_e32 v87, v77, v44
	s_waitcnt vmcnt(4) lgkmcnt(3)
	v_pk_mul_f32 v[32:33], v[2:3], v[80:81] op_sel:[1,1] op_sel_hi:[0,1]
	v_fmac_f32_e32 v89, v79, v46
	v_pk_add_f32 v[30:31], v[30:31], v[86:87]
	v_pk_fma_f32 v[34:35], v[2:3], v[80:81], v[32:33] neg_lo:[0,0,1] neg_hi:[0,0,1]
	v_pk_fma_f32 v[2:3], v[2:3], v[80:81], v[32:33] op_sel_hi:[1,0,1]
	v_pk_add_f32 v[30:31], v[30:31], v[88:89]
	v_mov_b32_e32 v35, v3
	v_pk_add_f32 v[2:3], v[30:31], v[34:35]
	v_mov_b32_e32 v30, v83
	v_pk_mul_f32 v[30:31], v[4:5], v[30:31] op_sel:[1,0] op_sel_hi:[0,0]
	v_pk_fma_f32 v[32:33], v[4:5], v[82:83], v[30:31] neg_lo:[0,0,1] neg_hi:[0,0,1]
	v_pk_fma_f32 v[4:5], v[4:5], v[82:83], v[30:31] op_sel_hi:[1,0,1]
	s_nop 0
	v_mov_b32_e32 v33, v5
	s_waitcnt vmcnt(3) lgkmcnt(2)
	v_pk_mul_f32 v[4:5], v[14:15], v[26:27] op_sel:[1,1] op_sel_hi:[0,1]
	v_pk_fma_f32 v[30:31], v[14:15], v[26:27], v[4:5] neg_lo:[0,0,1] neg_hi:[0,0,1]
	v_pk_fma_f32 v[4:5], v[14:15], v[26:27], v[4:5] op_sel_hi:[1,0,1]
	v_pk_add_f32 v[2:3], v[2:3], v[32:33]
	v_mov_b32_e32 v4, v29
	v_mov_b32_e32 v31, v5
	v_pk_mul_f32 v[4:5], v[16:17], v[4:5] op_sel:[1,0] op_sel_hi:[0,0]
	v_pk_fma_f32 v[14:15], v[16:17], v[28:29], v[4:5] neg_lo:[0,0,1] neg_hi:[0,0,1]
	v_pk_fma_f32 v[4:5], v[16:17], v[28:29], v[4:5] op_sel_hi:[1,0,1]
	v_pk_add_f32 v[2:3], v[2:3], v[30:31]
	v_mov_b32_e32 v15, v5
	s_waitcnt vmcnt(2) lgkmcnt(1)
	v_pk_mul_f32 v[4:5], v[18:19], v[10:11] op_sel:[1,1] op_sel_hi:[0,1]
	v_pk_add_f32 v[2:3], v[2:3], v[14:15]
	v_pk_fma_f32 v[14:15], v[18:19], v[10:11], v[4:5] neg_lo:[0,0,1] neg_hi:[0,0,1]
	v_pk_fma_f32 v[4:5], v[18:19], v[10:11], v[4:5] op_sel_hi:[1,0,1]
	s_nop 0
	v_mov_b32_e32 v4, v13
	v_mov_b32_e32 v15, v5
	v_pk_mul_f32 v[4:5], v[20:21], v[4:5] op_sel:[1,0] op_sel_hi:[0,0]
	v_pk_fma_f32 v[10:11], v[20:21], v[12:13], v[4:5] neg_lo:[0,0,1] neg_hi:[0,0,1]
	v_pk_fma_f32 v[4:5], v[20:21], v[12:13], v[4:5] op_sel_hi:[1,0,1]
	v_pk_add_f32 v[2:3], v[2:3], v[14:15]
	v_mov_b32_e32 v11, v5
	s_waitcnt vmcnt(1) lgkmcnt(0)
	v_pk_mul_f32 v[4:5], v[22:23], v[6:7] op_sel:[1,1] op_sel_hi:[0,1]
	v_pk_add_f32 v[2:3], v[2:3], v[10:11]
	v_pk_fma_f32 v[10:11], v[22:23], v[6:7], v[4:5] neg_lo:[0,0,1] neg_hi:[0,0,1]
	v_pk_fma_f32 v[4:5], v[22:23], v[6:7], v[4:5] op_sel_hi:[1,0,1]
	s_nop 0
	v_mov_b32_e32 v4, v9
	v_mov_b32_e32 v11, v5
	v_pk_mul_f32 v[4:5], v[24:25], v[4:5] op_sel:[1,0] op_sel_hi:[0,0]
	v_pk_fma_f32 v[6:7], v[24:25], v[8:9], v[4:5] neg_lo:[0,0,1] neg_hi:[0,0,1]
	v_pk_fma_f32 v[4:5], v[24:25], v[8:9], v[4:5] op_sel_hi:[1,0,1]
	v_pk_add_f32 v[2:3], v[2:3], v[10:11]
	v_mov_b32_e32 v7, v5
	v_pk_add_f32 v[2:3], v[2:3], v[6:7]
	s_waitcnt vmcnt(0)
	v_pk_add_f32 v[2:3], v[84:85], v[2:3] neg_lo:[0,1] neg_hi:[0,1]
	scratch_store_dwordx2 off, v[2:3], off offset:192
	s_and_saveexec_b64 s[0:1], vcc
	s_cbranch_execz .LBB48_261
; %bb.260:
	scratch_load_dwordx2 v[2:3], off, off offset:184
	v_mov_b32_e32 v4, 0
	v_mov_b32_e32 v5, v4
	scratch_store_dwordx2 off, v[4:5], off offset:184
	s_waitcnt vmcnt(1)
	ds_write_b64 v1, v[2:3]
.LBB48_261:
	s_or_b64 exec, exec, s[0:1]
	s_waitcnt lgkmcnt(0)
	; wave barrier
	scratch_load_dwordx4 v[10:13], off, off offset:192
	scratch_load_dwordx4 v[26:29], off, off offset:208
	;; [unrolled: 1-line block ×12, first 2 shown]
	scratch_load_dwordx2 v[50:51], off, off offset:384
	scratch_load_dwordx2 v[56:57], off, off offset:184
	v_mov_b32_e32 v58, 0
	ds_read_b128 v[52:55], v58 offset:592
	ds_read_b128 v[60:63], v58 offset:608
	;; [unrolled: 1-line block ×10, first 2 shown]
	v_cmp_lt_u32_e32 vcc, 22, v0
	s_waitcnt vmcnt(13) lgkmcnt(9)
	v_mul_f32_e32 v59, v52, v11
	v_mul_f32_e32 v96, v54, v13
	v_fmac_f32_e32 v59, v53, v10
	s_waitcnt vmcnt(10) lgkmcnt(6)
	v_mul_f32_e32 v103, v68, v7
	v_mul_f32_e32 v7, v69, v7
	;; [unrolled: 1-line block ×3, first 2 shown]
	v_fmac_f32_e32 v96, v55, v12
	v_fmac_f32_e32 v103, v69, v6
	v_fma_f32 v6, v68, v6, -v7
	v_add_f32_e32 v7, 0, v59
	v_mul_f32_e32 v100, v62, v29
	v_fmac_f32_e32 v98, v61, v26
	v_add_f32_e32 v7, v7, v96
	v_mul_f32_e32 v101, v64, v39
	v_fmac_f32_e32 v100, v63, v28
	;; [unrolled: 3-line block ×3, first 2 shown]
	v_add_f32_e32 v7, v7, v100
	v_fmac_f32_e32 v102, v67, v40
	v_add_f32_e32 v7, v7, v101
	v_mul_f32_e32 v104, v70, v9
	v_add_f32_e32 v7, v7, v102
	s_waitcnt vmcnt(9) lgkmcnt(5)
	v_mul_f32_e32 v105, v72, v15
	v_fmac_f32_e32 v104, v71, v8
	v_add_f32_e32 v7, v7, v103
	v_mul_f32_e32 v106, v74, v17
	v_mul_f32_e32 v11, v53, v11
	v_fmac_f32_e32 v105, v73, v14
	v_add_f32_e32 v7, v7, v104
	s_waitcnt vmcnt(8) lgkmcnt(4)
	v_mul_f32_e32 v107, v76, v23
	v_mul_f32_e32 v13, v55, v13
	v_fmac_f32_e32 v106, v75, v16
	v_fma_f32 v10, v52, v10, -v11
	v_add_f32_e32 v7, v7, v105
	v_mul_f32_e32 v108, v78, v25
	v_mul_f32_e32 v27, v61, v27
	v_fmac_f32_e32 v107, v77, v22
	v_fma_f32 v11, v54, v12, -v13
	v_add_f32_e32 v10, 0, v10
	v_add_f32_e32 v7, v7, v106
	s_waitcnt vmcnt(7) lgkmcnt(3)
	v_mul_f32_e32 v109, v80, v31
	v_mul_f32_e32 v29, v63, v29
	v_fmac_f32_e32 v108, v79, v24
	v_fma_f32 v12, v60, v26, -v27
	v_add_f32_e32 v10, v10, v11
	v_add_f32_e32 v7, v7, v107
	v_mul_f32_e32 v110, v82, v33
	v_mul_f32_e32 v39, v65, v39
	v_fmac_f32_e32 v109, v81, v30
	v_fma_f32 v13, v62, v28, -v29
	v_add_f32_e32 v10, v10, v12
	v_add_f32_e32 v7, v7, v108
	s_waitcnt vmcnt(6) lgkmcnt(2)
	v_mul_f32_e32 v111, v84, v43
	v_mul_f32_e32 v41, v67, v41
	v_fmac_f32_e32 v110, v83, v32
	v_fma_f32 v26, v64, v38, -v39
	v_add_f32_e32 v10, v10, v13
	v_add_f32_e32 v7, v7, v109
	v_fmac_f32_e32 v111, v85, v42
	v_fma_f32 v27, v66, v40, -v41
	v_add_f32_e32 v10, v10, v26
	v_add_f32_e32 v7, v7, v110
	;; [unrolled: 1-line block ×4, first 2 shown]
	v_mul_f32_e32 v7, v71, v9
	v_add_f32_e32 v6, v10, v6
	v_fma_f32 v7, v70, v8, -v7
	v_add_f32_e32 v6, v6, v7
	v_mul_f32_e32 v7, v73, v15
	v_fma_f32 v7, v72, v14, -v7
	v_add_f32_e32 v6, v6, v7
	v_mul_f32_e32 v7, v75, v17
	;; [unrolled: 3-line block ×7, first 2 shown]
	v_fma_f32 v7, v84, v42, -v7
	v_mul_f32_e32 v97, v86, v45
	v_add_f32_e32 v26, v6, v7
	v_mul_f32_e32 v6, v87, v45
	s_waitcnt vmcnt(5)
	v_mov_b32_e32 v22, v49
	s_waitcnt lgkmcnt(1)
	v_mul_f32_e32 v99, v88, v47
	v_fmac_f32_e32 v97, v87, v44
	v_fma_f32 v96, v86, v44, -v6
	v_mul_f32_e32 v6, v89, v47
	v_pk_mul_f32 v[22:23], v[90:91], v[22:23] op_sel:[1,0] op_sel_hi:[0,0]
	v_fmac_f32_e32 v99, v89, v46
	v_fma_f32 v98, v88, v46, -v6
	v_pk_add_f32 v[16:17], v[26:27], v[96:97]
	v_pk_fma_f32 v[24:25], v[90:91], v[48:49], v[22:23] neg_lo:[0,0,1] neg_hi:[0,0,1]
	v_pk_fma_f32 v[22:23], v[90:91], v[48:49], v[22:23] op_sel_hi:[1,0,1]
	v_pk_add_f32 v[16:17], v[16:17], v[98:99]
	v_mov_b32_e32 v25, v23
	s_waitcnt vmcnt(4) lgkmcnt(0)
	v_pk_mul_f32 v[22:23], v[92:93], v[34:35] op_sel:[1,1] op_sel_hi:[0,1]
	v_pk_add_f32 v[16:17], v[16:17], v[24:25]
	v_pk_fma_f32 v[24:25], v[92:93], v[34:35], v[22:23] neg_lo:[0,0,1] neg_hi:[0,0,1]
	v_pk_fma_f32 v[22:23], v[92:93], v[34:35], v[22:23] op_sel_hi:[1,0,1]
	ds_read_b128 v[6:9], v58 offset:752
	ds_read_b128 v[10:13], v58 offset:768
	ds_read_b64 v[14:15], v58 offset:784
	v_mov_b32_e32 v22, v37
	v_mov_b32_e32 v25, v23
	v_pk_mul_f32 v[22:23], v[94:95], v[22:23] op_sel:[1,0] op_sel_hi:[0,0]
	v_pk_add_f32 v[16:17], v[16:17], v[24:25]
	v_pk_fma_f32 v[24:25], v[94:95], v[36:37], v[22:23] neg_lo:[0,0,1] neg_hi:[0,0,1]
	v_pk_fma_f32 v[22:23], v[94:95], v[36:37], v[22:23] op_sel_hi:[1,0,1]
	s_nop 0
	v_mov_b32_e32 v25, v23
	s_waitcnt vmcnt(3) lgkmcnt(2)
	v_pk_mul_f32 v[22:23], v[6:7], v[18:19] op_sel:[1,1] op_sel_hi:[0,1]
	v_pk_add_f32 v[16:17], v[16:17], v[24:25]
	v_pk_fma_f32 v[24:25], v[6:7], v[18:19], v[22:23] neg_lo:[0,0,1] neg_hi:[0,0,1]
	v_pk_fma_f32 v[6:7], v[6:7], v[18:19], v[22:23] op_sel_hi:[1,0,1]
	s_nop 0
	v_mov_b32_e32 v25, v7
	v_pk_add_f32 v[6:7], v[16:17], v[24:25]
	v_mov_b32_e32 v16, v21
	v_pk_mul_f32 v[16:17], v[8:9], v[16:17] op_sel:[1,0] op_sel_hi:[0,0]
	v_pk_fma_f32 v[18:19], v[8:9], v[20:21], v[16:17] neg_lo:[0,0,1] neg_hi:[0,0,1]
	v_pk_fma_f32 v[8:9], v[8:9], v[20:21], v[16:17] op_sel_hi:[1,0,1]
	s_nop 0
	v_mov_b32_e32 v19, v9
	s_waitcnt vmcnt(2) lgkmcnt(1)
	v_pk_mul_f32 v[8:9], v[10:11], v[2:3] op_sel:[1,1] op_sel_hi:[0,1]
	v_pk_fma_f32 v[16:17], v[10:11], v[2:3], v[8:9] neg_lo:[0,0,1] neg_hi:[0,0,1]
	v_pk_fma_f32 v[2:3], v[10:11], v[2:3], v[8:9] op_sel_hi:[1,0,1]
	v_pk_add_f32 v[6:7], v[6:7], v[18:19]
	v_mov_b32_e32 v17, v3
	v_pk_add_f32 v[2:3], v[6:7], v[16:17]
	v_mov_b32_e32 v6, v5
	v_pk_mul_f32 v[6:7], v[12:13], v[6:7] op_sel:[1,0] op_sel_hi:[0,0]
	v_pk_fma_f32 v[8:9], v[12:13], v[4:5], v[6:7] neg_lo:[0,0,1] neg_hi:[0,0,1]
	v_pk_fma_f32 v[4:5], v[12:13], v[4:5], v[6:7] op_sel_hi:[1,0,1]
	s_nop 0
	v_mov_b32_e32 v9, v5
	s_waitcnt vmcnt(1) lgkmcnt(0)
	v_pk_mul_f32 v[4:5], v[14:15], v[50:51] op_sel:[1,1] op_sel_hi:[0,1]
	v_pk_fma_f32 v[6:7], v[14:15], v[50:51], v[4:5] neg_lo:[0,0,1] neg_hi:[0,0,1]
	v_pk_fma_f32 v[4:5], v[14:15], v[50:51], v[4:5] op_sel_hi:[1,0,1]
	v_pk_add_f32 v[2:3], v[2:3], v[8:9]
	v_mov_b32_e32 v7, v5
	v_pk_add_f32 v[2:3], v[2:3], v[6:7]
	s_waitcnt vmcnt(0)
	v_pk_add_f32 v[2:3], v[56:57], v[2:3] neg_lo:[0,1] neg_hi:[0,1]
	scratch_store_dwordx2 off, v[2:3], off offset:184
	s_and_saveexec_b64 s[0:1], vcc
	s_cbranch_execz .LBB48_263
; %bb.262:
	scratch_load_dwordx2 v[2:3], off, off offset:176
	v_mov_b32_e32 v59, v58
	scratch_store_dwordx2 off, v[58:59], off offset:176
	s_waitcnt vmcnt(1)
	ds_write_b64 v1, v[2:3]
.LBB48_263:
	s_or_b64 exec, exec, s[0:1]
	s_waitcnt lgkmcnt(0)
	; wave barrier
	scratch_load_dwordx4 v[2:5], off, off offset:184
	scratch_load_dwordx4 v[18:21], off, off offset:200
	;; [unrolled: 1-line block ×9, first 2 shown]
	ds_read2_b64 v[60:63], v58 offset0:73 offset1:74
	ds_read2_b64 v[64:67], v58 offset0:75 offset1:76
	;; [unrolled: 1-line block ×8, first 2 shown]
	scratch_load_dwordx4 v[50:53], off, off offset:328
	scratch_load_dwordx4 v[34:37], off, off offset:344
	;; [unrolled: 1-line block ×4, first 2 shown]
	ds_read2_b64 v[88:91], v58 offset0:89 offset1:90
	ds_read2_b64 v[92:95], v58 offset0:91 offset1:92
	scratch_load_dwordx2 v[96:97], off, off offset:176
	v_cmp_lt_u32_e32 vcc, 21, v0
	s_waitcnt vmcnt(13) lgkmcnt(9)
	v_mul_f32_e32 v59, v60, v3
	v_mul_f32_e32 v98, v62, v5
	;; [unrolled: 1-line block ×3, first 2 shown]
	s_waitcnt vmcnt(10) lgkmcnt(6)
	v_mul_f32_e32 v105, v72, v7
	v_mul_f32_e32 v7, v73, v7
	v_fmac_f32_e32 v59, v61, v2
	v_mul_f32_e32 v100, v64, v19
	v_mul_f32_e32 v5, v63, v5
	v_fmac_f32_e32 v98, v63, v4
	v_fmac_f32_e32 v105, v73, v6
	v_fma_f32 v2, v60, v2, -v3
	v_fma_f32 v6, v72, v6, -v7
	v_add_f32_e32 v7, 0, v59
	v_mul_f32_e32 v102, v66, v21
	v_fmac_f32_e32 v100, v65, v18
	v_fma_f32 v3, v62, v4, -v5
	v_add_f32_e32 v2, 0, v2
	v_add_f32_e32 v7, v7, v98
	v_mul_f32_e32 v103, v68, v39
	v_fmac_f32_e32 v102, v67, v20
	v_add_f32_e32 v2, v2, v3
	v_add_f32_e32 v3, v7, v100
	v_mul_f32_e32 v104, v70, v41
	v_fmac_f32_e32 v103, v69, v38
	v_add_f32_e32 v3, v3, v102
	v_fmac_f32_e32 v104, v71, v40
	v_add_f32_e32 v3, v3, v103
	v_mul_f32_e32 v106, v74, v9
	v_add_f32_e32 v3, v3, v104
	s_waitcnt vmcnt(9) lgkmcnt(5)
	v_mul_f32_e32 v107, v76, v15
	v_fmac_f32_e32 v106, v75, v8
	v_add_f32_e32 v3, v3, v105
	v_mul_f32_e32 v108, v78, v17
	v_fmac_f32_e32 v107, v77, v14
	v_add_f32_e32 v3, v3, v106
	s_waitcnt vmcnt(8) lgkmcnt(4)
	v_mul_f32_e32 v109, v80, v23
	v_fmac_f32_e32 v108, v79, v16
	v_add_f32_e32 v3, v3, v107
	v_mul_f32_e32 v110, v82, v25
	v_fmac_f32_e32 v109, v81, v22
	v_add_f32_e32 v3, v3, v108
	s_waitcnt vmcnt(7) lgkmcnt(3)
	v_mul_f32_e32 v111, v84, v31
	v_mul_f32_e32 v19, v65, v19
	v_fmac_f32_e32 v110, v83, v24
	v_add_f32_e32 v3, v3, v109
	v_mul_f32_e32 v112, v86, v33
	v_mul_f32_e32 v21, v67, v21
	v_fmac_f32_e32 v111, v85, v30
	v_fma_f32 v4, v64, v18, -v19
	v_add_f32_e32 v3, v3, v110
	s_waitcnt vmcnt(6) lgkmcnt(2)
	v_mul_f32_e32 v113, v54, v43
	v_mul_f32_e32 v39, v69, v39
	v_fmac_f32_e32 v112, v87, v32
	v_fma_f32 v5, v66, v20, -v21
	v_add_f32_e32 v2, v2, v4
	v_add_f32_e32 v3, v3, v111
	v_mul_f32_e32 v114, v56, v45
	v_mul_f32_e32 v41, v71, v41
	v_fmac_f32_e32 v113, v55, v42
	v_fma_f32 v18, v68, v38, -v39
	v_add_f32_e32 v2, v2, v5
	v_add_f32_e32 v3, v3, v112
	v_fmac_f32_e32 v114, v57, v44
	v_fma_f32 v19, v70, v40, -v41
	v_add_f32_e32 v2, v2, v18
	v_add_f32_e32 v3, v3, v113
	;; [unrolled: 1-line block ×4, first 2 shown]
	v_mul_f32_e32 v3, v75, v9
	v_add_f32_e32 v2, v2, v6
	v_fma_f32 v3, v74, v8, -v3
	v_add_f32_e32 v2, v2, v3
	v_mul_f32_e32 v3, v77, v15
	v_fma_f32 v3, v76, v14, -v3
	v_add_f32_e32 v2, v2, v3
	v_mul_f32_e32 v3, v79, v17
	;; [unrolled: 3-line block ×8, first 2 shown]
	v_fma_f32 v3, v56, v44, -v3
	s_waitcnt vmcnt(5) lgkmcnt(1)
	v_mul_f32_e32 v99, v88, v47
	v_add_f32_e32 v18, v2, v3
	v_mul_f32_e32 v2, v89, v47
	s_waitcnt vmcnt(4) lgkmcnt(0)
	v_pk_mul_f32 v[20:21], v[92:93], v[50:51] op_sel:[1,1] op_sel_hi:[0,1]
	v_mul_f32_e32 v101, v90, v49
	v_fmac_f32_e32 v99, v89, v46
	v_fma_f32 v98, v88, v46, -v2
	v_mul_f32_e32 v2, v91, v49
	v_pk_fma_f32 v[22:23], v[92:93], v[50:51], v[20:21] neg_lo:[0,0,1] neg_hi:[0,0,1]
	v_pk_fma_f32 v[20:21], v[92:93], v[50:51], v[20:21] op_sel_hi:[1,0,1]
	v_fmac_f32_e32 v101, v91, v48
	v_fma_f32 v100, v90, v48, -v2
	ds_read2_b64 v[2:5], v58 offset0:93 offset1:94
	ds_read2_b64 v[6:9], v58 offset0:95 offset1:96
	ds_read2_b64 v[14:17], v58 offset0:97 offset1:98
	v_pk_add_f32 v[18:19], v[18:19], v[98:99]
	v_mov_b32_e32 v20, v53
	v_pk_add_f32 v[18:19], v[18:19], v[100:101]
	v_mov_b32_e32 v23, v21
	v_pk_mul_f32 v[20:21], v[94:95], v[20:21] op_sel:[1,0] op_sel_hi:[0,0]
	v_pk_add_f32 v[18:19], v[18:19], v[22:23]
	v_pk_fma_f32 v[22:23], v[94:95], v[52:53], v[20:21] neg_lo:[0,0,1] neg_hi:[0,0,1]
	v_pk_fma_f32 v[20:21], v[94:95], v[52:53], v[20:21] op_sel_hi:[1,0,1]
	s_nop 0
	v_mov_b32_e32 v23, v21
	s_waitcnt vmcnt(3) lgkmcnt(2)
	v_pk_mul_f32 v[20:21], v[2:3], v[34:35] op_sel:[1,1] op_sel_hi:[0,1]
	v_pk_add_f32 v[18:19], v[18:19], v[22:23]
	v_pk_fma_f32 v[22:23], v[2:3], v[34:35], v[20:21] neg_lo:[0,0,1] neg_hi:[0,0,1]
	v_pk_fma_f32 v[2:3], v[2:3], v[34:35], v[20:21] op_sel_hi:[1,0,1]
	s_nop 0
	v_mov_b32_e32 v23, v3
	v_pk_add_f32 v[2:3], v[18:19], v[22:23]
	v_mov_b32_e32 v18, v37
	v_pk_mul_f32 v[18:19], v[4:5], v[18:19] op_sel:[1,0] op_sel_hi:[0,0]
	v_pk_fma_f32 v[20:21], v[4:5], v[36:37], v[18:19] neg_lo:[0,0,1] neg_hi:[0,0,1]
	v_pk_fma_f32 v[4:5], v[4:5], v[36:37], v[18:19] op_sel_hi:[1,0,1]
	s_nop 0
	v_mov_b32_e32 v21, v5
	s_waitcnt vmcnt(2) lgkmcnt(1)
	v_pk_mul_f32 v[4:5], v[6:7], v[26:27] op_sel:[1,1] op_sel_hi:[0,1]
	v_pk_fma_f32 v[18:19], v[6:7], v[26:27], v[4:5] neg_lo:[0,0,1] neg_hi:[0,0,1]
	v_pk_fma_f32 v[4:5], v[6:7], v[26:27], v[4:5] op_sel_hi:[1,0,1]
	v_pk_add_f32 v[2:3], v[2:3], v[20:21]
	v_mov_b32_e32 v4, v29
	v_mov_b32_e32 v19, v5
	v_pk_mul_f32 v[4:5], v[8:9], v[4:5] op_sel:[1,0] op_sel_hi:[0,0]
	v_pk_fma_f32 v[6:7], v[8:9], v[28:29], v[4:5] neg_lo:[0,0,1] neg_hi:[0,0,1]
	v_pk_fma_f32 v[4:5], v[8:9], v[28:29], v[4:5] op_sel_hi:[1,0,1]
	v_pk_add_f32 v[2:3], v[2:3], v[18:19]
	v_mov_b32_e32 v7, v5
	s_waitcnt vmcnt(1) lgkmcnt(0)
	v_pk_mul_f32 v[4:5], v[14:15], v[10:11] op_sel:[1,1] op_sel_hi:[0,1]
	v_pk_add_f32 v[2:3], v[2:3], v[6:7]
	v_pk_fma_f32 v[6:7], v[14:15], v[10:11], v[4:5] neg_lo:[0,0,1] neg_hi:[0,0,1]
	v_pk_fma_f32 v[4:5], v[14:15], v[10:11], v[4:5] op_sel_hi:[1,0,1]
	s_nop 0
	v_mov_b32_e32 v4, v13
	v_mov_b32_e32 v7, v5
	v_pk_mul_f32 v[4:5], v[16:17], v[4:5] op_sel:[1,0] op_sel_hi:[0,0]
	v_pk_add_f32 v[2:3], v[2:3], v[6:7]
	v_pk_fma_f32 v[6:7], v[16:17], v[12:13], v[4:5] neg_lo:[0,0,1] neg_hi:[0,0,1]
	v_pk_fma_f32 v[4:5], v[16:17], v[12:13], v[4:5] op_sel_hi:[1,0,1]
	s_nop 0
	v_mov_b32_e32 v7, v5
	v_pk_add_f32 v[2:3], v[2:3], v[6:7]
	s_waitcnt vmcnt(0)
	v_pk_add_f32 v[2:3], v[96:97], v[2:3] neg_lo:[0,1] neg_hi:[0,1]
	scratch_store_dwordx2 off, v[2:3], off offset:176
	s_and_saveexec_b64 s[0:1], vcc
	s_cbranch_execz .LBB48_265
; %bb.264:
	scratch_load_dwordx2 v[2:3], off, off offset:168
	v_mov_b32_e32 v4, 0
	v_mov_b32_e32 v5, v4
	scratch_store_dwordx2 off, v[4:5], off offset:168
	s_waitcnt vmcnt(1)
	ds_write_b64 v1, v[2:3]
.LBB48_265:
	s_or_b64 exec, exec, s[0:1]
	s_waitcnt lgkmcnt(0)
	; wave barrier
	scratch_load_dwordx4 v[18:21], off, off offset:176
	scratch_load_dwordx4 v[30:33], off, off offset:192
	;; [unrolled: 1-line block ×13, first 2 shown]
	scratch_load_dwordx2 v[54:55], off, off offset:384
	scratch_load_dwordx2 v[80:81], off, off offset:168
	v_mov_b32_e32 v82, 0
	ds_read_b128 v[56:59], v82 offset:576
	ds_read_b128 v[60:63], v82 offset:592
	;; [unrolled: 1-line block ×10, first 2 shown]
	v_cmp_lt_u32_e32 vcc, 20, v0
	s_waitcnt vmcnt(14) lgkmcnt(9)
	v_mul_f32_e32 v83, v56, v19
	v_mul_f32_e32 v100, v58, v21
	s_waitcnt vmcnt(12) lgkmcnt(7)
	v_mul_f32_e32 v105, v64, v3
	v_mul_f32_e32 v3, v65, v3
	v_fmac_f32_e32 v83, v57, v18
	v_mul_f32_e32 v102, v60, v31
	v_fmac_f32_e32 v100, v59, v20
	v_fmac_f32_e32 v105, v65, v2
	v_fma_f32 v2, v64, v2, -v3
	v_add_f32_e32 v3, 0, v83
	v_mul_f32_e32 v104, v62, v33
	v_fmac_f32_e32 v102, v61, v30
	v_add_f32_e32 v3, v3, v100
	v_fmac_f32_e32 v104, v63, v32
	v_add_f32_e32 v3, v3, v102
	v_mul_f32_e32 v106, v66, v5
	v_add_f32_e32 v3, v3, v104
	s_waitcnt vmcnt(11) lgkmcnt(6)
	v_mul_f32_e32 v107, v68, v7
	v_fmac_f32_e32 v106, v67, v4
	v_add_f32_e32 v3, v3, v105
	v_mul_f32_e32 v108, v70, v9
	v_fmac_f32_e32 v107, v69, v6
	v_add_f32_e32 v3, v3, v106
	s_waitcnt vmcnt(10) lgkmcnt(5)
	v_mul_f32_e32 v109, v72, v15
	v_fmac_f32_e32 v108, v71, v8
	v_add_f32_e32 v3, v3, v107
	v_mul_f32_e32 v110, v74, v17
	v_fmac_f32_e32 v109, v73, v14
	;; [unrolled: 7-line block ×3, first 2 shown]
	v_add_f32_e32 v3, v3, v110
	s_waitcnt vmcnt(8) lgkmcnt(3)
	v_mul_f32_e32 v113, v84, v35
	v_mul_f32_e32 v19, v57, v19
	v_fmac_f32_e32 v112, v79, v24
	v_add_f32_e32 v3, v3, v111
	v_mul_f32_e32 v114, v86, v37
	v_mul_f32_e32 v21, v59, v21
	v_fmac_f32_e32 v113, v85, v34
	v_fma_f32 v18, v56, v18, -v19
	v_add_f32_e32 v3, v3, v112
	s_waitcnt vmcnt(7) lgkmcnt(2)
	v_mul_f32_e32 v115, v88, v39
	v_mul_f32_e32 v31, v61, v31
	v_fmac_f32_e32 v114, v87, v36
	v_fma_f32 v19, v58, v20, -v21
	v_add_f32_e32 v18, 0, v18
	v_add_f32_e32 v3, v3, v113
	v_mul_f32_e32 v116, v90, v41
	v_mul_f32_e32 v33, v63, v33
	v_fmac_f32_e32 v115, v89, v38
	v_fma_f32 v20, v60, v30, -v31
	v_add_f32_e32 v18, v18, v19
	v_add_f32_e32 v3, v3, v114
	s_waitcnt vmcnt(6) lgkmcnt(1)
	v_mul_f32_e32 v117, v92, v51
	v_fmac_f32_e32 v116, v91, v40
	v_fma_f32 v21, v62, v32, -v33
	v_add_f32_e32 v18, v18, v20
	v_add_f32_e32 v3, v3, v115
	v_mul_f32_e32 v5, v67, v5
	v_fmac_f32_e32 v117, v93, v50
	v_add_f32_e32 v18, v18, v21
	v_add_f32_e32 v3, v3, v116
	;; [unrolled: 1-line block ×4, first 2 shown]
	v_fma_f32 v3, v66, v4, -v5
	v_add_f32_e32 v2, v2, v3
	v_mul_f32_e32 v3, v69, v7
	v_fma_f32 v3, v68, v6, -v3
	v_add_f32_e32 v2, v2, v3
	v_mul_f32_e32 v3, v71, v9
	;; [unrolled: 3-line block ×12, first 2 shown]
	v_mul_f32_e32 v101, v94, v53
	v_fma_f32 v100, v94, v52, -v2
	s_waitcnt vmcnt(5) lgkmcnt(0)
	v_mul_f32_e32 v2, v97, v47
	v_mov_b32_e32 v22, v49
	v_mul_f32_e32 v103, v96, v47
	v_fmac_f32_e32 v101, v95, v52
	v_fma_f32 v102, v96, v46, -v2
	ds_read_b128 v[2:5], v82 offset:736
	ds_read_b128 v[6:9], v82 offset:752
	;; [unrolled: 1-line block ×3, first 2 shown]
	ds_read_b64 v[20:21], v82 offset:784
	v_pk_mul_f32 v[22:23], v[98:99], v[22:23] op_sel:[1,0] op_sel_hi:[0,0]
	v_fmac_f32_e32 v103, v97, v46
	v_pk_add_f32 v[18:19], v[18:19], v[100:101]
	v_pk_fma_f32 v[24:25], v[98:99], v[48:49], v[22:23] neg_lo:[0,0,1] neg_hi:[0,0,1]
	v_pk_fma_f32 v[22:23], v[98:99], v[48:49], v[22:23] op_sel_hi:[1,0,1]
	v_pk_add_f32 v[18:19], v[18:19], v[102:103]
	v_mov_b32_e32 v25, v23
	s_waitcnt vmcnt(4) lgkmcnt(3)
	v_pk_mul_f32 v[22:23], v[2:3], v[42:43] op_sel:[1,1] op_sel_hi:[0,1]
	v_pk_add_f32 v[18:19], v[18:19], v[24:25]
	v_pk_fma_f32 v[24:25], v[2:3], v[42:43], v[22:23] neg_lo:[0,0,1] neg_hi:[0,0,1]
	v_pk_fma_f32 v[2:3], v[2:3], v[42:43], v[22:23] op_sel_hi:[1,0,1]
	s_nop 0
	v_mov_b32_e32 v25, v3
	v_pk_add_f32 v[2:3], v[18:19], v[24:25]
	v_mov_b32_e32 v18, v45
	v_pk_mul_f32 v[18:19], v[4:5], v[18:19] op_sel:[1,0] op_sel_hi:[0,0]
	v_pk_fma_f32 v[22:23], v[4:5], v[44:45], v[18:19] neg_lo:[0,0,1] neg_hi:[0,0,1]
	v_pk_fma_f32 v[4:5], v[4:5], v[44:45], v[18:19] op_sel_hi:[1,0,1]
	s_nop 0
	v_mov_b32_e32 v23, v5
	s_waitcnt vmcnt(3) lgkmcnt(2)
	v_pk_mul_f32 v[4:5], v[6:7], v[26:27] op_sel:[1,1] op_sel_hi:[0,1]
	v_pk_fma_f32 v[18:19], v[6:7], v[26:27], v[4:5] neg_lo:[0,0,1] neg_hi:[0,0,1]
	v_pk_fma_f32 v[4:5], v[6:7], v[26:27], v[4:5] op_sel_hi:[1,0,1]
	v_pk_add_f32 v[2:3], v[2:3], v[22:23]
	v_mov_b32_e32 v4, v29
	v_mov_b32_e32 v19, v5
	v_pk_mul_f32 v[4:5], v[8:9], v[4:5] op_sel:[1,0] op_sel_hi:[0,0]
	v_pk_fma_f32 v[6:7], v[8:9], v[28:29], v[4:5] neg_lo:[0,0,1] neg_hi:[0,0,1]
	v_pk_fma_f32 v[4:5], v[8:9], v[28:29], v[4:5] op_sel_hi:[1,0,1]
	v_pk_add_f32 v[2:3], v[2:3], v[18:19]
	v_mov_b32_e32 v7, v5
	s_waitcnt vmcnt(2) lgkmcnt(1)
	v_pk_mul_f32 v[4:5], v[14:15], v[10:11] op_sel:[1,1] op_sel_hi:[0,1]
	v_pk_add_f32 v[2:3], v[2:3], v[6:7]
	v_pk_fma_f32 v[6:7], v[14:15], v[10:11], v[4:5] neg_lo:[0,0,1] neg_hi:[0,0,1]
	v_pk_fma_f32 v[4:5], v[14:15], v[10:11], v[4:5] op_sel_hi:[1,0,1]
	s_nop 0
	v_mov_b32_e32 v4, v13
	v_mov_b32_e32 v7, v5
	v_pk_mul_f32 v[4:5], v[16:17], v[4:5] op_sel:[1,0] op_sel_hi:[0,0]
	v_pk_add_f32 v[2:3], v[2:3], v[6:7]
	v_pk_fma_f32 v[6:7], v[16:17], v[12:13], v[4:5] neg_lo:[0,0,1] neg_hi:[0,0,1]
	v_pk_fma_f32 v[4:5], v[16:17], v[12:13], v[4:5] op_sel_hi:[1,0,1]
	s_nop 0
	v_mov_b32_e32 v7, v5
	s_waitcnt vmcnt(1) lgkmcnt(0)
	v_pk_mul_f32 v[4:5], v[20:21], v[54:55] op_sel:[1,1] op_sel_hi:[0,1]
	v_pk_add_f32 v[2:3], v[2:3], v[6:7]
	v_pk_fma_f32 v[6:7], v[20:21], v[54:55], v[4:5] neg_lo:[0,0,1] neg_hi:[0,0,1]
	v_pk_fma_f32 v[4:5], v[20:21], v[54:55], v[4:5] op_sel_hi:[1,0,1]
	s_nop 0
	v_mov_b32_e32 v7, v5
	v_pk_add_f32 v[2:3], v[2:3], v[6:7]
	s_waitcnt vmcnt(0)
	v_pk_add_f32 v[2:3], v[80:81], v[2:3] neg_lo:[0,1] neg_hi:[0,1]
	scratch_store_dwordx2 off, v[2:3], off offset:168
	s_and_saveexec_b64 s[0:1], vcc
	s_cbranch_execz .LBB48_267
; %bb.266:
	scratch_load_dwordx2 v[2:3], off, off offset:160
	v_mov_b32_e32 v83, v82
	scratch_store_dwordx2 off, v[82:83], off offset:160
	s_waitcnt vmcnt(1)
	ds_write_b64 v1, v[2:3]
.LBB48_267:
	s_or_b64 exec, exec, s[0:1]
	s_waitcnt lgkmcnt(0)
	; wave barrier
	scratch_load_dwordx4 v[10:13], off, off offset:168
	scratch_load_dwordx4 v[26:29], off, off offset:184
	;; [unrolled: 1-line block ×10, first 2 shown]
	ds_read2_b64 v[84:87], v82 offset0:71 offset1:72
	ds_read2_b64 v[88:91], v82 offset0:73 offset1:74
	;; [unrolled: 1-line block ×10, first 2 shown]
	scratch_load_dwordx4 v[54:57], off, off offset:328
	scratch_load_dwordx4 v[46:49], off, off offset:344
	;; [unrolled: 1-line block ×4, first 2 shown]
	scratch_load_dwordx2 v[100:101], off, off offset:160
	v_cmp_lt_u32_e32 vcc, 19, v0
	s_waitcnt vmcnt(14) lgkmcnt(9)
	v_mul_f32_e32 v83, v84, v11
	v_mul_f32_e32 v102, v86, v13
	s_waitcnt vmcnt(12) lgkmcnt(7)
	v_mul_f32_e32 v107, v92, v3
	v_mul_f32_e32 v3, v93, v3
	v_fmac_f32_e32 v83, v85, v10
	v_mul_f32_e32 v104, v88, v27
	v_fmac_f32_e32 v102, v87, v12
	v_fmac_f32_e32 v107, v93, v2
	v_fma_f32 v2, v92, v2, -v3
	v_add_f32_e32 v3, 0, v83
	v_mul_f32_e32 v106, v90, v29
	v_fmac_f32_e32 v104, v89, v26
	v_add_f32_e32 v3, v3, v102
	v_fmac_f32_e32 v106, v91, v28
	v_add_f32_e32 v3, v3, v104
	v_mul_f32_e32 v108, v94, v5
	v_add_f32_e32 v3, v3, v106
	s_waitcnt vmcnt(11) lgkmcnt(6)
	v_mul_f32_e32 v109, v96, v7
	v_fmac_f32_e32 v108, v95, v4
	v_add_f32_e32 v3, v3, v107
	v_mul_f32_e32 v110, v98, v9
	v_fmac_f32_e32 v109, v97, v6
	v_add_f32_e32 v3, v3, v108
	s_waitcnt vmcnt(10) lgkmcnt(5)
	v_mul_f32_e32 v111, v78, v15
	v_fmac_f32_e32 v110, v99, v8
	v_add_f32_e32 v3, v3, v109
	v_mul_f32_e32 v112, v80, v17
	v_fmac_f32_e32 v111, v79, v14
	;; [unrolled: 7-line block ×4, first 2 shown]
	v_add_f32_e32 v3, v3, v114
	s_waitcnt vmcnt(7) lgkmcnt(2)
	v_mul_f32_e32 v117, v66, v39
	v_mul_f32_e32 v11, v85, v11
	v_fmac_f32_e32 v116, v73, v32
	v_add_f32_e32 v3, v3, v115
	v_mul_f32_e32 v118, v68, v41
	v_mul_f32_e32 v13, v87, v13
	v_fmac_f32_e32 v117, v67, v38
	v_fma_f32 v10, v84, v10, -v11
	v_add_f32_e32 v3, v3, v116
	s_waitcnt vmcnt(6) lgkmcnt(1)
	v_mul_f32_e32 v119, v62, v43
	v_mul_f32_e32 v27, v89, v27
	v_fmac_f32_e32 v118, v69, v40
	v_fma_f32 v11, v86, v12, -v13
	v_add_f32_e32 v10, 0, v10
	v_add_f32_e32 v3, v3, v117
	v_mul_f32_e32 v120, v64, v45
	v_mul_f32_e32 v29, v91, v29
	v_fmac_f32_e32 v119, v63, v42
	v_fma_f32 v12, v88, v26, -v27
	v_add_f32_e32 v10, v10, v11
	v_add_f32_e32 v3, v3, v118
	v_fmac_f32_e32 v120, v65, v44
	v_fma_f32 v13, v90, v28, -v29
	v_add_f32_e32 v10, v10, v12
	v_add_f32_e32 v3, v3, v119
	;; [unrolled: 1-line block ×4, first 2 shown]
	v_mul_f32_e32 v3, v95, v5
	v_add_f32_e32 v2, v10, v2
	v_fma_f32 v3, v94, v4, -v3
	v_add_f32_e32 v2, v2, v3
	v_mul_f32_e32 v3, v97, v7
	v_fma_f32 v3, v96, v6, -v3
	v_add_f32_e32 v2, v2, v3
	v_mul_f32_e32 v3, v99, v9
	;; [unrolled: 3-line block ×12, first 2 shown]
	v_fma_f32 v3, v64, v44, -v3
	v_add_f32_e32 v26, v2, v3
	s_waitcnt vmcnt(5) lgkmcnt(0)
	v_mul_f32_e32 v2, v59, v51
	v_fma_f32 v102, v58, v50, -v2
	v_mul_f32_e32 v2, v61, v53
	v_fma_f32 v104, v60, v52, -v2
	ds_read2_b64 v[2:5], v82 offset0:91 offset1:92
	ds_read2_b64 v[6:9], v82 offset0:93 offset1:94
	;; [unrolled: 1-line block ×4, first 2 shown]
	v_mul_f32_e32 v103, v58, v51
	v_mul_f32_e32 v105, v60, v53
	v_fmac_f32_e32 v103, v59, v50
	s_waitcnt vmcnt(4) lgkmcnt(3)
	v_pk_mul_f32 v[24:25], v[2:3], v[54:55] op_sel:[1,1] op_sel_hi:[0,1]
	v_fmac_f32_e32 v105, v61, v52
	v_pk_add_f32 v[22:23], v[26:27], v[102:103]
	v_pk_fma_f32 v[26:27], v[2:3], v[54:55], v[24:25] neg_lo:[0,0,1] neg_hi:[0,0,1]
	v_pk_fma_f32 v[2:3], v[2:3], v[54:55], v[24:25] op_sel_hi:[1,0,1]
	v_pk_add_f32 v[22:23], v[22:23], v[104:105]
	v_mov_b32_e32 v27, v3
	v_pk_add_f32 v[2:3], v[22:23], v[26:27]
	v_mov_b32_e32 v22, v57
	v_pk_mul_f32 v[22:23], v[4:5], v[22:23] op_sel:[1,0] op_sel_hi:[0,0]
	v_pk_fma_f32 v[24:25], v[4:5], v[56:57], v[22:23] neg_lo:[0,0,1] neg_hi:[0,0,1]
	v_pk_fma_f32 v[4:5], v[4:5], v[56:57], v[22:23] op_sel_hi:[1,0,1]
	s_nop 0
	v_mov_b32_e32 v25, v5
	s_waitcnt vmcnt(3) lgkmcnt(2)
	v_pk_mul_f32 v[4:5], v[6:7], v[46:47] op_sel:[1,1] op_sel_hi:[0,1]
	v_pk_fma_f32 v[22:23], v[6:7], v[46:47], v[4:5] neg_lo:[0,0,1] neg_hi:[0,0,1]
	v_pk_fma_f32 v[4:5], v[6:7], v[46:47], v[4:5] op_sel_hi:[1,0,1]
	v_pk_add_f32 v[2:3], v[2:3], v[24:25]
	v_mov_b32_e32 v4, v49
	v_mov_b32_e32 v23, v5
	v_pk_mul_f32 v[4:5], v[8:9], v[4:5] op_sel:[1,0] op_sel_hi:[0,0]
	v_pk_fma_f32 v[6:7], v[8:9], v[48:49], v[4:5] neg_lo:[0,0,1] neg_hi:[0,0,1]
	v_pk_fma_f32 v[4:5], v[8:9], v[48:49], v[4:5] op_sel_hi:[1,0,1]
	v_pk_add_f32 v[2:3], v[2:3], v[22:23]
	v_mov_b32_e32 v7, v5
	s_waitcnt vmcnt(2) lgkmcnt(1)
	v_pk_mul_f32 v[4:5], v[10:11], v[34:35] op_sel:[1,1] op_sel_hi:[0,1]
	v_pk_add_f32 v[2:3], v[2:3], v[6:7]
	v_pk_fma_f32 v[6:7], v[10:11], v[34:35], v[4:5] neg_lo:[0,0,1] neg_hi:[0,0,1]
	v_pk_fma_f32 v[4:5], v[10:11], v[34:35], v[4:5] op_sel_hi:[1,0,1]
	s_nop 0
	v_mov_b32_e32 v4, v37
	v_mov_b32_e32 v7, v5
	v_pk_mul_f32 v[4:5], v[12:13], v[4:5] op_sel:[1,0] op_sel_hi:[0,0]
	v_pk_add_f32 v[2:3], v[2:3], v[6:7]
	v_pk_fma_f32 v[6:7], v[12:13], v[36:37], v[4:5] neg_lo:[0,0,1] neg_hi:[0,0,1]
	v_pk_fma_f32 v[4:5], v[12:13], v[36:37], v[4:5] op_sel_hi:[1,0,1]
	s_nop 0
	v_mov_b32_e32 v7, v5
	s_waitcnt vmcnt(1) lgkmcnt(0)
	v_pk_mul_f32 v[4:5], v[14:15], v[18:19] op_sel:[1,1] op_sel_hi:[0,1]
	v_pk_add_f32 v[2:3], v[2:3], v[6:7]
	v_pk_fma_f32 v[6:7], v[14:15], v[18:19], v[4:5] neg_lo:[0,0,1] neg_hi:[0,0,1]
	v_pk_fma_f32 v[4:5], v[14:15], v[18:19], v[4:5] op_sel_hi:[1,0,1]
	s_nop 0
	v_mov_b32_e32 v4, v21
	v_mov_b32_e32 v7, v5
	v_pk_mul_f32 v[4:5], v[16:17], v[4:5] op_sel:[1,0] op_sel_hi:[0,0]
	v_pk_add_f32 v[2:3], v[2:3], v[6:7]
	v_pk_fma_f32 v[6:7], v[16:17], v[20:21], v[4:5] neg_lo:[0,0,1] neg_hi:[0,0,1]
	v_pk_fma_f32 v[4:5], v[16:17], v[20:21], v[4:5] op_sel_hi:[1,0,1]
	s_nop 0
	v_mov_b32_e32 v7, v5
	v_pk_add_f32 v[2:3], v[2:3], v[6:7]
	s_waitcnt vmcnt(0)
	v_pk_add_f32 v[2:3], v[100:101], v[2:3] neg_lo:[0,1] neg_hi:[0,1]
	scratch_store_dwordx2 off, v[2:3], off offset:160
	s_and_saveexec_b64 s[0:1], vcc
	s_cbranch_execz .LBB48_269
; %bb.268:
	scratch_load_dwordx2 v[2:3], off, off offset:152
	v_mov_b32_e32 v4, 0
	v_mov_b32_e32 v5, v4
	scratch_store_dwordx2 off, v[4:5], off offset:152
	s_waitcnt vmcnt(1)
	ds_write_b64 v1, v[2:3]
.LBB48_269:
	s_or_b64 exec, exec, s[0:1]
	s_waitcnt lgkmcnt(0)
	; wave barrier
	scratch_load_dwordx4 v[26:29], off, off offset:160
	scratch_load_dwordx4 v[2:5], off, off offset:176
	scratch_load_dwordx4 v[6:9], off, off offset:192
	scratch_load_dwordx4 v[10:13], off, off offset:208
	scratch_load_dwordx4 v[14:17], off, off offset:224
	scratch_load_dwordx4 v[22:25], off, off offset:240
	scratch_load_dwordx4 v[30:33], off, off offset:256
	scratch_load_dwordx4 v[38:41], off, off offset:272
	scratch_load_dwordx4 v[42:45], off, off offset:288
	scratch_load_dwordx4 v[50:53], off, off offset:304
	scratch_load_dwordx4 v[54:57], off, off offset:320
	scratch_load_dwordx4 v[46:49], off, off offset:336
	scratch_load_dwordx4 v[34:37], off, off offset:352
	scratch_load_dwordx4 v[18:21], off, off offset:368
	scratch_load_dwordx2 v[58:59], off, off offset:384
	scratch_load_dwordx2 v[100:101], off, off offset:152
	v_mov_b32_e32 v102, 0
	ds_read_b128 v[60:63], v102 offset:560
	ds_read_b128 v[64:67], v102 offset:576
	;; [unrolled: 1-line block ×12, first 2 shown]
	v_cmp_lt_u32_e32 vcc, 18, v0
	s_waitcnt vmcnt(15) lgkmcnt(11)
	v_mul_f32_e32 v103, v60, v27
	v_mul_f32_e32 v112, v62, v29
	s_waitcnt vmcnt(14) lgkmcnt(10)
	v_mul_f32_e32 v114, v64, v3
	v_mul_f32_e32 v3, v65, v3
	v_fmac_f32_e32 v103, v61, v26
	v_fmac_f32_e32 v112, v63, v28
	v_fmac_f32_e32 v114, v65, v2
	v_fma_f32 v2, v64, v2, -v3
	v_add_f32_e32 v3, 0, v103
	v_mul_f32_e32 v116, v66, v5
	v_add_f32_e32 v3, v3, v112
	s_waitcnt vmcnt(13) lgkmcnt(9)
	v_mul_f32_e32 v117, v68, v7
	v_fmac_f32_e32 v116, v67, v4
	v_add_f32_e32 v3, v3, v114
	v_mul_f32_e32 v118, v70, v9
	v_fmac_f32_e32 v117, v69, v6
	v_add_f32_e32 v3, v3, v116
	s_waitcnt vmcnt(12) lgkmcnt(8)
	v_mul_f32_e32 v119, v72, v11
	v_fmac_f32_e32 v118, v71, v8
	v_add_f32_e32 v3, v3, v117
	v_mul_f32_e32 v120, v74, v13
	v_fmac_f32_e32 v119, v73, v10
	;; [unrolled: 7-line block ×6, first 2 shown]
	v_add_f32_e32 v3, v3, v126
	s_waitcnt vmcnt(7) lgkmcnt(3)
	v_mul_f32_e32 v129, v92, v43
	v_fmac_f32_e32 v128, v91, v40
	v_add_f32_e32 v3, v3, v127
	v_mul_f32_e32 v130, v94, v45
	v_mul_f32_e32 v27, v61, v27
	v_fmac_f32_e32 v129, v93, v42
	v_add_f32_e32 v3, v3, v128
	s_waitcnt vmcnt(6) lgkmcnt(2)
	v_mul_f32_e32 v131, v96, v51
	v_mul_f32_e32 v29, v63, v29
	v_fmac_f32_e32 v130, v95, v44
	v_fma_f32 v26, v60, v26, -v27
	v_add_f32_e32 v3, v3, v129
	v_fmac_f32_e32 v131, v97, v50
	v_fma_f32 v27, v62, v28, -v29
	v_add_f32_e32 v26, 0, v26
	v_add_f32_e32 v3, v3, v130
	;; [unrolled: 1-line block ×4, first 2 shown]
	v_mul_f32_e32 v3, v67, v5
	v_add_f32_e32 v2, v26, v2
	v_fma_f32 v3, v66, v4, -v3
	v_add_f32_e32 v2, v2, v3
	v_mul_f32_e32 v3, v69, v7
	v_fma_f32 v3, v68, v6, -v3
	v_add_f32_e32 v2, v2, v3
	v_mul_f32_e32 v3, v71, v9
	;; [unrolled: 3-line block ×15, first 2 shown]
	v_fma_f32 v3, v96, v50, -v3
	v_mul_f32_e32 v113, v98, v53
	v_add_f32_e32 v26, v2, v3
	v_mul_f32_e32 v2, v99, v53
	s_waitcnt vmcnt(5)
	v_mov_b32_e32 v14, v57
	s_waitcnt lgkmcnt(1)
	v_mul_f32_e32 v115, v104, v55
	v_fmac_f32_e32 v113, v99, v52
	v_fma_f32 v112, v98, v52, -v2
	v_mul_f32_e32 v2, v105, v55
	v_pk_mul_f32 v[14:15], v[106:107], v[14:15] op_sel:[1,0] op_sel_hi:[0,0]
	v_fmac_f32_e32 v115, v105, v54
	v_fma_f32 v114, v104, v54, -v2
	v_pk_add_f32 v[12:13], v[26:27], v[112:113]
	v_pk_fma_f32 v[16:17], v[106:107], v[56:57], v[14:15] neg_lo:[0,0,1] neg_hi:[0,0,1]
	v_pk_fma_f32 v[14:15], v[106:107], v[56:57], v[14:15] op_sel_hi:[1,0,1]
	v_pk_add_f32 v[12:13], v[12:13], v[114:115]
	v_mov_b32_e32 v17, v15
	s_waitcnt vmcnt(4) lgkmcnt(0)
	v_pk_mul_f32 v[14:15], v[108:109], v[46:47] op_sel:[1,1] op_sel_hi:[0,1]
	v_pk_add_f32 v[12:13], v[12:13], v[16:17]
	v_pk_fma_f32 v[16:17], v[108:109], v[46:47], v[14:15] neg_lo:[0,0,1] neg_hi:[0,0,1]
	v_pk_fma_f32 v[14:15], v[108:109], v[46:47], v[14:15] op_sel_hi:[1,0,1]
	ds_read_b128 v[2:5], v102 offset:752
	ds_read_b128 v[6:9], v102 offset:768
	ds_read_b64 v[10:11], v102 offset:784
	v_mov_b32_e32 v14, v49
	v_mov_b32_e32 v17, v15
	v_pk_mul_f32 v[14:15], v[110:111], v[14:15] op_sel:[1,0] op_sel_hi:[0,0]
	v_pk_add_f32 v[12:13], v[12:13], v[16:17]
	v_pk_fma_f32 v[16:17], v[110:111], v[48:49], v[14:15] neg_lo:[0,0,1] neg_hi:[0,0,1]
	v_pk_fma_f32 v[14:15], v[110:111], v[48:49], v[14:15] op_sel_hi:[1,0,1]
	s_nop 0
	v_mov_b32_e32 v17, v15
	s_waitcnt vmcnt(3) lgkmcnt(2)
	v_pk_mul_f32 v[14:15], v[2:3], v[34:35] op_sel:[1,1] op_sel_hi:[0,1]
	v_pk_add_f32 v[12:13], v[12:13], v[16:17]
	v_pk_fma_f32 v[16:17], v[2:3], v[34:35], v[14:15] neg_lo:[0,0,1] neg_hi:[0,0,1]
	v_pk_fma_f32 v[2:3], v[2:3], v[34:35], v[14:15] op_sel_hi:[1,0,1]
	s_nop 0
	v_mov_b32_e32 v17, v3
	v_pk_add_f32 v[2:3], v[12:13], v[16:17]
	v_mov_b32_e32 v12, v37
	v_pk_mul_f32 v[12:13], v[4:5], v[12:13] op_sel:[1,0] op_sel_hi:[0,0]
	v_pk_fma_f32 v[14:15], v[4:5], v[36:37], v[12:13] neg_lo:[0,0,1] neg_hi:[0,0,1]
	v_pk_fma_f32 v[4:5], v[4:5], v[36:37], v[12:13] op_sel_hi:[1,0,1]
	s_nop 0
	v_mov_b32_e32 v15, v5
	s_waitcnt vmcnt(2) lgkmcnt(1)
	v_pk_mul_f32 v[4:5], v[6:7], v[18:19] op_sel:[1,1] op_sel_hi:[0,1]
	v_pk_fma_f32 v[12:13], v[6:7], v[18:19], v[4:5] neg_lo:[0,0,1] neg_hi:[0,0,1]
	v_pk_fma_f32 v[4:5], v[6:7], v[18:19], v[4:5] op_sel_hi:[1,0,1]
	v_pk_add_f32 v[2:3], v[2:3], v[14:15]
	v_mov_b32_e32 v4, v21
	v_mov_b32_e32 v13, v5
	v_pk_mul_f32 v[4:5], v[8:9], v[4:5] op_sel:[1,0] op_sel_hi:[0,0]
	v_pk_fma_f32 v[6:7], v[8:9], v[20:21], v[4:5] neg_lo:[0,0,1] neg_hi:[0,0,1]
	v_pk_fma_f32 v[4:5], v[8:9], v[20:21], v[4:5] op_sel_hi:[1,0,1]
	v_pk_add_f32 v[2:3], v[2:3], v[12:13]
	v_mov_b32_e32 v7, v5
	s_waitcnt vmcnt(1) lgkmcnt(0)
	v_pk_mul_f32 v[4:5], v[10:11], v[58:59] op_sel:[1,1] op_sel_hi:[0,1]
	v_pk_add_f32 v[2:3], v[2:3], v[6:7]
	v_pk_fma_f32 v[6:7], v[10:11], v[58:59], v[4:5] neg_lo:[0,0,1] neg_hi:[0,0,1]
	v_pk_fma_f32 v[4:5], v[10:11], v[58:59], v[4:5] op_sel_hi:[1,0,1]
	s_nop 0
	v_mov_b32_e32 v7, v5
	v_pk_add_f32 v[2:3], v[2:3], v[6:7]
	s_waitcnt vmcnt(0)
	v_pk_add_f32 v[2:3], v[100:101], v[2:3] neg_lo:[0,1] neg_hi:[0,1]
	scratch_store_dwordx2 off, v[2:3], off offset:152
	s_and_saveexec_b64 s[0:1], vcc
	s_cbranch_execz .LBB48_271
; %bb.270:
	scratch_load_dwordx2 v[2:3], off, off offset:144
	v_mov_b32_e32 v103, v102
	scratch_store_dwordx2 off, v[102:103], off offset:144
	s_waitcnt vmcnt(1)
	ds_write_b64 v1, v[2:3]
.LBB48_271:
	s_or_b64 exec, exec, s[0:1]
	s_waitcnt lgkmcnt(0)
	; wave barrier
	scratch_load_dwordx4 v[18:21], off, off offset:152
	scratch_load_dwordx4 v[2:5], off, off offset:168
	;; [unrolled: 1-line block ×11, first 2 shown]
	ds_read2_b64 v[104:107], v102 offset0:69 offset1:70
	ds_read2_b64 v[98:101], v102 offset0:71 offset1:72
	ds_read2_b64 v[94:97], v102 offset0:73 offset1:74
	ds_read2_b64 v[90:93], v102 offset0:75 offset1:76
	ds_read2_b64 v[86:89], v102 offset0:77 offset1:78
	ds_read2_b64 v[82:85], v102 offset0:79 offset1:80
	ds_read2_b64 v[74:77], v102 offset0:81 offset1:82
	ds_read2_b64 v[70:73], v102 offset0:83 offset1:84
	ds_read2_b64 v[66:69], v102 offset0:85 offset1:86
	ds_read2_b64 v[62:65], v102 offset0:87 offset1:88
	scratch_load_dwordx4 v[58:61], off, off offset:328
	scratch_load_dwordx4 v[50:53], off, off offset:344
	scratch_load_dwordx4 v[38:41], off, off offset:360
	scratch_load_dwordx4 v[26:29], off, off offset:376
	ds_read2_b64 v[78:81], v102 offset0:89 offset1:90
	ds_read2_b64 v[108:111], v102 offset0:91 offset1:92
	scratch_load_dwordx2 v[112:113], off, off offset:144
	v_cmp_lt_u32_e32 vcc, 17, v0
	s_waitcnt vmcnt(15) lgkmcnt(11)
	v_mul_f32_e32 v103, v104, v19
	v_mul_f32_e32 v114, v106, v21
	s_waitcnt vmcnt(14) lgkmcnt(10)
	v_mul_f32_e32 v116, v98, v3
	v_mul_f32_e32 v3, v99, v3
	v_fmac_f32_e32 v103, v105, v18
	v_fmac_f32_e32 v114, v107, v20
	;; [unrolled: 1-line block ×3, first 2 shown]
	v_fma_f32 v2, v98, v2, -v3
	v_add_f32_e32 v3, 0, v103
	v_mul_f32_e32 v118, v100, v5
	v_add_f32_e32 v3, v3, v114
	s_waitcnt vmcnt(13) lgkmcnt(9)
	v_mul_f32_e32 v119, v94, v7
	v_fmac_f32_e32 v118, v101, v4
	v_add_f32_e32 v3, v3, v116
	v_mul_f32_e32 v120, v96, v9
	v_fmac_f32_e32 v119, v95, v6
	v_add_f32_e32 v3, v3, v118
	s_waitcnt vmcnt(12) lgkmcnt(8)
	v_mul_f32_e32 v121, v90, v11
	v_fmac_f32_e32 v120, v97, v8
	v_add_f32_e32 v3, v3, v119
	v_mul_f32_e32 v122, v92, v13
	v_fmac_f32_e32 v121, v91, v10
	v_add_f32_e32 v3, v3, v120
	s_waitcnt vmcnt(11) lgkmcnt(7)
	v_mul_f32_e32 v123, v86, v15
	v_fmac_f32_e32 v122, v93, v12
	v_add_f32_e32 v3, v3, v121
	v_mul_f32_e32 v124, v88, v17
	v_fmac_f32_e32 v123, v87, v14
	v_add_f32_e32 v3, v3, v122
	s_waitcnt vmcnt(10) lgkmcnt(6)
	v_mul_f32_e32 v125, v82, v23
	v_fmac_f32_e32 v124, v89, v16
	v_add_f32_e32 v3, v3, v123
	v_mul_f32_e32 v126, v84, v25
	v_fmac_f32_e32 v125, v83, v22
	v_add_f32_e32 v3, v3, v124
	s_waitcnt vmcnt(9) lgkmcnt(5)
	v_mul_f32_e32 v127, v74, v31
	v_fmac_f32_e32 v126, v85, v24
	v_add_f32_e32 v3, v3, v125
	v_mul_f32_e32 v128, v76, v33
	v_fmac_f32_e32 v127, v75, v30
	v_add_f32_e32 v3, v3, v126
	s_waitcnt vmcnt(8) lgkmcnt(4)
	v_mul_f32_e32 v129, v70, v35
	v_fmac_f32_e32 v128, v77, v32
	v_add_f32_e32 v3, v3, v127
	v_mul_f32_e32 v130, v72, v37
	v_fmac_f32_e32 v129, v71, v34
	v_add_f32_e32 v3, v3, v128
	s_waitcnt vmcnt(7) lgkmcnt(3)
	v_mul_f32_e32 v131, v66, v43
	v_fmac_f32_e32 v130, v73, v36
	v_add_f32_e32 v3, v3, v129
	v_mul_f32_e32 v132, v68, v45
	v_fmac_f32_e32 v131, v67, v42
	v_add_f32_e32 v3, v3, v130
	s_waitcnt vmcnt(6) lgkmcnt(2)
	v_mul_f32_e32 v133, v62, v47
	v_mul_f32_e32 v19, v105, v19
	v_fmac_f32_e32 v132, v69, v44
	v_add_f32_e32 v3, v3, v131
	v_mul_f32_e32 v134, v64, v49
	v_mul_f32_e32 v21, v107, v21
	v_fmac_f32_e32 v133, v63, v46
	v_fma_f32 v18, v104, v18, -v19
	v_add_f32_e32 v3, v3, v132
	v_fmac_f32_e32 v134, v65, v48
	v_fma_f32 v19, v106, v20, -v21
	v_add_f32_e32 v18, 0, v18
	v_add_f32_e32 v3, v3, v133
	;; [unrolled: 1-line block ×4, first 2 shown]
	v_mul_f32_e32 v3, v101, v5
	v_add_f32_e32 v2, v18, v2
	v_fma_f32 v3, v100, v4, -v3
	v_add_f32_e32 v2, v2, v3
	v_mul_f32_e32 v3, v95, v7
	v_fma_f32 v3, v94, v6, -v3
	v_add_f32_e32 v2, v2, v3
	v_mul_f32_e32 v3, v97, v9
	;; [unrolled: 3-line block ×16, first 2 shown]
	v_fma_f32 v3, v64, v48, -v3
	s_waitcnt vmcnt(5) lgkmcnt(1)
	v_mul_f32_e32 v115, v78, v55
	v_add_f32_e32 v18, v2, v3
	v_mul_f32_e32 v2, v79, v55
	v_fmac_f32_e32 v115, v79, v54
	v_fma_f32 v114, v78, v54, -v2
	s_waitcnt vmcnt(4) lgkmcnt(0)
	v_pk_mul_f32 v[16:17], v[108:109], v[58:59] op_sel:[1,1] op_sel_hi:[0,1]
	v_mul_f32_e32 v117, v80, v57
	v_mul_f32_e32 v2, v81, v57
	v_pk_add_f32 v[14:15], v[18:19], v[114:115]
	v_pk_fma_f32 v[18:19], v[108:109], v[58:59], v[16:17] neg_lo:[0,0,1] neg_hi:[0,0,1]
	v_pk_fma_f32 v[16:17], v[108:109], v[58:59], v[16:17] op_sel_hi:[1,0,1]
	v_fmac_f32_e32 v117, v81, v56
	v_fma_f32 v116, v80, v56, -v2
	ds_read2_b64 v[2:5], v102 offset0:93 offset1:94
	ds_read2_b64 v[6:9], v102 offset0:95 offset1:96
	;; [unrolled: 1-line block ×3, first 2 shown]
	v_mov_b32_e32 v16, v61
	v_pk_add_f32 v[14:15], v[14:15], v[116:117]
	v_mov_b32_e32 v19, v17
	v_pk_mul_f32 v[16:17], v[110:111], v[16:17] op_sel:[1,0] op_sel_hi:[0,0]
	v_pk_add_f32 v[14:15], v[14:15], v[18:19]
	v_pk_fma_f32 v[18:19], v[110:111], v[60:61], v[16:17] neg_lo:[0,0,1] neg_hi:[0,0,1]
	v_pk_fma_f32 v[16:17], v[110:111], v[60:61], v[16:17] op_sel_hi:[1,0,1]
	s_nop 0
	v_mov_b32_e32 v19, v17
	s_waitcnt vmcnt(3) lgkmcnt(2)
	v_pk_mul_f32 v[16:17], v[2:3], v[50:51] op_sel:[1,1] op_sel_hi:[0,1]
	v_pk_add_f32 v[14:15], v[14:15], v[18:19]
	v_pk_fma_f32 v[18:19], v[2:3], v[50:51], v[16:17] neg_lo:[0,0,1] neg_hi:[0,0,1]
	v_pk_fma_f32 v[2:3], v[2:3], v[50:51], v[16:17] op_sel_hi:[1,0,1]
	s_nop 0
	v_mov_b32_e32 v19, v3
	v_pk_add_f32 v[2:3], v[14:15], v[18:19]
	v_mov_b32_e32 v14, v53
	v_pk_mul_f32 v[14:15], v[4:5], v[14:15] op_sel:[1,0] op_sel_hi:[0,0]
	v_pk_fma_f32 v[16:17], v[4:5], v[52:53], v[14:15] neg_lo:[0,0,1] neg_hi:[0,0,1]
	v_pk_fma_f32 v[4:5], v[4:5], v[52:53], v[14:15] op_sel_hi:[1,0,1]
	s_nop 0
	v_mov_b32_e32 v17, v5
	s_waitcnt vmcnt(2) lgkmcnt(1)
	v_pk_mul_f32 v[4:5], v[6:7], v[38:39] op_sel:[1,1] op_sel_hi:[0,1]
	v_pk_fma_f32 v[14:15], v[6:7], v[38:39], v[4:5] neg_lo:[0,0,1] neg_hi:[0,0,1]
	v_pk_fma_f32 v[4:5], v[6:7], v[38:39], v[4:5] op_sel_hi:[1,0,1]
	v_pk_add_f32 v[2:3], v[2:3], v[16:17]
	v_mov_b32_e32 v4, v41
	v_mov_b32_e32 v15, v5
	v_pk_mul_f32 v[4:5], v[8:9], v[4:5] op_sel:[1,0] op_sel_hi:[0,0]
	v_pk_fma_f32 v[6:7], v[8:9], v[40:41], v[4:5] neg_lo:[0,0,1] neg_hi:[0,0,1]
	v_pk_fma_f32 v[4:5], v[8:9], v[40:41], v[4:5] op_sel_hi:[1,0,1]
	v_pk_add_f32 v[2:3], v[2:3], v[14:15]
	v_mov_b32_e32 v7, v5
	s_waitcnt vmcnt(1) lgkmcnt(0)
	v_pk_mul_f32 v[4:5], v[10:11], v[26:27] op_sel:[1,1] op_sel_hi:[0,1]
	v_pk_add_f32 v[2:3], v[2:3], v[6:7]
	v_pk_fma_f32 v[6:7], v[10:11], v[26:27], v[4:5] neg_lo:[0,0,1] neg_hi:[0,0,1]
	v_pk_fma_f32 v[4:5], v[10:11], v[26:27], v[4:5] op_sel_hi:[1,0,1]
	s_nop 0
	v_mov_b32_e32 v4, v29
	v_mov_b32_e32 v7, v5
	v_pk_mul_f32 v[4:5], v[12:13], v[4:5] op_sel:[1,0] op_sel_hi:[0,0]
	v_pk_add_f32 v[2:3], v[2:3], v[6:7]
	v_pk_fma_f32 v[6:7], v[12:13], v[28:29], v[4:5] neg_lo:[0,0,1] neg_hi:[0,0,1]
	v_pk_fma_f32 v[4:5], v[12:13], v[28:29], v[4:5] op_sel_hi:[1,0,1]
	s_nop 0
	v_mov_b32_e32 v7, v5
	v_pk_add_f32 v[2:3], v[2:3], v[6:7]
	s_waitcnt vmcnt(0)
	v_pk_add_f32 v[2:3], v[112:113], v[2:3] neg_lo:[0,1] neg_hi:[0,1]
	scratch_store_dwordx2 off, v[2:3], off offset:144
	s_and_saveexec_b64 s[0:1], vcc
	s_cbranch_execz .LBB48_273
; %bb.272:
	scratch_load_dwordx2 v[2:3], off, off offset:136
	v_mov_b32_e32 v4, 0
	v_mov_b32_e32 v5, v4
	scratch_store_dwordx2 off, v[4:5], off offset:136
	s_waitcnt vmcnt(1)
	ds_write_b64 v1, v[2:3]
.LBB48_273:
	s_or_b64 exec, exec, s[0:1]
	s_waitcnt lgkmcnt(0)
	; wave barrier
	scratch_load_dwordx4 v[2:5], off, off offset:144
	scratch_load_dwordx4 v[6:9], off, off offset:160
	;; [unrolled: 1-line block ×15, first 2 shown]
	scratch_load_dwordx2 v[62:63], off, off offset:384
	scratch_load_dwordx2 v[112:113], off, off offset:136
	v_mov_b32_e32 v114, 0
	ds_read_b128 v[64:67], v114 offset:544
	ds_read_b128 v[68:71], v114 offset:560
	;; [unrolled: 1-line block ×12, first 2 shown]
	v_cmp_lt_u32_e32 vcc, 16, v0
	s_waitcnt vmcnt(16) lgkmcnt(11)
	v_mul_f32_e32 v115, v64, v3
	v_mul_f32_e32 v116, v66, v5
	;; [unrolled: 1-line block ×3, first 2 shown]
	v_fmac_f32_e32 v115, v65, v2
	s_waitcnt vmcnt(15) lgkmcnt(10)
	v_mul_f32_e32 v118, v68, v7
	v_fmac_f32_e32 v116, v67, v4
	v_fma_f32 v2, v64, v2, -v3
	v_add_f32_e32 v3, 0, v115
	v_mul_f32_e32 v120, v70, v9
	v_fmac_f32_e32 v118, v69, v6
	v_add_f32_e32 v3, v3, v116
	s_waitcnt vmcnt(14) lgkmcnt(9)
	v_mul_f32_e32 v121, v72, v11
	v_fmac_f32_e32 v120, v71, v8
	v_add_f32_e32 v3, v3, v118
	v_mul_f32_e32 v122, v74, v13
	v_fmac_f32_e32 v121, v73, v10
	v_add_f32_e32 v3, v3, v120
	s_waitcnt vmcnt(13) lgkmcnt(8)
	v_mul_f32_e32 v123, v76, v15
	v_fmac_f32_e32 v122, v75, v12
	;; [unrolled: 7-line block ×9, first 2 shown]
	v_add_f32_e32 v3, v3, v135
	v_mul_f32_e32 v5, v67, v5
	v_fmac_f32_e32 v137, v105, v58
	v_add_f32_e32 v3, v3, v136
	v_add_f32_e32 v2, 0, v2
	;; [unrolled: 1-line block ×3, first 2 shown]
	v_fma_f32 v3, v66, v4, -v5
	v_add_f32_e32 v2, v2, v3
	v_mul_f32_e32 v3, v69, v7
	v_fma_f32 v3, v68, v6, -v3
	v_add_f32_e32 v2, v2, v3
	v_mul_f32_e32 v3, v71, v9
	;; [unrolled: 3-line block ×20, first 2 shown]
	v_mul_f32_e32 v117, v106, v61
	v_fma_f32 v116, v106, v60, -v2
	s_waitcnt vmcnt(5) lgkmcnt(0)
	v_mul_f32_e32 v2, v109, v55
	v_mov_b32_e32 v18, v57
	v_mul_f32_e32 v119, v108, v55
	v_fmac_f32_e32 v117, v107, v60
	v_fma_f32 v118, v108, v54, -v2
	ds_read_b128 v[2:5], v114 offset:736
	ds_read_b128 v[6:9], v114 offset:752
	;; [unrolled: 1-line block ×3, first 2 shown]
	ds_read_b64 v[14:15], v114 offset:784
	v_pk_mul_f32 v[18:19], v[110:111], v[18:19] op_sel:[1,0] op_sel_hi:[0,0]
	v_fmac_f32_e32 v119, v109, v54
	v_pk_add_f32 v[16:17], v[64:65], v[116:117]
	v_pk_fma_f32 v[20:21], v[110:111], v[56:57], v[18:19] neg_lo:[0,0,1] neg_hi:[0,0,1]
	v_pk_fma_f32 v[18:19], v[110:111], v[56:57], v[18:19] op_sel_hi:[1,0,1]
	v_pk_add_f32 v[16:17], v[16:17], v[118:119]
	v_mov_b32_e32 v21, v19
	s_waitcnt vmcnt(4) lgkmcnt(3)
	v_pk_mul_f32 v[18:19], v[2:3], v[50:51] op_sel:[1,1] op_sel_hi:[0,1]
	v_pk_add_f32 v[16:17], v[16:17], v[20:21]
	v_pk_fma_f32 v[20:21], v[2:3], v[50:51], v[18:19] neg_lo:[0,0,1] neg_hi:[0,0,1]
	v_pk_fma_f32 v[2:3], v[2:3], v[50:51], v[18:19] op_sel_hi:[1,0,1]
	s_nop 0
	v_mov_b32_e32 v21, v3
	v_pk_add_f32 v[2:3], v[16:17], v[20:21]
	v_mov_b32_e32 v16, v53
	v_pk_mul_f32 v[16:17], v[4:5], v[16:17] op_sel:[1,0] op_sel_hi:[0,0]
	v_pk_fma_f32 v[18:19], v[4:5], v[52:53], v[16:17] neg_lo:[0,0,1] neg_hi:[0,0,1]
	v_pk_fma_f32 v[4:5], v[4:5], v[52:53], v[16:17] op_sel_hi:[1,0,1]
	s_nop 0
	v_mov_b32_e32 v19, v5
	s_waitcnt vmcnt(3) lgkmcnt(2)
	v_pk_mul_f32 v[4:5], v[6:7], v[38:39] op_sel:[1,1] op_sel_hi:[0,1]
	v_pk_fma_f32 v[16:17], v[6:7], v[38:39], v[4:5] neg_lo:[0,0,1] neg_hi:[0,0,1]
	v_pk_fma_f32 v[4:5], v[6:7], v[38:39], v[4:5] op_sel_hi:[1,0,1]
	v_pk_add_f32 v[2:3], v[2:3], v[18:19]
	v_mov_b32_e32 v4, v41
	v_mov_b32_e32 v17, v5
	v_pk_mul_f32 v[4:5], v[8:9], v[4:5] op_sel:[1,0] op_sel_hi:[0,0]
	v_pk_fma_f32 v[6:7], v[8:9], v[40:41], v[4:5] neg_lo:[0,0,1] neg_hi:[0,0,1]
	v_pk_fma_f32 v[4:5], v[8:9], v[40:41], v[4:5] op_sel_hi:[1,0,1]
	v_pk_add_f32 v[2:3], v[2:3], v[16:17]
	v_mov_b32_e32 v7, v5
	s_waitcnt vmcnt(2) lgkmcnt(1)
	v_pk_mul_f32 v[4:5], v[10:11], v[26:27] op_sel:[1,1] op_sel_hi:[0,1]
	v_pk_add_f32 v[2:3], v[2:3], v[6:7]
	v_pk_fma_f32 v[6:7], v[10:11], v[26:27], v[4:5] neg_lo:[0,0,1] neg_hi:[0,0,1]
	v_pk_fma_f32 v[4:5], v[10:11], v[26:27], v[4:5] op_sel_hi:[1,0,1]
	s_nop 0
	v_mov_b32_e32 v4, v29
	v_mov_b32_e32 v7, v5
	v_pk_mul_f32 v[4:5], v[12:13], v[4:5] op_sel:[1,0] op_sel_hi:[0,0]
	v_pk_add_f32 v[2:3], v[2:3], v[6:7]
	v_pk_fma_f32 v[6:7], v[12:13], v[28:29], v[4:5] neg_lo:[0,0,1] neg_hi:[0,0,1]
	v_pk_fma_f32 v[4:5], v[12:13], v[28:29], v[4:5] op_sel_hi:[1,0,1]
	s_nop 0
	v_mov_b32_e32 v7, v5
	s_waitcnt vmcnt(1) lgkmcnt(0)
	v_pk_mul_f32 v[4:5], v[14:15], v[62:63] op_sel:[1,1] op_sel_hi:[0,1]
	v_pk_add_f32 v[2:3], v[2:3], v[6:7]
	v_pk_fma_f32 v[6:7], v[14:15], v[62:63], v[4:5] neg_lo:[0,0,1] neg_hi:[0,0,1]
	v_pk_fma_f32 v[4:5], v[14:15], v[62:63], v[4:5] op_sel_hi:[1,0,1]
	s_nop 0
	v_mov_b32_e32 v7, v5
	v_pk_add_f32 v[2:3], v[2:3], v[6:7]
	s_waitcnt vmcnt(0)
	v_pk_add_f32 v[2:3], v[112:113], v[2:3] neg_lo:[0,1] neg_hi:[0,1]
	scratch_store_dwordx2 off, v[2:3], off offset:136
	s_and_saveexec_b64 s[0:1], vcc
	s_cbranch_execz .LBB48_275
; %bb.274:
	scratch_load_dwordx2 v[2:3], off, off offset:128
	v_mov_b32_e32 v115, v114
	scratch_store_dwordx2 off, v[114:115], off offset:128
	s_waitcnt vmcnt(1)
	ds_write_b64 v1, v[2:3]
.LBB48_275:
	s_or_b64 exec, exec, s[0:1]
	s_waitcnt lgkmcnt(0)
	; wave barrier
	scratch_load_dwordx4 v[2:5], off, off offset:136
	scratch_load_dwordx4 v[6:9], off, off offset:152
	;; [unrolled: 1-line block ×12, first 2 shown]
	ds_read2_b64 v[110:113], v114 offset0:67 offset1:68
	ds_read2_b64 v[106:109], v114 offset0:69 offset1:70
	ds_read2_b64 v[102:105], v114 offset0:71 offset1:72
	ds_read2_b64 v[98:101], v114 offset0:73 offset1:74
	ds_read2_b64 v[94:97], v114 offset0:75 offset1:76
	ds_read2_b64 v[90:93], v114 offset0:77 offset1:78
	ds_read2_b64 v[86:89], v114 offset0:79 offset1:80
	ds_read2_b64 v[82:85], v114 offset0:81 offset1:82
	ds_read2_b64 v[78:81], v114 offset0:83 offset1:84
	ds_read2_b64 v[74:77], v114 offset0:85 offset1:86
	ds_read2_b64 v[70:73], v114 offset0:87 offset1:88
	ds_read2_b64 v[66:69], v114 offset0:89 offset1:90
	scratch_load_dwordx4 v[62:65], off, off offset:328
	scratch_load_dwordx4 v[54:57], off, off offset:344
	;; [unrolled: 1-line block ×4, first 2 shown]
	scratch_load_dwordx2 v[116:117], off, off offset:128
	v_cmp_lt_u32_e32 vcc, 15, v0
	s_waitcnt vmcnt(16) lgkmcnt(11)
	v_mul_f32_e32 v115, v110, v3
	v_mul_f32_e32 v118, v112, v5
	;; [unrolled: 1-line block ×3, first 2 shown]
	v_fmac_f32_e32 v115, v111, v2
	s_waitcnt vmcnt(15) lgkmcnt(10)
	v_mul_f32_e32 v120, v106, v7
	v_fmac_f32_e32 v118, v113, v4
	v_fma_f32 v2, v110, v2, -v3
	v_add_f32_e32 v3, 0, v115
	v_mul_f32_e32 v122, v108, v9
	v_fmac_f32_e32 v120, v107, v6
	v_add_f32_e32 v3, v3, v118
	s_waitcnt vmcnt(14) lgkmcnt(9)
	v_mul_f32_e32 v123, v102, v11
	v_fmac_f32_e32 v122, v109, v8
	v_add_f32_e32 v3, v3, v120
	v_mul_f32_e32 v124, v104, v13
	v_fmac_f32_e32 v123, v103, v10
	v_add_f32_e32 v3, v3, v122
	s_waitcnt vmcnt(13) lgkmcnt(8)
	v_mul_f32_e32 v125, v98, v15
	v_fmac_f32_e32 v124, v105, v12
	;; [unrolled: 7-line block ×9, first 2 shown]
	v_add_f32_e32 v3, v3, v137
	v_mul_f32_e32 v140, v72, v53
	v_fmac_f32_e32 v139, v71, v50
	v_add_f32_e32 v3, v3, v138
	v_fmac_f32_e32 v140, v73, v52
	v_add_f32_e32 v3, v3, v139
	v_add_f32_e32 v111, v3, v140
	v_mul_f32_e32 v3, v113, v5
	v_add_f32_e32 v2, 0, v2
	v_fma_f32 v3, v112, v4, -v3
	v_add_f32_e32 v2, v2, v3
	v_mul_f32_e32 v3, v107, v7
	v_fma_f32 v3, v106, v6, -v3
	v_add_f32_e32 v2, v2, v3
	v_mul_f32_e32 v3, v109, v9
	;; [unrolled: 3-line block ×20, first 2 shown]
	v_fma_f32 v3, v72, v52, -v3
	v_add_f32_e32 v110, v2, v3
	s_waitcnt vmcnt(5) lgkmcnt(0)
	v_mul_f32_e32 v2, v67, v59
	v_fma_f32 v118, v66, v58, -v2
	v_mul_f32_e32 v2, v69, v61
	v_fma_f32 v120, v68, v60, -v2
	ds_read2_b64 v[2:5], v114 offset0:91 offset1:92
	ds_read2_b64 v[6:9], v114 offset0:93 offset1:94
	;; [unrolled: 1-line block ×4, first 2 shown]
	v_mul_f32_e32 v119, v66, v59
	v_mul_f32_e32 v121, v68, v61
	v_fmac_f32_e32 v119, v67, v58
	s_waitcnt vmcnt(4) lgkmcnt(3)
	v_pk_mul_f32 v[20:21], v[2:3], v[62:63] op_sel:[1,1] op_sel_hi:[0,1]
	v_fmac_f32_e32 v121, v69, v60
	v_pk_add_f32 v[18:19], v[110:111], v[118:119]
	v_pk_fma_f32 v[22:23], v[2:3], v[62:63], v[20:21] neg_lo:[0,0,1] neg_hi:[0,0,1]
	v_pk_fma_f32 v[2:3], v[2:3], v[62:63], v[20:21] op_sel_hi:[1,0,1]
	v_pk_add_f32 v[18:19], v[18:19], v[120:121]
	v_mov_b32_e32 v23, v3
	v_pk_add_f32 v[2:3], v[18:19], v[22:23]
	v_mov_b32_e32 v18, v65
	v_pk_mul_f32 v[18:19], v[4:5], v[18:19] op_sel:[1,0] op_sel_hi:[0,0]
	v_pk_fma_f32 v[20:21], v[4:5], v[64:65], v[18:19] neg_lo:[0,0,1] neg_hi:[0,0,1]
	v_pk_fma_f32 v[4:5], v[4:5], v[64:65], v[18:19] op_sel_hi:[1,0,1]
	s_nop 0
	v_mov_b32_e32 v21, v5
	s_waitcnt vmcnt(3) lgkmcnt(2)
	v_pk_mul_f32 v[4:5], v[6:7], v[54:55] op_sel:[1,1] op_sel_hi:[0,1]
	v_pk_fma_f32 v[18:19], v[6:7], v[54:55], v[4:5] neg_lo:[0,0,1] neg_hi:[0,0,1]
	v_pk_fma_f32 v[4:5], v[6:7], v[54:55], v[4:5] op_sel_hi:[1,0,1]
	v_pk_add_f32 v[2:3], v[2:3], v[20:21]
	v_mov_b32_e32 v4, v57
	v_mov_b32_e32 v19, v5
	v_pk_mul_f32 v[4:5], v[8:9], v[4:5] op_sel:[1,0] op_sel_hi:[0,0]
	v_pk_fma_f32 v[6:7], v[8:9], v[56:57], v[4:5] neg_lo:[0,0,1] neg_hi:[0,0,1]
	v_pk_fma_f32 v[4:5], v[8:9], v[56:57], v[4:5] op_sel_hi:[1,0,1]
	v_pk_add_f32 v[2:3], v[2:3], v[18:19]
	v_mov_b32_e32 v7, v5
	s_waitcnt vmcnt(2) lgkmcnt(1)
	v_pk_mul_f32 v[4:5], v[10:11], v[42:43] op_sel:[1,1] op_sel_hi:[0,1]
	v_pk_add_f32 v[2:3], v[2:3], v[6:7]
	v_pk_fma_f32 v[6:7], v[10:11], v[42:43], v[4:5] neg_lo:[0,0,1] neg_hi:[0,0,1]
	v_pk_fma_f32 v[4:5], v[10:11], v[42:43], v[4:5] op_sel_hi:[1,0,1]
	s_nop 0
	v_mov_b32_e32 v4, v45
	v_mov_b32_e32 v7, v5
	v_pk_mul_f32 v[4:5], v[12:13], v[4:5] op_sel:[1,0] op_sel_hi:[0,0]
	v_pk_add_f32 v[2:3], v[2:3], v[6:7]
	v_pk_fma_f32 v[6:7], v[12:13], v[44:45], v[4:5] neg_lo:[0,0,1] neg_hi:[0,0,1]
	v_pk_fma_f32 v[4:5], v[12:13], v[44:45], v[4:5] op_sel_hi:[1,0,1]
	s_nop 0
	v_mov_b32_e32 v7, v5
	s_waitcnt vmcnt(1) lgkmcnt(0)
	v_pk_mul_f32 v[4:5], v[14:15], v[34:35] op_sel:[1,1] op_sel_hi:[0,1]
	v_pk_add_f32 v[2:3], v[2:3], v[6:7]
	v_pk_fma_f32 v[6:7], v[14:15], v[34:35], v[4:5] neg_lo:[0,0,1] neg_hi:[0,0,1]
	v_pk_fma_f32 v[4:5], v[14:15], v[34:35], v[4:5] op_sel_hi:[1,0,1]
	s_nop 0
	v_mov_b32_e32 v4, v37
	v_mov_b32_e32 v7, v5
	v_pk_mul_f32 v[4:5], v[16:17], v[4:5] op_sel:[1,0] op_sel_hi:[0,0]
	v_pk_add_f32 v[2:3], v[2:3], v[6:7]
	v_pk_fma_f32 v[6:7], v[16:17], v[36:37], v[4:5] neg_lo:[0,0,1] neg_hi:[0,0,1]
	v_pk_fma_f32 v[4:5], v[16:17], v[36:37], v[4:5] op_sel_hi:[1,0,1]
	s_nop 0
	v_mov_b32_e32 v7, v5
	v_pk_add_f32 v[2:3], v[2:3], v[6:7]
	s_waitcnt vmcnt(0)
	v_pk_add_f32 v[2:3], v[116:117], v[2:3] neg_lo:[0,1] neg_hi:[0,1]
	scratch_store_dwordx2 off, v[2:3], off offset:128
	s_and_saveexec_b64 s[0:1], vcc
	s_cbranch_execz .LBB48_277
; %bb.276:
	scratch_load_dwordx2 v[2:3], off, off offset:120
	v_mov_b32_e32 v4, 0
	v_mov_b32_e32 v5, v4
	scratch_store_dwordx2 off, v[4:5], off offset:120
	s_waitcnt vmcnt(1)
	ds_write_b64 v1, v[2:3]
.LBB48_277:
	s_or_b64 exec, exec, s[0:1]
	s_waitcnt lgkmcnt(0)
	; wave barrier
	scratch_load_dwordx4 v[2:5], off, off offset:128
	scratch_load_dwordx4 v[6:9], off, off offset:144
	;; [unrolled: 1-line block ×13, first 2 shown]
	v_mov_b32_e32 v106, 0
	scratch_load_dwordx2 v[120:121], off, off offset:120
	ds_read_b128 v[54:57], v106 offset:528
	ds_read_b128 v[58:61], v106 offset:544
	;; [unrolled: 1-line block ×14, first 2 shown]
	v_cmp_lt_u32_e32 vcc, 14, v0
	s_waitcnt vmcnt(13) lgkmcnt(13)
	v_mul_f32_e32 v107, v54, v3
	v_mul_f32_e32 v112, v56, v5
	v_fmac_f32_e32 v107, v55, v2
	s_waitcnt vmcnt(12) lgkmcnt(12)
	v_mul_f32_e32 v113, v58, v7
	v_fmac_f32_e32 v112, v57, v4
	v_add_f32_e32 v107, 0, v107
	v_mul_f32_e32 v114, v60, v9
	v_fmac_f32_e32 v113, v59, v6
	v_add_f32_e32 v107, v107, v112
	s_waitcnt vmcnt(11) lgkmcnt(11)
	v_mul_f32_e32 v115, v62, v11
	v_fmac_f32_e32 v114, v61, v8
	v_add_f32_e32 v107, v107, v113
	v_mul_f32_e32 v116, v64, v13
	v_fmac_f32_e32 v115, v63, v10
	v_add_f32_e32 v107, v107, v114
	s_waitcnt vmcnt(10) lgkmcnt(10)
	v_mul_f32_e32 v117, v66, v15
	v_fmac_f32_e32 v116, v65, v12
	v_add_f32_e32 v107, v107, v115
	v_mul_f32_e32 v118, v68, v17
	v_fmac_f32_e32 v117, v67, v14
	v_add_f32_e32 v107, v107, v116
	s_waitcnt vmcnt(9) lgkmcnt(9)
	v_mul_f32_e32 v119, v70, v19
	v_fmac_f32_e32 v118, v69, v16
	v_add_f32_e32 v107, v107, v117
	v_mul_f32_e32 v122, v72, v21
	v_fmac_f32_e32 v119, v71, v18
	v_add_f32_e32 v107, v107, v118
	s_waitcnt vmcnt(8) lgkmcnt(8)
	v_mul_f32_e32 v124, v74, v23
	v_fmac_f32_e32 v122, v73, v20
	v_add_f32_e32 v107, v107, v119
	v_mul_f32_e32 v126, v76, v25
	v_fmac_f32_e32 v124, v75, v22
	v_add_f32_e32 v107, v107, v122
	s_waitcnt vmcnt(7) lgkmcnt(7)
	v_mul_f32_e32 v127, v78, v27
	v_fmac_f32_e32 v126, v77, v24
	v_add_f32_e32 v107, v107, v124
	v_mul_f32_e32 v128, v80, v29
	v_fmac_f32_e32 v127, v79, v26
	v_add_f32_e32 v107, v107, v126
	s_waitcnt vmcnt(6) lgkmcnt(6)
	v_mul_f32_e32 v129, v82, v31
	v_fmac_f32_e32 v128, v81, v28
	v_add_f32_e32 v107, v107, v127
	v_fmac_f32_e32 v129, v83, v30
	v_add_f32_e32 v107, v107, v128
	v_add_f32_e32 v107, v107, v129
	scratch_load_dwordx4 v[112:115], off, off offset:336
	scratch_load_dwordx4 v[116:119], off, off offset:352
	scratch_load_dwordx4 v[220:223], off, off offset:368
	scratch_load_dwordx2 v[128:129], off, off offset:384
	v_mul_f32_e32 v3, v55, v3
	v_fma_f32 v2, v54, v2, -v3
	v_mul_f32_e32 v3, v57, v5
	v_add_f32_e32 v2, 0, v2
	v_fma_f32 v3, v56, v4, -v3
	v_add_f32_e32 v2, v2, v3
	v_mul_f32_e32 v3, v59, v7
	v_fma_f32 v3, v58, v6, -v3
	v_add_f32_e32 v2, v2, v3
	v_mul_f32_e32 v3, v61, v9
	;; [unrolled: 3-line block ×14, first 2 shown]
	v_fma_f32 v3, v84, v32, -v3
	v_add_f32_e32 v2, v2, v3
	s_waitcnt vmcnt(9) lgkmcnt(5)
	v_mul_f32_e32 v3, v87, v35
	v_fma_f32 v3, v86, v34, -v3
	v_add_f32_e32 v2, v2, v3
	v_mul_f32_e32 v3, v89, v37
	v_fma_f32 v3, v88, v36, -v3
	v_add_f32_e32 v2, v2, v3
	s_waitcnt vmcnt(8) lgkmcnt(4)
	v_mul_f32_e32 v3, v91, v39
	v_fma_f32 v3, v90, v38, -v3
	v_mul_f32_e32 v130, v84, v33
	v_add_f32_e32 v2, v2, v3
	v_mul_f32_e32 v3, v93, v41
	v_mul_f32_e32 v131, v86, v35
	v_fmac_f32_e32 v130, v85, v32
	v_fma_f32 v3, v92, v40, -v3
	v_mul_f32_e32 v132, v88, v37
	v_fmac_f32_e32 v131, v87, v34
	v_add_f32_e32 v107, v107, v130
	v_add_f32_e32 v2, v2, v3
	s_waitcnt vmcnt(7) lgkmcnt(3)
	v_mul_f32_e32 v3, v95, v43
	v_mul_f32_e32 v133, v90, v39
	v_fmac_f32_e32 v132, v89, v36
	v_add_f32_e32 v107, v107, v131
	v_fma_f32 v3, v94, v42, -v3
	v_mul_f32_e32 v134, v92, v41
	v_fmac_f32_e32 v133, v91, v38
	v_add_f32_e32 v107, v107, v132
	v_add_f32_e32 v2, v2, v3
	v_mul_f32_e32 v3, v97, v45
	v_mul_f32_e32 v135, v94, v43
	v_fmac_f32_e32 v134, v93, v40
	v_add_f32_e32 v107, v107, v133
	v_fma_f32 v3, v96, v44, -v3
	v_mul_f32_e32 v136, v96, v45
	v_fmac_f32_e32 v135, v95, v42
	v_add_f32_e32 v107, v107, v134
	v_add_f32_e32 v2, v2, v3
	s_waitcnt vmcnt(6) lgkmcnt(2)
	v_mul_f32_e32 v3, v99, v47
	v_mul_f32_e32 v137, v98, v47
	v_fmac_f32_e32 v136, v97, v44
	v_add_f32_e32 v107, v107, v135
	v_fma_f32 v3, v98, v46, -v3
	v_mul_f32_e32 v123, v100, v49
	v_fmac_f32_e32 v137, v99, v46
	v_add_f32_e32 v107, v107, v136
	v_add_f32_e32 v126, v2, v3
	v_mul_f32_e32 v2, v101, v49
	s_waitcnt vmcnt(5)
	v_mov_b32_e32 v14, v53
	s_waitcnt lgkmcnt(1)
	v_mul_f32_e32 v125, v102, v51
	v_fmac_f32_e32 v123, v101, v48
	v_add_f32_e32 v127, v107, v137
	v_fma_f32 v122, v100, v48, -v2
	v_mul_f32_e32 v2, v103, v51
	v_pk_mul_f32 v[14:15], v[104:105], v[14:15] op_sel:[1,0] op_sel_hi:[0,0]
	v_fmac_f32_e32 v125, v103, v50
	v_fma_f32 v124, v102, v50, -v2
	v_pk_add_f32 v[12:13], v[126:127], v[122:123]
	v_pk_fma_f32 v[16:17], v[104:105], v[52:53], v[14:15] neg_lo:[0,0,1] neg_hi:[0,0,1]
	v_pk_fma_f32 v[14:15], v[104:105], v[52:53], v[14:15] op_sel_hi:[1,0,1]
	v_pk_add_f32 v[12:13], v[12:13], v[124:125]
	v_mov_b32_e32 v17, v15
	s_waitcnt vmcnt(3) lgkmcnt(0)
	v_pk_mul_f32 v[14:15], v[108:109], v[112:113] op_sel:[1,1] op_sel_hi:[0,1]
	v_pk_add_f32 v[12:13], v[12:13], v[16:17]
	v_pk_fma_f32 v[16:17], v[108:109], v[112:113], v[14:15] neg_lo:[0,0,1] neg_hi:[0,0,1]
	v_pk_fma_f32 v[14:15], v[108:109], v[112:113], v[14:15] op_sel_hi:[1,0,1]
	ds_read_b128 v[2:5], v106 offset:752
	ds_read_b128 v[6:9], v106 offset:768
	ds_read_b64 v[10:11], v106 offset:784
	v_mov_b32_e32 v14, v115
	v_mov_b32_e32 v17, v15
	v_pk_mul_f32 v[14:15], v[110:111], v[14:15] op_sel:[1,0] op_sel_hi:[0,0]
	v_pk_add_f32 v[12:13], v[12:13], v[16:17]
	v_pk_fma_f32 v[16:17], v[110:111], v[114:115], v[14:15] neg_lo:[0,0,1] neg_hi:[0,0,1]
	v_pk_fma_f32 v[14:15], v[110:111], v[114:115], v[14:15] op_sel_hi:[1,0,1]
	s_nop 0
	v_mov_b32_e32 v17, v15
	s_waitcnt vmcnt(2) lgkmcnt(2)
	v_pk_mul_f32 v[14:15], v[2:3], v[116:117] op_sel:[1,1] op_sel_hi:[0,1]
	v_pk_add_f32 v[12:13], v[12:13], v[16:17]
	v_pk_fma_f32 v[16:17], v[2:3], v[116:117], v[14:15] neg_lo:[0,0,1] neg_hi:[0,0,1]
	v_pk_fma_f32 v[2:3], v[2:3], v[116:117], v[14:15] op_sel_hi:[1,0,1]
	s_nop 0
	v_mov_b32_e32 v17, v3
	v_pk_add_f32 v[2:3], v[12:13], v[16:17]
	v_mov_b32_e32 v12, v119
	v_pk_mul_f32 v[12:13], v[4:5], v[12:13] op_sel:[1,0] op_sel_hi:[0,0]
	v_pk_fma_f32 v[14:15], v[4:5], v[118:119], v[12:13] neg_lo:[0,0,1] neg_hi:[0,0,1]
	v_pk_fma_f32 v[4:5], v[4:5], v[118:119], v[12:13] op_sel_hi:[1,0,1]
	s_nop 0
	v_mov_b32_e32 v15, v5
	s_waitcnt vmcnt(1) lgkmcnt(1)
	v_pk_mul_f32 v[4:5], v[6:7], v[220:221] op_sel:[1,1] op_sel_hi:[0,1]
	v_pk_fma_f32 v[12:13], v[6:7], v[220:221], v[4:5] neg_lo:[0,0,1] neg_hi:[0,0,1]
	v_pk_fma_f32 v[4:5], v[6:7], v[220:221], v[4:5] op_sel_hi:[1,0,1]
	v_pk_add_f32 v[2:3], v[2:3], v[14:15]
	v_mov_b32_e32 v4, v223
	v_mov_b32_e32 v13, v5
	v_pk_mul_f32 v[4:5], v[8:9], v[4:5] op_sel:[1,0] op_sel_hi:[0,0]
	v_pk_fma_f32 v[6:7], v[8:9], v[222:223], v[4:5] neg_lo:[0,0,1] neg_hi:[0,0,1]
	v_pk_fma_f32 v[4:5], v[8:9], v[222:223], v[4:5] op_sel_hi:[1,0,1]
	v_pk_add_f32 v[2:3], v[2:3], v[12:13]
	v_mov_b32_e32 v7, v5
	s_waitcnt vmcnt(0) lgkmcnt(0)
	v_pk_mul_f32 v[4:5], v[10:11], v[128:129] op_sel:[1,1] op_sel_hi:[0,1]
	v_pk_add_f32 v[2:3], v[2:3], v[6:7]
	v_pk_fma_f32 v[6:7], v[10:11], v[128:129], v[4:5] neg_lo:[0,0,1] neg_hi:[0,0,1]
	v_pk_fma_f32 v[4:5], v[10:11], v[128:129], v[4:5] op_sel_hi:[1,0,1]
	s_nop 0
	v_mov_b32_e32 v7, v5
	v_pk_add_f32 v[2:3], v[2:3], v[6:7]
	s_nop 0
	v_pk_add_f32 v[2:3], v[120:121], v[2:3] neg_lo:[0,1] neg_hi:[0,1]
	scratch_store_dwordx2 off, v[2:3], off offset:120
	s_and_saveexec_b64 s[0:1], vcc
	s_cbranch_execz .LBB48_279
; %bb.278:
	scratch_load_dwordx2 v[2:3], off, off offset:112
	v_mov_b32_e32 v107, v106
	scratch_store_dwordx2 off, v[106:107], off offset:112
	s_waitcnt vmcnt(1)
	ds_write_b64 v1, v[2:3]
.LBB48_279:
	s_or_b64 exec, exec, s[0:1]
	s_waitcnt lgkmcnt(0)
	; wave barrier
	scratch_load_dwordx4 v[2:5], off, off offset:120
	scratch_load_dwordx4 v[6:9], off, off offset:136
	;; [unrolled: 1-line block ×13, first 2 shown]
	ds_read2_b64 v[102:105], v106 offset0:65 offset1:66
	ds_read2_b64 v[98:101], v106 offset0:67 offset1:68
	ds_read2_b64 v[94:97], v106 offset0:69 offset1:70
	ds_read2_b64 v[90:93], v106 offset0:71 offset1:72
	ds_read2_b64 v[86:89], v106 offset0:73 offset1:74
	ds_read2_b64 v[82:85], v106 offset0:75 offset1:76
	ds_read2_b64 v[78:81], v106 offset0:77 offset1:78
	ds_read2_b64 v[74:77], v106 offset0:79 offset1:80
	ds_read2_b64 v[70:73], v106 offset0:81 offset1:82
	ds_read2_b64 v[66:69], v106 offset0:83 offset1:84
	ds_read2_b64 v[62:65], v106 offset0:85 offset1:86
	ds_read2_b64 v[58:61], v106 offset0:87 offset1:88
	ds_read2_b64 v[54:57], v106 offset0:89 offset1:90
	ds_read2_b64 v[108:111], v106 offset0:91 offset1:92
	scratch_load_dwordx2 v[120:121], off, off offset:112
	v_cmp_lt_u32_e32 vcc, 13, v0
	s_waitcnt vmcnt(13) lgkmcnt(13)
	v_mul_f32_e32 v107, v102, v3
	v_mul_f32_e32 v112, v104, v5
	v_fmac_f32_e32 v107, v103, v2
	s_waitcnt vmcnt(12) lgkmcnt(12)
	v_mul_f32_e32 v113, v98, v7
	v_fmac_f32_e32 v112, v105, v4
	v_add_f32_e32 v107, 0, v107
	v_mul_f32_e32 v114, v100, v9
	v_fmac_f32_e32 v113, v99, v6
	v_add_f32_e32 v107, v107, v112
	s_waitcnt vmcnt(11) lgkmcnt(11)
	v_mul_f32_e32 v115, v94, v11
	v_fmac_f32_e32 v114, v101, v8
	v_add_f32_e32 v107, v107, v113
	v_mul_f32_e32 v116, v96, v13
	v_fmac_f32_e32 v115, v95, v10
	v_add_f32_e32 v107, v107, v114
	;; [unrolled: 7-line block ×3, first 2 shown]
	s_waitcnt vmcnt(9) lgkmcnt(9)
	v_mul_f32_e32 v119, v86, v19
	v_fmac_f32_e32 v118, v93, v16
	v_add_f32_e32 v107, v107, v117
	v_fmac_f32_e32 v119, v87, v18
	v_add_f32_e32 v107, v107, v118
	v_add_f32_e32 v107, v107, v119
	scratch_load_dwordx4 v[112:115], off, off offset:328
	scratch_load_dwordx4 v[116:119], off, off offset:344
	;; [unrolled: 1-line block ×4, first 2 shown]
	v_mul_f32_e32 v3, v103, v3
	v_fma_f32 v2, v102, v2, -v3
	v_mul_f32_e32 v3, v105, v5
	v_add_f32_e32 v2, 0, v2
	v_fma_f32 v3, v104, v4, -v3
	v_add_f32_e32 v2, v2, v3
	v_mul_f32_e32 v3, v99, v7
	v_fma_f32 v3, v98, v6, -v3
	v_add_f32_e32 v2, v2, v3
	v_mul_f32_e32 v3, v101, v9
	;; [unrolled: 3-line block ×8, first 2 shown]
	v_fma_f32 v3, v88, v20, -v3
	v_add_f32_e32 v2, v2, v3
	s_waitcnt vmcnt(12) lgkmcnt(8)
	v_mul_f32_e32 v3, v83, v23
	v_fma_f32 v3, v82, v22, -v3
	v_add_f32_e32 v2, v2, v3
	v_mul_f32_e32 v3, v85, v25
	v_fma_f32 v3, v84, v24, -v3
	v_add_f32_e32 v2, v2, v3
	s_waitcnt vmcnt(11) lgkmcnt(7)
	v_mul_f32_e32 v3, v79, v27
	v_fma_f32 v3, v78, v26, -v3
	v_add_f32_e32 v2, v2, v3
	v_mul_f32_e32 v3, v81, v29
	;; [unrolled: 7-line block ×3, first 2 shown]
	v_fma_f32 v3, v76, v32, -v3
	v_add_f32_e32 v2, v2, v3
	s_waitcnt vmcnt(9) lgkmcnt(5)
	v_mul_f32_e32 v3, v71, v35
	v_mul_f32_e32 v122, v88, v21
	v_fma_f32 v3, v70, v34, -v3
	v_mul_f32_e32 v124, v82, v23
	v_fmac_f32_e32 v122, v89, v20
	v_add_f32_e32 v2, v2, v3
	v_mul_f32_e32 v3, v73, v37
	v_mul_f32_e32 v126, v84, v25
	v_fmac_f32_e32 v124, v83, v22
	v_add_f32_e32 v107, v107, v122
	v_fma_f32 v3, v72, v36, -v3
	v_mul_f32_e32 v127, v78, v27
	v_fmac_f32_e32 v126, v85, v24
	v_add_f32_e32 v107, v107, v124
	v_add_f32_e32 v2, v2, v3
	s_waitcnt vmcnt(8) lgkmcnt(4)
	v_mul_f32_e32 v3, v67, v39
	v_mul_f32_e32 v128, v80, v29
	v_fmac_f32_e32 v127, v79, v26
	v_add_f32_e32 v107, v107, v126
	v_fma_f32 v3, v66, v38, -v3
	v_mul_f32_e32 v129, v74, v31
	v_fmac_f32_e32 v128, v81, v28
	v_add_f32_e32 v107, v107, v127
	v_add_f32_e32 v2, v2, v3
	v_mul_f32_e32 v3, v69, v41
	v_mul_f32_e32 v130, v76, v33
	v_fmac_f32_e32 v129, v75, v30
	v_add_f32_e32 v107, v107, v128
	v_fma_f32 v3, v68, v40, -v3
	v_mul_f32_e32 v131, v70, v35
	v_fmac_f32_e32 v130, v77, v32
	v_add_f32_e32 v107, v107, v129
	v_add_f32_e32 v2, v2, v3
	s_waitcnt vmcnt(7) lgkmcnt(3)
	v_mul_f32_e32 v3, v63, v43
	v_mul_f32_e32 v132, v72, v37
	v_fmac_f32_e32 v131, v71, v34
	v_add_f32_e32 v107, v107, v130
	v_fma_f32 v3, v62, v42, -v3
	v_mul_f32_e32 v133, v66, v39
	v_fmac_f32_e32 v132, v73, v36
	v_add_f32_e32 v107, v107, v131
	;; [unrolled: 19-line block ×3, first 2 shown]
	v_add_f32_e32 v2, v2, v3
	v_mul_f32_e32 v3, v61, v49
	v_mul_f32_e32 v138, v60, v49
	v_fmac_f32_e32 v137, v59, v46
	v_add_f32_e32 v107, v107, v136
	v_fma_f32 v3, v60, v48, -v3
	s_waitcnt vmcnt(5) lgkmcnt(1)
	v_mul_f32_e32 v123, v54, v51
	v_fmac_f32_e32 v138, v61, v48
	v_add_f32_e32 v107, v107, v137
	v_add_f32_e32 v126, v2, v3
	v_mul_f32_e32 v2, v55, v51
	s_waitcnt vmcnt(3) lgkmcnt(0)
	v_pk_mul_f32 v[16:17], v[108:109], v[112:113] op_sel:[1,1] op_sel_hi:[0,1]
	v_mul_f32_e32 v125, v56, v53
	v_fmac_f32_e32 v123, v55, v50
	v_add_f32_e32 v127, v107, v138
	v_fma_f32 v122, v54, v50, -v2
	v_mul_f32_e32 v2, v57, v53
	v_pk_fma_f32 v[18:19], v[108:109], v[112:113], v[16:17] neg_lo:[0,0,1] neg_hi:[0,0,1]
	v_pk_fma_f32 v[16:17], v[108:109], v[112:113], v[16:17] op_sel_hi:[1,0,1]
	v_fmac_f32_e32 v125, v57, v52
	v_fma_f32 v124, v56, v52, -v2
	ds_read2_b64 v[2:5], v106 offset0:93 offset1:94
	ds_read2_b64 v[6:9], v106 offset0:95 offset1:96
	;; [unrolled: 1-line block ×3, first 2 shown]
	v_pk_add_f32 v[14:15], v[126:127], v[122:123]
	v_mov_b32_e32 v16, v115
	v_pk_add_f32 v[14:15], v[14:15], v[124:125]
	v_mov_b32_e32 v19, v17
	v_pk_mul_f32 v[16:17], v[110:111], v[16:17] op_sel:[1,0] op_sel_hi:[0,0]
	v_pk_add_f32 v[14:15], v[14:15], v[18:19]
	v_pk_fma_f32 v[18:19], v[110:111], v[114:115], v[16:17] neg_lo:[0,0,1] neg_hi:[0,0,1]
	v_pk_fma_f32 v[16:17], v[110:111], v[114:115], v[16:17] op_sel_hi:[1,0,1]
	s_nop 0
	v_mov_b32_e32 v19, v17
	s_waitcnt vmcnt(2) lgkmcnt(2)
	v_pk_mul_f32 v[16:17], v[2:3], v[116:117] op_sel:[1,1] op_sel_hi:[0,1]
	v_pk_add_f32 v[14:15], v[14:15], v[18:19]
	v_pk_fma_f32 v[18:19], v[2:3], v[116:117], v[16:17] neg_lo:[0,0,1] neg_hi:[0,0,1]
	v_pk_fma_f32 v[2:3], v[2:3], v[116:117], v[16:17] op_sel_hi:[1,0,1]
	s_nop 0
	v_mov_b32_e32 v19, v3
	v_pk_add_f32 v[2:3], v[14:15], v[18:19]
	v_mov_b32_e32 v14, v119
	v_pk_mul_f32 v[14:15], v[4:5], v[14:15] op_sel:[1,0] op_sel_hi:[0,0]
	v_pk_fma_f32 v[16:17], v[4:5], v[118:119], v[14:15] neg_lo:[0,0,1] neg_hi:[0,0,1]
	v_pk_fma_f32 v[4:5], v[4:5], v[118:119], v[14:15] op_sel_hi:[1,0,1]
	s_nop 0
	v_mov_b32_e32 v17, v5
	s_waitcnt vmcnt(1) lgkmcnt(1)
	v_pk_mul_f32 v[4:5], v[6:7], v[220:221] op_sel:[1,1] op_sel_hi:[0,1]
	v_pk_fma_f32 v[14:15], v[6:7], v[220:221], v[4:5] neg_lo:[0,0,1] neg_hi:[0,0,1]
	v_pk_fma_f32 v[4:5], v[6:7], v[220:221], v[4:5] op_sel_hi:[1,0,1]
	v_pk_add_f32 v[2:3], v[2:3], v[16:17]
	v_mov_b32_e32 v4, v223
	v_mov_b32_e32 v15, v5
	v_pk_mul_f32 v[4:5], v[8:9], v[4:5] op_sel:[1,0] op_sel_hi:[0,0]
	v_pk_fma_f32 v[6:7], v[8:9], v[222:223], v[4:5] neg_lo:[0,0,1] neg_hi:[0,0,1]
	v_pk_fma_f32 v[4:5], v[8:9], v[222:223], v[4:5] op_sel_hi:[1,0,1]
	v_pk_add_f32 v[2:3], v[2:3], v[14:15]
	v_mov_b32_e32 v7, v5
	s_waitcnt vmcnt(0) lgkmcnt(0)
	v_pk_mul_f32 v[4:5], v[10:11], v[224:225] op_sel:[1,1] op_sel_hi:[0,1]
	v_pk_add_f32 v[2:3], v[2:3], v[6:7]
	v_pk_fma_f32 v[6:7], v[10:11], v[224:225], v[4:5] neg_lo:[0,0,1] neg_hi:[0,0,1]
	v_pk_fma_f32 v[4:5], v[10:11], v[224:225], v[4:5] op_sel_hi:[1,0,1]
	s_nop 0
	v_mov_b32_e32 v4, v227
	v_mov_b32_e32 v7, v5
	v_pk_mul_f32 v[4:5], v[12:13], v[4:5] op_sel:[1,0] op_sel_hi:[0,0]
	v_pk_add_f32 v[2:3], v[2:3], v[6:7]
	v_pk_fma_f32 v[6:7], v[12:13], v[226:227], v[4:5] neg_lo:[0,0,1] neg_hi:[0,0,1]
	v_pk_fma_f32 v[4:5], v[12:13], v[226:227], v[4:5] op_sel_hi:[1,0,1]
	s_nop 0
	v_mov_b32_e32 v7, v5
	v_pk_add_f32 v[2:3], v[2:3], v[6:7]
	s_nop 0
	v_pk_add_f32 v[2:3], v[120:121], v[2:3] neg_lo:[0,1] neg_hi:[0,1]
	scratch_store_dwordx2 off, v[2:3], off offset:112
	s_and_saveexec_b64 s[0:1], vcc
	s_cbranch_execz .LBB48_281
; %bb.280:
	scratch_load_dwordx2 v[2:3], off, off offset:104
	v_mov_b32_e32 v4, 0
	v_mov_b32_e32 v5, v4
	scratch_store_dwordx2 off, v[4:5], off offset:104
	s_waitcnt vmcnt(1)
	ds_write_b64 v1, v[2:3]
.LBB48_281:
	s_or_b64 exec, exec, s[0:1]
	s_waitcnt lgkmcnt(0)
	; wave barrier
	scratch_load_dwordx4 v[2:5], off, off offset:112
	scratch_load_dwordx4 v[6:9], off, off offset:128
	;; [unrolled: 1-line block ×13, first 2 shown]
	v_mov_b32_e32 v114, 0
	scratch_load_dwordx4 v[54:57], off, off offset:320
	scratch_load_dwordx2 v[120:121], off, off offset:104
	ds_read_b128 v[58:61], v114 offset:512
	ds_read_b128 v[62:65], v114 offset:528
	;; [unrolled: 1-line block ×14, first 2 shown]
	v_cmp_lt_u32_e32 vcc, 12, v0
	s_waitcnt vmcnt(14) lgkmcnt(13)
	v_mul_f32_e32 v115, v58, v3
	v_mul_f32_e32 v116, v60, v5
	v_fmac_f32_e32 v115, v59, v2
	s_waitcnt vmcnt(13) lgkmcnt(12)
	v_mul_f32_e32 v117, v62, v7
	v_fmac_f32_e32 v116, v61, v4
	v_add_f32_e32 v115, 0, v115
	v_mul_f32_e32 v118, v64, v9
	v_fmac_f32_e32 v117, v63, v6
	v_add_f32_e32 v115, v115, v116
	s_waitcnt vmcnt(12) lgkmcnt(11)
	v_mul_f32_e32 v119, v66, v11
	v_fmac_f32_e32 v118, v65, v8
	v_add_f32_e32 v115, v115, v117
	v_mul_f32_e32 v122, v68, v13
	v_fmac_f32_e32 v119, v67, v10
	v_add_f32_e32 v115, v115, v118
	s_waitcnt vmcnt(11) lgkmcnt(10)
	v_mul_f32_e32 v123, v70, v15
	v_fmac_f32_e32 v122, v69, v12
	v_add_f32_e32 v115, v115, v119
	scratch_load_dwordx4 v[116:119], off, off offset:336
	v_mul_f32_e32 v124, v72, v17
	v_fmac_f32_e32 v123, v71, v14
	v_add_f32_e32 v115, v115, v122
	s_waitcnt vmcnt(11) lgkmcnt(9)
	v_mul_f32_e32 v125, v74, v19
	v_fmac_f32_e32 v124, v73, v16
	v_add_f32_e32 v115, v115, v123
	v_mul_f32_e32 v126, v76, v21
	v_fmac_f32_e32 v125, v75, v18
	v_add_f32_e32 v115, v115, v124
	s_waitcnt vmcnt(10) lgkmcnt(8)
	v_mul_f32_e32 v127, v78, v23
	v_fmac_f32_e32 v126, v77, v20
	v_add_f32_e32 v115, v115, v125
	;; [unrolled: 7-line block ×3, first 2 shown]
	v_fmac_f32_e32 v129, v83, v26
	v_add_f32_e32 v115, v115, v128
	v_add_f32_e32 v115, v115, v129
	scratch_load_dwordx4 v[220:223], off, off offset:352
	scratch_load_dwordx4 v[224:227], off, off offset:368
	scratch_load_dwordx2 v[128:129], off, off offset:384
	v_mul_f32_e32 v3, v59, v3
	v_fma_f32 v2, v58, v2, -v3
	v_mul_f32_e32 v3, v61, v5
	v_add_f32_e32 v2, 0, v2
	v_fma_f32 v3, v60, v4, -v3
	v_add_f32_e32 v2, v2, v3
	v_mul_f32_e32 v3, v63, v7
	v_fma_f32 v3, v62, v6, -v3
	v_add_f32_e32 v2, v2, v3
	v_mul_f32_e32 v3, v65, v9
	;; [unrolled: 3-line block ×12, first 2 shown]
	v_fma_f32 v3, v84, v28, -v3
	v_add_f32_e32 v2, v2, v3
	s_waitcnt vmcnt(11) lgkmcnt(6)
	v_mul_f32_e32 v3, v87, v31
	v_fma_f32 v3, v86, v30, -v3
	v_add_f32_e32 v2, v2, v3
	v_mul_f32_e32 v3, v89, v33
	v_fma_f32 v3, v88, v32, -v3
	v_add_f32_e32 v2, v2, v3
	s_waitcnt vmcnt(10) lgkmcnt(5)
	v_mul_f32_e32 v3, v91, v35
	v_fma_f32 v3, v90, v34, -v3
	v_add_f32_e32 v2, v2, v3
	v_mul_f32_e32 v3, v93, v37
	;; [unrolled: 7-line block ×3, first 2 shown]
	v_mul_f32_e32 v130, v84, v29
	v_fma_f32 v3, v96, v40, -v3
	v_mul_f32_e32 v131, v86, v31
	v_fmac_f32_e32 v130, v85, v28
	v_add_f32_e32 v2, v2, v3
	s_waitcnt vmcnt(8) lgkmcnt(3)
	v_mul_f32_e32 v3, v99, v43
	v_mul_f32_e32 v132, v88, v33
	v_fmac_f32_e32 v131, v87, v30
	v_add_f32_e32 v115, v115, v130
	v_fma_f32 v3, v98, v42, -v3
	v_mul_f32_e32 v133, v90, v35
	v_fmac_f32_e32 v132, v89, v32
	v_add_f32_e32 v115, v115, v131
	v_add_f32_e32 v2, v2, v3
	v_mul_f32_e32 v3, v101, v45
	v_mul_f32_e32 v134, v92, v37
	v_fmac_f32_e32 v133, v91, v34
	v_add_f32_e32 v115, v115, v132
	v_fma_f32 v3, v100, v44, -v3
	v_mul_f32_e32 v135, v94, v39
	v_fmac_f32_e32 v134, v93, v36
	v_add_f32_e32 v115, v115, v133
	v_add_f32_e32 v2, v2, v3
	s_waitcnt vmcnt(7) lgkmcnt(2)
	v_mul_f32_e32 v3, v103, v47
	v_mul_f32_e32 v136, v96, v41
	v_fmac_f32_e32 v135, v95, v38
	v_add_f32_e32 v115, v115, v134
	v_fma_f32 v3, v102, v46, -v3
	v_mul_f32_e32 v137, v98, v43
	v_fmac_f32_e32 v136, v97, v40
	v_add_f32_e32 v115, v115, v135
	v_add_f32_e32 v2, v2, v3
	v_mul_f32_e32 v3, v105, v49
	v_mul_f32_e32 v138, v100, v45
	v_fmac_f32_e32 v137, v99, v42
	v_add_f32_e32 v115, v115, v136
	v_fma_f32 v3, v104, v48, -v3
	v_mul_f32_e32 v139, v102, v47
	v_fmac_f32_e32 v138, v101, v44
	v_add_f32_e32 v115, v115, v137
	v_add_f32_e32 v2, v2, v3
	s_waitcnt vmcnt(6) lgkmcnt(1)
	v_mul_f32_e32 v3, v107, v51
	v_mul_f32_e32 v140, v104, v49
	v_fmac_f32_e32 v139, v103, v46
	v_add_f32_e32 v115, v115, v138
	v_fma_f32 v3, v106, v50, -v3
	v_mul_f32_e32 v141, v106, v51
	v_fmac_f32_e32 v140, v105, v48
	v_add_f32_e32 v115, v115, v139
	v_add_f32_e32 v122, v2, v3
	v_mul_f32_e32 v2, v109, v53
	v_fmac_f32_e32 v141, v107, v50
	v_add_f32_e32 v115, v115, v140
	v_mul_f32_e32 v125, v108, v53
	v_fma_f32 v124, v108, v52, -v2
	s_waitcnt vmcnt(5) lgkmcnt(0)
	v_mul_f32_e32 v2, v111, v55
	v_mov_b32_e32 v18, v57
	v_add_f32_e32 v123, v115, v141
	v_fmac_f32_e32 v125, v109, v52
	v_mul_f32_e32 v127, v110, v55
	v_fma_f32 v126, v110, v54, -v2
	ds_read_b128 v[2:5], v114 offset:736
	ds_read_b128 v[6:9], v114 offset:752
	ds_read_b128 v[10:13], v114 offset:768
	ds_read_b64 v[14:15], v114 offset:784
	v_pk_mul_f32 v[18:19], v[112:113], v[18:19] op_sel:[1,0] op_sel_hi:[0,0]
	v_fmac_f32_e32 v127, v111, v54
	v_pk_add_f32 v[16:17], v[122:123], v[124:125]
	v_pk_fma_f32 v[20:21], v[112:113], v[56:57], v[18:19] neg_lo:[0,0,1] neg_hi:[0,0,1]
	v_pk_fma_f32 v[18:19], v[112:113], v[56:57], v[18:19] op_sel_hi:[1,0,1]
	v_pk_add_f32 v[16:17], v[16:17], v[126:127]
	v_mov_b32_e32 v21, v19
	s_waitcnt vmcnt(3) lgkmcnt(3)
	v_pk_mul_f32 v[18:19], v[2:3], v[116:117] op_sel:[1,1] op_sel_hi:[0,1]
	v_pk_add_f32 v[16:17], v[16:17], v[20:21]
	v_pk_fma_f32 v[20:21], v[2:3], v[116:117], v[18:19] neg_lo:[0,0,1] neg_hi:[0,0,1]
	v_pk_fma_f32 v[2:3], v[2:3], v[116:117], v[18:19] op_sel_hi:[1,0,1]
	s_nop 0
	v_mov_b32_e32 v21, v3
	v_pk_add_f32 v[2:3], v[16:17], v[20:21]
	v_mov_b32_e32 v16, v119
	v_pk_mul_f32 v[16:17], v[4:5], v[16:17] op_sel:[1,0] op_sel_hi:[0,0]
	v_pk_fma_f32 v[18:19], v[4:5], v[118:119], v[16:17] neg_lo:[0,0,1] neg_hi:[0,0,1]
	v_pk_fma_f32 v[4:5], v[4:5], v[118:119], v[16:17] op_sel_hi:[1,0,1]
	s_nop 0
	v_mov_b32_e32 v19, v5
	s_waitcnt vmcnt(2) lgkmcnt(2)
	v_pk_mul_f32 v[4:5], v[6:7], v[220:221] op_sel:[1,1] op_sel_hi:[0,1]
	v_pk_fma_f32 v[16:17], v[6:7], v[220:221], v[4:5] neg_lo:[0,0,1] neg_hi:[0,0,1]
	v_pk_fma_f32 v[4:5], v[6:7], v[220:221], v[4:5] op_sel_hi:[1,0,1]
	v_pk_add_f32 v[2:3], v[2:3], v[18:19]
	v_mov_b32_e32 v4, v223
	v_mov_b32_e32 v17, v5
	v_pk_mul_f32 v[4:5], v[8:9], v[4:5] op_sel:[1,0] op_sel_hi:[0,0]
	v_pk_fma_f32 v[6:7], v[8:9], v[222:223], v[4:5] neg_lo:[0,0,1] neg_hi:[0,0,1]
	v_pk_fma_f32 v[4:5], v[8:9], v[222:223], v[4:5] op_sel_hi:[1,0,1]
	v_pk_add_f32 v[2:3], v[2:3], v[16:17]
	v_mov_b32_e32 v7, v5
	s_waitcnt vmcnt(1) lgkmcnt(1)
	v_pk_mul_f32 v[4:5], v[10:11], v[224:225] op_sel:[1,1] op_sel_hi:[0,1]
	v_pk_add_f32 v[2:3], v[2:3], v[6:7]
	v_pk_fma_f32 v[6:7], v[10:11], v[224:225], v[4:5] neg_lo:[0,0,1] neg_hi:[0,0,1]
	v_pk_fma_f32 v[4:5], v[10:11], v[224:225], v[4:5] op_sel_hi:[1,0,1]
	s_nop 0
	v_mov_b32_e32 v4, v227
	v_mov_b32_e32 v7, v5
	v_pk_mul_f32 v[4:5], v[12:13], v[4:5] op_sel:[1,0] op_sel_hi:[0,0]
	v_pk_add_f32 v[2:3], v[2:3], v[6:7]
	v_pk_fma_f32 v[6:7], v[12:13], v[226:227], v[4:5] neg_lo:[0,0,1] neg_hi:[0,0,1]
	v_pk_fma_f32 v[4:5], v[12:13], v[226:227], v[4:5] op_sel_hi:[1,0,1]
	s_nop 0
	v_mov_b32_e32 v7, v5
	s_waitcnt vmcnt(0) lgkmcnt(0)
	v_pk_mul_f32 v[4:5], v[14:15], v[128:129] op_sel:[1,1] op_sel_hi:[0,1]
	v_pk_add_f32 v[2:3], v[2:3], v[6:7]
	v_pk_fma_f32 v[6:7], v[14:15], v[128:129], v[4:5] neg_lo:[0,0,1] neg_hi:[0,0,1]
	v_pk_fma_f32 v[4:5], v[14:15], v[128:129], v[4:5] op_sel_hi:[1,0,1]
	s_nop 0
	v_mov_b32_e32 v7, v5
	v_pk_add_f32 v[2:3], v[2:3], v[6:7]
	s_nop 0
	v_pk_add_f32 v[2:3], v[120:121], v[2:3] neg_lo:[0,1] neg_hi:[0,1]
	scratch_store_dwordx2 off, v[2:3], off offset:104
	s_and_saveexec_b64 s[0:1], vcc
	s_cbranch_execz .LBB48_283
; %bb.282:
	scratch_load_dwordx2 v[2:3], off, off offset:96
	v_mov_b32_e32 v115, v114
	scratch_store_dwordx2 off, v[114:115], off offset:96
	s_waitcnt vmcnt(1)
	ds_write_b64 v1, v[2:3]
.LBB48_283:
	s_or_b64 exec, exec, s[0:1]
	s_waitcnt lgkmcnt(0)
	; wave barrier
	scratch_load_dwordx4 v[2:5], off, off offset:104
	scratch_load_dwordx4 v[6:9], off, off offset:120
	scratch_load_dwordx4 v[10:13], off, off offset:136
	scratch_load_dwordx4 v[14:17], off, off offset:152
	scratch_load_dwordx4 v[18:21], off, off offset:168
	scratch_load_dwordx4 v[22:25], off, off offset:184
	scratch_load_dwordx4 v[26:29], off, off offset:200
	scratch_load_dwordx4 v[30:33], off, off offset:216
	scratch_load_dwordx4 v[34:37], off, off offset:232
	scratch_load_dwordx4 v[38:41], off, off offset:248
	scratch_load_dwordx4 v[42:45], off, off offset:264
	scratch_load_dwordx4 v[46:49], off, off offset:280
	scratch_load_dwordx4 v[50:53], off, off offset:296
	ds_read2_b64 v[110:113], v114 offset0:63 offset1:64
	ds_read2_b64 v[106:109], v114 offset0:65 offset1:66
	;; [unrolled: 1-line block ×14, first 2 shown]
	scratch_load_dwordx4 v[66:69], off, off offset:312
	scratch_load_dwordx2 v[120:121], off, off offset:96
	v_cmp_lt_u32_e32 vcc, 11, v0
	s_waitcnt vmcnt(14) lgkmcnt(13)
	v_mul_f32_e32 v115, v110, v3
	v_mul_f32_e32 v116, v112, v5
	v_fmac_f32_e32 v115, v111, v2
	s_waitcnt vmcnt(13) lgkmcnt(12)
	v_mul_f32_e32 v117, v106, v7
	v_fmac_f32_e32 v116, v113, v4
	v_add_f32_e32 v115, 0, v115
	v_mul_f32_e32 v118, v108, v9
	v_fmac_f32_e32 v117, v107, v6
	v_add_f32_e32 v115, v115, v116
	s_waitcnt vmcnt(12) lgkmcnt(11)
	v_mul_f32_e32 v119, v102, v11
	v_fmac_f32_e32 v118, v109, v8
	v_add_f32_e32 v115, v115, v117
	v_fmac_f32_e32 v119, v103, v10
	v_add_f32_e32 v115, v115, v118
	v_add_f32_e32 v115, v115, v119
	scratch_load_dwordx4 v[116:119], off, off offset:328
	scratch_load_dwordx4 v[220:223], off, off offset:344
	;; [unrolled: 1-line block ×4, first 2 shown]
	v_mul_f32_e32 v3, v111, v3
	v_fma_f32 v2, v110, v2, -v3
	v_mul_f32_e32 v3, v113, v5
	v_add_f32_e32 v2, 0, v2
	v_fma_f32 v3, v112, v4, -v3
	v_add_f32_e32 v2, v2, v3
	v_mul_f32_e32 v3, v107, v7
	v_fma_f32 v3, v106, v6, -v3
	v_add_f32_e32 v2, v2, v3
	v_mul_f32_e32 v3, v109, v9
	;; [unrolled: 3-line block ×4, first 2 shown]
	v_fma_f32 v3, v104, v12, -v3
	v_add_f32_e32 v2, v2, v3
	s_waitcnt vmcnt(15) lgkmcnt(10)
	v_mul_f32_e32 v3, v99, v15
	v_fma_f32 v3, v98, v14, -v3
	v_add_f32_e32 v2, v2, v3
	v_mul_f32_e32 v3, v101, v17
	v_fma_f32 v3, v100, v16, -v3
	v_add_f32_e32 v2, v2, v3
	s_waitcnt vmcnt(14) lgkmcnt(9)
	v_mul_f32_e32 v3, v95, v19
	v_fma_f32 v3, v94, v18, -v3
	v_add_f32_e32 v2, v2, v3
	v_mul_f32_e32 v3, v97, v21
	;; [unrolled: 7-line block ×5, first 2 shown]
	v_fma_f32 v3, v84, v32, -v3
	v_add_f32_e32 v2, v2, v3
	s_waitcnt vmcnt(10) lgkmcnt(5)
	v_mul_f32_e32 v3, v79, v35
	v_fma_f32 v3, v78, v34, -v3
	v_mul_f32_e32 v122, v104, v13
	v_add_f32_e32 v2, v2, v3
	v_mul_f32_e32 v3, v81, v37
	v_mul_f32_e32 v123, v98, v15
	v_fmac_f32_e32 v122, v105, v12
	v_fma_f32 v3, v80, v36, -v3
	v_mul_f32_e32 v124, v100, v17
	v_fmac_f32_e32 v123, v99, v14
	v_add_f32_e32 v115, v115, v122
	v_add_f32_e32 v2, v2, v3
	s_waitcnt vmcnt(9) lgkmcnt(4)
	v_mul_f32_e32 v3, v75, v39
	v_mul_f32_e32 v125, v94, v19
	v_fmac_f32_e32 v124, v101, v16
	v_add_f32_e32 v115, v115, v123
	v_fma_f32 v3, v74, v38, -v3
	v_mul_f32_e32 v126, v96, v21
	v_fmac_f32_e32 v125, v95, v18
	v_add_f32_e32 v115, v115, v124
	v_add_f32_e32 v2, v2, v3
	v_mul_f32_e32 v3, v77, v41
	v_mul_f32_e32 v127, v90, v23
	v_fmac_f32_e32 v126, v97, v20
	v_add_f32_e32 v115, v115, v125
	v_fma_f32 v3, v76, v40, -v3
	v_mul_f32_e32 v128, v92, v25
	v_fmac_f32_e32 v127, v91, v22
	v_add_f32_e32 v115, v115, v126
	v_add_f32_e32 v2, v2, v3
	s_waitcnt vmcnt(8) lgkmcnt(3)
	v_mul_f32_e32 v3, v71, v43
	v_mul_f32_e32 v129, v86, v27
	v_fmac_f32_e32 v128, v93, v24
	v_add_f32_e32 v115, v115, v127
	v_fma_f32 v3, v70, v42, -v3
	v_mul_f32_e32 v130, v88, v29
	v_fmac_f32_e32 v129, v87, v26
	v_add_f32_e32 v115, v115, v128
	v_add_f32_e32 v2, v2, v3
	v_mul_f32_e32 v3, v73, v45
	v_mul_f32_e32 v131, v82, v31
	v_fmac_f32_e32 v130, v89, v28
	v_add_f32_e32 v115, v115, v129
	;; [unrolled: 19-line block ×4, first 2 shown]
	v_fma_f32 v3, v56, v52, -v3
	v_mul_f32_e32 v140, v64, v49
	v_fmac_f32_e32 v139, v63, v46
	v_add_f32_e32 v115, v115, v138
	v_add_f32_e32 v122, v2, v3
	s_waitcnt vmcnt(5) lgkmcnt(0)
	v_mul_f32_e32 v2, v59, v67
	v_mul_f32_e32 v141, v54, v51
	v_fmac_f32_e32 v140, v65, v48
	v_add_f32_e32 v115, v115, v139
	v_fma_f32 v124, v58, v66, -v2
	v_mul_f32_e32 v2, v61, v69
	v_mul_f32_e32 v142, v56, v53
	v_fmac_f32_e32 v141, v55, v50
	v_add_f32_e32 v115, v115, v140
	v_fma_f32 v126, v60, v68, -v2
	ds_read2_b64 v[2:5], v114 offset0:91 offset1:92
	ds_read2_b64 v[6:9], v114 offset0:93 offset1:94
	;; [unrolled: 1-line block ×4, first 2 shown]
	v_add_f32_e32 v115, v115, v141
	v_fmac_f32_e32 v142, v57, v52
	v_mul_f32_e32 v125, v58, v67
	v_add_f32_e32 v123, v115, v142
	v_fmac_f32_e32 v125, v59, v66
	v_mul_f32_e32 v127, v60, v69
	s_waitcnt vmcnt(3) lgkmcnt(3)
	v_pk_mul_f32 v[20:21], v[2:3], v[116:117] op_sel:[1,1] op_sel_hi:[0,1]
	v_fmac_f32_e32 v127, v61, v68
	v_pk_add_f32 v[18:19], v[122:123], v[124:125]
	v_pk_fma_f32 v[22:23], v[2:3], v[116:117], v[20:21] neg_lo:[0,0,1] neg_hi:[0,0,1]
	v_pk_fma_f32 v[2:3], v[2:3], v[116:117], v[20:21] op_sel_hi:[1,0,1]
	v_pk_add_f32 v[18:19], v[18:19], v[126:127]
	v_mov_b32_e32 v23, v3
	v_pk_add_f32 v[2:3], v[18:19], v[22:23]
	v_mov_b32_e32 v18, v119
	v_pk_mul_f32 v[18:19], v[4:5], v[18:19] op_sel:[1,0] op_sel_hi:[0,0]
	v_pk_fma_f32 v[20:21], v[4:5], v[118:119], v[18:19] neg_lo:[0,0,1] neg_hi:[0,0,1]
	v_pk_fma_f32 v[4:5], v[4:5], v[118:119], v[18:19] op_sel_hi:[1,0,1]
	s_nop 0
	v_mov_b32_e32 v21, v5
	s_waitcnt vmcnt(2) lgkmcnt(2)
	v_pk_mul_f32 v[4:5], v[6:7], v[220:221] op_sel:[1,1] op_sel_hi:[0,1]
	v_pk_fma_f32 v[18:19], v[6:7], v[220:221], v[4:5] neg_lo:[0,0,1] neg_hi:[0,0,1]
	v_pk_fma_f32 v[4:5], v[6:7], v[220:221], v[4:5] op_sel_hi:[1,0,1]
	v_pk_add_f32 v[2:3], v[2:3], v[20:21]
	v_mov_b32_e32 v4, v223
	v_mov_b32_e32 v19, v5
	v_pk_mul_f32 v[4:5], v[8:9], v[4:5] op_sel:[1,0] op_sel_hi:[0,0]
	v_pk_fma_f32 v[6:7], v[8:9], v[222:223], v[4:5] neg_lo:[0,0,1] neg_hi:[0,0,1]
	v_pk_fma_f32 v[4:5], v[8:9], v[222:223], v[4:5] op_sel_hi:[1,0,1]
	v_pk_add_f32 v[2:3], v[2:3], v[18:19]
	v_mov_b32_e32 v7, v5
	s_waitcnt vmcnt(1) lgkmcnt(1)
	v_pk_mul_f32 v[4:5], v[10:11], v[224:225] op_sel:[1,1] op_sel_hi:[0,1]
	v_pk_add_f32 v[2:3], v[2:3], v[6:7]
	v_pk_fma_f32 v[6:7], v[10:11], v[224:225], v[4:5] neg_lo:[0,0,1] neg_hi:[0,0,1]
	v_pk_fma_f32 v[4:5], v[10:11], v[224:225], v[4:5] op_sel_hi:[1,0,1]
	s_nop 0
	v_mov_b32_e32 v4, v227
	v_mov_b32_e32 v7, v5
	v_pk_mul_f32 v[4:5], v[12:13], v[4:5] op_sel:[1,0] op_sel_hi:[0,0]
	v_pk_add_f32 v[2:3], v[2:3], v[6:7]
	v_pk_fma_f32 v[6:7], v[12:13], v[226:227], v[4:5] neg_lo:[0,0,1] neg_hi:[0,0,1]
	v_pk_fma_f32 v[4:5], v[12:13], v[226:227], v[4:5] op_sel_hi:[1,0,1]
	s_nop 0
	v_mov_b32_e32 v7, v5
	s_waitcnt vmcnt(0) lgkmcnt(0)
	v_pk_mul_f32 v[4:5], v[14:15], v[228:229] op_sel:[1,1] op_sel_hi:[0,1]
	v_pk_add_f32 v[2:3], v[2:3], v[6:7]
	v_pk_fma_f32 v[6:7], v[14:15], v[228:229], v[4:5] neg_lo:[0,0,1] neg_hi:[0,0,1]
	v_pk_fma_f32 v[4:5], v[14:15], v[228:229], v[4:5] op_sel_hi:[1,0,1]
	s_nop 0
	v_mov_b32_e32 v4, v231
	v_mov_b32_e32 v7, v5
	v_pk_mul_f32 v[4:5], v[16:17], v[4:5] op_sel:[1,0] op_sel_hi:[0,0]
	v_pk_add_f32 v[2:3], v[2:3], v[6:7]
	v_pk_fma_f32 v[6:7], v[16:17], v[230:231], v[4:5] neg_lo:[0,0,1] neg_hi:[0,0,1]
	v_pk_fma_f32 v[4:5], v[16:17], v[230:231], v[4:5] op_sel_hi:[1,0,1]
	s_nop 0
	v_mov_b32_e32 v7, v5
	v_pk_add_f32 v[2:3], v[2:3], v[6:7]
	s_nop 0
	v_pk_add_f32 v[2:3], v[120:121], v[2:3] neg_lo:[0,1] neg_hi:[0,1]
	scratch_store_dwordx2 off, v[2:3], off offset:96
	s_and_saveexec_b64 s[0:1], vcc
	s_cbranch_execz .LBB48_285
; %bb.284:
	scratch_load_dwordx2 v[2:3], off, off offset:88
	v_mov_b32_e32 v4, 0
	v_mov_b32_e32 v5, v4
	scratch_store_dwordx2 off, v[4:5], off offset:88
	s_waitcnt vmcnt(1)
	ds_write_b64 v1, v[2:3]
.LBB48_285:
	s_or_b64 exec, exec, s[0:1]
	s_waitcnt lgkmcnt(0)
	; wave barrier
	scratch_load_dwordx4 v[2:5], off, off offset:96
	scratch_load_dwordx4 v[6:9], off, off offset:112
	;; [unrolled: 1-line block ×13, first 2 shown]
	v_mov_b32_e32 v118, 0
	scratch_load_dwordx4 v[54:57], off, off offset:304
	scratch_load_dwordx4 v[58:61], off, off offset:320
	scratch_load_dwordx2 v[120:121], off, off offset:88
	ds_read_b128 v[62:65], v118 offset:496
	ds_read_b128 v[66:69], v118 offset:512
	ds_read_b128 v[70:73], v118 offset:528
	ds_read_b128 v[74:77], v118 offset:544
	ds_read_b128 v[78:81], v118 offset:560
	ds_read_b128 v[82:85], v118 offset:576
	ds_read_b128 v[86:89], v118 offset:592
	ds_read_b128 v[90:93], v118 offset:608
	ds_read_b128 v[94:97], v118 offset:624
	ds_read_b128 v[98:101], v118 offset:640
	ds_read_b128 v[102:105], v118 offset:656
	ds_read_b128 v[106:109], v118 offset:672
	ds_read_b128 v[110:113], v118 offset:688
	ds_read_b128 v[114:117], v118 offset:704
	ds_read_b128 v[220:223], v118 offset:720
	ds_read_b128 v[224:227], v118 offset:736
	v_cmp_lt_u32_e32 vcc, 10, v0
	s_waitcnt vmcnt(15) lgkmcnt(14)
	v_mul_f32_e32 v119, v62, v3
	v_mul_f32_e32 v122, v64, v5
	v_fmac_f32_e32 v119, v63, v2
	s_waitcnt vmcnt(14)
	v_mul_f32_e32 v123, v66, v7
	v_fmac_f32_e32 v122, v65, v4
	v_add_f32_e32 v119, 0, v119
	v_mul_f32_e32 v124, v68, v9
	v_fmac_f32_e32 v123, v67, v6
	v_add_f32_e32 v119, v119, v122
	s_waitcnt vmcnt(13) lgkmcnt(13)
	v_mul_f32_e32 v125, v70, v11
	v_fmac_f32_e32 v124, v69, v8
	v_add_f32_e32 v119, v119, v123
	v_mul_f32_e32 v126, v72, v13
	v_fmac_f32_e32 v125, v71, v10
	v_add_f32_e32 v119, v119, v124
	s_waitcnt vmcnt(12) lgkmcnt(12)
	;; [unrolled: 7-line block ×3, first 2 shown]
	v_mul_f32_e32 v129, v78, v19
	v_fmac_f32_e32 v128, v77, v16
	v_add_f32_e32 v119, v119, v127
	v_fmac_f32_e32 v129, v79, v18
	v_add_f32_e32 v119, v119, v128
	v_add_f32_e32 v119, v119, v129
	scratch_load_dwordx4 v[228:231], off, off offset:336
	scratch_load_dwordx4 v[232:235], off, off offset:352
	;; [unrolled: 1-line block ×3, first 2 shown]
	scratch_load_dwordx2 v[128:129], off, off offset:384
	v_mul_f32_e32 v3, v63, v3
	v_fma_f32 v2, v62, v2, -v3
	v_mul_f32_e32 v3, v65, v5
	v_add_f32_e32 v2, 0, v2
	v_fma_f32 v3, v64, v4, -v3
	v_add_f32_e32 v2, v2, v3
	v_mul_f32_e32 v3, v67, v7
	v_fma_f32 v3, v66, v6, -v3
	v_add_f32_e32 v2, v2, v3
	v_mul_f32_e32 v3, v69, v9
	;; [unrolled: 3-line block ×8, first 2 shown]
	v_fma_f32 v3, v80, v20, -v3
	v_add_f32_e32 v2, v2, v3
	s_waitcnt vmcnt(14) lgkmcnt(10)
	v_mul_f32_e32 v3, v83, v23
	v_fma_f32 v3, v82, v22, -v3
	v_add_f32_e32 v2, v2, v3
	v_mul_f32_e32 v3, v85, v25
	v_fma_f32 v3, v84, v24, -v3
	v_add_f32_e32 v2, v2, v3
	s_waitcnt vmcnt(13) lgkmcnt(9)
	v_mul_f32_e32 v3, v87, v27
	v_fma_f32 v3, v86, v26, -v3
	v_add_f32_e32 v2, v2, v3
	v_mul_f32_e32 v3, v89, v29
	;; [unrolled: 7-line block ×3, first 2 shown]
	v_fma_f32 v3, v92, v32, -v3
	v_add_f32_e32 v2, v2, v3
	s_waitcnt vmcnt(11) lgkmcnt(7)
	v_mul_f32_e32 v3, v95, v35
	v_fma_f32 v3, v94, v34, -v3
	v_mul_f32_e32 v130, v80, v21
	v_add_f32_e32 v2, v2, v3
	v_mul_f32_e32 v3, v97, v37
	v_mul_f32_e32 v131, v82, v23
	v_fmac_f32_e32 v130, v81, v20
	v_fma_f32 v3, v96, v36, -v3
	v_mul_f32_e32 v132, v84, v25
	v_fmac_f32_e32 v131, v83, v22
	v_add_f32_e32 v119, v119, v130
	v_add_f32_e32 v2, v2, v3
	s_waitcnt vmcnt(10) lgkmcnt(6)
	v_mul_f32_e32 v3, v99, v39
	v_mul_f32_e32 v133, v86, v27
	v_fmac_f32_e32 v132, v85, v24
	v_add_f32_e32 v119, v119, v131
	v_fma_f32 v3, v98, v38, -v3
	v_mul_f32_e32 v134, v88, v29
	v_fmac_f32_e32 v133, v87, v26
	v_add_f32_e32 v119, v119, v132
	v_add_f32_e32 v2, v2, v3
	v_mul_f32_e32 v3, v101, v41
	v_mul_f32_e32 v135, v90, v31
	v_fmac_f32_e32 v134, v89, v28
	v_add_f32_e32 v119, v119, v133
	v_fma_f32 v3, v100, v40, -v3
	v_mul_f32_e32 v136, v92, v33
	v_fmac_f32_e32 v135, v91, v30
	v_add_f32_e32 v119, v119, v134
	v_add_f32_e32 v2, v2, v3
	s_waitcnt vmcnt(9) lgkmcnt(5)
	v_mul_f32_e32 v3, v103, v43
	v_mul_f32_e32 v137, v94, v35
	v_fmac_f32_e32 v136, v93, v32
	v_add_f32_e32 v119, v119, v135
	v_fma_f32 v3, v102, v42, -v3
	v_mul_f32_e32 v138, v96, v37
	v_fmac_f32_e32 v137, v95, v34
	v_add_f32_e32 v119, v119, v136
	v_add_f32_e32 v2, v2, v3
	v_mul_f32_e32 v3, v105, v45
	v_mul_f32_e32 v139, v98, v39
	v_fmac_f32_e32 v138, v97, v36
	v_add_f32_e32 v119, v119, v137
	v_fma_f32 v3, v104, v44, -v3
	v_mul_f32_e32 v140, v100, v41
	v_fmac_f32_e32 v139, v99, v38
	v_add_f32_e32 v119, v119, v138
	v_add_f32_e32 v2, v2, v3
	s_waitcnt vmcnt(8) lgkmcnt(4)
	v_mul_f32_e32 v3, v107, v47
	v_mul_f32_e32 v141, v102, v43
	v_fmac_f32_e32 v140, v101, v40
	v_add_f32_e32 v119, v119, v139
	v_fma_f32 v3, v106, v46, -v3
	v_mul_f32_e32 v142, v104, v45
	v_fmac_f32_e32 v141, v103, v42
	v_add_f32_e32 v119, v119, v140
	v_add_f32_e32 v2, v2, v3
	v_mul_f32_e32 v3, v109, v49
	v_mul_f32_e32 v143, v106, v47
	v_fmac_f32_e32 v142, v105, v44
	v_add_f32_e32 v119, v119, v141
	v_fma_f32 v3, v108, v48, -v3
	v_mul_f32_e32 v144, v108, v49
	v_fmac_f32_e32 v143, v107, v46
	v_add_f32_e32 v119, v119, v142
	v_add_f32_e32 v2, v2, v3
	s_waitcnt vmcnt(7) lgkmcnt(3)
	v_mul_f32_e32 v3, v111, v51
	v_mul_f32_e32 v145, v110, v51
	v_fmac_f32_e32 v144, v109, v48
	v_add_f32_e32 v119, v119, v143
	v_fma_f32 v3, v110, v50, -v3
	v_add_f32_e32 v119, v119, v144
	v_fmac_f32_e32 v145, v111, v50
	v_mul_f32_e32 v122, v112, v53
	v_add_f32_e32 v2, v2, v3
	v_mul_f32_e32 v3, v113, v53
	v_add_f32_e32 v119, v119, v145
	v_fmac_f32_e32 v122, v113, v52
	v_fma_f32 v3, v112, v52, -v3
	v_add_f32_e32 v119, v119, v122
	s_waitcnt vmcnt(6) lgkmcnt(2)
	v_mul_f32_e32 v122, v114, v55
	v_add_f32_e32 v2, v2, v3
	v_mul_f32_e32 v3, v115, v55
	v_fmac_f32_e32 v122, v115, v54
	v_fma_f32 v3, v114, v54, -v3
	v_add_f32_e32 v123, v119, v122
	v_mul_f32_e32 v125, v116, v57
	v_add_f32_e32 v122, v2, v3
	v_mul_f32_e32 v2, v117, v57
	s_waitcnt vmcnt(5)
	v_mov_b32_e32 v14, v61
	v_fmac_f32_e32 v125, v117, v56
	s_waitcnt lgkmcnt(1)
	v_mul_f32_e32 v127, v220, v59
	v_fma_f32 v124, v116, v56, -v2
	v_mul_f32_e32 v2, v221, v59
	v_pk_mul_f32 v[14:15], v[222:223], v[14:15] op_sel:[1,0] op_sel_hi:[0,0]
	v_fmac_f32_e32 v127, v221, v58
	v_fma_f32 v126, v220, v58, -v2
	v_pk_add_f32 v[12:13], v[122:123], v[124:125]
	v_pk_fma_f32 v[16:17], v[222:223], v[60:61], v[14:15] neg_lo:[0,0,1] neg_hi:[0,0,1]
	v_pk_fma_f32 v[14:15], v[222:223], v[60:61], v[14:15] op_sel_hi:[1,0,1]
	v_pk_add_f32 v[12:13], v[12:13], v[126:127]
	v_mov_b32_e32 v17, v15
	s_waitcnt vmcnt(3) lgkmcnt(0)
	v_pk_mul_f32 v[14:15], v[224:225], v[228:229] op_sel:[1,1] op_sel_hi:[0,1]
	v_pk_add_f32 v[12:13], v[12:13], v[16:17]
	v_pk_fma_f32 v[16:17], v[224:225], v[228:229], v[14:15] neg_lo:[0,0,1] neg_hi:[0,0,1]
	v_pk_fma_f32 v[14:15], v[224:225], v[228:229], v[14:15] op_sel_hi:[1,0,1]
	ds_read_b128 v[2:5], v118 offset:752
	ds_read_b128 v[6:9], v118 offset:768
	ds_read_b64 v[10:11], v118 offset:784
	v_mov_b32_e32 v14, v231
	v_mov_b32_e32 v17, v15
	v_pk_mul_f32 v[14:15], v[226:227], v[14:15] op_sel:[1,0] op_sel_hi:[0,0]
	v_pk_add_f32 v[12:13], v[12:13], v[16:17]
	v_pk_fma_f32 v[16:17], v[226:227], v[230:231], v[14:15] neg_lo:[0,0,1] neg_hi:[0,0,1]
	v_pk_fma_f32 v[14:15], v[226:227], v[230:231], v[14:15] op_sel_hi:[1,0,1]
	s_nop 0
	v_mov_b32_e32 v17, v15
	s_waitcnt vmcnt(2) lgkmcnt(2)
	v_pk_mul_f32 v[14:15], v[2:3], v[232:233] op_sel:[1,1] op_sel_hi:[0,1]
	v_pk_add_f32 v[12:13], v[12:13], v[16:17]
	v_pk_fma_f32 v[16:17], v[2:3], v[232:233], v[14:15] neg_lo:[0,0,1] neg_hi:[0,0,1]
	v_pk_fma_f32 v[2:3], v[2:3], v[232:233], v[14:15] op_sel_hi:[1,0,1]
	s_nop 0
	v_mov_b32_e32 v17, v3
	v_pk_add_f32 v[2:3], v[12:13], v[16:17]
	v_mov_b32_e32 v12, v235
	v_pk_mul_f32 v[12:13], v[4:5], v[12:13] op_sel:[1,0] op_sel_hi:[0,0]
	v_pk_fma_f32 v[14:15], v[4:5], v[234:235], v[12:13] neg_lo:[0,0,1] neg_hi:[0,0,1]
	v_pk_fma_f32 v[4:5], v[4:5], v[234:235], v[12:13] op_sel_hi:[1,0,1]
	s_nop 0
	v_mov_b32_e32 v15, v5
	s_waitcnt vmcnt(1) lgkmcnt(1)
	v_pk_mul_f32 v[4:5], v[6:7], v[236:237] op_sel:[1,1] op_sel_hi:[0,1]
	v_pk_fma_f32 v[12:13], v[6:7], v[236:237], v[4:5] neg_lo:[0,0,1] neg_hi:[0,0,1]
	v_pk_fma_f32 v[4:5], v[6:7], v[236:237], v[4:5] op_sel_hi:[1,0,1]
	v_pk_add_f32 v[2:3], v[2:3], v[14:15]
	v_mov_b32_e32 v4, v239
	v_mov_b32_e32 v13, v5
	v_pk_mul_f32 v[4:5], v[8:9], v[4:5] op_sel:[1,0] op_sel_hi:[0,0]
	v_pk_fma_f32 v[6:7], v[8:9], v[238:239], v[4:5] neg_lo:[0,0,1] neg_hi:[0,0,1]
	v_pk_fma_f32 v[4:5], v[8:9], v[238:239], v[4:5] op_sel_hi:[1,0,1]
	v_pk_add_f32 v[2:3], v[2:3], v[12:13]
	v_mov_b32_e32 v7, v5
	s_waitcnt vmcnt(0) lgkmcnt(0)
	v_pk_mul_f32 v[4:5], v[10:11], v[128:129] op_sel:[1,1] op_sel_hi:[0,1]
	v_pk_add_f32 v[2:3], v[2:3], v[6:7]
	v_pk_fma_f32 v[6:7], v[10:11], v[128:129], v[4:5] neg_lo:[0,0,1] neg_hi:[0,0,1]
	v_pk_fma_f32 v[4:5], v[10:11], v[128:129], v[4:5] op_sel_hi:[1,0,1]
	s_nop 0
	v_mov_b32_e32 v7, v5
	v_pk_add_f32 v[2:3], v[2:3], v[6:7]
	s_nop 0
	v_pk_add_f32 v[2:3], v[120:121], v[2:3] neg_lo:[0,1] neg_hi:[0,1]
	scratch_store_dwordx2 off, v[2:3], off offset:88
	s_and_saveexec_b64 s[0:1], vcc
	s_cbranch_execz .LBB48_287
; %bb.286:
	scratch_load_dwordx2 v[2:3], off, off offset:80
	v_mov_b32_e32 v119, v118
	scratch_store_dwordx2 off, v[118:119], off offset:80
	s_waitcnt vmcnt(1)
	ds_write_b64 v1, v[2:3]
.LBB48_287:
	s_or_b64 exec, exec, s[0:1]
	s_waitcnt lgkmcnt(0)
	; wave barrier
	scratch_load_dwordx4 v[2:5], off, off offset:88
	scratch_load_dwordx4 v[6:9], off, off offset:104
	;; [unrolled: 1-line block ×13, first 2 shown]
	ds_read2_b64 v[114:117], v118 offset0:61 offset1:62
	ds_read2_b64 v[110:113], v118 offset0:63 offset1:64
	;; [unrolled: 1-line block ×14, first 2 shown]
	scratch_load_dwordx4 v[62:65], off, off offset:296
	scratch_load_dwordx4 v[70:73], off, off offset:312
	scratch_load_dwordx2 v[120:121], off, off offset:80
	ds_read2_b64 v[220:223], v118 offset0:89 offset1:90
	ds_read2_b64 v[224:227], v118 offset0:91 offset1:92
	scratch_load_dwordx4 v[228:231], off, off offset:328
	scratch_load_dwordx4 v[232:235], off, off offset:344
	;; [unrolled: 1-line block ×4, first 2 shown]
	v_cmp_lt_u32_e32 vcc, 9, v0
	s_waitcnt vmcnt(19) lgkmcnt(14)
	v_mul_f32_e32 v119, v114, v3
	v_mul_f32_e32 v3, v115, v3
	v_fmac_f32_e32 v119, v115, v2
	v_fma_f32 v2, v114, v2, -v3
	v_mul_f32_e32 v3, v117, v5
	v_add_f32_e32 v2, 0, v2
	v_fma_f32 v3, v116, v4, -v3
	v_add_f32_e32 v2, v2, v3
	s_waitcnt vmcnt(18)
	v_mul_f32_e32 v3, v111, v7
	v_fma_f32 v3, v110, v6, -v3
	v_add_f32_e32 v2, v2, v3
	v_mul_f32_e32 v3, v113, v9
	v_fma_f32 v3, v112, v8, -v3
	v_add_f32_e32 v2, v2, v3
	s_waitcnt vmcnt(17) lgkmcnt(13)
	v_mul_f32_e32 v3, v107, v11
	v_fma_f32 v3, v106, v10, -v3
	v_add_f32_e32 v2, v2, v3
	v_mul_f32_e32 v3, v109, v13
	v_fma_f32 v3, v108, v12, -v3
	v_add_f32_e32 v2, v2, v3
	s_waitcnt vmcnt(16) lgkmcnt(12)
	;; [unrolled: 7-line block ×5, first 2 shown]
	v_mul_f32_e32 v3, v91, v27
	v_fma_f32 v3, v90, v26, -v3
	v_mul_f32_e32 v122, v116, v5
	v_add_f32_e32 v2, v2, v3
	v_mul_f32_e32 v3, v93, v29
	v_mul_f32_e32 v123, v110, v7
	v_fmac_f32_e32 v122, v117, v4
	v_add_f32_e32 v119, 0, v119
	v_fma_f32 v3, v92, v28, -v3
	v_mul_f32_e32 v124, v112, v9
	v_fmac_f32_e32 v123, v111, v6
	v_add_f32_e32 v119, v119, v122
	v_add_f32_e32 v2, v2, v3
	s_waitcnt vmcnt(12) lgkmcnt(8)
	v_mul_f32_e32 v3, v87, v31
	v_mul_f32_e32 v125, v106, v11
	v_fmac_f32_e32 v124, v113, v8
	v_add_f32_e32 v119, v119, v123
	v_fma_f32 v3, v86, v30, -v3
	v_mul_f32_e32 v126, v108, v13
	v_fmac_f32_e32 v125, v107, v10
	v_add_f32_e32 v119, v119, v124
	v_add_f32_e32 v2, v2, v3
	v_mul_f32_e32 v3, v89, v33
	v_mul_f32_e32 v127, v102, v15
	v_fmac_f32_e32 v126, v109, v12
	v_add_f32_e32 v119, v119, v125
	v_fma_f32 v3, v88, v32, -v3
	v_mul_f32_e32 v128, v104, v17
	v_fmac_f32_e32 v127, v103, v14
	v_add_f32_e32 v119, v119, v126
	v_add_f32_e32 v2, v2, v3
	s_waitcnt vmcnt(11) lgkmcnt(7)
	v_mul_f32_e32 v3, v83, v35
	v_mul_f32_e32 v129, v98, v19
	v_fmac_f32_e32 v128, v105, v16
	v_add_f32_e32 v119, v119, v127
	v_fma_f32 v3, v82, v34, -v3
	v_mul_f32_e32 v130, v100, v21
	v_fmac_f32_e32 v129, v99, v18
	v_add_f32_e32 v119, v119, v128
	;; [unrolled: 19-line block ×5, first 2 shown]
	v_add_f32_e32 v2, v2, v3
	v_mul_f32_e32 v3, v69, v49
	v_mul_f32_e32 v143, v66, v47
	v_fmac_f32_e32 v142, v77, v44
	v_add_f32_e32 v119, v119, v141
	v_fma_f32 v3, v68, v48, -v3
	v_mul_f32_e32 v144, v68, v49
	v_fmac_f32_e32 v143, v67, v46
	v_add_f32_e32 v119, v119, v142
	v_add_f32_e32 v2, v2, v3
	s_waitcnt vmcnt(7) lgkmcnt(3)
	v_mul_f32_e32 v3, v55, v51
	v_mul_f32_e32 v145, v54, v51
	v_fmac_f32_e32 v144, v69, v48
	v_add_f32_e32 v119, v119, v143
	v_fma_f32 v3, v54, v50, -v3
	v_fmac_f32_e32 v145, v55, v50
	v_add_f32_e32 v119, v119, v144
	v_mul_f32_e32 v122, v56, v53
	v_add_f32_e32 v2, v2, v3
	v_mul_f32_e32 v3, v57, v53
	v_add_f32_e32 v119, v119, v145
	v_fmac_f32_e32 v122, v57, v52
	v_fma_f32 v3, v56, v52, -v3
	v_add_f32_e32 v119, v119, v122
	s_waitcnt vmcnt(6) lgkmcnt(2)
	v_mul_f32_e32 v122, v58, v63
	v_add_f32_e32 v2, v2, v3
	v_mul_f32_e32 v3, v59, v63
	v_fmac_f32_e32 v122, v59, v62
	v_fma_f32 v3, v58, v62, -v3
	v_add_f32_e32 v119, v119, v122
	v_mul_f32_e32 v122, v60, v65
	v_add_f32_e32 v2, v2, v3
	v_mul_f32_e32 v3, v61, v65
	v_fmac_f32_e32 v122, v61, v64
	v_fma_f32 v3, v60, v64, -v3
	v_add_f32_e32 v123, v119, v122
	s_waitcnt vmcnt(5) lgkmcnt(1)
	v_mul_f32_e32 v125, v220, v71
	v_add_f32_e32 v122, v2, v3
	v_mul_f32_e32 v2, v221, v71
	s_waitcnt vmcnt(3) lgkmcnt(0)
	v_pk_mul_f32 v[16:17], v[224:225], v[228:229] op_sel:[1,1] op_sel_hi:[0,1]
	v_fmac_f32_e32 v125, v221, v70
	v_mul_f32_e32 v127, v222, v73
	v_fma_f32 v124, v220, v70, -v2
	v_mul_f32_e32 v2, v223, v73
	v_pk_fma_f32 v[18:19], v[224:225], v[228:229], v[16:17] neg_lo:[0,0,1] neg_hi:[0,0,1]
	v_pk_fma_f32 v[16:17], v[224:225], v[228:229], v[16:17] op_sel_hi:[1,0,1]
	v_fmac_f32_e32 v127, v223, v72
	v_fma_f32 v126, v222, v72, -v2
	ds_read2_b64 v[2:5], v118 offset0:93 offset1:94
	ds_read2_b64 v[6:9], v118 offset0:95 offset1:96
	;; [unrolled: 1-line block ×3, first 2 shown]
	v_pk_add_f32 v[14:15], v[122:123], v[124:125]
	v_mov_b32_e32 v16, v231
	v_pk_add_f32 v[14:15], v[14:15], v[126:127]
	v_mov_b32_e32 v19, v17
	v_pk_mul_f32 v[16:17], v[226:227], v[16:17] op_sel:[1,0] op_sel_hi:[0,0]
	v_pk_add_f32 v[14:15], v[14:15], v[18:19]
	v_pk_fma_f32 v[18:19], v[226:227], v[230:231], v[16:17] neg_lo:[0,0,1] neg_hi:[0,0,1]
	v_pk_fma_f32 v[16:17], v[226:227], v[230:231], v[16:17] op_sel_hi:[1,0,1]
	s_nop 0
	v_mov_b32_e32 v19, v17
	s_waitcnt vmcnt(2) lgkmcnt(2)
	v_pk_mul_f32 v[16:17], v[2:3], v[232:233] op_sel:[1,1] op_sel_hi:[0,1]
	v_pk_add_f32 v[14:15], v[14:15], v[18:19]
	v_pk_fma_f32 v[18:19], v[2:3], v[232:233], v[16:17] neg_lo:[0,0,1] neg_hi:[0,0,1]
	v_pk_fma_f32 v[2:3], v[2:3], v[232:233], v[16:17] op_sel_hi:[1,0,1]
	s_nop 0
	v_mov_b32_e32 v19, v3
	v_pk_add_f32 v[2:3], v[14:15], v[18:19]
	v_mov_b32_e32 v14, v235
	v_pk_mul_f32 v[14:15], v[4:5], v[14:15] op_sel:[1,0] op_sel_hi:[0,0]
	v_pk_fma_f32 v[16:17], v[4:5], v[234:235], v[14:15] neg_lo:[0,0,1] neg_hi:[0,0,1]
	v_pk_fma_f32 v[4:5], v[4:5], v[234:235], v[14:15] op_sel_hi:[1,0,1]
	s_nop 0
	v_mov_b32_e32 v17, v5
	s_waitcnt vmcnt(1) lgkmcnt(1)
	v_pk_mul_f32 v[4:5], v[6:7], v[236:237] op_sel:[1,1] op_sel_hi:[0,1]
	v_pk_fma_f32 v[14:15], v[6:7], v[236:237], v[4:5] neg_lo:[0,0,1] neg_hi:[0,0,1]
	v_pk_fma_f32 v[4:5], v[6:7], v[236:237], v[4:5] op_sel_hi:[1,0,1]
	v_pk_add_f32 v[2:3], v[2:3], v[16:17]
	v_mov_b32_e32 v4, v239
	v_mov_b32_e32 v15, v5
	v_pk_mul_f32 v[4:5], v[8:9], v[4:5] op_sel:[1,0] op_sel_hi:[0,0]
	v_pk_fma_f32 v[6:7], v[8:9], v[238:239], v[4:5] neg_lo:[0,0,1] neg_hi:[0,0,1]
	v_pk_fma_f32 v[4:5], v[8:9], v[238:239], v[4:5] op_sel_hi:[1,0,1]
	v_pk_add_f32 v[2:3], v[2:3], v[14:15]
	v_mov_b32_e32 v7, v5
	s_waitcnt vmcnt(0) lgkmcnt(0)
	v_pk_mul_f32 v[4:5], v[10:11], v[240:241] op_sel:[1,1] op_sel_hi:[0,1]
	v_pk_add_f32 v[2:3], v[2:3], v[6:7]
	v_pk_fma_f32 v[6:7], v[10:11], v[240:241], v[4:5] neg_lo:[0,0,1] neg_hi:[0,0,1]
	v_pk_fma_f32 v[4:5], v[10:11], v[240:241], v[4:5] op_sel_hi:[1,0,1]
	s_nop 0
	v_mov_b32_e32 v4, v243
	v_mov_b32_e32 v7, v5
	v_pk_mul_f32 v[4:5], v[12:13], v[4:5] op_sel:[1,0] op_sel_hi:[0,0]
	v_pk_add_f32 v[2:3], v[2:3], v[6:7]
	v_pk_fma_f32 v[6:7], v[12:13], v[242:243], v[4:5] neg_lo:[0,0,1] neg_hi:[0,0,1]
	v_pk_fma_f32 v[4:5], v[12:13], v[242:243], v[4:5] op_sel_hi:[1,0,1]
	s_nop 0
	v_mov_b32_e32 v7, v5
	v_pk_add_f32 v[2:3], v[2:3], v[6:7]
	s_nop 0
	v_pk_add_f32 v[2:3], v[120:121], v[2:3] neg_lo:[0,1] neg_hi:[0,1]
	scratch_store_dwordx2 off, v[2:3], off offset:80
	s_and_saveexec_b64 s[0:1], vcc
	s_cbranch_execz .LBB48_289
; %bb.288:
	scratch_load_dwordx2 v[2:3], off, off offset:72
	v_mov_b32_e32 v4, 0
	v_mov_b32_e32 v5, v4
	scratch_store_dwordx2 off, v[4:5], off offset:72
	s_waitcnt vmcnt(1)
	ds_write_b64 v1, v[2:3]
.LBB48_289:
	s_or_b64 exec, exec, s[0:1]
	s_waitcnt lgkmcnt(0)
	; wave barrier
	scratch_load_dwordx4 v[2:5], off, off offset:80
	scratch_load_dwordx4 v[6:9], off, off offset:96
	;; [unrolled: 1-line block ×16, first 2 shown]
	scratch_load_dwordx2 v[122:123], off, off offset:72
	v_mov_b32_e32 v220, 0
	ds_read_b128 v[66:69], v220 offset:480
	ds_read_b128 v[70:73], v220 offset:496
	;; [unrolled: 1-line block ×14, first 2 shown]
	scratch_load_dwordx4 v[230:233], off, off offset:336
	ds_read_b128 v[222:225], v220 offset:704
	ds_read_b128 v[226:229], v220 offset:720
	v_cmp_lt_u32_e32 vcc, 8, v0
	s_waitcnt vmcnt(17) lgkmcnt(14)
	v_mul_f32_e32 v124, v66, v3
	v_mul_f32_e32 v125, v68, v5
	v_fmac_f32_e32 v124, v67, v2
	s_waitcnt vmcnt(16)
	v_mul_f32_e32 v126, v70, v7
	v_fmac_f32_e32 v125, v69, v4
	v_add_f32_e32 v124, 0, v124
	v_mul_f32_e32 v127, v72, v9
	v_fmac_f32_e32 v126, v71, v6
	v_add_f32_e32 v124, v124, v125
	s_waitcnt vmcnt(15) lgkmcnt(13)
	v_mul_f32_e32 v128, v74, v11
	v_fmac_f32_e32 v127, v73, v8
	v_add_f32_e32 v124, v124, v126
	v_mul_f32_e32 v129, v76, v13
	v_fmac_f32_e32 v128, v75, v10
	v_add_f32_e32 v124, v124, v127
	s_waitcnt vmcnt(14) lgkmcnt(12)
	v_mul_f32_e32 v130, v78, v15
	v_fmac_f32_e32 v129, v77, v12
	v_add_f32_e32 v124, v124, v128
	v_mul_f32_e32 v131, v80, v17
	v_fmac_f32_e32 v130, v79, v14
	v_add_f32_e32 v124, v124, v129
	v_fmac_f32_e32 v131, v81, v16
	v_add_f32_e32 v124, v124, v130
	v_add_f32_e32 v124, v124, v131
	scratch_load_dwordx4 v[234:237], off, off offset:352
	scratch_load_dwordx4 v[238:241], off, off offset:368
	scratch_load_dwordx2 v[130:131], off, off offset:384
	v_mul_f32_e32 v3, v67, v3
	v_fma_f32 v2, v66, v2, -v3
	v_mul_f32_e32 v3, v69, v5
	v_add_f32_e32 v2, 0, v2
	v_fma_f32 v3, v68, v4, -v3
	v_add_f32_e32 v2, v2, v3
	v_mul_f32_e32 v3, v71, v7
	v_fma_f32 v3, v70, v6, -v3
	v_add_f32_e32 v2, v2, v3
	v_mul_f32_e32 v3, v73, v9
	;; [unrolled: 3-line block ×6, first 2 shown]
	v_fma_f32 v3, v80, v16, -v3
	v_add_f32_e32 v2, v2, v3
	s_waitcnt vmcnt(16) lgkmcnt(11)
	v_mul_f32_e32 v3, v83, v19
	v_fma_f32 v3, v82, v18, -v3
	v_add_f32_e32 v2, v2, v3
	v_mul_f32_e32 v3, v85, v21
	v_fma_f32 v3, v84, v20, -v3
	v_add_f32_e32 v2, v2, v3
	s_waitcnt vmcnt(15) lgkmcnt(10)
	v_mul_f32_e32 v3, v87, v23
	v_fma_f32 v3, v86, v22, -v3
	v_add_f32_e32 v2, v2, v3
	v_mul_f32_e32 v3, v89, v25
	;; [unrolled: 7-line block ×4, first 2 shown]
	v_fma_f32 v3, v96, v32, -v3
	v_mul_f32_e32 v132, v82, v19
	v_add_f32_e32 v2, v2, v3
	s_waitcnt vmcnt(12) lgkmcnt(7)
	v_mul_f32_e32 v3, v99, v35
	v_mul_f32_e32 v133, v84, v21
	v_fmac_f32_e32 v132, v83, v18
	v_fma_f32 v3, v98, v34, -v3
	v_mul_f32_e32 v134, v86, v23
	v_fmac_f32_e32 v133, v85, v20
	v_add_f32_e32 v124, v124, v132
	v_add_f32_e32 v2, v2, v3
	v_mul_f32_e32 v3, v101, v37
	v_mul_f32_e32 v135, v88, v25
	v_fmac_f32_e32 v134, v87, v22
	v_add_f32_e32 v124, v124, v133
	v_fma_f32 v3, v100, v36, -v3
	v_mul_f32_e32 v136, v90, v27
	v_fmac_f32_e32 v135, v89, v24
	v_add_f32_e32 v124, v124, v134
	v_add_f32_e32 v2, v2, v3
	s_waitcnt vmcnt(11) lgkmcnt(6)
	v_mul_f32_e32 v3, v103, v39
	v_mul_f32_e32 v137, v92, v29
	v_fmac_f32_e32 v136, v91, v26
	v_add_f32_e32 v124, v124, v135
	v_fma_f32 v3, v102, v38, -v3
	v_mul_f32_e32 v138, v94, v31
	v_fmac_f32_e32 v137, v93, v28
	v_add_f32_e32 v124, v124, v136
	v_add_f32_e32 v2, v2, v3
	v_mul_f32_e32 v3, v105, v41
	v_mul_f32_e32 v139, v96, v33
	v_fmac_f32_e32 v138, v95, v30
	v_add_f32_e32 v124, v124, v137
	v_fma_f32 v3, v104, v40, -v3
	v_mul_f32_e32 v140, v98, v35
	v_fmac_f32_e32 v139, v97, v32
	v_add_f32_e32 v124, v124, v138
	v_add_f32_e32 v2, v2, v3
	s_waitcnt vmcnt(10) lgkmcnt(5)
	v_mul_f32_e32 v3, v107, v43
	v_mul_f32_e32 v141, v100, v37
	v_fmac_f32_e32 v140, v99, v34
	v_add_f32_e32 v124, v124, v139
	;; [unrolled: 19-line block ×3, first 2 shown]
	v_fma_f32 v3, v110, v46, -v3
	v_mul_f32_e32 v146, v110, v47
	v_fmac_f32_e32 v145, v109, v44
	v_add_f32_e32 v124, v124, v144
	v_add_f32_e32 v2, v2, v3
	v_mul_f32_e32 v3, v113, v49
	v_mul_f32_e32 v147, v112, v49
	v_fmac_f32_e32 v146, v111, v46
	v_add_f32_e32 v124, v124, v145
	v_fma_f32 v3, v112, v48, -v3
	v_fmac_f32_e32 v147, v113, v48
	v_add_f32_e32 v124, v124, v146
	s_waitcnt vmcnt(8) lgkmcnt(3)
	v_mul_f32_e32 v125, v114, v51
	v_add_f32_e32 v2, v2, v3
	v_mul_f32_e32 v3, v115, v51
	v_add_f32_e32 v124, v124, v147
	v_fmac_f32_e32 v125, v115, v50
	v_fma_f32 v3, v114, v50, -v3
	v_add_f32_e32 v124, v124, v125
	v_mul_f32_e32 v125, v116, v53
	v_add_f32_e32 v2, v2, v3
	v_mul_f32_e32 v3, v117, v53
	v_fmac_f32_e32 v125, v117, v52
	v_fma_f32 v3, v116, v52, -v3
	v_add_f32_e32 v124, v124, v125
	s_waitcnt vmcnt(7) lgkmcnt(2)
	v_mul_f32_e32 v125, v118, v55
	v_add_f32_e32 v2, v2, v3
	v_mul_f32_e32 v3, v119, v55
	v_fmac_f32_e32 v125, v119, v54
	v_fma_f32 v3, v118, v54, -v3
	v_add_f32_e32 v124, v124, v125
	v_mul_f32_e32 v125, v120, v57
	v_add_f32_e32 v2, v2, v3
	v_mul_f32_e32 v3, v121, v57
	v_fmac_f32_e32 v125, v121, v56
	v_fma_f32 v3, v120, v56, -v3
	v_add_f32_e32 v124, v124, v125
	s_waitcnt vmcnt(6) lgkmcnt(1)
	v_mul_f32_e32 v125, v222, v63
	v_add_f32_e32 v2, v2, v3
	v_mul_f32_e32 v3, v223, v63
	v_fmac_f32_e32 v125, v223, v62
	v_fma_f32 v3, v222, v62, -v3
	v_add_f32_e32 v125, v124, v125
	v_add_f32_e32 v124, v2, v3
	v_mul_f32_e32 v2, v225, v65
	v_mul_f32_e32 v127, v224, v65
	v_fma_f32 v126, v224, v64, -v2
	s_waitcnt vmcnt(5) lgkmcnt(0)
	v_mul_f32_e32 v2, v227, v59
	v_mov_b32_e32 v18, v61
	v_fmac_f32_e32 v127, v225, v64
	v_mul_f32_e32 v129, v226, v59
	v_fma_f32 v128, v226, v58, -v2
	ds_read_b128 v[2:5], v220 offset:736
	ds_read_b128 v[6:9], v220 offset:752
	;; [unrolled: 1-line block ×3, first 2 shown]
	ds_read_b64 v[14:15], v220 offset:784
	v_pk_mul_f32 v[18:19], v[228:229], v[18:19] op_sel:[1,0] op_sel_hi:[0,0]
	v_fmac_f32_e32 v129, v227, v58
	v_pk_add_f32 v[16:17], v[124:125], v[126:127]
	v_pk_fma_f32 v[20:21], v[228:229], v[60:61], v[18:19] neg_lo:[0,0,1] neg_hi:[0,0,1]
	v_pk_fma_f32 v[18:19], v[228:229], v[60:61], v[18:19] op_sel_hi:[1,0,1]
	v_pk_add_f32 v[16:17], v[16:17], v[128:129]
	v_mov_b32_e32 v21, v19
	s_waitcnt vmcnt(3) lgkmcnt(3)
	v_pk_mul_f32 v[18:19], v[2:3], v[230:231] op_sel:[1,1] op_sel_hi:[0,1]
	v_pk_add_f32 v[16:17], v[16:17], v[20:21]
	v_pk_fma_f32 v[20:21], v[2:3], v[230:231], v[18:19] neg_lo:[0,0,1] neg_hi:[0,0,1]
	v_pk_fma_f32 v[2:3], v[2:3], v[230:231], v[18:19] op_sel_hi:[1,0,1]
	s_nop 0
	v_mov_b32_e32 v21, v3
	v_pk_add_f32 v[2:3], v[16:17], v[20:21]
	v_mov_b32_e32 v16, v233
	v_pk_mul_f32 v[16:17], v[4:5], v[16:17] op_sel:[1,0] op_sel_hi:[0,0]
	v_pk_fma_f32 v[18:19], v[4:5], v[232:233], v[16:17] neg_lo:[0,0,1] neg_hi:[0,0,1]
	v_pk_fma_f32 v[4:5], v[4:5], v[232:233], v[16:17] op_sel_hi:[1,0,1]
	s_nop 0
	v_mov_b32_e32 v19, v5
	s_waitcnt vmcnt(2) lgkmcnt(2)
	v_pk_mul_f32 v[4:5], v[6:7], v[234:235] op_sel:[1,1] op_sel_hi:[0,1]
	v_pk_fma_f32 v[16:17], v[6:7], v[234:235], v[4:5] neg_lo:[0,0,1] neg_hi:[0,0,1]
	v_pk_fma_f32 v[4:5], v[6:7], v[234:235], v[4:5] op_sel_hi:[1,0,1]
	v_pk_add_f32 v[2:3], v[2:3], v[18:19]
	v_mov_b32_e32 v4, v237
	v_mov_b32_e32 v17, v5
	v_pk_mul_f32 v[4:5], v[8:9], v[4:5] op_sel:[1,0] op_sel_hi:[0,0]
	v_pk_fma_f32 v[6:7], v[8:9], v[236:237], v[4:5] neg_lo:[0,0,1] neg_hi:[0,0,1]
	v_pk_fma_f32 v[4:5], v[8:9], v[236:237], v[4:5] op_sel_hi:[1,0,1]
	v_pk_add_f32 v[2:3], v[2:3], v[16:17]
	v_mov_b32_e32 v7, v5
	s_waitcnt vmcnt(1) lgkmcnt(1)
	v_pk_mul_f32 v[4:5], v[10:11], v[238:239] op_sel:[1,1] op_sel_hi:[0,1]
	v_pk_add_f32 v[2:3], v[2:3], v[6:7]
	v_pk_fma_f32 v[6:7], v[10:11], v[238:239], v[4:5] neg_lo:[0,0,1] neg_hi:[0,0,1]
	v_pk_fma_f32 v[4:5], v[10:11], v[238:239], v[4:5] op_sel_hi:[1,0,1]
	s_nop 0
	v_mov_b32_e32 v4, v241
	v_mov_b32_e32 v7, v5
	v_pk_mul_f32 v[4:5], v[12:13], v[4:5] op_sel:[1,0] op_sel_hi:[0,0]
	v_pk_add_f32 v[2:3], v[2:3], v[6:7]
	v_pk_fma_f32 v[6:7], v[12:13], v[240:241], v[4:5] neg_lo:[0,0,1] neg_hi:[0,0,1]
	v_pk_fma_f32 v[4:5], v[12:13], v[240:241], v[4:5] op_sel_hi:[1,0,1]
	s_nop 0
	v_mov_b32_e32 v7, v5
	s_waitcnt vmcnt(0) lgkmcnt(0)
	v_pk_mul_f32 v[4:5], v[14:15], v[130:131] op_sel:[1,1] op_sel_hi:[0,1]
	v_pk_add_f32 v[2:3], v[2:3], v[6:7]
	v_pk_fma_f32 v[6:7], v[14:15], v[130:131], v[4:5] neg_lo:[0,0,1] neg_hi:[0,0,1]
	v_pk_fma_f32 v[4:5], v[14:15], v[130:131], v[4:5] op_sel_hi:[1,0,1]
	s_nop 0
	v_mov_b32_e32 v7, v5
	v_pk_add_f32 v[2:3], v[2:3], v[6:7]
	s_nop 0
	v_pk_add_f32 v[2:3], v[122:123], v[2:3] neg_lo:[0,1] neg_hi:[0,1]
	scratch_store_dwordx2 off, v[2:3], off offset:72
	s_and_saveexec_b64 s[0:1], vcc
	s_cbranch_execz .LBB48_291
; %bb.290:
	scratch_load_dwordx2 v[2:3], off, off offset:64
	v_mov_b32_e32 v221, v220
	scratch_store_dwordx2 off, v[220:221], off offset:64
	s_waitcnt vmcnt(1)
	ds_write_b64 v1, v[2:3]
.LBB48_291:
	s_or_b64 exec, exec, s[0:1]
	s_waitcnt lgkmcnt(0)
	; wave barrier
	scratch_load_dwordx4 v[2:5], off, off offset:72
	scratch_load_dwordx4 v[6:9], off, off offset:88
	;; [unrolled: 1-line block ×13, first 2 shown]
	ds_read2_b64 v[118:121], v220 offset0:59 offset1:60
	ds_read2_b64 v[114:117], v220 offset0:61 offset1:62
	ds_read2_b64 v[110:113], v220 offset0:63 offset1:64
	ds_read2_b64 v[106:109], v220 offset0:65 offset1:66
	ds_read2_b64 v[102:105], v220 offset0:67 offset1:68
	ds_read2_b64 v[98:101], v220 offset0:69 offset1:70
	ds_read2_b64 v[94:97], v220 offset0:71 offset1:72
	ds_read2_b64 v[90:93], v220 offset0:73 offset1:74
	ds_read2_b64 v[86:89], v220 offset0:75 offset1:76
	ds_read2_b64 v[82:85], v220 offset0:77 offset1:78
	ds_read2_b64 v[74:77], v220 offset0:79 offset1:80
	ds_read2_b64 v[66:69], v220 offset0:81 offset1:82
	ds_read2_b64 v[54:57], v220 offset0:83 offset1:84
	ds_read2_b64 v[58:61], v220 offset0:85 offset1:86
	scratch_load_dwordx4 v[62:65], off, off offset:280
	scratch_load_dwordx4 v[70:73], off, off offset:296
	;; [unrolled: 1-line block ×3, first 2 shown]
	scratch_load_dwordx2 v[122:123], off, off offset:64
	scratch_load_dwordx4 v[230:233], off, off offset:328
	ds_read2_b64 v[222:225], v220 offset0:87 offset1:88
	ds_read2_b64 v[226:229], v220 offset0:89 offset1:90
	scratch_load_dwordx4 v[234:237], off, off offset:344
	scratch_load_dwordx4 v[238:241], off, off offset:360
	;; [unrolled: 1-line block ×3, first 2 shown]
	v_cmp_lt_u32_e32 vcc, 7, v0
	s_waitcnt vmcnt(20) lgkmcnt(14)
	v_mul_f32_e32 v124, v118, v3
	v_mul_f32_e32 v3, v119, v3
	v_fmac_f32_e32 v124, v119, v2
	v_fma_f32 v2, v118, v2, -v3
	v_mul_f32_e32 v3, v121, v5
	v_add_f32_e32 v2, 0, v2
	v_fma_f32 v3, v120, v4, -v3
	v_add_f32_e32 v2, v2, v3
	s_waitcnt vmcnt(19)
	v_mul_f32_e32 v3, v115, v7
	v_fma_f32 v3, v114, v6, -v3
	v_add_f32_e32 v2, v2, v3
	v_mul_f32_e32 v3, v117, v9
	v_fma_f32 v3, v116, v8, -v3
	v_add_f32_e32 v2, v2, v3
	s_waitcnt vmcnt(18) lgkmcnt(13)
	v_mul_f32_e32 v3, v111, v11
	v_fma_f32 v3, v110, v10, -v3
	v_add_f32_e32 v2, v2, v3
	v_mul_f32_e32 v3, v113, v13
	v_fma_f32 v3, v112, v12, -v3
	v_add_f32_e32 v2, v2, v3
	s_waitcnt vmcnt(17) lgkmcnt(12)
	;; [unrolled: 7-line block ×5, first 2 shown]
	v_mul_f32_e32 v3, v95, v27
	v_fma_f32 v3, v94, v26, -v3
	v_mul_f32_e32 v125, v120, v5
	v_add_f32_e32 v2, v2, v3
	v_mul_f32_e32 v3, v97, v29
	v_mul_f32_e32 v126, v114, v7
	v_fmac_f32_e32 v125, v121, v4
	v_add_f32_e32 v124, 0, v124
	v_fma_f32 v3, v96, v28, -v3
	v_mul_f32_e32 v127, v116, v9
	v_fmac_f32_e32 v126, v115, v6
	v_add_f32_e32 v124, v124, v125
	v_add_f32_e32 v2, v2, v3
	s_waitcnt vmcnt(13) lgkmcnt(8)
	v_mul_f32_e32 v3, v91, v31
	v_mul_f32_e32 v128, v110, v11
	v_fmac_f32_e32 v127, v117, v8
	v_add_f32_e32 v124, v124, v126
	v_fma_f32 v3, v90, v30, -v3
	v_mul_f32_e32 v129, v112, v13
	v_fmac_f32_e32 v128, v111, v10
	v_add_f32_e32 v124, v124, v127
	v_add_f32_e32 v2, v2, v3
	v_mul_f32_e32 v3, v93, v33
	v_mul_f32_e32 v130, v106, v15
	v_fmac_f32_e32 v129, v113, v12
	v_add_f32_e32 v124, v124, v128
	v_fma_f32 v3, v92, v32, -v3
	v_mul_f32_e32 v131, v108, v17
	v_fmac_f32_e32 v130, v107, v14
	v_add_f32_e32 v124, v124, v129
	v_add_f32_e32 v2, v2, v3
	s_waitcnt vmcnt(12) lgkmcnt(7)
	v_mul_f32_e32 v3, v87, v35
	v_mul_f32_e32 v132, v102, v19
	v_fmac_f32_e32 v131, v109, v16
	v_add_f32_e32 v124, v124, v130
	v_fma_f32 v3, v86, v34, -v3
	v_mul_f32_e32 v133, v104, v21
	v_fmac_f32_e32 v132, v103, v18
	v_add_f32_e32 v124, v124, v131
	;; [unrolled: 19-line block ×5, first 2 shown]
	v_add_f32_e32 v2, v2, v3
	v_mul_f32_e32 v3, v69, v49
	v_mul_f32_e32 v146, v66, v47
	v_fmac_f32_e32 v145, v77, v44
	v_add_f32_e32 v124, v124, v144
	v_fma_f32 v3, v68, v48, -v3
	v_mul_f32_e32 v147, v68, v49
	v_fmac_f32_e32 v146, v67, v46
	v_add_f32_e32 v124, v124, v145
	v_add_f32_e32 v2, v2, v3
	s_waitcnt vmcnt(8) lgkmcnt(3)
	v_mul_f32_e32 v3, v55, v51
	v_mul_f32_e32 v221, v54, v51
	v_fmac_f32_e32 v147, v69, v48
	v_add_f32_e32 v124, v124, v146
	v_fma_f32 v3, v54, v50, -v3
	v_add_f32_e32 v124, v124, v147
	v_fmac_f32_e32 v221, v55, v50
	v_mul_f32_e32 v125, v56, v53
	v_add_f32_e32 v2, v2, v3
	v_mul_f32_e32 v3, v57, v53
	v_add_f32_e32 v124, v124, v221
	v_fmac_f32_e32 v125, v57, v52
	v_fma_f32 v3, v56, v52, -v3
	v_add_f32_e32 v124, v124, v125
	s_waitcnt vmcnt(7) lgkmcnt(2)
	v_mul_f32_e32 v125, v58, v63
	v_add_f32_e32 v2, v2, v3
	v_mul_f32_e32 v3, v59, v63
	v_fmac_f32_e32 v125, v59, v62
	v_fma_f32 v3, v58, v62, -v3
	v_add_f32_e32 v124, v124, v125
	v_mul_f32_e32 v125, v60, v65
	v_add_f32_e32 v2, v2, v3
	v_mul_f32_e32 v3, v61, v65
	v_fmac_f32_e32 v125, v61, v64
	v_fma_f32 v3, v60, v64, -v3
	v_add_f32_e32 v124, v124, v125
	s_waitcnt vmcnt(6) lgkmcnt(1)
	v_mul_f32_e32 v125, v222, v71
	v_add_f32_e32 v2, v2, v3
	v_mul_f32_e32 v3, v223, v71
	v_fmac_f32_e32 v125, v223, v70
	v_fma_f32 v3, v222, v70, -v3
	v_add_f32_e32 v124, v124, v125
	v_mul_f32_e32 v125, v224, v73
	v_add_f32_e32 v2, v2, v3
	v_mul_f32_e32 v3, v225, v73
	v_fmac_f32_e32 v125, v225, v72
	v_fma_f32 v3, v224, v72, -v3
	v_add_f32_e32 v125, v124, v125
	v_add_f32_e32 v124, v2, v3
	s_waitcnt vmcnt(5) lgkmcnt(0)
	v_mul_f32_e32 v2, v227, v79
	v_fma_f32 v126, v226, v78, -v2
	v_mul_f32_e32 v2, v229, v81
	v_fma_f32 v128, v228, v80, -v2
	ds_read2_b64 v[2:5], v220 offset0:91 offset1:92
	ds_read2_b64 v[6:9], v220 offset0:93 offset1:94
	;; [unrolled: 1-line block ×4, first 2 shown]
	v_mul_f32_e32 v127, v226, v79
	v_fmac_f32_e32 v127, v227, v78
	v_mul_f32_e32 v129, v228, v81
	s_waitcnt vmcnt(3) lgkmcnt(3)
	v_pk_mul_f32 v[20:21], v[2:3], v[230:231] op_sel:[1,1] op_sel_hi:[0,1]
	v_fmac_f32_e32 v129, v229, v80
	v_pk_add_f32 v[18:19], v[124:125], v[126:127]
	v_pk_fma_f32 v[22:23], v[2:3], v[230:231], v[20:21] neg_lo:[0,0,1] neg_hi:[0,0,1]
	v_pk_fma_f32 v[2:3], v[2:3], v[230:231], v[20:21] op_sel_hi:[1,0,1]
	v_pk_add_f32 v[18:19], v[18:19], v[128:129]
	v_mov_b32_e32 v23, v3
	v_pk_add_f32 v[2:3], v[18:19], v[22:23]
	v_mov_b32_e32 v18, v233
	v_pk_mul_f32 v[18:19], v[4:5], v[18:19] op_sel:[1,0] op_sel_hi:[0,0]
	v_pk_fma_f32 v[20:21], v[4:5], v[232:233], v[18:19] neg_lo:[0,0,1] neg_hi:[0,0,1]
	v_pk_fma_f32 v[4:5], v[4:5], v[232:233], v[18:19] op_sel_hi:[1,0,1]
	s_nop 0
	v_mov_b32_e32 v21, v5
	s_waitcnt vmcnt(2) lgkmcnt(2)
	v_pk_mul_f32 v[4:5], v[6:7], v[234:235] op_sel:[1,1] op_sel_hi:[0,1]
	v_pk_fma_f32 v[18:19], v[6:7], v[234:235], v[4:5] neg_lo:[0,0,1] neg_hi:[0,0,1]
	v_pk_fma_f32 v[4:5], v[6:7], v[234:235], v[4:5] op_sel_hi:[1,0,1]
	v_pk_add_f32 v[2:3], v[2:3], v[20:21]
	v_mov_b32_e32 v4, v237
	v_mov_b32_e32 v19, v5
	v_pk_mul_f32 v[4:5], v[8:9], v[4:5] op_sel:[1,0] op_sel_hi:[0,0]
	v_pk_fma_f32 v[6:7], v[8:9], v[236:237], v[4:5] neg_lo:[0,0,1] neg_hi:[0,0,1]
	v_pk_fma_f32 v[4:5], v[8:9], v[236:237], v[4:5] op_sel_hi:[1,0,1]
	v_pk_add_f32 v[2:3], v[2:3], v[18:19]
	v_mov_b32_e32 v7, v5
	s_waitcnt vmcnt(1) lgkmcnt(1)
	v_pk_mul_f32 v[4:5], v[10:11], v[238:239] op_sel:[1,1] op_sel_hi:[0,1]
	v_pk_add_f32 v[2:3], v[2:3], v[6:7]
	v_pk_fma_f32 v[6:7], v[10:11], v[238:239], v[4:5] neg_lo:[0,0,1] neg_hi:[0,0,1]
	v_pk_fma_f32 v[4:5], v[10:11], v[238:239], v[4:5] op_sel_hi:[1,0,1]
	s_nop 0
	v_mov_b32_e32 v4, v241
	v_mov_b32_e32 v7, v5
	v_pk_mul_f32 v[4:5], v[12:13], v[4:5] op_sel:[1,0] op_sel_hi:[0,0]
	v_pk_add_f32 v[2:3], v[2:3], v[6:7]
	v_pk_fma_f32 v[6:7], v[12:13], v[240:241], v[4:5] neg_lo:[0,0,1] neg_hi:[0,0,1]
	v_pk_fma_f32 v[4:5], v[12:13], v[240:241], v[4:5] op_sel_hi:[1,0,1]
	s_nop 0
	v_mov_b32_e32 v7, v5
	s_waitcnt vmcnt(0) lgkmcnt(0)
	v_pk_mul_f32 v[4:5], v[14:15], v[242:243] op_sel:[1,1] op_sel_hi:[0,1]
	v_pk_add_f32 v[2:3], v[2:3], v[6:7]
	v_pk_fma_f32 v[6:7], v[14:15], v[242:243], v[4:5] neg_lo:[0,0,1] neg_hi:[0,0,1]
	v_pk_fma_f32 v[4:5], v[14:15], v[242:243], v[4:5] op_sel_hi:[1,0,1]
	s_nop 0
	v_mov_b32_e32 v4, v245
	v_mov_b32_e32 v7, v5
	v_pk_mul_f32 v[4:5], v[16:17], v[4:5] op_sel:[1,0] op_sel_hi:[0,0]
	v_pk_add_f32 v[2:3], v[2:3], v[6:7]
	v_pk_fma_f32 v[6:7], v[16:17], v[244:245], v[4:5] neg_lo:[0,0,1] neg_hi:[0,0,1]
	v_pk_fma_f32 v[4:5], v[16:17], v[244:245], v[4:5] op_sel_hi:[1,0,1]
	s_nop 0
	v_mov_b32_e32 v7, v5
	v_pk_add_f32 v[2:3], v[2:3], v[6:7]
	s_nop 0
	v_pk_add_f32 v[2:3], v[122:123], v[2:3] neg_lo:[0,1] neg_hi:[0,1]
	scratch_store_dwordx2 off, v[2:3], off offset:64
	s_and_saveexec_b64 s[0:1], vcc
	s_cbranch_execz .LBB48_293
; %bb.292:
	scratch_load_dwordx2 v[2:3], off, off offset:56
	v_mov_b32_e32 v4, 0
	v_mov_b32_e32 v5, v4
	scratch_store_dwordx2 off, v[4:5], off offset:56
	s_waitcnt vmcnt(1)
	ds_write_b64 v1, v[2:3]
.LBB48_293:
	s_or_b64 exec, exec, s[0:1]
	s_waitcnt lgkmcnt(0)
	; wave barrier
	scratch_load_dwordx4 v[62:65], off, off offset:64
	scratch_load_dwordx4 v[66:69], off, off offset:80
	scratch_load_dwordx4 v[70:73], off, off offset:96
	scratch_load_dwordx4 v[74:77], off, off offset:112
	scratch_load_dwordx4 v[78:81], off, off offset:128
	scratch_load_dwordx4 v[82:85], off, off offset:144
	scratch_load_dwordx4 v[86:89], off, off offset:160
	scratch_load_dwordx4 v[90:93], off, off offset:176
	scratch_load_dwordx4 v[94:97], off, off offset:192
	scratch_load_dwordx4 v[98:101], off, off offset:208
	scratch_load_dwordx4 v[102:105], off, off offset:224
	scratch_load_dwordx4 v[22:25], off, off offset:240
	scratch_load_dwordx4 v[26:29], off, off offset:256
	scratch_load_dwordx4 v[30:33], off, off offset:272
	scratch_load_dwordx4 v[34:37], off, off offset:288
	scratch_load_dwordx4 v[38:41], off, off offset:304
	scratch_load_dwordx4 v[2:5], off, off offset:320
	v_mov_b32_e32 v106, 0
	ds_read_b128 v[116:119], v106 offset:464
	ds_read_b128 v[220:223], v106 offset:480
	ds_read_b128 v[224:227], v106 offset:496
	ds_read_b128 v[228:231], v106 offset:512
	ds_read_b128 v[232:235], v106 offset:528
	ds_read_b128 v[236:239], v106 offset:544
	ds_read_b128 v[240:243], v106 offset:560
	ds_read_b128 v[244:247], v106 offset:576
	ds_read_b128 v[248:251], v106 offset:592
	ds_read_b128 v[252:255], v106 offset:608
	ds_read_b128 v[120:123], v106 offset:624
	ds_read_b128 v[46:49], v106 offset:640
	ds_read_b128 v[42:45], v106 offset:656
	v_cmp_lt_u32_e32 vcc, 6, v0
	s_waitcnt vmcnt(16) lgkmcnt(12)
	v_mul_f32_e32 v6, v116, v63
	v_mul_f32_e32 v7, v118, v65
	v_fmac_f32_e32 v6, v117, v62
	s_waitcnt vmcnt(15) lgkmcnt(11)
	v_mul_f32_e32 v8, v220, v67
	v_fmac_f32_e32 v7, v119, v64
	v_add_f32_e32 v6, 0, v6
	v_mul_f32_e32 v9, v222, v69
	v_fmac_f32_e32 v8, v221, v66
	v_add_f32_e32 v6, v6, v7
	s_waitcnt vmcnt(14) lgkmcnt(10)
	v_mul_f32_e32 v10, v224, v71
	v_fmac_f32_e32 v9, v223, v68
	v_add_f32_e32 v6, v6, v8
	v_mul_f32_e32 v11, v226, v73
	v_fmac_f32_e32 v10, v225, v70
	v_add_f32_e32 v6, v6, v9
	s_waitcnt vmcnt(13) lgkmcnt(9)
	v_mul_f32_e32 v12, v228, v75
	v_fmac_f32_e32 v11, v227, v72
	v_add_f32_e32 v6, v6, v10
	v_mul_f32_e32 v13, v230, v77
	v_fmac_f32_e32 v12, v229, v74
	v_add_f32_e32 v6, v6, v11
	s_waitcnt vmcnt(12) lgkmcnt(8)
	v_mul_f32_e32 v14, v232, v79
	v_fmac_f32_e32 v13, v231, v76
	v_add_f32_e32 v6, v6, v12
	v_mul_f32_e32 v15, v234, v81
	v_fmac_f32_e32 v14, v233, v78
	v_add_f32_e32 v6, v6, v13
	s_waitcnt vmcnt(11) lgkmcnt(7)
	v_mul_f32_e32 v16, v236, v83
	v_fmac_f32_e32 v15, v235, v80
	v_add_f32_e32 v6, v6, v14
	v_mul_f32_e32 v17, v238, v85
	v_fmac_f32_e32 v16, v237, v82
	v_add_f32_e32 v6, v6, v15
	s_waitcnt vmcnt(10) lgkmcnt(6)
	v_mul_f32_e32 v18, v240, v87
	v_fmac_f32_e32 v17, v239, v84
	v_add_f32_e32 v6, v6, v16
	v_mul_f32_e32 v19, v242, v89
	v_fmac_f32_e32 v18, v241, v86
	v_add_f32_e32 v6, v6, v17
	s_waitcnt vmcnt(9) lgkmcnt(5)
	v_mul_f32_e32 v20, v244, v91
	v_fmac_f32_e32 v19, v243, v88
	v_add_f32_e32 v6, v6, v18
	v_mul_f32_e32 v21, v246, v93
	v_fmac_f32_e32 v20, v245, v90
	v_add_f32_e32 v6, v6, v19
	s_waitcnt vmcnt(8) lgkmcnt(4)
	v_mul_f32_e32 v50, v248, v95
	v_fmac_f32_e32 v21, v247, v92
	v_add_f32_e32 v6, v6, v20
	v_mul_f32_e32 v51, v250, v97
	v_fmac_f32_e32 v50, v249, v94
	v_add_f32_e32 v6, v6, v21
	s_waitcnt vmcnt(7) lgkmcnt(3)
	v_mul_f32_e32 v52, v252, v99
	v_fmac_f32_e32 v51, v251, v96
	v_add_f32_e32 v6, v6, v50
	v_mul_f32_e32 v53, v254, v101
	v_fmac_f32_e32 v52, v253, v98
	v_add_f32_e32 v6, v6, v51
	s_waitcnt vmcnt(6) lgkmcnt(2)
	v_mul_f32_e32 v54, v120, v103
	v_fmac_f32_e32 v53, v255, v100
	v_add_f32_e32 v6, v6, v52
	v_mul_f32_e32 v55, v122, v105
	v_fmac_f32_e32 v54, v121, v102
	v_add_f32_e32 v6, v6, v53
	s_waitcnt vmcnt(5) lgkmcnt(1)
	v_mul_f32_e32 v56, v46, v23
	v_fmac_f32_e32 v55, v123, v104
	v_add_f32_e32 v6, v6, v54
	ds_read_b128 v[50:53], v106 offset:672
	v_mul_f32_e32 v57, v48, v25
	v_fmac_f32_e32 v56, v47, v22
	v_add_f32_e32 v6, v6, v55
	s_waitcnt vmcnt(4) lgkmcnt(1)
	v_mul_f32_e32 v58, v42, v27
	v_fmac_f32_e32 v57, v49, v24
	v_add_f32_e32 v6, v6, v56
	v_add_f32_e32 v6, v6, v57
	v_fmac_f32_e32 v58, v43, v26
	v_mul_f32_e32 v7, v44, v29
	v_add_f32_e32 v6, v6, v58
	v_fmac_f32_e32 v7, v45, v28
	ds_read_b128 v[54:57], v106 offset:688
	v_add_f32_e32 v6, v6, v7
	s_waitcnt vmcnt(3) lgkmcnt(1)
	v_mul_f32_e32 v7, v50, v31
	v_fmac_f32_e32 v7, v51, v30
	v_add_f32_e32 v6, v6, v7
	v_mul_f32_e32 v7, v52, v33
	v_fmac_f32_e32 v7, v53, v32
	ds_read_b128 v[58:61], v106 offset:704
	ds_read_b128 v[18:21], v106 offset:720
	v_add_f32_e32 v6, v6, v7
	s_waitcnt vmcnt(2) lgkmcnt(2)
	v_mul_f32_e32 v7, v54, v35
	v_fmac_f32_e32 v7, v55, v34
	v_add_f32_e32 v6, v6, v7
	v_mul_f32_e32 v7, v56, v37
	v_fmac_f32_e32 v7, v57, v36
	v_add_f32_e32 v6, v6, v7
	s_waitcnt vmcnt(1) lgkmcnt(1)
	v_mul_f32_e32 v7, v58, v39
	v_fmac_f32_e32 v7, v59, v38
	v_add_f32_e32 v111, v6, v7
	scratch_load_dwordx4 v[14:17], off, off offset:336
	scratch_load_dwordx4 v[10:13], off, off offset:352
	;; [unrolled: 1-line block ×3, first 2 shown]
	scratch_load_dwordx2 v[108:109], off, off offset:384
	v_mul_f32_e32 v63, v117, v63
	v_mul_f32_e32 v23, v47, v23
	v_fma_f32 v62, v116, v62, -v63
	v_mul_f32_e32 v63, v119, v65
	v_fma_f32 v46, v46, v22, -v23
	scratch_load_dwordx2 v[22:23], off, off offset:56
	v_add_f32_e32 v62, 0, v62
	v_fma_f32 v63, v118, v64, -v63
	v_add_f32_e32 v62, v62, v63
	v_mul_f32_e32 v63, v221, v67
	v_fma_f32 v63, v220, v66, -v63
	v_add_f32_e32 v62, v62, v63
	v_mul_f32_e32 v63, v223, v69
	;; [unrolled: 3-line block ×21, first 2 shown]
	v_add_f32_e32 v46, v62, v46
	v_fma_f32 v24, v48, v24, -v25
	v_mul_f32_e32 v25, v43, v27
	v_add_f32_e32 v24, v46, v24
	v_fma_f32 v25, v42, v26, -v25
	v_add_f32_e32 v24, v24, v25
	v_mul_f32_e32 v25, v45, v29
	v_fma_f32 v25, v44, v28, -v25
	v_add_f32_e32 v24, v24, v25
	v_mul_f32_e32 v25, v51, v31
	;; [unrolled: 3-line block ×6, first 2 shown]
	v_fma_f32 v25, v58, v38, -v25
	v_mul_f32_e32 v113, v60, v41
	v_add_f32_e32 v110, v24, v25
	v_mul_f32_e32 v24, v61, v41
	s_waitcnt vmcnt(5)
	v_mov_b32_e32 v36, v5
	v_fmac_f32_e32 v113, v61, v40
	s_waitcnt lgkmcnt(0)
	v_mul_f32_e32 v115, v18, v3
	v_fma_f32 v112, v60, v40, -v24
	v_mul_f32_e32 v3, v19, v3
	v_pk_mul_f32 v[36:37], v[20:21], v[36:37] op_sel:[1,0] op_sel_hi:[0,0]
	v_fmac_f32_e32 v115, v19, v2
	v_fma_f32 v114, v18, v2, -v3
	ds_read_b128 v[24:27], v106 offset:736
	ds_read_b128 v[28:31], v106 offset:752
	;; [unrolled: 1-line block ×3, first 2 shown]
	ds_read_b64 v[2:3], v106 offset:784
	v_pk_add_f32 v[18:19], v[110:111], v[112:113]
	v_pk_fma_f32 v[38:39], v[20:21], v[4:5], v[36:37] neg_lo:[0,0,1] neg_hi:[0,0,1]
	v_pk_fma_f32 v[4:5], v[20:21], v[4:5], v[36:37] op_sel_hi:[1,0,1]
	v_pk_add_f32 v[18:19], v[18:19], v[114:115]
	v_mov_b32_e32 v39, v5
	v_pk_add_f32 v[4:5], v[18:19], v[38:39]
	s_waitcnt vmcnt(4) lgkmcnt(3)
	v_pk_mul_f32 v[18:19], v[24:25], v[14:15] op_sel:[1,1] op_sel_hi:[0,1]
	v_pk_fma_f32 v[20:21], v[24:25], v[14:15], v[18:19] neg_lo:[0,0,1] neg_hi:[0,0,1]
	v_pk_fma_f32 v[14:15], v[24:25], v[14:15], v[18:19] op_sel_hi:[1,0,1]
	s_nop 0
	v_mov_b32_e32 v14, v17
	v_mov_b32_e32 v21, v15
	v_pk_mul_f32 v[14:15], v[26:27], v[14:15] op_sel:[1,0] op_sel_hi:[0,0]
	v_pk_fma_f32 v[18:19], v[26:27], v[16:17], v[14:15] neg_lo:[0,0,1] neg_hi:[0,0,1]
	v_pk_fma_f32 v[14:15], v[26:27], v[16:17], v[14:15] op_sel_hi:[1,0,1]
	v_pk_add_f32 v[4:5], v[4:5], v[20:21]
	v_mov_b32_e32 v19, v15
	s_waitcnt vmcnt(3) lgkmcnt(2)
	v_pk_mul_f32 v[14:15], v[28:29], v[10:11] op_sel:[1,1] op_sel_hi:[0,1]
	v_pk_fma_f32 v[16:17], v[28:29], v[10:11], v[14:15] neg_lo:[0,0,1] neg_hi:[0,0,1]
	v_pk_fma_f32 v[10:11], v[28:29], v[10:11], v[14:15] op_sel_hi:[1,0,1]
	v_pk_add_f32 v[4:5], v[4:5], v[18:19]
	v_mov_b32_e32 v10, v13
	v_mov_b32_e32 v17, v11
	v_pk_mul_f32 v[10:11], v[30:31], v[10:11] op_sel:[1,0] op_sel_hi:[0,0]
	v_pk_fma_f32 v[14:15], v[30:31], v[12:13], v[10:11] neg_lo:[0,0,1] neg_hi:[0,0,1]
	v_pk_fma_f32 v[10:11], v[30:31], v[12:13], v[10:11] op_sel_hi:[1,0,1]
	v_pk_add_f32 v[4:5], v[4:5], v[16:17]
	v_mov_b32_e32 v15, v11
	s_waitcnt vmcnt(2) lgkmcnt(1)
	v_pk_mul_f32 v[10:11], v[32:33], v[6:7] op_sel:[1,1] op_sel_hi:[0,1]
	v_pk_fma_f32 v[12:13], v[32:33], v[6:7], v[10:11] neg_lo:[0,0,1] neg_hi:[0,0,1]
	v_pk_fma_f32 v[6:7], v[32:33], v[6:7], v[10:11] op_sel_hi:[1,0,1]
	v_pk_add_f32 v[4:5], v[4:5], v[14:15]
	;; [unrolled: 12-line block ×3, first 2 shown]
	v_mov_b32_e32 v9, v3
	v_pk_add_f32 v[2:3], v[4:5], v[8:9]
	s_waitcnt vmcnt(0)
	v_pk_add_f32 v[2:3], v[22:23], v[2:3] neg_lo:[0,1] neg_hi:[0,1]
	scratch_store_dwordx2 off, v[2:3], off offset:56
	s_and_saveexec_b64 s[0:1], vcc
	s_cbranch_execz .LBB48_295
; %bb.294:
	scratch_load_dwordx2 v[2:3], off, off offset:48
	v_mov_b32_e32 v107, v106
	scratch_store_dwordx2 off, v[106:107], off offset:48
	s_waitcnt vmcnt(1)
	ds_write_b64 v1, v[2:3]
.LBB48_295:
	s_or_b64 exec, exec, s[0:1]
	s_waitcnt lgkmcnt(0)
	; wave barrier
	scratch_load_dwordx4 v[6:9], off, off offset:56
	scratch_load_dwordx4 v[14:17], off, off offset:72
	;; [unrolled: 1-line block ×10, first 2 shown]
	ds_read2_b64 v[2:5], v106 offset0:57 offset1:58
	ds_read2_b64 v[220:223], v106 offset0:87 offset1:88
	scratch_load_dwordx4 v[86:89], off, off offset:216
	scratch_load_dwordx4 v[94:97], off, off offset:232
	;; [unrolled: 1-line block ×7, first 2 shown]
	v_cmp_lt_u32_e32 vcc, 5, v0
	ds_read2_b64 v[228:231], v106 offset0:89 offset1:90
	s_waitcnt vmcnt(16) lgkmcnt(2)
	v_mul_f32_e32 v10, v2, v7
	v_fmac_f32_e32 v10, v3, v6
	v_mul_f32_e32 v11, v4, v9
	v_add_f32_e32 v10, 0, v10
	v_fmac_f32_e32 v11, v5, v8
	v_add_f32_e32 v18, v10, v11
	ds_read2_b64 v[10:13], v106 offset0:59 offset1:60
	v_mul_f32_e32 v3, v3, v7
	v_fma_f32 v2, v2, v6, -v3
	v_mul_f32_e32 v3, v5, v9
	v_add_f32_e32 v2, 0, v2
	s_waitcnt vmcnt(15) lgkmcnt(0)
	v_mul_f32_e32 v19, v10, v15
	v_fmac_f32_e32 v19, v11, v14
	v_add_f32_e32 v18, v18, v19
	v_mul_f32_e32 v19, v12, v17
	v_fmac_f32_e32 v19, v13, v16
	v_add_f32_e32 v26, v18, v19
	ds_read2_b64 v[18:21], v106 offset0:61 offset1:62
	v_fma_f32 v3, v4, v8, -v3
	v_add_f32_e32 v2, v2, v3
	v_mul_f32_e32 v3, v11, v15
	v_fma_f32 v3, v10, v14, -v3
	s_waitcnt vmcnt(14) lgkmcnt(0)
	v_mul_f32_e32 v27, v18, v23
	v_fmac_f32_e32 v27, v19, v22
	v_add_f32_e32 v26, v26, v27
	v_mul_f32_e32 v27, v20, v25
	v_fmac_f32_e32 v27, v21, v24
	v_add_f32_e32 v34, v26, v27
	ds_read2_b64 v[26:29], v106 offset0:63 offset1:64
	v_add_f32_e32 v2, v2, v3
	v_mul_f32_e32 v3, v13, v17
	v_fma_f32 v3, v12, v16, -v3
	v_add_f32_e32 v2, v2, v3
	s_waitcnt vmcnt(13) lgkmcnt(0)
	v_mul_f32_e32 v35, v26, v31
	v_fmac_f32_e32 v35, v27, v30
	v_add_f32_e32 v34, v34, v35
	v_mul_f32_e32 v35, v28, v33
	v_fmac_f32_e32 v35, v29, v32
	v_add_f32_e32 v42, v34, v35
	ds_read2_b64 v[34:37], v106 offset0:65 offset1:66
	v_mul_f32_e32 v3, v19, v23
	v_fma_f32 v3, v18, v22, -v3
	v_add_f32_e32 v2, v2, v3
	v_mul_f32_e32 v3, v21, v25
	s_waitcnt vmcnt(12) lgkmcnt(0)
	v_mul_f32_e32 v43, v34, v39
	v_fmac_f32_e32 v43, v35, v38
	v_add_f32_e32 v42, v42, v43
	v_mul_f32_e32 v43, v36, v41
	v_fmac_f32_e32 v43, v37, v40
	v_add_f32_e32 v50, v42, v43
	ds_read2_b64 v[42:45], v106 offset0:67 offset1:68
	v_fma_f32 v3, v20, v24, -v3
	v_add_f32_e32 v2, v2, v3
	v_mul_f32_e32 v3, v27, v31
	v_fma_f32 v3, v26, v30, -v3
	s_waitcnt vmcnt(11) lgkmcnt(0)
	v_mul_f32_e32 v51, v42, v47
	v_fmac_f32_e32 v51, v43, v46
	v_add_f32_e32 v50, v50, v51
	v_mul_f32_e32 v51, v44, v49
	v_fmac_f32_e32 v51, v45, v48
	v_add_f32_e32 v58, v50, v51
	ds_read2_b64 v[50:53], v106 offset0:69 offset1:70
	v_add_f32_e32 v2, v2, v3
	v_mul_f32_e32 v3, v29, v33
	v_fma_f32 v3, v28, v32, -v3
	v_add_f32_e32 v2, v2, v3
	s_waitcnt vmcnt(10) lgkmcnt(0)
	v_mul_f32_e32 v59, v50, v55
	v_fmac_f32_e32 v59, v51, v54
	v_add_f32_e32 v58, v58, v59
	v_mul_f32_e32 v59, v52, v57
	v_fmac_f32_e32 v59, v53, v56
	v_add_f32_e32 v66, v58, v59
	ds_read2_b64 v[58:61], v106 offset0:71 offset1:72
	v_mul_f32_e32 v3, v35, v39
	v_fma_f32 v3, v34, v38, -v3
	v_add_f32_e32 v2, v2, v3
	v_mul_f32_e32 v3, v37, v41
	;; [unrolled: 36-line block ×4, first 2 shown]
	s_waitcnt vmcnt(3) lgkmcnt(0)
	v_mul_f32_e32 v116, v108, v113
	v_fmac_f32_e32 v116, v109, v112
	v_add_f32_e32 v107, v107, v116
	v_mul_f32_e32 v116, v110, v115
	v_fmac_f32_e32 v116, v111, v114
	v_add_f32_e32 v107, v107, v116
	ds_read2_b64 v[116:119], v106 offset0:85 offset1:86
	scratch_load_dwordx4 v[236:239], off, off offset:328
	scratch_load_dwordx4 v[240:243], off, off offset:344
	;; [unrolled: 1-line block ×4, first 2 shown]
	v_fma_f32 v3, v68, v72, -v3
	v_add_f32_e32 v2, v2, v3
	v_mul_f32_e32 v3, v75, v79
	v_fma_f32 v3, v74, v78, -v3
	v_add_f32_e32 v2, v2, v3
	v_mul_f32_e32 v3, v77, v81
	;; [unrolled: 3-line block ×10, first 2 shown]
	v_fma_f32 v3, v110, v114, -v3
	s_waitcnt vmcnt(6) lgkmcnt(0)
	v_mul_f32_e32 v124, v116, v121
	v_add_f32_e32 v2, v2, v3
	v_mul_f32_e32 v3, v117, v121
	v_fmac_f32_e32 v124, v117, v120
	v_fma_f32 v3, v116, v120, -v3
	v_add_f32_e32 v107, v107, v124
	v_mul_f32_e32 v124, v118, v123
	v_add_f32_e32 v2, v2, v3
	v_mul_f32_e32 v3, v119, v123
	v_fmac_f32_e32 v124, v119, v122
	v_fma_f32 v3, v118, v122, -v3
	v_add_f32_e32 v107, v107, v124
	s_waitcnt vmcnt(5)
	v_mul_f32_e32 v124, v220, v225
	v_add_f32_e32 v2, v2, v3
	v_mul_f32_e32 v3, v221, v225
	v_fmac_f32_e32 v124, v221, v224
	v_fma_f32 v3, v220, v224, -v3
	v_add_f32_e32 v107, v107, v124
	v_mul_f32_e32 v124, v222, v227
	v_add_f32_e32 v2, v2, v3
	v_mul_f32_e32 v3, v223, v227
	v_fmac_f32_e32 v124, v223, v226
	v_fma_f32 v3, v222, v226, -v3
	v_add_f32_e32 v125, v107, v124
	v_add_f32_e32 v124, v2, v3
	s_waitcnt vmcnt(4)
	v_mul_f32_e32 v2, v229, v233
	v_fma_f32 v126, v228, v232, -v2
	v_mul_f32_e32 v2, v231, v235
	v_fma_f32 v128, v230, v234, -v2
	ds_read2_b64 v[2:5], v106 offset0:91 offset1:92
	ds_read2_b64 v[6:9], v106 offset0:93 offset1:94
	;; [unrolled: 1-line block ×4, first 2 shown]
	v_mul_f32_e32 v127, v228, v233
	v_fmac_f32_e32 v127, v229, v232
	v_mul_f32_e32 v129, v230, v235
	v_fmac_f32_e32 v129, v231, v234
	v_pk_add_f32 v[18:19], v[124:125], v[126:127]
	s_waitcnt vmcnt(3) lgkmcnt(3)
	v_pk_mul_f32 v[20:21], v[2:3], v[236:237] op_sel:[1,1] op_sel_hi:[0,1]
	v_pk_fma_f32 v[22:23], v[2:3], v[236:237], v[20:21] neg_lo:[0,0,1] neg_hi:[0,0,1]
	v_pk_fma_f32 v[2:3], v[2:3], v[236:237], v[20:21] op_sel_hi:[1,0,1]
	v_pk_add_f32 v[18:19], v[18:19], v[128:129]
	v_mov_b32_e32 v23, v3
	v_pk_add_f32 v[2:3], v[18:19], v[22:23]
	v_mov_b32_e32 v18, v239
	v_pk_mul_f32 v[18:19], v[4:5], v[18:19] op_sel:[1,0] op_sel_hi:[0,0]
	v_pk_fma_f32 v[20:21], v[4:5], v[238:239], v[18:19] neg_lo:[0,0,1] neg_hi:[0,0,1]
	v_pk_fma_f32 v[4:5], v[4:5], v[238:239], v[18:19] op_sel_hi:[1,0,1]
	s_nop 0
	v_mov_b32_e32 v21, v5
	s_waitcnt vmcnt(2) lgkmcnt(2)
	v_pk_mul_f32 v[4:5], v[6:7], v[240:241] op_sel:[1,1] op_sel_hi:[0,1]
	v_pk_fma_f32 v[18:19], v[6:7], v[240:241], v[4:5] neg_lo:[0,0,1] neg_hi:[0,0,1]
	v_pk_fma_f32 v[4:5], v[6:7], v[240:241], v[4:5] op_sel_hi:[1,0,1]
	v_pk_add_f32 v[2:3], v[2:3], v[20:21]
	v_mov_b32_e32 v4, v243
	v_mov_b32_e32 v19, v5
	v_pk_mul_f32 v[4:5], v[8:9], v[4:5] op_sel:[1,0] op_sel_hi:[0,0]
	v_pk_fma_f32 v[6:7], v[8:9], v[242:243], v[4:5] neg_lo:[0,0,1] neg_hi:[0,0,1]
	v_pk_fma_f32 v[4:5], v[8:9], v[242:243], v[4:5] op_sel_hi:[1,0,1]
	v_pk_add_f32 v[2:3], v[2:3], v[18:19]
	v_mov_b32_e32 v7, v5
	s_waitcnt vmcnt(1) lgkmcnt(1)
	v_pk_mul_f32 v[4:5], v[10:11], v[244:245] op_sel:[1,1] op_sel_hi:[0,1]
	v_pk_add_f32 v[2:3], v[2:3], v[6:7]
	v_pk_fma_f32 v[6:7], v[10:11], v[244:245], v[4:5] neg_lo:[0,0,1] neg_hi:[0,0,1]
	v_pk_fma_f32 v[4:5], v[10:11], v[244:245], v[4:5] op_sel_hi:[1,0,1]
	s_nop 0
	v_mov_b32_e32 v4, v247
	v_mov_b32_e32 v7, v5
	v_pk_mul_f32 v[4:5], v[12:13], v[4:5] op_sel:[1,0] op_sel_hi:[0,0]
	v_pk_add_f32 v[2:3], v[2:3], v[6:7]
	v_pk_fma_f32 v[6:7], v[12:13], v[246:247], v[4:5] neg_lo:[0,0,1] neg_hi:[0,0,1]
	v_pk_fma_f32 v[4:5], v[12:13], v[246:247], v[4:5] op_sel_hi:[1,0,1]
	s_nop 0
	v_mov_b32_e32 v7, v5
	s_waitcnt vmcnt(0) lgkmcnt(0)
	v_pk_mul_f32 v[4:5], v[14:15], v[248:249] op_sel:[1,1] op_sel_hi:[0,1]
	v_pk_add_f32 v[2:3], v[2:3], v[6:7]
	v_pk_fma_f32 v[6:7], v[14:15], v[248:249], v[4:5] neg_lo:[0,0,1] neg_hi:[0,0,1]
	v_pk_fma_f32 v[4:5], v[14:15], v[248:249], v[4:5] op_sel_hi:[1,0,1]
	s_nop 0
	v_mov_b32_e32 v4, v251
	v_mov_b32_e32 v7, v5
	v_pk_mul_f32 v[4:5], v[16:17], v[4:5] op_sel:[1,0] op_sel_hi:[0,0]
	v_pk_add_f32 v[2:3], v[2:3], v[6:7]
	v_pk_fma_f32 v[6:7], v[16:17], v[250:251], v[4:5] neg_lo:[0,0,1] neg_hi:[0,0,1]
	v_pk_fma_f32 v[4:5], v[16:17], v[250:251], v[4:5] op_sel_hi:[1,0,1]
	s_nop 0
	v_mov_b32_e32 v7, v5
	scratch_load_dwordx2 v[4:5], off, off offset:48
	v_pk_add_f32 v[2:3], v[2:3], v[6:7]
	s_waitcnt vmcnt(0)
	v_pk_add_f32 v[2:3], v[4:5], v[2:3] neg_lo:[0,1] neg_hi:[0,1]
	scratch_store_dwordx2 off, v[2:3], off offset:48
	s_and_saveexec_b64 s[0:1], vcc
	s_cbranch_execz .LBB48_297
; %bb.296:
	scratch_load_dwordx2 v[2:3], off, off offset:40
	v_mov_b32_e32 v4, 0
	v_mov_b32_e32 v5, v4
	scratch_store_dwordx2 off, v[4:5], off offset:40
	s_waitcnt vmcnt(1)
	ds_write_b64 v1, v[2:3]
.LBB48_297:
	s_or_b64 exec, exec, s[0:1]
	v_mov_b32_e32 v102, 0
	s_waitcnt lgkmcnt(0)
	; wave barrier
	ds_read_b128 v[14:17], v102 offset:448
	ds_read_b128 v[10:13], v102 offset:464
	;; [unrolled: 1-line block ×4, first 2 shown]
	scratch_load_dwordx4 v[18:21], off, off offset:48
	scratch_load_dwordx4 v[38:41], off, off offset:112
	;; [unrolled: 1-line block ×12, first 2 shown]
	v_cmp_lt_u32_e32 vcc, 4, v0
	scratch_load_dwordx4 v[46:49], off, off offset:128
	scratch_load_dwordx4 v[54:57], off, off offset:144
	scratch_load_dwordx4 v[62:65], off, off offset:160
	ds_read_b128 v[220:223], v102 offset:688
	ds_read_b128 v[228:231], v102 offset:704
	;; [unrolled: 1-line block ×3, first 2 shown]
	s_waitcnt vmcnt(14) lgkmcnt(6)
	v_mul_f32_e32 v22, v14, v19
	v_fmac_f32_e32 v22, v15, v18
	v_mul_f32_e32 v23, v16, v21
	v_add_f32_e32 v22, 0, v22
	v_fmac_f32_e32 v23, v17, v20
	v_add_f32_e32 v26, v22, v23
	scratch_load_dwordx4 v[22:25], off, off offset:64
	v_mul_f32_e32 v15, v15, v19
	v_fma_f32 v14, v14, v18, -v15
	v_mul_f32_e32 v15, v17, v21
	v_add_f32_e32 v14, 0, v14
	v_fma_f32 v15, v16, v20, -v15
	v_add_f32_e32 v14, v14, v15
	s_waitcnt vmcnt(5) lgkmcnt(1)
	v_mul_f32_e32 v127, v230, v235
	s_waitcnt vmcnt(4)
	v_mov_b32_e32 v18, v243
	v_fmac_f32_e32 v127, v231, v234
	s_waitcnt lgkmcnt(0)
	v_mul_f32_e32 v129, v236, v241
	v_pk_mul_f32 v[18:19], v[238:239], v[18:19] op_sel:[1,0] op_sel_hi:[0,0]
	v_fmac_f32_e32 v129, v237, v240
	v_pk_fma_f32 v[20:21], v[238:239], v[242:243], v[18:19] neg_lo:[0,0,1] neg_hi:[0,0,1]
	v_pk_fma_f32 v[18:19], v[238:239], v[242:243], v[18:19] op_sel_hi:[1,0,1]
	s_waitcnt vmcnt(0)
	v_mul_f32_e32 v27, v10, v23
	v_fmac_f32_e32 v27, v11, v22
	v_add_f32_e32 v26, v26, v27
	v_mul_f32_e32 v27, v12, v25
	v_fmac_f32_e32 v27, v13, v24
	v_add_f32_e32 v30, v26, v27
	scratch_load_dwordx4 v[26:29], off, off offset:80
	v_mul_f32_e32 v11, v11, v23
	v_fma_f32 v10, v10, v22, -v11
	v_mul_f32_e32 v11, v13, v25
	v_add_f32_e32 v10, v14, v10
	v_fma_f32 v11, v12, v24, -v11
	v_add_f32_e32 v10, v10, v11
	v_mov_b32_e32 v21, v19
	s_waitcnt vmcnt(0)
	v_mul_f32_e32 v31, v6, v27
	v_fmac_f32_e32 v31, v7, v26
	v_add_f32_e32 v30, v30, v31
	v_mul_f32_e32 v31, v8, v29
	v_fmac_f32_e32 v31, v9, v28
	v_add_f32_e32 v34, v30, v31
	scratch_load_dwordx4 v[30:33], off, off offset:96
	v_mul_f32_e32 v7, v7, v27
	v_fma_f32 v6, v6, v26, -v7
	v_mul_f32_e32 v7, v9, v29
	v_add_f32_e32 v6, v10, v6
	v_fma_f32 v7, v8, v28, -v7
	v_add_f32_e32 v6, v6, v7
	s_waitcnt vmcnt(0)
	v_mul_f32_e32 v35, v2, v31
	v_fmac_f32_e32 v35, v3, v30
	v_add_f32_e32 v34, v34, v35
	v_mul_f32_e32 v35, v4, v33
	v_fmac_f32_e32 v35, v5, v32
	v_add_f32_e32 v42, v34, v35
	ds_read_b128 v[34:37], v102 offset:512
	v_mul_f32_e32 v3, v3, v31
	v_fma_f32 v2, v2, v30, -v3
	v_mul_f32_e32 v3, v5, v33
	v_add_f32_e32 v2, v6, v2
	s_waitcnt lgkmcnt(0)
	v_mul_f32_e32 v43, v34, v39
	v_fmac_f32_e32 v43, v35, v38
	v_add_f32_e32 v42, v42, v43
	v_mul_f32_e32 v43, v36, v41
	v_fmac_f32_e32 v43, v37, v40
	v_add_f32_e32 v50, v42, v43
	ds_read_b128 v[42:45], v102 offset:528
	v_fma_f32 v3, v4, v32, -v3
	v_add_f32_e32 v2, v2, v3
	v_mul_f32_e32 v3, v35, v39
	v_fma_f32 v3, v34, v38, -v3
	s_waitcnt lgkmcnt(0)
	v_mul_f32_e32 v51, v42, v47
	v_fmac_f32_e32 v51, v43, v46
	v_add_f32_e32 v50, v50, v51
	v_mul_f32_e32 v51, v44, v49
	v_fmac_f32_e32 v51, v45, v48
	v_add_f32_e32 v58, v50, v51
	ds_read_b128 v[50:53], v102 offset:544
	v_add_f32_e32 v2, v2, v3
	v_mul_f32_e32 v3, v37, v41
	v_fma_f32 v3, v36, v40, -v3
	v_add_f32_e32 v2, v2, v3
	s_waitcnt lgkmcnt(0)
	v_mul_f32_e32 v59, v50, v55
	v_fmac_f32_e32 v59, v51, v54
	v_add_f32_e32 v58, v58, v59
	v_mul_f32_e32 v59, v52, v57
	v_fmac_f32_e32 v59, v53, v56
	v_add_f32_e32 v66, v58, v59
	ds_read_b128 v[58:61], v102 offset:560
	v_mul_f32_e32 v3, v43, v47
	v_fma_f32 v3, v42, v46, -v3
	v_add_f32_e32 v2, v2, v3
	v_mul_f32_e32 v3, v45, v49
	s_waitcnt lgkmcnt(0)
	v_mul_f32_e32 v67, v58, v63
	v_fmac_f32_e32 v67, v59, v62
	v_add_f32_e32 v66, v66, v67
	v_mul_f32_e32 v67, v60, v65
	v_fmac_f32_e32 v67, v61, v64
	v_add_f32_e32 v74, v66, v67
	ds_read_b128 v[66:69], v102 offset:576
	v_fma_f32 v3, v44, v48, -v3
	v_add_f32_e32 v2, v2, v3
	v_mul_f32_e32 v3, v51, v55
	v_fma_f32 v3, v50, v54, -v3
	s_waitcnt lgkmcnt(0)
	v_mul_f32_e32 v75, v66, v71
	v_fmac_f32_e32 v75, v67, v70
	v_add_f32_e32 v74, v74, v75
	v_mul_f32_e32 v75, v68, v73
	v_fmac_f32_e32 v75, v69, v72
	v_add_f32_e32 v82, v74, v75
	ds_read_b128 v[74:77], v102 offset:592
	v_add_f32_e32 v2, v2, v3
	v_mul_f32_e32 v3, v53, v57
	v_fma_f32 v3, v52, v56, -v3
	v_add_f32_e32 v2, v2, v3
	s_waitcnt lgkmcnt(0)
	v_mul_f32_e32 v83, v74, v79
	v_fmac_f32_e32 v83, v75, v78
	v_add_f32_e32 v82, v82, v83
	v_mul_f32_e32 v83, v76, v81
	v_fmac_f32_e32 v83, v77, v80
	v_add_f32_e32 v90, v82, v83
	ds_read_b128 v[82:85], v102 offset:608
	v_mul_f32_e32 v3, v59, v63
	v_fma_f32 v3, v58, v62, -v3
	v_add_f32_e32 v2, v2, v3
	v_mul_f32_e32 v3, v61, v65
	;; [unrolled: 36-line block ×3, first 2 shown]
	s_waitcnt lgkmcnt(0)
	v_mul_f32_e32 v116, v108, v113
	v_fmac_f32_e32 v116, v109, v112
	v_add_f32_e32 v103, v103, v116
	v_mul_f32_e32 v116, v110, v115
	v_fmac_f32_e32 v116, v111, v114
	v_add_f32_e32 v103, v103, v116
	ds_read_b128 v[116:119], v102 offset:672
	scratch_load_dwordx4 v[244:247], off, off offset:336
	scratch_load_dwordx4 v[248:251], off, off offset:352
	scratch_load_dwordx4 v[252:255], off, off offset:368
	scratch_load_dwordx2 v[130:131], off, off offset:384
	v_fma_f32 v3, v76, v80, -v3
	v_add_f32_e32 v2, v2, v3
	v_mul_f32_e32 v3, v83, v87
	v_fma_f32 v3, v82, v86, -v3
	v_add_f32_e32 v2, v2, v3
	v_mul_f32_e32 v3, v85, v89
	;; [unrolled: 3-line block ×8, first 2 shown]
	v_fma_f32 v3, v110, v114, -v3
	s_waitcnt lgkmcnt(0)
	v_mul_f32_e32 v124, v116, v121
	v_add_f32_e32 v2, v2, v3
	v_mul_f32_e32 v3, v117, v121
	v_fmac_f32_e32 v124, v117, v120
	v_fma_f32 v3, v116, v120, -v3
	v_add_f32_e32 v103, v103, v124
	v_mul_f32_e32 v124, v118, v123
	v_add_f32_e32 v2, v2, v3
	v_mul_f32_e32 v3, v119, v123
	v_fmac_f32_e32 v124, v119, v122
	v_fma_f32 v3, v118, v122, -v3
	v_add_f32_e32 v103, v103, v124
	v_mul_f32_e32 v124, v220, v225
	v_add_f32_e32 v2, v2, v3
	v_mul_f32_e32 v3, v221, v225
	v_fmac_f32_e32 v124, v221, v224
	v_fma_f32 v3, v220, v224, -v3
	v_add_f32_e32 v103, v103, v124
	v_mul_f32_e32 v124, v222, v227
	v_add_f32_e32 v2, v2, v3
	v_mul_f32_e32 v3, v223, v227
	v_fmac_f32_e32 v124, v223, v226
	v_fma_f32 v3, v222, v226, -v3
	v_add_f32_e32 v103, v103, v124
	v_mul_f32_e32 v124, v228, v233
	v_add_f32_e32 v2, v2, v3
	v_mul_f32_e32 v3, v229, v233
	v_fmac_f32_e32 v124, v229, v232
	v_fma_f32 v3, v228, v232, -v3
	v_add_f32_e32 v125, v103, v124
	v_add_f32_e32 v124, v2, v3
	v_mul_f32_e32 v2, v231, v235
	v_fma_f32 v126, v230, v234, -v2
	v_mul_f32_e32 v2, v237, v241
	v_fma_f32 v128, v236, v240, -v2
	ds_read_b128 v[2:5], v102 offset:736
	ds_read_b128 v[6:9], v102 offset:752
	;; [unrolled: 1-line block ×3, first 2 shown]
	ds_read_b64 v[14:15], v102 offset:784
	v_pk_add_f32 v[16:17], v[124:125], v[126:127]
	s_waitcnt vmcnt(3) lgkmcnt(3)
	v_pk_mul_f32 v[18:19], v[2:3], v[244:245] op_sel:[1,1] op_sel_hi:[0,1]
	v_pk_add_f32 v[16:17], v[16:17], v[128:129]
	s_nop 0
	v_pk_add_f32 v[16:17], v[16:17], v[20:21]
	v_pk_fma_f32 v[20:21], v[2:3], v[244:245], v[18:19] neg_lo:[0,0,1] neg_hi:[0,0,1]
	v_pk_fma_f32 v[2:3], v[2:3], v[244:245], v[18:19] op_sel_hi:[1,0,1]
	s_nop 0
	v_mov_b32_e32 v21, v3
	v_pk_add_f32 v[2:3], v[16:17], v[20:21]
	v_mov_b32_e32 v16, v247
	v_pk_mul_f32 v[16:17], v[4:5], v[16:17] op_sel:[1,0] op_sel_hi:[0,0]
	v_pk_fma_f32 v[18:19], v[4:5], v[246:247], v[16:17] neg_lo:[0,0,1] neg_hi:[0,0,1]
	v_pk_fma_f32 v[4:5], v[4:5], v[246:247], v[16:17] op_sel_hi:[1,0,1]
	s_nop 0
	v_mov_b32_e32 v19, v5
	s_waitcnt vmcnt(2) lgkmcnt(2)
	v_pk_mul_f32 v[4:5], v[6:7], v[248:249] op_sel:[1,1] op_sel_hi:[0,1]
	v_pk_fma_f32 v[16:17], v[6:7], v[248:249], v[4:5] neg_lo:[0,0,1] neg_hi:[0,0,1]
	v_pk_fma_f32 v[4:5], v[6:7], v[248:249], v[4:5] op_sel_hi:[1,0,1]
	v_pk_add_f32 v[2:3], v[2:3], v[18:19]
	v_mov_b32_e32 v4, v251
	v_mov_b32_e32 v17, v5
	v_pk_mul_f32 v[4:5], v[8:9], v[4:5] op_sel:[1,0] op_sel_hi:[0,0]
	v_pk_fma_f32 v[6:7], v[8:9], v[250:251], v[4:5] neg_lo:[0,0,1] neg_hi:[0,0,1]
	v_pk_fma_f32 v[4:5], v[8:9], v[250:251], v[4:5] op_sel_hi:[1,0,1]
	v_pk_add_f32 v[2:3], v[2:3], v[16:17]
	v_mov_b32_e32 v7, v5
	s_waitcnt vmcnt(1) lgkmcnt(1)
	v_pk_mul_f32 v[4:5], v[10:11], v[252:253] op_sel:[1,1] op_sel_hi:[0,1]
	v_pk_add_f32 v[2:3], v[2:3], v[6:7]
	v_pk_fma_f32 v[6:7], v[10:11], v[252:253], v[4:5] neg_lo:[0,0,1] neg_hi:[0,0,1]
	v_pk_fma_f32 v[4:5], v[10:11], v[252:253], v[4:5] op_sel_hi:[1,0,1]
	s_nop 0
	v_mov_b32_e32 v4, v255
	v_mov_b32_e32 v7, v5
	v_pk_mul_f32 v[4:5], v[12:13], v[4:5] op_sel:[1,0] op_sel_hi:[0,0]
	v_pk_add_f32 v[2:3], v[2:3], v[6:7]
	v_pk_fma_f32 v[6:7], v[12:13], v[254:255], v[4:5] neg_lo:[0,0,1] neg_hi:[0,0,1]
	v_pk_fma_f32 v[4:5], v[12:13], v[254:255], v[4:5] op_sel_hi:[1,0,1]
	s_nop 0
	v_mov_b32_e32 v7, v5
	s_waitcnt vmcnt(0) lgkmcnt(0)
	v_pk_mul_f32 v[4:5], v[14:15], v[130:131] op_sel:[1,1] op_sel_hi:[0,1]
	v_pk_add_f32 v[2:3], v[2:3], v[6:7]
	v_pk_fma_f32 v[6:7], v[14:15], v[130:131], v[4:5] neg_lo:[0,0,1] neg_hi:[0,0,1]
	v_pk_fma_f32 v[4:5], v[14:15], v[130:131], v[4:5] op_sel_hi:[1,0,1]
	s_nop 0
	v_mov_b32_e32 v7, v5
	scratch_load_dwordx2 v[4:5], off, off offset:40
	v_pk_add_f32 v[2:3], v[2:3], v[6:7]
	s_waitcnt vmcnt(0)
	v_pk_add_f32 v[2:3], v[4:5], v[2:3] neg_lo:[0,1] neg_hi:[0,1]
	scratch_store_dwordx2 off, v[2:3], off offset:40
	s_and_saveexec_b64 s[0:1], vcc
	s_cbranch_execz .LBB48_299
; %bb.298:
	scratch_load_dwordx2 v[2:3], off, off offset:32
	v_mov_b32_e32 v103, v102
	scratch_store_dwordx2 off, v[102:103], off offset:32
	s_waitcnt vmcnt(1)
	ds_write_b64 v1, v[2:3]
.LBB48_299:
	s_or_b64 exec, exec, s[0:1]
	s_waitcnt lgkmcnt(0)
	; wave barrier
	scratch_load_dwordx4 v[6:9], off, off offset:40
	scratch_load_dwordx4 v[14:17], off, off offset:56
	;; [unrolled: 1-line block ×10, first 2 shown]
	ds_read2_b64 v[2:5], v102 offset0:55 offset1:56
	ds_read2_b64 v[220:223], v102 offset0:85 offset1:86
	scratch_load_dwordx4 v[86:89], off, off offset:200
	scratch_load_dwordx4 v[94:97], off, off offset:216
	;; [unrolled: 1-line block ×8, first 2 shown]
	v_cmp_lt_u32_e32 vcc, 3, v0
	ds_read2_b64 v[228:231], v102 offset0:87 offset1:88
	ds_read2_b64 v[236:239], v102 offset0:89 offset1:90
	s_waitcnt vmcnt(17) lgkmcnt(3)
	v_mul_f32_e32 v10, v2, v7
	v_fmac_f32_e32 v10, v3, v6
	v_mul_f32_e32 v11, v4, v9
	v_add_f32_e32 v10, 0, v10
	v_fmac_f32_e32 v11, v5, v8
	v_add_f32_e32 v18, v10, v11
	ds_read2_b64 v[10:13], v102 offset0:57 offset1:58
	v_mul_f32_e32 v3, v3, v7
	v_fma_f32 v2, v2, v6, -v3
	v_mul_f32_e32 v3, v5, v9
	v_add_f32_e32 v2, 0, v2
	s_waitcnt vmcnt(16) lgkmcnt(0)
	v_mul_f32_e32 v19, v10, v15
	v_fmac_f32_e32 v19, v11, v14
	v_add_f32_e32 v18, v18, v19
	v_mul_f32_e32 v19, v12, v17
	v_fmac_f32_e32 v19, v13, v16
	v_add_f32_e32 v26, v18, v19
	ds_read2_b64 v[18:21], v102 offset0:59 offset1:60
	v_fma_f32 v3, v4, v8, -v3
	v_add_f32_e32 v2, v2, v3
	v_mul_f32_e32 v3, v11, v15
	v_fma_f32 v3, v10, v14, -v3
	s_waitcnt vmcnt(15) lgkmcnt(0)
	v_mul_f32_e32 v27, v18, v23
	v_fmac_f32_e32 v27, v19, v22
	v_add_f32_e32 v26, v26, v27
	v_mul_f32_e32 v27, v20, v25
	v_fmac_f32_e32 v27, v21, v24
	v_add_f32_e32 v34, v26, v27
	ds_read2_b64 v[26:29], v102 offset0:61 offset1:62
	v_add_f32_e32 v2, v2, v3
	v_mul_f32_e32 v3, v13, v17
	v_fma_f32 v3, v12, v16, -v3
	v_add_f32_e32 v2, v2, v3
	s_waitcnt vmcnt(14) lgkmcnt(0)
	v_mul_f32_e32 v35, v26, v31
	v_fmac_f32_e32 v35, v27, v30
	v_add_f32_e32 v34, v34, v35
	v_mul_f32_e32 v35, v28, v33
	v_fmac_f32_e32 v35, v29, v32
	v_add_f32_e32 v42, v34, v35
	ds_read2_b64 v[34:37], v102 offset0:63 offset1:64
	v_mul_f32_e32 v3, v19, v23
	v_fma_f32 v3, v18, v22, -v3
	v_add_f32_e32 v2, v2, v3
	v_mul_f32_e32 v3, v21, v25
	s_waitcnt vmcnt(13) lgkmcnt(0)
	v_mul_f32_e32 v43, v34, v39
	v_fmac_f32_e32 v43, v35, v38
	v_add_f32_e32 v42, v42, v43
	v_mul_f32_e32 v43, v36, v41
	v_fmac_f32_e32 v43, v37, v40
	v_add_f32_e32 v50, v42, v43
	ds_read2_b64 v[42:45], v102 offset0:65 offset1:66
	v_fma_f32 v3, v20, v24, -v3
	v_add_f32_e32 v2, v2, v3
	v_mul_f32_e32 v3, v27, v31
	v_fma_f32 v3, v26, v30, -v3
	s_waitcnt vmcnt(12) lgkmcnt(0)
	v_mul_f32_e32 v51, v42, v47
	v_fmac_f32_e32 v51, v43, v46
	v_add_f32_e32 v50, v50, v51
	v_mul_f32_e32 v51, v44, v49
	v_fmac_f32_e32 v51, v45, v48
	v_add_f32_e32 v58, v50, v51
	ds_read2_b64 v[50:53], v102 offset0:67 offset1:68
	v_add_f32_e32 v2, v2, v3
	v_mul_f32_e32 v3, v29, v33
	v_fma_f32 v3, v28, v32, -v3
	v_add_f32_e32 v2, v2, v3
	s_waitcnt vmcnt(11) lgkmcnt(0)
	v_mul_f32_e32 v59, v50, v55
	v_fmac_f32_e32 v59, v51, v54
	v_add_f32_e32 v58, v58, v59
	v_mul_f32_e32 v59, v52, v57
	v_fmac_f32_e32 v59, v53, v56
	v_add_f32_e32 v66, v58, v59
	ds_read2_b64 v[58:61], v102 offset0:69 offset1:70
	v_mul_f32_e32 v3, v35, v39
	v_fma_f32 v3, v34, v38, -v3
	v_add_f32_e32 v2, v2, v3
	v_mul_f32_e32 v3, v37, v41
	;; [unrolled: 36-line block ×4, first 2 shown]
	s_waitcnt vmcnt(4) lgkmcnt(0)
	v_mul_f32_e32 v116, v108, v113
	v_fmac_f32_e32 v116, v109, v112
	v_add_f32_e32 v103, v103, v116
	v_mul_f32_e32 v116, v110, v115
	v_fmac_f32_e32 v116, v111, v114
	v_add_f32_e32 v103, v103, v116
	ds_read2_b64 v[116:119], v102 offset0:83 offset1:84
	v_fma_f32 v3, v68, v72, -v3
	v_add_f32_e32 v2, v2, v3
	v_mul_f32_e32 v3, v75, v79
	v_fma_f32 v3, v74, v78, -v3
	s_waitcnt vmcnt(3) lgkmcnt(0)
	v_mul_f32_e32 v124, v116, v121
	v_fmac_f32_e32 v124, v117, v120
	v_add_f32_e32 v103, v103, v124
	v_mul_f32_e32 v124, v118, v123
	v_fmac_f32_e32 v124, v119, v122
	v_add_f32_e32 v103, v103, v124
	s_waitcnt vmcnt(2)
	v_mul_f32_e32 v124, v220, v225
	v_fmac_f32_e32 v124, v221, v224
	v_add_f32_e32 v103, v103, v124
	v_mul_f32_e32 v124, v222, v227
	v_fmac_f32_e32 v124, v223, v226
	v_add_f32_e32 v103, v103, v124
	s_waitcnt vmcnt(1)
	v_mul_f32_e32 v124, v228, v233
	v_fmac_f32_e32 v124, v229, v232
	v_add_f32_e32 v103, v103, v124
	v_mul_f32_e32 v124, v230, v235
	v_fmac_f32_e32 v124, v231, v234
	v_add_f32_e32 v129, v103, v124
	scratch_load_dwordx4 v[244:247], off, off offset:328
	scratch_load_dwordx4 v[248:251], off, off offset:344
	;; [unrolled: 1-line block ×4, first 2 shown]
	v_add_f32_e32 v2, v2, v3
	v_mul_f32_e32 v3, v77, v81
	v_fma_f32 v3, v76, v80, -v3
	v_add_f32_e32 v2, v2, v3
	v_mul_f32_e32 v3, v83, v87
	v_fma_f32 v3, v82, v86, -v3
	;; [unrolled: 3-line block ×15, first 2 shown]
	v_add_f32_e32 v128, v2, v3
	s_waitcnt vmcnt(4)
	v_mul_f32_e32 v2, v237, v241
	v_fma_f32 v130, v236, v240, -v2
	v_mul_f32_e32 v2, v239, v243
	v_fma_f32 v132, v238, v242, -v2
	ds_read2_b64 v[2:5], v102 offset0:91 offset1:92
	ds_read2_b64 v[6:9], v102 offset0:93 offset1:94
	;; [unrolled: 1-line block ×4, first 2 shown]
	v_mul_f32_e32 v131, v236, v241
	v_fmac_f32_e32 v131, v237, v240
	v_mul_f32_e32 v133, v238, v243
	v_fmac_f32_e32 v133, v239, v242
	v_pk_add_f32 v[18:19], v[128:129], v[130:131]
	s_waitcnt vmcnt(3) lgkmcnt(3)
	v_pk_mul_f32 v[20:21], v[2:3], v[244:245] op_sel:[1,1] op_sel_hi:[0,1]
	v_pk_fma_f32 v[22:23], v[2:3], v[244:245], v[20:21] neg_lo:[0,0,1] neg_hi:[0,0,1]
	v_pk_fma_f32 v[2:3], v[2:3], v[244:245], v[20:21] op_sel_hi:[1,0,1]
	v_pk_add_f32 v[18:19], v[18:19], v[132:133]
	v_mov_b32_e32 v23, v3
	v_pk_add_f32 v[2:3], v[18:19], v[22:23]
	v_mov_b32_e32 v18, v247
	v_pk_mul_f32 v[18:19], v[4:5], v[18:19] op_sel:[1,0] op_sel_hi:[0,0]
	v_pk_fma_f32 v[20:21], v[4:5], v[246:247], v[18:19] neg_lo:[0,0,1] neg_hi:[0,0,1]
	v_pk_fma_f32 v[4:5], v[4:5], v[246:247], v[18:19] op_sel_hi:[1,0,1]
	s_nop 0
	v_mov_b32_e32 v21, v5
	s_waitcnt vmcnt(2) lgkmcnt(2)
	v_pk_mul_f32 v[4:5], v[6:7], v[248:249] op_sel:[1,1] op_sel_hi:[0,1]
	v_pk_fma_f32 v[18:19], v[6:7], v[248:249], v[4:5] neg_lo:[0,0,1] neg_hi:[0,0,1]
	v_pk_fma_f32 v[4:5], v[6:7], v[248:249], v[4:5] op_sel_hi:[1,0,1]
	v_pk_add_f32 v[2:3], v[2:3], v[20:21]
	v_mov_b32_e32 v4, v251
	v_mov_b32_e32 v19, v5
	v_pk_mul_f32 v[4:5], v[8:9], v[4:5] op_sel:[1,0] op_sel_hi:[0,0]
	v_pk_fma_f32 v[6:7], v[8:9], v[250:251], v[4:5] neg_lo:[0,0,1] neg_hi:[0,0,1]
	v_pk_fma_f32 v[4:5], v[8:9], v[250:251], v[4:5] op_sel_hi:[1,0,1]
	v_pk_add_f32 v[2:3], v[2:3], v[18:19]
	v_mov_b32_e32 v7, v5
	s_waitcnt vmcnt(1) lgkmcnt(1)
	v_pk_mul_f32 v[4:5], v[10:11], v[252:253] op_sel:[1,1] op_sel_hi:[0,1]
	v_pk_add_f32 v[2:3], v[2:3], v[6:7]
	v_pk_fma_f32 v[6:7], v[10:11], v[252:253], v[4:5] neg_lo:[0,0,1] neg_hi:[0,0,1]
	v_pk_fma_f32 v[4:5], v[10:11], v[252:253], v[4:5] op_sel_hi:[1,0,1]
	s_nop 0
	v_mov_b32_e32 v4, v255
	v_mov_b32_e32 v7, v5
	v_pk_mul_f32 v[4:5], v[12:13], v[4:5] op_sel:[1,0] op_sel_hi:[0,0]
	v_pk_add_f32 v[2:3], v[2:3], v[6:7]
	v_pk_fma_f32 v[6:7], v[12:13], v[254:255], v[4:5] neg_lo:[0,0,1] neg_hi:[0,0,1]
	v_pk_fma_f32 v[4:5], v[12:13], v[254:255], v[4:5] op_sel_hi:[1,0,1]
	s_nop 0
	v_mov_b32_e32 v7, v5
	s_waitcnt vmcnt(0) lgkmcnt(0)
	v_pk_mul_f32 v[4:5], v[14:15], v[124:125] op_sel:[1,1] op_sel_hi:[0,1]
	v_pk_add_f32 v[2:3], v[2:3], v[6:7]
	v_pk_fma_f32 v[6:7], v[14:15], v[124:125], v[4:5] neg_lo:[0,0,1] neg_hi:[0,0,1]
	v_pk_fma_f32 v[4:5], v[14:15], v[124:125], v[4:5] op_sel_hi:[1,0,1]
	s_nop 0
	v_mov_b32_e32 v4, v127
	v_mov_b32_e32 v7, v5
	v_pk_mul_f32 v[4:5], v[16:17], v[4:5] op_sel:[1,0] op_sel_hi:[0,0]
	v_pk_add_f32 v[2:3], v[2:3], v[6:7]
	v_pk_fma_f32 v[6:7], v[16:17], v[126:127], v[4:5] neg_lo:[0,0,1] neg_hi:[0,0,1]
	v_pk_fma_f32 v[4:5], v[16:17], v[126:127], v[4:5] op_sel_hi:[1,0,1]
	s_nop 0
	v_mov_b32_e32 v7, v5
	scratch_load_dwordx2 v[4:5], off, off offset:32
	v_pk_add_f32 v[2:3], v[2:3], v[6:7]
	s_waitcnt vmcnt(0)
	v_pk_add_f32 v[2:3], v[4:5], v[2:3] neg_lo:[0,1] neg_hi:[0,1]
	scratch_store_dwordx2 off, v[2:3], off offset:32
	s_and_saveexec_b64 s[0:1], vcc
	s_cbranch_execz .LBB48_301
; %bb.300:
	scratch_load_dwordx2 v[2:3], off, off offset:24
	v_mov_b32_e32 v4, 0
	v_mov_b32_e32 v5, v4
	scratch_store_dwordx2 off, v[4:5], off offset:24
	s_waitcnt vmcnt(1)
	ds_write_b64 v1, v[2:3]
.LBB48_301:
	s_or_b64 exec, exec, s[0:1]
	v_mov_b32_e32 v110, 0
	s_waitcnt lgkmcnt(0)
	; wave barrier
	ds_read_b128 v[14:17], v110 offset:432
	ds_read_b128 v[10:13], v110 offset:448
	;; [unrolled: 1-line block ×4, first 2 shown]
	scratch_load_dwordx4 v[18:21], off, off offset:32
	scratch_load_dwordx4 v[38:41], off, off offset:96
	scratch_load_dwordx4 v[70:73], off, off offset:160
	scratch_load_dwordx4 v[78:81], off, off offset:176
	scratch_load_dwordx4 v[86:89], off, off offset:192
	scratch_load_dwordx4 v[94:97], off, off offset:208
	scratch_load_dwordx4 v[102:105], off, off offset:224
	scratch_load_dwordx4 v[112:115], off, off offset:240
	scratch_load_dwordx4 v[120:123], off, off offset:256
	scratch_load_dwordx4 v[220:223], off, off offset:272
	scratch_load_dwordx4 v[228:231], off, off offset:288
	scratch_load_dwordx4 v[236:239], off, off offset:304
	scratch_load_dwordx4 v[244:247], off, off offset:320
	v_cmp_lt_u32_e32 vcc, 2, v0
	scratch_load_dwordx4 v[46:49], off, off offset:112
	scratch_load_dwordx4 v[54:57], off, off offset:128
	;; [unrolled: 1-line block ×3, first 2 shown]
	ds_read_b128 v[224:227], v110 offset:688
	ds_read_b128 v[232:235], v110 offset:704
	;; [unrolled: 1-line block ×3, first 2 shown]
	s_waitcnt vmcnt(15) lgkmcnt(6)
	v_mul_f32_e32 v22, v14, v19
	v_fmac_f32_e32 v22, v15, v18
	v_mul_f32_e32 v23, v16, v21
	v_add_f32_e32 v22, 0, v22
	v_fmac_f32_e32 v23, v17, v20
	v_add_f32_e32 v26, v22, v23
	scratch_load_dwordx4 v[22:25], off, off offset:48
	v_mul_f32_e32 v15, v15, v19
	v_fma_f32 v14, v14, v18, -v15
	v_mul_f32_e32 v15, v17, v21
	v_add_f32_e32 v14, 0, v14
	v_fma_f32 v15, v16, v20, -v15
	v_add_f32_e32 v14, v14, v15
	s_waitcnt vmcnt(5) lgkmcnt(1)
	v_mul_f32_e32 v135, v234, v239
	s_waitcnt vmcnt(4)
	v_mov_b32_e32 v18, v247
	v_fmac_f32_e32 v135, v235, v238
	s_waitcnt lgkmcnt(0)
	v_mul_f32_e32 v137, v240, v245
	v_pk_mul_f32 v[18:19], v[242:243], v[18:19] op_sel:[1,0] op_sel_hi:[0,0]
	v_fmac_f32_e32 v137, v241, v244
	v_pk_fma_f32 v[20:21], v[242:243], v[246:247], v[18:19] neg_lo:[0,0,1] neg_hi:[0,0,1]
	v_pk_fma_f32 v[18:19], v[242:243], v[246:247], v[18:19] op_sel_hi:[1,0,1]
	s_waitcnt vmcnt(0)
	v_mul_f32_e32 v27, v10, v23
	v_fmac_f32_e32 v27, v11, v22
	v_add_f32_e32 v26, v26, v27
	v_mul_f32_e32 v27, v12, v25
	v_fmac_f32_e32 v27, v13, v24
	v_add_f32_e32 v30, v26, v27
	scratch_load_dwordx4 v[26:29], off, off offset:64
	v_mul_f32_e32 v11, v11, v23
	v_fma_f32 v10, v10, v22, -v11
	v_mul_f32_e32 v11, v13, v25
	v_add_f32_e32 v10, v14, v10
	v_fma_f32 v11, v12, v24, -v11
	v_add_f32_e32 v10, v10, v11
	v_mov_b32_e32 v21, v19
	s_waitcnt vmcnt(0)
	v_mul_f32_e32 v31, v6, v27
	v_fmac_f32_e32 v31, v7, v26
	v_add_f32_e32 v30, v30, v31
	v_mul_f32_e32 v31, v8, v29
	v_fmac_f32_e32 v31, v9, v28
	v_add_f32_e32 v34, v30, v31
	scratch_load_dwordx4 v[30:33], off, off offset:80
	v_mul_f32_e32 v7, v7, v27
	v_fma_f32 v6, v6, v26, -v7
	v_mul_f32_e32 v7, v9, v29
	v_add_f32_e32 v6, v10, v6
	v_fma_f32 v7, v8, v28, -v7
	v_add_f32_e32 v6, v6, v7
	s_waitcnt vmcnt(0)
	v_mul_f32_e32 v35, v2, v31
	v_fmac_f32_e32 v35, v3, v30
	v_add_f32_e32 v34, v34, v35
	v_mul_f32_e32 v35, v4, v33
	v_fmac_f32_e32 v35, v5, v32
	v_add_f32_e32 v42, v34, v35
	ds_read_b128 v[34:37], v110 offset:496
	v_mul_f32_e32 v3, v3, v31
	v_fma_f32 v2, v2, v30, -v3
	v_mul_f32_e32 v3, v5, v33
	v_add_f32_e32 v2, v6, v2
	s_waitcnt lgkmcnt(0)
	v_mul_f32_e32 v43, v34, v39
	v_fmac_f32_e32 v43, v35, v38
	v_add_f32_e32 v42, v42, v43
	v_mul_f32_e32 v43, v36, v41
	v_fmac_f32_e32 v43, v37, v40
	v_add_f32_e32 v50, v42, v43
	ds_read_b128 v[42:45], v110 offset:512
	v_fma_f32 v3, v4, v32, -v3
	v_add_f32_e32 v2, v2, v3
	v_mul_f32_e32 v3, v35, v39
	v_fma_f32 v3, v34, v38, -v3
	s_waitcnt lgkmcnt(0)
	v_mul_f32_e32 v51, v42, v47
	v_fmac_f32_e32 v51, v43, v46
	v_add_f32_e32 v50, v50, v51
	v_mul_f32_e32 v51, v44, v49
	v_fmac_f32_e32 v51, v45, v48
	v_add_f32_e32 v58, v50, v51
	ds_read_b128 v[50:53], v110 offset:528
	v_add_f32_e32 v2, v2, v3
	v_mul_f32_e32 v3, v37, v41
	v_fma_f32 v3, v36, v40, -v3
	v_add_f32_e32 v2, v2, v3
	s_waitcnt lgkmcnt(0)
	v_mul_f32_e32 v59, v50, v55
	v_fmac_f32_e32 v59, v51, v54
	v_add_f32_e32 v58, v58, v59
	v_mul_f32_e32 v59, v52, v57
	v_fmac_f32_e32 v59, v53, v56
	v_add_f32_e32 v66, v58, v59
	ds_read_b128 v[58:61], v110 offset:544
	v_mul_f32_e32 v3, v43, v47
	v_fma_f32 v3, v42, v46, -v3
	v_add_f32_e32 v2, v2, v3
	v_mul_f32_e32 v3, v45, v49
	s_waitcnt lgkmcnt(0)
	v_mul_f32_e32 v67, v58, v63
	v_fmac_f32_e32 v67, v59, v62
	v_add_f32_e32 v66, v66, v67
	v_mul_f32_e32 v67, v60, v65
	v_fmac_f32_e32 v67, v61, v64
	v_add_f32_e32 v74, v66, v67
	ds_read_b128 v[66:69], v110 offset:560
	v_fma_f32 v3, v44, v48, -v3
	v_add_f32_e32 v2, v2, v3
	v_mul_f32_e32 v3, v51, v55
	v_fma_f32 v3, v50, v54, -v3
	s_waitcnt lgkmcnt(0)
	v_mul_f32_e32 v75, v66, v71
	v_fmac_f32_e32 v75, v67, v70
	v_add_f32_e32 v74, v74, v75
	v_mul_f32_e32 v75, v68, v73
	v_fmac_f32_e32 v75, v69, v72
	v_add_f32_e32 v82, v74, v75
	ds_read_b128 v[74:77], v110 offset:576
	v_add_f32_e32 v2, v2, v3
	v_mul_f32_e32 v3, v53, v57
	v_fma_f32 v3, v52, v56, -v3
	v_add_f32_e32 v2, v2, v3
	s_waitcnt lgkmcnt(0)
	v_mul_f32_e32 v83, v74, v79
	v_fmac_f32_e32 v83, v75, v78
	v_add_f32_e32 v82, v82, v83
	v_mul_f32_e32 v83, v76, v81
	v_fmac_f32_e32 v83, v77, v80
	v_add_f32_e32 v90, v82, v83
	ds_read_b128 v[82:85], v110 offset:592
	v_mul_f32_e32 v3, v59, v63
	v_fma_f32 v3, v58, v62, -v3
	v_add_f32_e32 v2, v2, v3
	v_mul_f32_e32 v3, v61, v65
	;; [unrolled: 36-line block ×3, first 2 shown]
	s_waitcnt lgkmcnt(0)
	v_mul_f32_e32 v116, v106, v113
	v_fmac_f32_e32 v116, v107, v112
	v_add_f32_e32 v111, v111, v116
	v_mul_f32_e32 v116, v108, v115
	v_fmac_f32_e32 v116, v109, v114
	v_add_f32_e32 v111, v111, v116
	ds_read_b128 v[116:119], v110 offset:656
	v_fma_f32 v3, v76, v80, -v3
	v_add_f32_e32 v2, v2, v3
	v_mul_f32_e32 v3, v83, v87
	v_fma_f32 v3, v82, v86, -v3
	s_waitcnt lgkmcnt(0)
	v_mul_f32_e32 v124, v116, v121
	v_fmac_f32_e32 v124, v117, v120
	v_add_f32_e32 v111, v111, v124
	v_mul_f32_e32 v124, v118, v123
	v_fmac_f32_e32 v124, v119, v122
	v_add_f32_e32 v111, v111, v124
	ds_read_b128 v[124:127], v110 offset:672
	v_add_f32_e32 v2, v2, v3
	v_mul_f32_e32 v3, v85, v89
	v_fma_f32 v3, v84, v88, -v3
	v_add_f32_e32 v2, v2, v3
	s_waitcnt lgkmcnt(0)
	v_mul_f32_e32 v128, v124, v221
	v_fmac_f32_e32 v128, v125, v220
	v_add_f32_e32 v111, v111, v128
	v_mul_f32_e32 v128, v126, v223
	v_fmac_f32_e32 v128, v127, v222
	v_add_f32_e32 v111, v111, v128
	;; [unrolled: 3-line block ×5, first 2 shown]
	scratch_load_dwordx4 v[248:251], off, off offset:336
	scratch_load_dwordx4 v[252:255], off, off offset:352
	;; [unrolled: 1-line block ×3, first 2 shown]
	scratch_load_dwordx2 v[138:139], off, off offset:384
	v_mul_f32_e32 v3, v91, v95
	v_fma_f32 v3, v90, v94, -v3
	v_add_f32_e32 v2, v2, v3
	v_mul_f32_e32 v3, v93, v97
	v_fma_f32 v3, v92, v96, -v3
	v_add_f32_e32 v2, v2, v3
	;; [unrolled: 3-line block ×13, first 2 shown]
	v_mul_f32_e32 v2, v235, v239
	v_fma_f32 v134, v234, v238, -v2
	v_mul_f32_e32 v2, v241, v245
	v_fma_f32 v136, v240, v244, -v2
	ds_read_b128 v[2:5], v110 offset:736
	ds_read_b128 v[6:9], v110 offset:752
	;; [unrolled: 1-line block ×3, first 2 shown]
	ds_read_b64 v[14:15], v110 offset:784
	v_pk_add_f32 v[16:17], v[132:133], v[134:135]
	s_waitcnt vmcnt(3) lgkmcnt(3)
	v_pk_mul_f32 v[18:19], v[2:3], v[248:249] op_sel:[1,1] op_sel_hi:[0,1]
	v_pk_add_f32 v[16:17], v[16:17], v[136:137]
	s_nop 0
	v_pk_add_f32 v[16:17], v[16:17], v[20:21]
	v_pk_fma_f32 v[20:21], v[2:3], v[248:249], v[18:19] neg_lo:[0,0,1] neg_hi:[0,0,1]
	v_pk_fma_f32 v[2:3], v[2:3], v[248:249], v[18:19] op_sel_hi:[1,0,1]
	s_nop 0
	v_mov_b32_e32 v21, v3
	v_pk_add_f32 v[2:3], v[16:17], v[20:21]
	v_mov_b32_e32 v16, v251
	v_pk_mul_f32 v[16:17], v[4:5], v[16:17] op_sel:[1,0] op_sel_hi:[0,0]
	v_pk_fma_f32 v[18:19], v[4:5], v[250:251], v[16:17] neg_lo:[0,0,1] neg_hi:[0,0,1]
	v_pk_fma_f32 v[4:5], v[4:5], v[250:251], v[16:17] op_sel_hi:[1,0,1]
	s_nop 0
	v_mov_b32_e32 v19, v5
	s_waitcnt vmcnt(2) lgkmcnt(2)
	v_pk_mul_f32 v[4:5], v[6:7], v[252:253] op_sel:[1,1] op_sel_hi:[0,1]
	v_pk_fma_f32 v[16:17], v[6:7], v[252:253], v[4:5] neg_lo:[0,0,1] neg_hi:[0,0,1]
	v_pk_fma_f32 v[4:5], v[6:7], v[252:253], v[4:5] op_sel_hi:[1,0,1]
	v_pk_add_f32 v[2:3], v[2:3], v[18:19]
	v_mov_b32_e32 v4, v255
	v_mov_b32_e32 v17, v5
	v_pk_mul_f32 v[4:5], v[8:9], v[4:5] op_sel:[1,0] op_sel_hi:[0,0]
	v_pk_fma_f32 v[6:7], v[8:9], v[254:255], v[4:5] neg_lo:[0,0,1] neg_hi:[0,0,1]
	v_pk_fma_f32 v[4:5], v[8:9], v[254:255], v[4:5] op_sel_hi:[1,0,1]
	v_pk_add_f32 v[2:3], v[2:3], v[16:17]
	v_mov_b32_e32 v7, v5
	s_waitcnt vmcnt(1) lgkmcnt(1)
	v_pk_mul_f32 v[4:5], v[10:11], v[128:129] op_sel:[1,1] op_sel_hi:[0,1]
	v_pk_add_f32 v[2:3], v[2:3], v[6:7]
	v_pk_fma_f32 v[6:7], v[10:11], v[128:129], v[4:5] neg_lo:[0,0,1] neg_hi:[0,0,1]
	v_pk_fma_f32 v[4:5], v[10:11], v[128:129], v[4:5] op_sel_hi:[1,0,1]
	s_nop 0
	v_mov_b32_e32 v4, v131
	v_mov_b32_e32 v7, v5
	v_pk_mul_f32 v[4:5], v[12:13], v[4:5] op_sel:[1,0] op_sel_hi:[0,0]
	v_pk_add_f32 v[2:3], v[2:3], v[6:7]
	v_pk_fma_f32 v[6:7], v[12:13], v[130:131], v[4:5] neg_lo:[0,0,1] neg_hi:[0,0,1]
	v_pk_fma_f32 v[4:5], v[12:13], v[130:131], v[4:5] op_sel_hi:[1,0,1]
	s_nop 0
	v_mov_b32_e32 v7, v5
	s_waitcnt vmcnt(0) lgkmcnt(0)
	v_pk_mul_f32 v[4:5], v[14:15], v[138:139] op_sel:[1,1] op_sel_hi:[0,1]
	v_pk_add_f32 v[2:3], v[2:3], v[6:7]
	v_pk_fma_f32 v[6:7], v[14:15], v[138:139], v[4:5] neg_lo:[0,0,1] neg_hi:[0,0,1]
	v_pk_fma_f32 v[4:5], v[14:15], v[138:139], v[4:5] op_sel_hi:[1,0,1]
	s_nop 0
	v_mov_b32_e32 v7, v5
	scratch_load_dwordx2 v[4:5], off, off offset:24
	v_pk_add_f32 v[2:3], v[2:3], v[6:7]
	s_waitcnt vmcnt(0)
	v_pk_add_f32 v[2:3], v[4:5], v[2:3] neg_lo:[0,1] neg_hi:[0,1]
	scratch_store_dwordx2 off, v[2:3], off offset:24
	s_and_saveexec_b64 s[0:1], vcc
	s_cbranch_execz .LBB48_303
; %bb.302:
	scratch_load_dwordx2 v[2:3], off, off offset:16
	v_mov_b32_e32 v111, v110
	scratch_store_dwordx2 off, v[110:111], off offset:16
	s_waitcnt vmcnt(1)
	ds_write_b64 v1, v[2:3]
.LBB48_303:
	s_or_b64 exec, exec, s[0:1]
	s_waitcnt lgkmcnt(0)
	; wave barrier
	scratch_load_dwordx4 v[6:9], off, off offset:24
	scratch_load_dwordx4 v[14:17], off, off offset:40
	;; [unrolled: 1-line block ×10, first 2 shown]
	ds_read2_b64 v[2:5], v110 offset0:53 offset1:54
	ds_read2_b64 v[220:223], v110 offset0:85 offset1:86
	scratch_load_dwordx4 v[86:89], off, off offset:184
	scratch_load_dwordx4 v[94:97], off, off offset:200
	;; [unrolled: 1-line block ×9, first 2 shown]
	v_cmp_lt_u32_e32 vcc, 1, v0
	ds_read2_b64 v[228:231], v110 offset0:87 offset1:88
	ds_read2_b64 v[236:239], v110 offset0:89 offset1:90
	s_waitcnt vmcnt(18) lgkmcnt(3)
	v_mul_f32_e32 v10, v2, v7
	v_fmac_f32_e32 v10, v3, v6
	v_mul_f32_e32 v11, v4, v9
	v_add_f32_e32 v10, 0, v10
	v_fmac_f32_e32 v11, v5, v8
	v_add_f32_e32 v18, v10, v11
	ds_read2_b64 v[10:13], v110 offset0:55 offset1:56
	v_mul_f32_e32 v3, v3, v7
	v_fma_f32 v2, v2, v6, -v3
	v_mul_f32_e32 v3, v5, v9
	v_add_f32_e32 v2, 0, v2
	s_waitcnt vmcnt(17) lgkmcnt(0)
	v_mul_f32_e32 v19, v10, v15
	v_fmac_f32_e32 v19, v11, v14
	v_add_f32_e32 v18, v18, v19
	v_mul_f32_e32 v19, v12, v17
	v_fmac_f32_e32 v19, v13, v16
	v_add_f32_e32 v26, v18, v19
	ds_read2_b64 v[18:21], v110 offset0:57 offset1:58
	v_fma_f32 v3, v4, v8, -v3
	v_add_f32_e32 v2, v2, v3
	v_mul_f32_e32 v3, v11, v15
	v_fma_f32 v3, v10, v14, -v3
	s_waitcnt vmcnt(16) lgkmcnt(0)
	v_mul_f32_e32 v27, v18, v23
	v_fmac_f32_e32 v27, v19, v22
	v_add_f32_e32 v26, v26, v27
	v_mul_f32_e32 v27, v20, v25
	v_fmac_f32_e32 v27, v21, v24
	v_add_f32_e32 v34, v26, v27
	ds_read2_b64 v[26:29], v110 offset0:59 offset1:60
	v_add_f32_e32 v2, v2, v3
	v_mul_f32_e32 v3, v13, v17
	v_fma_f32 v3, v12, v16, -v3
	v_add_f32_e32 v2, v2, v3
	s_waitcnt vmcnt(15) lgkmcnt(0)
	v_mul_f32_e32 v35, v26, v31
	v_fmac_f32_e32 v35, v27, v30
	v_add_f32_e32 v34, v34, v35
	v_mul_f32_e32 v35, v28, v33
	v_fmac_f32_e32 v35, v29, v32
	v_add_f32_e32 v42, v34, v35
	ds_read2_b64 v[34:37], v110 offset0:61 offset1:62
	v_mul_f32_e32 v3, v19, v23
	v_fma_f32 v3, v18, v22, -v3
	v_add_f32_e32 v2, v2, v3
	v_mul_f32_e32 v3, v21, v25
	s_waitcnt vmcnt(14) lgkmcnt(0)
	v_mul_f32_e32 v43, v34, v39
	v_fmac_f32_e32 v43, v35, v38
	v_add_f32_e32 v42, v42, v43
	v_mul_f32_e32 v43, v36, v41
	v_fmac_f32_e32 v43, v37, v40
	v_add_f32_e32 v50, v42, v43
	ds_read2_b64 v[42:45], v110 offset0:63 offset1:64
	v_fma_f32 v3, v20, v24, -v3
	v_add_f32_e32 v2, v2, v3
	v_mul_f32_e32 v3, v27, v31
	v_fma_f32 v3, v26, v30, -v3
	s_waitcnt vmcnt(13) lgkmcnt(0)
	v_mul_f32_e32 v51, v42, v47
	v_fmac_f32_e32 v51, v43, v46
	v_add_f32_e32 v50, v50, v51
	v_mul_f32_e32 v51, v44, v49
	v_fmac_f32_e32 v51, v45, v48
	v_add_f32_e32 v58, v50, v51
	ds_read2_b64 v[50:53], v110 offset0:65 offset1:66
	v_add_f32_e32 v2, v2, v3
	v_mul_f32_e32 v3, v29, v33
	v_fma_f32 v3, v28, v32, -v3
	v_add_f32_e32 v2, v2, v3
	s_waitcnt vmcnt(12) lgkmcnt(0)
	v_mul_f32_e32 v59, v50, v55
	v_fmac_f32_e32 v59, v51, v54
	v_add_f32_e32 v58, v58, v59
	v_mul_f32_e32 v59, v52, v57
	v_fmac_f32_e32 v59, v53, v56
	v_add_f32_e32 v66, v58, v59
	ds_read2_b64 v[58:61], v110 offset0:67 offset1:68
	v_mul_f32_e32 v3, v35, v39
	v_fma_f32 v3, v34, v38, -v3
	v_add_f32_e32 v2, v2, v3
	v_mul_f32_e32 v3, v37, v41
	;; [unrolled: 36-line block ×4, first 2 shown]
	s_waitcnt vmcnt(5) lgkmcnt(0)
	v_mul_f32_e32 v116, v106, v113
	v_fmac_f32_e32 v116, v107, v112
	v_add_f32_e32 v111, v111, v116
	v_mul_f32_e32 v116, v108, v115
	v_fmac_f32_e32 v116, v109, v114
	v_add_f32_e32 v111, v111, v116
	ds_read2_b64 v[116:119], v110 offset0:81 offset1:82
	v_fma_f32 v3, v68, v72, -v3
	v_add_f32_e32 v2, v2, v3
	v_mul_f32_e32 v3, v75, v79
	v_fma_f32 v3, v74, v78, -v3
	s_waitcnt vmcnt(4) lgkmcnt(0)
	v_mul_f32_e32 v124, v116, v121
	v_fmac_f32_e32 v124, v117, v120
	v_add_f32_e32 v111, v111, v124
	v_mul_f32_e32 v124, v118, v123
	v_fmac_f32_e32 v124, v119, v122
	v_add_f32_e32 v111, v111, v124
	ds_read2_b64 v[124:127], v110 offset0:83 offset1:84
	v_add_f32_e32 v2, v2, v3
	v_mul_f32_e32 v3, v77, v81
	v_fma_f32 v3, v76, v80, -v3
	v_add_f32_e32 v2, v2, v3
	s_waitcnt vmcnt(3) lgkmcnt(0)
	v_mul_f32_e32 v132, v124, v129
	v_fmac_f32_e32 v132, v125, v128
	v_add_f32_e32 v111, v111, v132
	v_mul_f32_e32 v132, v126, v131
	v_fmac_f32_e32 v132, v127, v130
	v_add_f32_e32 v111, v111, v132
	s_waitcnt vmcnt(2)
	v_mul_f32_e32 v132, v220, v225
	v_fmac_f32_e32 v132, v221, v224
	v_add_f32_e32 v111, v111, v132
	v_mul_f32_e32 v132, v222, v227
	v_fmac_f32_e32 v132, v223, v226
	v_add_f32_e32 v111, v111, v132
	s_waitcnt vmcnt(1)
	v_mul_f32_e32 v132, v228, v233
	v_fmac_f32_e32 v132, v229, v232
	v_add_f32_e32 v111, v111, v132
	v_mul_f32_e32 v132, v230, v235
	v_fmac_f32_e32 v132, v231, v234
	v_add_f32_e32 v137, v111, v132
	scratch_load_dwordx4 v[244:247], off, off offset:328
	scratch_load_dwordx4 v[248:251], off, off offset:344
	;; [unrolled: 1-line block ×4, first 2 shown]
	v_mul_f32_e32 v3, v83, v87
	v_fma_f32 v3, v82, v86, -v3
	v_add_f32_e32 v2, v2, v3
	v_mul_f32_e32 v3, v85, v89
	v_fma_f32 v3, v84, v88, -v3
	v_add_f32_e32 v2, v2, v3
	;; [unrolled: 3-line block ×16, first 2 shown]
	s_waitcnt vmcnt(4)
	v_mul_f32_e32 v2, v237, v241
	v_fma_f32 v138, v236, v240, -v2
	v_mul_f32_e32 v2, v239, v243
	v_fma_f32 v140, v238, v242, -v2
	ds_read2_b64 v[2:5], v110 offset0:91 offset1:92
	ds_read2_b64 v[6:9], v110 offset0:93 offset1:94
	;; [unrolled: 1-line block ×4, first 2 shown]
	v_mul_f32_e32 v139, v236, v241
	v_fmac_f32_e32 v139, v237, v240
	v_mul_f32_e32 v141, v238, v243
	v_fmac_f32_e32 v141, v239, v242
	v_pk_add_f32 v[18:19], v[136:137], v[138:139]
	s_waitcnt vmcnt(3) lgkmcnt(3)
	v_pk_mul_f32 v[20:21], v[2:3], v[244:245] op_sel:[1,1] op_sel_hi:[0,1]
	v_pk_fma_f32 v[22:23], v[2:3], v[244:245], v[20:21] neg_lo:[0,0,1] neg_hi:[0,0,1]
	v_pk_fma_f32 v[2:3], v[2:3], v[244:245], v[20:21] op_sel_hi:[1,0,1]
	v_pk_add_f32 v[18:19], v[18:19], v[140:141]
	v_mov_b32_e32 v23, v3
	v_pk_add_f32 v[2:3], v[18:19], v[22:23]
	v_mov_b32_e32 v18, v247
	v_pk_mul_f32 v[18:19], v[4:5], v[18:19] op_sel:[1,0] op_sel_hi:[0,0]
	v_pk_fma_f32 v[20:21], v[4:5], v[246:247], v[18:19] neg_lo:[0,0,1] neg_hi:[0,0,1]
	v_pk_fma_f32 v[4:5], v[4:5], v[246:247], v[18:19] op_sel_hi:[1,0,1]
	s_nop 0
	v_mov_b32_e32 v21, v5
	s_waitcnt vmcnt(2) lgkmcnt(2)
	v_pk_mul_f32 v[4:5], v[6:7], v[248:249] op_sel:[1,1] op_sel_hi:[0,1]
	v_pk_fma_f32 v[18:19], v[6:7], v[248:249], v[4:5] neg_lo:[0,0,1] neg_hi:[0,0,1]
	v_pk_fma_f32 v[4:5], v[6:7], v[248:249], v[4:5] op_sel_hi:[1,0,1]
	v_pk_add_f32 v[2:3], v[2:3], v[20:21]
	v_mov_b32_e32 v4, v251
	v_mov_b32_e32 v19, v5
	v_pk_mul_f32 v[4:5], v[8:9], v[4:5] op_sel:[1,0] op_sel_hi:[0,0]
	v_pk_fma_f32 v[6:7], v[8:9], v[250:251], v[4:5] neg_lo:[0,0,1] neg_hi:[0,0,1]
	v_pk_fma_f32 v[4:5], v[8:9], v[250:251], v[4:5] op_sel_hi:[1,0,1]
	v_pk_add_f32 v[2:3], v[2:3], v[18:19]
	v_mov_b32_e32 v7, v5
	s_waitcnt vmcnt(1) lgkmcnt(1)
	v_pk_mul_f32 v[4:5], v[10:11], v[252:253] op_sel:[1,1] op_sel_hi:[0,1]
	v_pk_add_f32 v[2:3], v[2:3], v[6:7]
	v_pk_fma_f32 v[6:7], v[10:11], v[252:253], v[4:5] neg_lo:[0,0,1] neg_hi:[0,0,1]
	v_pk_fma_f32 v[4:5], v[10:11], v[252:253], v[4:5] op_sel_hi:[1,0,1]
	s_nop 0
	v_mov_b32_e32 v4, v255
	v_mov_b32_e32 v7, v5
	v_pk_mul_f32 v[4:5], v[12:13], v[4:5] op_sel:[1,0] op_sel_hi:[0,0]
	v_pk_add_f32 v[2:3], v[2:3], v[6:7]
	v_pk_fma_f32 v[6:7], v[12:13], v[254:255], v[4:5] neg_lo:[0,0,1] neg_hi:[0,0,1]
	v_pk_fma_f32 v[4:5], v[12:13], v[254:255], v[4:5] op_sel_hi:[1,0,1]
	s_nop 0
	v_mov_b32_e32 v7, v5
	s_waitcnt vmcnt(0) lgkmcnt(0)
	v_pk_mul_f32 v[4:5], v[14:15], v[132:133] op_sel:[1,1] op_sel_hi:[0,1]
	v_pk_add_f32 v[2:3], v[2:3], v[6:7]
	v_pk_fma_f32 v[6:7], v[14:15], v[132:133], v[4:5] neg_lo:[0,0,1] neg_hi:[0,0,1]
	v_pk_fma_f32 v[4:5], v[14:15], v[132:133], v[4:5] op_sel_hi:[1,0,1]
	s_nop 0
	v_mov_b32_e32 v4, v135
	v_mov_b32_e32 v7, v5
	v_pk_mul_f32 v[4:5], v[16:17], v[4:5] op_sel:[1,0] op_sel_hi:[0,0]
	v_pk_add_f32 v[2:3], v[2:3], v[6:7]
	v_pk_fma_f32 v[6:7], v[16:17], v[134:135], v[4:5] neg_lo:[0,0,1] neg_hi:[0,0,1]
	v_pk_fma_f32 v[4:5], v[16:17], v[134:135], v[4:5] op_sel_hi:[1,0,1]
	s_nop 0
	v_mov_b32_e32 v7, v5
	scratch_load_dwordx2 v[4:5], off, off offset:16
	v_pk_add_f32 v[2:3], v[2:3], v[6:7]
	s_waitcnt vmcnt(0)
	v_pk_add_f32 v[2:3], v[4:5], v[2:3] neg_lo:[0,1] neg_hi:[0,1]
	scratch_store_dwordx2 off, v[2:3], off offset:16
	s_and_saveexec_b64 s[0:1], vcc
	s_cbranch_execz .LBB48_305
; %bb.304:
	scratch_load_dwordx2 v[2:3], off, off offset:8
	v_mov_b32_e32 v4, 0
	v_mov_b32_e32 v5, v4
	scratch_store_dwordx2 off, v[4:5], off offset:8
	s_waitcnt vmcnt(1)
	ds_write_b64 v1, v[2:3]
.LBB48_305:
	s_or_b64 exec, exec, s[0:1]
	v_mov_b32_e32 v118, 0
	s_waitcnt lgkmcnt(0)
	; wave barrier
	ds_read_b128 v[14:17], v118 offset:416
	ds_read_b128 v[10:13], v118 offset:432
	;; [unrolled: 1-line block ×4, first 2 shown]
	scratch_load_dwordx4 v[18:21], off, off offset:16
	scratch_load_dwordx4 v[38:41], off, off offset:80
	;; [unrolled: 1-line block ×14, first 2 shown]
	v_cmp_ne_u32_e32 vcc, 0, v0
	scratch_load_dwordx4 v[46:49], off, off offset:96
	scratch_load_dwordx4 v[54:57], off, off offset:112
	scratch_load_dwordx4 v[62:65], off, off offset:128
	ds_read_b128 v[224:227], v118 offset:688
	ds_read_b128 v[232:235], v118 offset:704
	;; [unrolled: 1-line block ×3, first 2 shown]
	s_waitcnt vmcnt(16) lgkmcnt(6)
	v_mul_f32_e32 v22, v14, v19
	v_fmac_f32_e32 v22, v15, v18
	v_mul_f32_e32 v23, v16, v21
	v_add_f32_e32 v22, 0, v22
	v_fmac_f32_e32 v23, v17, v20
	v_add_f32_e32 v26, v22, v23
	scratch_load_dwordx4 v[22:25], off, off offset:32
	v_mul_f32_e32 v15, v15, v19
	v_fma_f32 v14, v14, v18, -v15
	v_mul_f32_e32 v15, v17, v21
	v_add_f32_e32 v14, 0, v14
	v_fma_f32 v15, v16, v20, -v15
	v_add_f32_e32 v14, v14, v15
	s_waitcnt vmcnt(5) lgkmcnt(1)
	v_mul_f32_e32 v143, v234, v239
	s_waitcnt vmcnt(4)
	v_mov_b32_e32 v18, v247
	v_fmac_f32_e32 v143, v235, v238
	s_waitcnt lgkmcnt(0)
	v_mul_f32_e32 v145, v240, v245
	v_pk_mul_f32 v[18:19], v[242:243], v[18:19] op_sel:[1,0] op_sel_hi:[0,0]
	v_fmac_f32_e32 v145, v241, v244
	v_pk_fma_f32 v[20:21], v[242:243], v[246:247], v[18:19] neg_lo:[0,0,1] neg_hi:[0,0,1]
	v_pk_fma_f32 v[18:19], v[242:243], v[246:247], v[18:19] op_sel_hi:[1,0,1]
	s_waitcnt vmcnt(0)
	v_mul_f32_e32 v27, v10, v23
	v_fmac_f32_e32 v27, v11, v22
	v_add_f32_e32 v26, v26, v27
	v_mul_f32_e32 v27, v12, v25
	v_fmac_f32_e32 v27, v13, v24
	v_add_f32_e32 v30, v26, v27
	scratch_load_dwordx4 v[26:29], off, off offset:48
	v_mul_f32_e32 v11, v11, v23
	v_fma_f32 v10, v10, v22, -v11
	v_mul_f32_e32 v11, v13, v25
	v_add_f32_e32 v10, v14, v10
	v_fma_f32 v11, v12, v24, -v11
	v_add_f32_e32 v10, v10, v11
	v_mov_b32_e32 v21, v19
	s_waitcnt vmcnt(0)
	v_mul_f32_e32 v31, v6, v27
	v_fmac_f32_e32 v31, v7, v26
	v_add_f32_e32 v30, v30, v31
	v_mul_f32_e32 v31, v8, v29
	v_fmac_f32_e32 v31, v9, v28
	v_add_f32_e32 v34, v30, v31
	scratch_load_dwordx4 v[30:33], off, off offset:64
	v_mul_f32_e32 v7, v7, v27
	v_fma_f32 v6, v6, v26, -v7
	v_mul_f32_e32 v7, v9, v29
	v_add_f32_e32 v6, v10, v6
	v_fma_f32 v7, v8, v28, -v7
	v_add_f32_e32 v6, v6, v7
	s_waitcnt vmcnt(0)
	v_mul_f32_e32 v35, v2, v31
	v_fmac_f32_e32 v35, v3, v30
	v_add_f32_e32 v34, v34, v35
	v_mul_f32_e32 v35, v4, v33
	v_fmac_f32_e32 v35, v5, v32
	v_add_f32_e32 v42, v34, v35
	ds_read_b128 v[34:37], v118 offset:480
	v_mul_f32_e32 v3, v3, v31
	v_fma_f32 v2, v2, v30, -v3
	v_mul_f32_e32 v3, v5, v33
	v_add_f32_e32 v2, v6, v2
	s_waitcnt lgkmcnt(0)
	v_mul_f32_e32 v43, v34, v39
	v_fmac_f32_e32 v43, v35, v38
	v_add_f32_e32 v42, v42, v43
	v_mul_f32_e32 v43, v36, v41
	v_fmac_f32_e32 v43, v37, v40
	v_add_f32_e32 v50, v42, v43
	ds_read_b128 v[42:45], v118 offset:496
	v_fma_f32 v3, v4, v32, -v3
	v_add_f32_e32 v2, v2, v3
	v_mul_f32_e32 v3, v35, v39
	v_fma_f32 v3, v34, v38, -v3
	s_waitcnt lgkmcnt(0)
	v_mul_f32_e32 v51, v42, v47
	v_fmac_f32_e32 v51, v43, v46
	v_add_f32_e32 v50, v50, v51
	v_mul_f32_e32 v51, v44, v49
	v_fmac_f32_e32 v51, v45, v48
	v_add_f32_e32 v58, v50, v51
	ds_read_b128 v[50:53], v118 offset:512
	v_add_f32_e32 v2, v2, v3
	v_mul_f32_e32 v3, v37, v41
	v_fma_f32 v3, v36, v40, -v3
	v_add_f32_e32 v2, v2, v3
	s_waitcnt lgkmcnt(0)
	v_mul_f32_e32 v59, v50, v55
	v_fmac_f32_e32 v59, v51, v54
	v_add_f32_e32 v58, v58, v59
	v_mul_f32_e32 v59, v52, v57
	v_fmac_f32_e32 v59, v53, v56
	v_add_f32_e32 v66, v58, v59
	ds_read_b128 v[58:61], v118 offset:528
	v_mul_f32_e32 v3, v43, v47
	v_fma_f32 v3, v42, v46, -v3
	v_add_f32_e32 v2, v2, v3
	v_mul_f32_e32 v3, v45, v49
	s_waitcnt lgkmcnt(0)
	v_mul_f32_e32 v67, v58, v63
	v_fmac_f32_e32 v67, v59, v62
	v_add_f32_e32 v66, v66, v67
	v_mul_f32_e32 v67, v60, v65
	v_fmac_f32_e32 v67, v61, v64
	v_add_f32_e32 v74, v66, v67
	ds_read_b128 v[66:69], v118 offset:544
	v_fma_f32 v3, v44, v48, -v3
	v_add_f32_e32 v2, v2, v3
	v_mul_f32_e32 v3, v51, v55
	v_fma_f32 v3, v50, v54, -v3
	s_waitcnt lgkmcnt(0)
	v_mul_f32_e32 v75, v66, v71
	v_fmac_f32_e32 v75, v67, v70
	v_add_f32_e32 v74, v74, v75
	v_mul_f32_e32 v75, v68, v73
	v_fmac_f32_e32 v75, v69, v72
	v_add_f32_e32 v82, v74, v75
	ds_read_b128 v[74:77], v118 offset:560
	v_add_f32_e32 v2, v2, v3
	v_mul_f32_e32 v3, v53, v57
	v_fma_f32 v3, v52, v56, -v3
	v_add_f32_e32 v2, v2, v3
	s_waitcnt lgkmcnt(0)
	v_mul_f32_e32 v83, v74, v79
	v_fmac_f32_e32 v83, v75, v78
	v_add_f32_e32 v82, v82, v83
	v_mul_f32_e32 v83, v76, v81
	v_fmac_f32_e32 v83, v77, v80
	v_add_f32_e32 v90, v82, v83
	ds_read_b128 v[82:85], v118 offset:576
	v_mul_f32_e32 v3, v59, v63
	v_fma_f32 v3, v58, v62, -v3
	v_add_f32_e32 v2, v2, v3
	v_mul_f32_e32 v3, v61, v65
	;; [unrolled: 36-line block ×4, first 2 shown]
	s_waitcnt lgkmcnt(0)
	v_mul_f32_e32 v136, v132, v221
	v_fmac_f32_e32 v136, v133, v220
	v_add_f32_e32 v119, v119, v136
	v_mul_f32_e32 v136, v134, v223
	v_fmac_f32_e32 v136, v135, v222
	v_add_f32_e32 v119, v119, v136
	;; [unrolled: 3-line block ×5, first 2 shown]
	scratch_load_dwordx4 v[248:251], off, off offset:336
	scratch_load_dwordx4 v[252:255], off, off offset:352
	scratch_load_dwordx4 v[136:139], off, off offset:368
	scratch_load_dwordx2 v[146:147], off, off offset:384
	v_fma_f32 v3, v92, v96, -v3
	v_add_f32_e32 v2, v2, v3
	v_mul_f32_e32 v3, v99, v103
	v_fma_f32 v3, v98, v102, -v3
	v_add_f32_e32 v2, v2, v3
	v_mul_f32_e32 v3, v101, v105
	;; [unrolled: 3-line block ×14, first 2 shown]
	v_fma_f32 v142, v234, v238, -v2
	v_mul_f32_e32 v2, v241, v245
	v_fma_f32 v144, v240, v244, -v2
	ds_read_b128 v[2:5], v118 offset:736
	ds_read_b128 v[6:9], v118 offset:752
	;; [unrolled: 1-line block ×3, first 2 shown]
	ds_read_b64 v[14:15], v118 offset:784
	v_pk_add_f32 v[16:17], v[140:141], v[142:143]
	s_waitcnt vmcnt(3) lgkmcnt(3)
	v_pk_mul_f32 v[18:19], v[2:3], v[248:249] op_sel:[1,1] op_sel_hi:[0,1]
	v_pk_add_f32 v[16:17], v[16:17], v[144:145]
	s_nop 0
	v_pk_add_f32 v[16:17], v[16:17], v[20:21]
	v_pk_fma_f32 v[20:21], v[2:3], v[248:249], v[18:19] neg_lo:[0,0,1] neg_hi:[0,0,1]
	v_pk_fma_f32 v[2:3], v[2:3], v[248:249], v[18:19] op_sel_hi:[1,0,1]
	s_nop 0
	v_mov_b32_e32 v21, v3
	v_pk_add_f32 v[2:3], v[16:17], v[20:21]
	v_mov_b32_e32 v16, v251
	v_pk_mul_f32 v[16:17], v[4:5], v[16:17] op_sel:[1,0] op_sel_hi:[0,0]
	v_pk_fma_f32 v[18:19], v[4:5], v[250:251], v[16:17] neg_lo:[0,0,1] neg_hi:[0,0,1]
	v_pk_fma_f32 v[4:5], v[4:5], v[250:251], v[16:17] op_sel_hi:[1,0,1]
	s_nop 0
	v_mov_b32_e32 v19, v5
	s_waitcnt vmcnt(2) lgkmcnt(2)
	v_pk_mul_f32 v[4:5], v[6:7], v[252:253] op_sel:[1,1] op_sel_hi:[0,1]
	v_pk_fma_f32 v[16:17], v[6:7], v[252:253], v[4:5] neg_lo:[0,0,1] neg_hi:[0,0,1]
	v_pk_fma_f32 v[4:5], v[6:7], v[252:253], v[4:5] op_sel_hi:[1,0,1]
	v_pk_add_f32 v[2:3], v[2:3], v[18:19]
	v_mov_b32_e32 v4, v255
	v_mov_b32_e32 v17, v5
	v_pk_mul_f32 v[4:5], v[8:9], v[4:5] op_sel:[1,0] op_sel_hi:[0,0]
	v_pk_fma_f32 v[6:7], v[8:9], v[254:255], v[4:5] neg_lo:[0,0,1] neg_hi:[0,0,1]
	v_pk_fma_f32 v[4:5], v[8:9], v[254:255], v[4:5] op_sel_hi:[1,0,1]
	v_pk_add_f32 v[2:3], v[2:3], v[16:17]
	v_mov_b32_e32 v7, v5
	s_waitcnt vmcnt(1) lgkmcnt(1)
	v_pk_mul_f32 v[4:5], v[10:11], v[136:137] op_sel:[1,1] op_sel_hi:[0,1]
	v_pk_add_f32 v[2:3], v[2:3], v[6:7]
	v_pk_fma_f32 v[6:7], v[10:11], v[136:137], v[4:5] neg_lo:[0,0,1] neg_hi:[0,0,1]
	v_pk_fma_f32 v[4:5], v[10:11], v[136:137], v[4:5] op_sel_hi:[1,0,1]
	s_nop 0
	v_mov_b32_e32 v4, v139
	v_mov_b32_e32 v7, v5
	v_pk_mul_f32 v[4:5], v[12:13], v[4:5] op_sel:[1,0] op_sel_hi:[0,0]
	v_pk_add_f32 v[2:3], v[2:3], v[6:7]
	v_pk_fma_f32 v[6:7], v[12:13], v[138:139], v[4:5] neg_lo:[0,0,1] neg_hi:[0,0,1]
	v_pk_fma_f32 v[4:5], v[12:13], v[138:139], v[4:5] op_sel_hi:[1,0,1]
	s_nop 0
	v_mov_b32_e32 v7, v5
	s_waitcnt vmcnt(0) lgkmcnt(0)
	v_pk_mul_f32 v[4:5], v[14:15], v[146:147] op_sel:[1,1] op_sel_hi:[0,1]
	v_pk_add_f32 v[2:3], v[2:3], v[6:7]
	v_pk_fma_f32 v[6:7], v[14:15], v[146:147], v[4:5] neg_lo:[0,0,1] neg_hi:[0,0,1]
	v_pk_fma_f32 v[4:5], v[14:15], v[146:147], v[4:5] op_sel_hi:[1,0,1]
	s_nop 0
	v_mov_b32_e32 v7, v5
	scratch_load_dwordx2 v[4:5], off, off offset:8
	v_pk_add_f32 v[2:3], v[2:3], v[6:7]
	s_waitcnt vmcnt(0)
	v_pk_add_f32 v[2:3], v[4:5], v[2:3] neg_lo:[0,1] neg_hi:[0,1]
	scratch_store_dwordx2 off, v[2:3], off offset:8
	s_and_saveexec_b64 s[0:1], vcc
	s_cbranch_execz .LBB48_307
; %bb.306:
	scratch_load_dwordx2 v[2:3], off, off
	v_mov_b32_e32 v119, v118
	scratch_store_dwordx2 off, v[118:119], off
	s_waitcnt vmcnt(1)
	ds_write_b64 v1, v[2:3]
.LBB48_307:
	s_or_b64 exec, exec, s[0:1]
	s_waitcnt lgkmcnt(0)
	; wave barrier
	scratch_load_dwordx4 v[4:7], off, off offset:8
	scratch_load_dwordx4 v[12:15], off, off offset:24
	;; [unrolled: 1-line block ×10, first 2 shown]
	ds_read2_b64 v[0:3], v118 offset0:51 offset1:52
	ds_read2_b64 v[124:127], v118 offset0:81 offset1:82
	scratch_load_dwordx4 v[84:87], off, off offset:168
	scratch_load_dwordx4 v[92:95], off, off offset:184
	;; [unrolled: 1-line block ×10, first 2 shown]
	s_and_b64 vcc, exec, s[18:19]
	ds_read2_b64 v[132:135], v118 offset0:83 offset1:84
	ds_read2_b64 v[220:223], v118 offset0:85 offset1:86
	;; [unrolled: 1-line block ×4, first 2 shown]
	s_waitcnt vmcnt(19) lgkmcnt(5)
	v_mul_f32_e32 v8, v0, v5
	v_fmac_f32_e32 v8, v1, v4
	v_mul_f32_e32 v9, v2, v7
	v_add_f32_e32 v8, 0, v8
	v_fmac_f32_e32 v9, v3, v6
	v_add_f32_e32 v16, v8, v9
	ds_read2_b64 v[8:11], v118 offset0:53 offset1:54
	v_mul_f32_e32 v1, v1, v5
	v_fma_f32 v0, v0, v4, -v1
	v_mul_f32_e32 v1, v3, v7
	v_add_f32_e32 v0, 0, v0
	s_waitcnt vmcnt(18) lgkmcnt(0)
	v_mul_f32_e32 v17, v8, v13
	v_fmac_f32_e32 v17, v9, v12
	v_add_f32_e32 v16, v16, v17
	v_mul_f32_e32 v17, v10, v15
	v_fmac_f32_e32 v17, v11, v14
	v_add_f32_e32 v24, v16, v17
	ds_read2_b64 v[16:19], v118 offset0:55 offset1:56
	v_fma_f32 v1, v2, v6, -v1
	v_add_f32_e32 v0, v0, v1
	v_mul_f32_e32 v1, v9, v13
	v_fma_f32 v1, v8, v12, -v1
	s_waitcnt vmcnt(17) lgkmcnt(0)
	v_mul_f32_e32 v25, v16, v21
	v_fmac_f32_e32 v25, v17, v20
	v_add_f32_e32 v24, v24, v25
	v_mul_f32_e32 v25, v18, v23
	v_fmac_f32_e32 v25, v19, v22
	v_add_f32_e32 v32, v24, v25
	ds_read2_b64 v[24:27], v118 offset0:57 offset1:58
	v_add_f32_e32 v0, v0, v1
	v_mul_f32_e32 v1, v11, v15
	v_fma_f32 v1, v10, v14, -v1
	v_add_f32_e32 v0, v0, v1
	s_waitcnt vmcnt(16) lgkmcnt(0)
	v_mul_f32_e32 v33, v24, v29
	v_fmac_f32_e32 v33, v25, v28
	v_add_f32_e32 v32, v32, v33
	v_mul_f32_e32 v33, v26, v31
	v_fmac_f32_e32 v33, v27, v30
	v_add_f32_e32 v40, v32, v33
	ds_read2_b64 v[32:35], v118 offset0:59 offset1:60
	v_mul_f32_e32 v1, v17, v21
	v_fma_f32 v1, v16, v20, -v1
	v_add_f32_e32 v0, v0, v1
	v_mul_f32_e32 v1, v19, v23
	s_waitcnt vmcnt(15) lgkmcnt(0)
	v_mul_f32_e32 v41, v32, v37
	v_fmac_f32_e32 v41, v33, v36
	v_add_f32_e32 v40, v40, v41
	v_mul_f32_e32 v41, v34, v39
	v_fmac_f32_e32 v41, v35, v38
	v_add_f32_e32 v48, v40, v41
	ds_read2_b64 v[40:43], v118 offset0:61 offset1:62
	v_fma_f32 v1, v18, v22, -v1
	v_add_f32_e32 v0, v0, v1
	v_mul_f32_e32 v1, v25, v29
	v_fma_f32 v1, v24, v28, -v1
	s_waitcnt vmcnt(14) lgkmcnt(0)
	v_mul_f32_e32 v49, v40, v45
	v_fmac_f32_e32 v49, v41, v44
	v_add_f32_e32 v48, v48, v49
	v_mul_f32_e32 v49, v42, v47
	v_fmac_f32_e32 v49, v43, v46
	v_add_f32_e32 v56, v48, v49
	ds_read2_b64 v[48:51], v118 offset0:63 offset1:64
	v_add_f32_e32 v0, v0, v1
	v_mul_f32_e32 v1, v27, v31
	v_fma_f32 v1, v26, v30, -v1
	v_add_f32_e32 v0, v0, v1
	s_waitcnt vmcnt(13) lgkmcnt(0)
	v_mul_f32_e32 v57, v48, v53
	v_fmac_f32_e32 v57, v49, v52
	v_add_f32_e32 v56, v56, v57
	v_mul_f32_e32 v57, v50, v55
	v_fmac_f32_e32 v57, v51, v54
	v_add_f32_e32 v64, v56, v57
	ds_read2_b64 v[56:59], v118 offset0:65 offset1:66
	v_mul_f32_e32 v1, v33, v37
	v_fma_f32 v1, v32, v36, -v1
	v_add_f32_e32 v0, v0, v1
	v_mul_f32_e32 v1, v35, v39
	;; [unrolled: 36-line block ×4, first 2 shown]
	s_waitcnt vmcnt(6) lgkmcnt(0)
	v_mul_f32_e32 v113, v104, v109
	v_fmac_f32_e32 v113, v105, v108
	v_add_f32_e32 v112, v112, v113
	v_mul_f32_e32 v113, v106, v111
	v_fmac_f32_e32 v113, v107, v110
	v_add_f32_e32 v116, v112, v113
	ds_read2_b64 v[112:115], v118 offset0:79 offset1:80
	scratch_load_dwordx4 v[244:247], off, off offset:328
	scratch_load_dwordx4 v[248:251], off, off offset:344
	;; [unrolled: 1-line block ×4, first 2 shown]
	v_fma_f32 v1, v66, v70, -v1
	v_add_f32_e32 v0, v0, v1
	v_mul_f32_e32 v1, v73, v77
	v_fma_f32 v1, v72, v76, -v1
	v_add_f32_e32 v0, v0, v1
	v_mul_f32_e32 v1, v75, v79
	;; [unrolled: 3-line block ×10, first 2 shown]
	v_fma_f32 v1, v106, v110, -v1
	s_waitcnt vmcnt(9) lgkmcnt(0)
	v_mul_f32_e32 v117, v112, v121
	v_add_f32_e32 v0, v0, v1
	v_mul_f32_e32 v1, v113, v121
	v_fmac_f32_e32 v117, v113, v120
	v_fma_f32 v1, v112, v120, -v1
	v_add_f32_e32 v116, v116, v117
	v_mul_f32_e32 v117, v114, v123
	v_add_f32_e32 v0, v0, v1
	v_mul_f32_e32 v1, v115, v123
	v_fmac_f32_e32 v117, v115, v122
	v_fma_f32 v1, v114, v122, -v1
	v_add_f32_e32 v116, v116, v117
	s_waitcnt vmcnt(8)
	v_mul_f32_e32 v117, v124, v129
	v_add_f32_e32 v0, v0, v1
	v_mul_f32_e32 v1, v125, v129
	v_fmac_f32_e32 v117, v125, v128
	v_fma_f32 v1, v124, v128, -v1
	v_add_f32_e32 v116, v116, v117
	v_mul_f32_e32 v117, v126, v131
	v_add_f32_e32 v0, v0, v1
	v_mul_f32_e32 v1, v127, v131
	v_fmac_f32_e32 v117, v127, v130
	v_fma_f32 v1, v126, v130, -v1
	v_add_f32_e32 v116, v116, v117
	s_waitcnt vmcnt(7)
	;; [unrolled: 13-line block ×4, first 2 shown]
	v_mul_f32_e32 v117, v228, v233
	v_add_f32_e32 v0, v0, v1
	v_mul_f32_e32 v1, v229, v233
	v_fmac_f32_e32 v117, v229, v232
	v_fma_f32 v1, v228, v232, -v1
	v_add_f32_e32 v116, v116, v117
	v_mul_f32_e32 v117, v230, v235
	v_add_f32_e32 v0, v0, v1
	v_mul_f32_e32 v1, v231, v235
	v_fmac_f32_e32 v117, v231, v234
	v_fma_f32 v1, v230, v234, -v1
	v_add_f32_e32 v117, v116, v117
	v_add_f32_e32 v116, v0, v1
	s_waitcnt vmcnt(4)
	v_mul_f32_e32 v0, v237, v241
	v_fma_f32 v144, v236, v240, -v0
	v_mul_f32_e32 v0, v239, v243
	v_fma_f32 v146, v238, v242, -v0
	ds_read2_b64 v[0:3], v118 offset0:91 offset1:92
	ds_read2_b64 v[4:7], v118 offset0:93 offset1:94
	;; [unrolled: 1-line block ×4, first 2 shown]
	v_mul_f32_e32 v145, v236, v241
	v_fmac_f32_e32 v145, v237, v240
	v_mul_f32_e32 v147, v238, v243
	s_waitcnt vmcnt(3) lgkmcnt(3)
	v_pk_mul_f32 v[18:19], v[0:1], v[244:245] op_sel:[1,1] op_sel_hi:[0,1]
	v_fmac_f32_e32 v147, v239, v242
	v_pk_add_f32 v[16:17], v[116:117], v[144:145]
	v_pk_fma_f32 v[20:21], v[0:1], v[244:245], v[18:19] neg_lo:[0,0,1] neg_hi:[0,0,1]
	v_pk_fma_f32 v[0:1], v[0:1], v[244:245], v[18:19] op_sel_hi:[1,0,1]
	v_pk_add_f32 v[16:17], v[16:17], v[146:147]
	v_mov_b32_e32 v21, v1
	v_pk_add_f32 v[0:1], v[16:17], v[20:21]
	v_mov_b32_e32 v16, v247
	v_pk_mul_f32 v[16:17], v[2:3], v[16:17] op_sel:[1,0] op_sel_hi:[0,0]
	v_pk_fma_f32 v[18:19], v[2:3], v[246:247], v[16:17] neg_lo:[0,0,1] neg_hi:[0,0,1]
	v_pk_fma_f32 v[2:3], v[2:3], v[246:247], v[16:17] op_sel_hi:[1,0,1]
	s_nop 0
	v_mov_b32_e32 v19, v3
	s_waitcnt vmcnt(2) lgkmcnt(2)
	v_pk_mul_f32 v[2:3], v[4:5], v[248:249] op_sel:[1,1] op_sel_hi:[0,1]
	v_pk_fma_f32 v[16:17], v[4:5], v[248:249], v[2:3] neg_lo:[0,0,1] neg_hi:[0,0,1]
	v_pk_fma_f32 v[2:3], v[4:5], v[248:249], v[2:3] op_sel_hi:[1,0,1]
	v_pk_add_f32 v[0:1], v[0:1], v[18:19]
	v_mov_b32_e32 v2, v251
	v_mov_b32_e32 v17, v3
	v_pk_mul_f32 v[2:3], v[6:7], v[2:3] op_sel:[1,0] op_sel_hi:[0,0]
	v_pk_fma_f32 v[4:5], v[6:7], v[250:251], v[2:3] neg_lo:[0,0,1] neg_hi:[0,0,1]
	v_pk_fma_f32 v[2:3], v[6:7], v[250:251], v[2:3] op_sel_hi:[1,0,1]
	v_pk_add_f32 v[0:1], v[0:1], v[16:17]
	v_mov_b32_e32 v5, v3
	s_waitcnt vmcnt(1) lgkmcnt(1)
	v_pk_mul_f32 v[2:3], v[8:9], v[252:253] op_sel:[1,1] op_sel_hi:[0,1]
	v_pk_add_f32 v[0:1], v[0:1], v[4:5]
	v_pk_fma_f32 v[4:5], v[8:9], v[252:253], v[2:3] neg_lo:[0,0,1] neg_hi:[0,0,1]
	v_pk_fma_f32 v[2:3], v[8:9], v[252:253], v[2:3] op_sel_hi:[1,0,1]
	s_nop 0
	v_mov_b32_e32 v2, v255
	v_mov_b32_e32 v5, v3
	v_pk_mul_f32 v[2:3], v[10:11], v[2:3] op_sel:[1,0] op_sel_hi:[0,0]
	v_pk_add_f32 v[0:1], v[0:1], v[4:5]
	v_pk_fma_f32 v[4:5], v[10:11], v[254:255], v[2:3] neg_lo:[0,0,1] neg_hi:[0,0,1]
	v_pk_fma_f32 v[2:3], v[10:11], v[254:255], v[2:3] op_sel_hi:[1,0,1]
	s_nop 0
	v_mov_b32_e32 v5, v3
	s_waitcnt vmcnt(0) lgkmcnt(0)
	v_pk_mul_f32 v[2:3], v[12:13], v[140:141] op_sel:[1,1] op_sel_hi:[0,1]
	v_pk_add_f32 v[0:1], v[0:1], v[4:5]
	v_pk_fma_f32 v[4:5], v[12:13], v[140:141], v[2:3] neg_lo:[0,0,1] neg_hi:[0,0,1]
	v_pk_fma_f32 v[2:3], v[12:13], v[140:141], v[2:3] op_sel_hi:[1,0,1]
	s_nop 0
	v_mov_b32_e32 v2, v143
	v_mov_b32_e32 v5, v3
	v_pk_mul_f32 v[2:3], v[14:15], v[2:3] op_sel:[1,0] op_sel_hi:[0,0]
	v_pk_add_f32 v[0:1], v[0:1], v[4:5]
	v_pk_fma_f32 v[4:5], v[14:15], v[142:143], v[2:3] neg_lo:[0,0,1] neg_hi:[0,0,1]
	v_pk_fma_f32 v[2:3], v[14:15], v[142:143], v[2:3] op_sel_hi:[1,0,1]
	s_nop 0
	v_mov_b32_e32 v5, v3
	scratch_load_dwordx2 v[2:3], off, off
	v_pk_add_f32 v[0:1], v[0:1], v[4:5]
	s_waitcnt vmcnt(0)
	v_pk_add_f32 v[0:1], v[2:3], v[0:1] neg_lo:[0,1] neg_hi:[0,1]
	scratch_store_dwordx2 off, v[0:1], off
	s_cbranch_vccz .LBB48_404
; %bb.308:
	v_mov_b32_e32 v0, 0
	global_load_dword v1, v0, s[16:17] offset:188
	s_waitcnt vmcnt(0)
	v_readfirstlane_b32 s0, v1
	s_add_i32 s0, s0, -1
	s_cmp_lg_u32 s0, 47
	s_cbranch_scc0 .LBB48_310
; %bb.309:
	s_lshl_b32 s0, s0, 3
	s_nop 0
	scratch_load_dwordx2 v[2:3], off, s0
	scratch_load_dwordx2 v[4:5], off, off offset:376
	s_waitcnt vmcnt(1)
	scratch_store_dwordx2 off, v[2:3], off offset:376
	s_waitcnt vmcnt(1)
	scratch_store_dwordx2 off, v[4:5], s0
.LBB48_310:
	global_load_dword v0, v0, s[16:17] offset:184
	s_waitcnt vmcnt(0)
	v_readfirstlane_b32 s0, v0
	s_add_i32 s0, s0, -1
	s_cmp_eq_u32 s0, 46
	s_cbranch_scc1 .LBB48_312
; %bb.311:
	s_lshl_b32 s0, s0, 3
	s_nop 0
	scratch_load_dwordx2 v[0:1], off, s0
	scratch_load_dwordx2 v[2:3], off, off offset:368
	s_waitcnt vmcnt(1)
	scratch_store_dwordx2 off, v[0:1], off offset:368
	s_waitcnt vmcnt(1)
	scratch_store_dwordx2 off, v[2:3], s0
.LBB48_312:
	v_mov_b32_e32 v0, 0
	global_load_dword v1, v0, s[16:17] offset:180
	s_waitcnt vmcnt(0)
	v_readfirstlane_b32 s0, v1
	s_add_i32 s0, s0, -1
	s_cmp_eq_u32 s0, 45
	s_cbranch_scc1 .LBB48_314
; %bb.313:
	s_lshl_b32 s0, s0, 3
	s_nop 0
	scratch_load_dwordx2 v[2:3], off, s0
	scratch_load_dwordx2 v[4:5], off, off offset:360
	s_waitcnt vmcnt(1)
	scratch_store_dwordx2 off, v[2:3], off offset:360
	s_waitcnt vmcnt(1)
	scratch_store_dwordx2 off, v[4:5], s0
.LBB48_314:
	global_load_dword v0, v0, s[16:17] offset:176
	s_waitcnt vmcnt(0)
	v_readfirstlane_b32 s0, v0
	s_add_i32 s0, s0, -1
	s_cmp_eq_u32 s0, 44
	s_cbranch_scc1 .LBB48_316
; %bb.315:
	s_lshl_b32 s0, s0, 3
	s_nop 0
	scratch_load_dwordx2 v[0:1], off, s0
	scratch_load_dwordx2 v[2:3], off, off offset:352
	s_waitcnt vmcnt(1)
	scratch_store_dwordx2 off, v[0:1], off offset:352
	s_waitcnt vmcnt(1)
	scratch_store_dwordx2 off, v[2:3], s0
.LBB48_316:
	v_mov_b32_e32 v0, 0
	global_load_dword v1, v0, s[16:17] offset:172
	s_waitcnt vmcnt(0)
	v_readfirstlane_b32 s0, v1
	s_add_i32 s0, s0, -1
	s_cmp_eq_u32 s0, 43
	s_cbranch_scc1 .LBB48_318
; %bb.317:
	s_lshl_b32 s0, s0, 3
	s_nop 0
	scratch_load_dwordx2 v[2:3], off, s0
	scratch_load_dwordx2 v[4:5], off, off offset:344
	s_waitcnt vmcnt(1)
	scratch_store_dwordx2 off, v[2:3], off offset:344
	s_waitcnt vmcnt(1)
	scratch_store_dwordx2 off, v[4:5], s0
.LBB48_318:
	;; [unrolled: 33-line block ×23, first 2 shown]
	global_load_dword v2, v0, s[16:17]
	s_nop 0
	scratch_load_dwordx2 v[0:1], off, off
	s_waitcnt vmcnt(1)
	v_readfirstlane_b32 s0, v2
	s_add_i32 s0, s0, -1
	s_cmp_eq_u32 s0, 0
	s_cbranch_scc1 .LBB48_404
; %bb.403:
	s_lshl_b32 s0, s0, 3
	s_nop 0
	scratch_load_dwordx2 v[2:3], off, s0
	s_waitcnt vmcnt(0)
	scratch_store_dwordx2 off, v[2:3], off
	scratch_store_dwordx2 off, v[0:1], s0
	scratch_load_dwordx2 v[0:1], off, off
.LBB48_404:
	s_nop 0
	scratch_load_dwordx4 v[2:5], off, off offset:8
	scratch_load_dwordx4 v[6:9], off, off offset:24
	;; [unrolled: 1-line block ×24, first 2 shown]
	v_accvgpr_read_b32 v99, a1
	v_accvgpr_read_b32 v98, a0
	s_waitcnt vmcnt(24)
	global_store_dwordx2 v[98:99], v[0:1], off
	v_accvgpr_read_b32 v0, a2
	v_accvgpr_read_b32 v1, a3
	s_waitcnt vmcnt(24)
	global_store_dwordx2 v[0:1], v[2:3], off
	v_accvgpr_read_b32 v0, a4
	v_accvgpr_read_b32 v1, a5
	global_store_dwordx2 v[0:1], v[4:5], off
	v_accvgpr_read_b32 v0, a6
	v_accvgpr_read_b32 v1, a7
	s_waitcnt vmcnt(25)
	global_store_dwordx2 v[0:1], v[6:7], off
	v_accvgpr_read_b32 v0, a8
	v_accvgpr_read_b32 v1, a9
	;; [unrolled: 7-line block ×6, first 2 shown]
	global_store_dwordx2 v[0:1], v[24:25], off
	s_waitcnt vmcnt(30)
	global_store_dwordx2 v[148:149], v[26:27], off
	global_store_dwordx2 v[150:151], v[28:29], off
	s_waitcnt vmcnt(31)
	global_store_dwordx2 v[152:153], v[30:31], off
	;; [unrolled: 3-line block ×18, first 2 shown]
	global_store_dwordx2 v[218:219], v[96:97], off
	s_endpgm
	.section	.rodata,"a",@progbits
	.p2align	6, 0x0
	.amdhsa_kernel _ZN9rocsolver6v33100L18getri_kernel_smallILi49E19rocblas_complex_numIfEPS3_EEvT1_iilPiilS6_bb
		.amdhsa_group_segment_fixed_size 792
		.amdhsa_private_segment_fixed_size 400
		.amdhsa_kernarg_size 60
		.amdhsa_user_sgpr_count 2
		.amdhsa_user_sgpr_dispatch_ptr 0
		.amdhsa_user_sgpr_queue_ptr 0
		.amdhsa_user_sgpr_kernarg_segment_ptr 1
		.amdhsa_user_sgpr_dispatch_id 0
		.amdhsa_user_sgpr_kernarg_preload_length 0
		.amdhsa_user_sgpr_kernarg_preload_offset 0
		.amdhsa_user_sgpr_private_segment_size 0
		.amdhsa_uses_dynamic_stack 0
		.amdhsa_enable_private_segment 1
		.amdhsa_system_sgpr_workgroup_id_x 1
		.amdhsa_system_sgpr_workgroup_id_y 0
		.amdhsa_system_sgpr_workgroup_id_z 0
		.amdhsa_system_sgpr_workgroup_info 0
		.amdhsa_system_vgpr_workitem_id 0
		.amdhsa_next_free_vgpr 282
		.amdhsa_next_free_sgpr 20
		.amdhsa_accum_offset 256
		.amdhsa_reserve_vcc 1
		.amdhsa_float_round_mode_32 0
		.amdhsa_float_round_mode_16_64 0
		.amdhsa_float_denorm_mode_32 3
		.amdhsa_float_denorm_mode_16_64 3
		.amdhsa_dx10_clamp 1
		.amdhsa_ieee_mode 1
		.amdhsa_fp16_overflow 0
		.amdhsa_tg_split 0
		.amdhsa_exception_fp_ieee_invalid_op 0
		.amdhsa_exception_fp_denorm_src 0
		.amdhsa_exception_fp_ieee_div_zero 0
		.amdhsa_exception_fp_ieee_overflow 0
		.amdhsa_exception_fp_ieee_underflow 0
		.amdhsa_exception_fp_ieee_inexact 0
		.amdhsa_exception_int_div_zero 0
	.end_amdhsa_kernel
	.section	.text._ZN9rocsolver6v33100L18getri_kernel_smallILi49E19rocblas_complex_numIfEPS3_EEvT1_iilPiilS6_bb,"axG",@progbits,_ZN9rocsolver6v33100L18getri_kernel_smallILi49E19rocblas_complex_numIfEPS3_EEvT1_iilPiilS6_bb,comdat
.Lfunc_end48:
	.size	_ZN9rocsolver6v33100L18getri_kernel_smallILi49E19rocblas_complex_numIfEPS3_EEvT1_iilPiilS6_bb, .Lfunc_end48-_ZN9rocsolver6v33100L18getri_kernel_smallILi49E19rocblas_complex_numIfEPS3_EEvT1_iilPiilS6_bb
                                        ; -- End function
	.set _ZN9rocsolver6v33100L18getri_kernel_smallILi49E19rocblas_complex_numIfEPS3_EEvT1_iilPiilS6_bb.num_vgpr, 256
	.set _ZN9rocsolver6v33100L18getri_kernel_smallILi49E19rocblas_complex_numIfEPS3_EEvT1_iilPiilS6_bb.num_agpr, 26
	.set _ZN9rocsolver6v33100L18getri_kernel_smallILi49E19rocblas_complex_numIfEPS3_EEvT1_iilPiilS6_bb.numbered_sgpr, 20
	.set _ZN9rocsolver6v33100L18getri_kernel_smallILi49E19rocblas_complex_numIfEPS3_EEvT1_iilPiilS6_bb.num_named_barrier, 0
	.set _ZN9rocsolver6v33100L18getri_kernel_smallILi49E19rocblas_complex_numIfEPS3_EEvT1_iilPiilS6_bb.private_seg_size, 400
	.set _ZN9rocsolver6v33100L18getri_kernel_smallILi49E19rocblas_complex_numIfEPS3_EEvT1_iilPiilS6_bb.uses_vcc, 1
	.set _ZN9rocsolver6v33100L18getri_kernel_smallILi49E19rocblas_complex_numIfEPS3_EEvT1_iilPiilS6_bb.uses_flat_scratch, 0
	.set _ZN9rocsolver6v33100L18getri_kernel_smallILi49E19rocblas_complex_numIfEPS3_EEvT1_iilPiilS6_bb.has_dyn_sized_stack, 0
	.set _ZN9rocsolver6v33100L18getri_kernel_smallILi49E19rocblas_complex_numIfEPS3_EEvT1_iilPiilS6_bb.has_recursion, 0
	.set _ZN9rocsolver6v33100L18getri_kernel_smallILi49E19rocblas_complex_numIfEPS3_EEvT1_iilPiilS6_bb.has_indirect_call, 0
	.section	.AMDGPU.csdata,"",@progbits
; Kernel info:
; codeLenInByte = 70812
; TotalNumSgprs: 26
; NumVgprs: 256
; NumAgprs: 26
; TotalNumVgprs: 282
; ScratchSize: 400
; MemoryBound: 0
; FloatMode: 240
; IeeeMode: 1
; LDSByteSize: 792 bytes/workgroup (compile time only)
; SGPRBlocks: 3
; VGPRBlocks: 35
; NumSGPRsForWavesPerEU: 26
; NumVGPRsForWavesPerEU: 282
; AccumOffset: 256
; Occupancy: 1
; WaveLimiterHint : 1
; COMPUTE_PGM_RSRC2:SCRATCH_EN: 1
; COMPUTE_PGM_RSRC2:USER_SGPR: 2
; COMPUTE_PGM_RSRC2:TRAP_HANDLER: 0
; COMPUTE_PGM_RSRC2:TGID_X_EN: 1
; COMPUTE_PGM_RSRC2:TGID_Y_EN: 0
; COMPUTE_PGM_RSRC2:TGID_Z_EN: 0
; COMPUTE_PGM_RSRC2:TIDIG_COMP_CNT: 0
; COMPUTE_PGM_RSRC3_GFX90A:ACCUM_OFFSET: 63
; COMPUTE_PGM_RSRC3_GFX90A:TG_SPLIT: 0
	.section	.text._ZN9rocsolver6v33100L18getri_kernel_smallILi50E19rocblas_complex_numIfEPS3_EEvT1_iilPiilS6_bb,"axG",@progbits,_ZN9rocsolver6v33100L18getri_kernel_smallILi50E19rocblas_complex_numIfEPS3_EEvT1_iilPiilS6_bb,comdat
	.globl	_ZN9rocsolver6v33100L18getri_kernel_smallILi50E19rocblas_complex_numIfEPS3_EEvT1_iilPiilS6_bb ; -- Begin function _ZN9rocsolver6v33100L18getri_kernel_smallILi50E19rocblas_complex_numIfEPS3_EEvT1_iilPiilS6_bb
	.p2align	8
	.type	_ZN9rocsolver6v33100L18getri_kernel_smallILi50E19rocblas_complex_numIfEPS3_EEvT1_iilPiilS6_bb,@function
_ZN9rocsolver6v33100L18getri_kernel_smallILi50E19rocblas_complex_numIfEPS3_EEvT1_iilPiilS6_bb: ; @_ZN9rocsolver6v33100L18getri_kernel_smallILi50E19rocblas_complex_numIfEPS3_EEvT1_iilPiilS6_bb
; %bb.0:
	v_cmp_gt_u32_e32 vcc, 50, v0
	s_and_saveexec_b64 s[4:5], vcc
	s_cbranch_execz .LBB49_214
; %bb.1:
	s_load_dword s8, s[0:1], 0x38
	s_load_dwordx4 s[12:15], s[0:1], 0x10
	s_load_dwordx4 s[4:7], s[0:1], 0x28
                                        ; implicit-def: $sgpr16_sgpr17
	s_waitcnt lgkmcnt(0)
	s_bitcmp1_b32 s8, 8
	s_cselect_b64 s[18:19], -1, 0
	s_ashr_i32 s3, s2, 31
	s_bfe_u32 s8, s8, 0x10008
	s_cmp_eq_u32 s8, 0
	s_cbranch_scc1 .LBB49_3
; %bb.2:
	s_load_dword s8, s[0:1], 0x20
	s_mul_i32 s9, s4, s3
	s_mul_hi_u32 s10, s4, s2
	s_mul_i32 s5, s5, s2
	s_add_i32 s10, s10, s9
	s_add_i32 s5, s10, s5
	s_mul_i32 s4, s4, s2
	s_waitcnt lgkmcnt(0)
	s_ashr_i32 s9, s8, 31
	s_lshl_b64 s[4:5], s[4:5], 2
	s_add_u32 s10, s14, s4
	s_addc_u32 s11, s15, s5
	s_lshl_b64 s[4:5], s[8:9], 2
	s_add_u32 s16, s10, s4
	s_addc_u32 s17, s11, s5
.LBB49_3:
	s_load_dwordx4 s[8:11], s[0:1], 0x0
	s_load_dword s4, s[0:1], 0x38
	s_mul_i32 s5, s12, s3
	s_mul_hi_u32 s14, s12, s2
	s_add_i32 s5, s14, s5
	s_waitcnt lgkmcnt(0)
	s_ashr_i32 s1, s10, 31
	s_mov_b32 s0, s10
	s_mul_i32 s10, s13, s2
	s_add_i32 s13, s5, s10
	s_mul_i32 s12, s12, s2
	s_lshl_b64 s[12:13], s[12:13], 3
	s_add_u32 s5, s8, s12
	s_addc_u32 s8, s9, s13
	s_lshl_b64 s[0:1], s[0:1], 3
	s_add_u32 s0, s5, s0
	s_addc_u32 s1, s8, s1
	v_lshlrev_b32_e32 v2, 3, v0
	v_mov_b32_e32 v3, 0
	v_lshl_add_u64 v[6:7], s[0:1], 0, v[2:3]
	s_ashr_i32 s9, s11, 31
	s_mov_b32 s8, s11
	v_accvgpr_write_b32 a0, v6
	s_add_i32 s5, s11, s11
	v_accvgpr_write_b32 a1, v7
	v_lshl_add_u64 v[10:11], s[8:9], 3, v[6:7]
	v_add_u32_e32 v6, s5, v0
	v_ashrrev_i32_e32 v7, 31, v6
	v_lshl_add_u64 v[12:13], v[6:7], 3, s[0:1]
	v_add_u32_e32 v6, s11, v6
	v_add_u32_e32 v8, s11, v6
	v_ashrrev_i32_e32 v7, 31, v6
	v_ashrrev_i32_e32 v9, 31, v8
	v_lshl_add_u64 v[14:15], v[6:7], 3, s[0:1]
	v_lshl_add_u64 v[16:17], v[8:9], 3, s[0:1]
	v_add_u32_e32 v8, s11, v8
	v_accvgpr_write_b32 a2, v10
	v_accvgpr_write_b32 a4, v12
	v_accvgpr_write_b32 a6, v14
	v_accvgpr_write_b32 a8, v16
	v_ashrrev_i32_e32 v9, 31, v8
	global_load_dwordx2 v[4:5], v2, s[0:1]
	global_load_dwordx2 v[6:7], v[10:11], off
	v_accvgpr_write_b32 a3, v11
	v_accvgpr_write_b32 a5, v13
	global_load_dwordx2 v[10:11], v[12:13], off
	v_accvgpr_write_b32 a7, v15
	global_load_dwordx2 v[12:13], v[14:15], off
	;; [unrolled: 2-line block ×3, first 2 shown]
	v_lshl_add_u64 v[16:17], v[8:9], 3, s[0:1]
	v_add_u32_e32 v8, s11, v8
	v_ashrrev_i32_e32 v9, 31, v8
	v_lshl_add_u64 v[18:19], v[8:9], 3, s[0:1]
	v_add_u32_e32 v8, s11, v8
	v_ashrrev_i32_e32 v9, 31, v8
	v_lshl_add_u64 v[20:21], v[8:9], 3, s[0:1]
	v_add_u32_e32 v8, s11, v8
	v_ashrrev_i32_e32 v9, 31, v8
	v_lshl_add_u64 v[22:23], v[8:9], 3, s[0:1]
	v_add_u32_e32 v8, s11, v8
	v_ashrrev_i32_e32 v9, 31, v8
	v_lshl_add_u64 v[24:25], v[8:9], 3, s[0:1]
	v_add_u32_e32 v8, s11, v8
	v_ashrrev_i32_e32 v9, 31, v8
	v_lshl_add_u64 v[26:27], v[8:9], 3, s[0:1]
	v_add_u32_e32 v8, s11, v8
	v_ashrrev_i32_e32 v9, 31, v8
	v_lshl_add_u64 v[28:29], v[8:9], 3, s[0:1]
	v_add_u32_e32 v8, s11, v8
	v_ashrrev_i32_e32 v9, 31, v8
	v_lshl_add_u64 v[30:31], v[8:9], 3, s[0:1]
	v_add_u32_e32 v8, s11, v8
	v_ashrrev_i32_e32 v9, 31, v8
	v_lshl_add_u64 v[32:33], v[8:9], 3, s[0:1]
	v_add_u32_e32 v8, s11, v8
	v_ashrrev_i32_e32 v9, 31, v8
	v_lshl_add_u64 v[34:35], v[8:9], 3, s[0:1]
	v_add_u32_e32 v8, s11, v8
	v_ashrrev_i32_e32 v9, 31, v8
	v_lshl_add_u64 v[36:37], v[8:9], 3, s[0:1]
	v_add_u32_e32 v8, s11, v8
	v_ashrrev_i32_e32 v9, 31, v8
	v_lshl_add_u64 v[38:39], v[8:9], 3, s[0:1]
	v_add_u32_e32 v8, s11, v8
	v_ashrrev_i32_e32 v9, 31, v8
	v_lshl_add_u64 v[158:159], v[8:9], 3, s[0:1]
	v_add_u32_e32 v8, s11, v8
	v_ashrrev_i32_e32 v9, 31, v8
	v_lshl_add_u64 v[160:161], v[8:9], 3, s[0:1]
	v_add_u32_e32 v8, s11, v8
	v_ashrrev_i32_e32 v9, 31, v8
	v_lshl_add_u64 v[162:163], v[8:9], 3, s[0:1]
	v_add_u32_e32 v8, s11, v8
	v_ashrrev_i32_e32 v9, 31, v8
	v_lshl_add_u64 v[164:165], v[8:9], 3, s[0:1]
	v_add_u32_e32 v8, s11, v8
	v_ashrrev_i32_e32 v9, 31, v8
	v_lshl_add_u64 v[166:167], v[8:9], 3, s[0:1]
	v_add_u32_e32 v8, s11, v8
	v_ashrrev_i32_e32 v9, 31, v8
	v_lshl_add_u64 v[168:169], v[8:9], 3, s[0:1]
	v_add_u32_e32 v8, s11, v8
	v_ashrrev_i32_e32 v9, 31, v8
	v_lshl_add_u64 v[170:171], v[8:9], 3, s[0:1]
	v_add_u32_e32 v8, s11, v8
	v_ashrrev_i32_e32 v9, 31, v8
	v_lshl_add_u64 v[172:173], v[8:9], 3, s[0:1]
	v_add_u32_e32 v8, s11, v8
	v_ashrrev_i32_e32 v9, 31, v8
	v_lshl_add_u64 v[174:175], v[8:9], 3, s[0:1]
	v_add_u32_e32 v8, s11, v8
	v_ashrrev_i32_e32 v9, 31, v8
	v_lshl_add_u64 v[176:177], v[8:9], 3, s[0:1]
	v_add_u32_e32 v8, s11, v8
	v_ashrrev_i32_e32 v9, 31, v8
	v_lshl_add_u64 v[178:179], v[8:9], 3, s[0:1]
	v_add_u32_e32 v8, s11, v8
	v_ashrrev_i32_e32 v9, 31, v8
	v_lshl_add_u64 v[180:181], v[8:9], 3, s[0:1]
	v_add_u32_e32 v8, s11, v8
	v_ashrrev_i32_e32 v9, 31, v8
	v_lshl_add_u64 v[182:183], v[8:9], 3, s[0:1]
	v_add_u32_e32 v8, s11, v8
	v_ashrrev_i32_e32 v9, 31, v8
	v_lshl_add_u64 v[184:185], v[8:9], 3, s[0:1]
	v_add_u32_e32 v8, s11, v8
	v_ashrrev_i32_e32 v9, 31, v8
	v_lshl_add_u64 v[186:187], v[8:9], 3, s[0:1]
	v_add_u32_e32 v8, s11, v8
	v_ashrrev_i32_e32 v9, 31, v8
	v_lshl_add_u64 v[188:189], v[8:9], 3, s[0:1]
	v_add_u32_e32 v8, s11, v8
	v_ashrrev_i32_e32 v9, 31, v8
	v_lshl_add_u64 v[190:191], v[8:9], 3, s[0:1]
	v_add_u32_e32 v8, s11, v8
	v_ashrrev_i32_e32 v9, 31, v8
	v_lshl_add_u64 v[192:193], v[8:9], 3, s[0:1]
	v_add_u32_e32 v8, s11, v8
	v_ashrrev_i32_e32 v9, 31, v8
	v_lshl_add_u64 v[194:195], v[8:9], 3, s[0:1]
	v_add_u32_e32 v8, s11, v8
	v_ashrrev_i32_e32 v9, 31, v8
	v_lshl_add_u64 v[196:197], v[8:9], 3, s[0:1]
	v_add_u32_e32 v8, s11, v8
	v_ashrrev_i32_e32 v9, 31, v8
	v_lshl_add_u64 v[198:199], v[8:9], 3, s[0:1]
	v_add_u32_e32 v8, s11, v8
	v_ashrrev_i32_e32 v9, 31, v8
	v_lshl_add_u64 v[200:201], v[8:9], 3, s[0:1]
	v_add_u32_e32 v8, s11, v8
	v_ashrrev_i32_e32 v9, 31, v8
	v_lshl_add_u64 v[202:203], v[8:9], 3, s[0:1]
	v_add_u32_e32 v8, s11, v8
	v_ashrrev_i32_e32 v9, 31, v8
	v_lshl_add_u64 v[204:205], v[8:9], 3, s[0:1]
	v_add_u32_e32 v8, s11, v8
	v_ashrrev_i32_e32 v9, 31, v8
	v_lshl_add_u64 v[206:207], v[8:9], 3, s[0:1]
	v_add_u32_e32 v8, s11, v8
	v_ashrrev_i32_e32 v9, 31, v8
	v_lshl_add_u64 v[208:209], v[8:9], 3, s[0:1]
	v_add_u32_e32 v8, s11, v8
	v_ashrrev_i32_e32 v9, 31, v8
	v_lshl_add_u64 v[210:211], v[8:9], 3, s[0:1]
	v_add_u32_e32 v8, s11, v8
	v_ashrrev_i32_e32 v9, 31, v8
	v_lshl_add_u64 v[212:213], v[8:9], 3, s[0:1]
	v_add_u32_e32 v8, s11, v8
	v_ashrrev_i32_e32 v9, 31, v8
	v_lshl_add_u64 v[214:215], v[8:9], 3, s[0:1]
	v_add_u32_e32 v8, s11, v8
	v_ashrrev_i32_e32 v9, 31, v8
	v_lshl_add_u64 v[216:217], v[8:9], 3, s[0:1]
	v_add_u32_e32 v8, s11, v8
	v_ashrrev_i32_e32 v9, 31, v8
	v_lshl_add_u64 v[218:219], v[8:9], 3, s[0:1]
	v_add_u32_e32 v8, s11, v8
	v_accvgpr_write_b32 a10, v16
	v_accvgpr_write_b32 a12, v18
	;; [unrolled: 1-line block ×12, first 2 shown]
	v_ashrrev_i32_e32 v9, 31, v8
	v_accvgpr_write_b32 a11, v17
	global_load_dwordx2 v[16:17], v[16:17], off
	v_accvgpr_write_b32 a13, v19
	global_load_dwordx2 v[18:19], v[18:19], off
	;; [unrolled: 2-line block ×12, first 2 shown]
	s_nop 0
	global_load_dwordx2 v[40:41], v[158:159], off
	global_load_dwordx2 v[42:43], v[160:161], off
	;; [unrolled: 1-line block ×28, first 2 shown]
	v_lshl_add_u64 v[220:221], v[8:9], 3, s[0:1]
	global_load_dwordx2 v[96:97], v[214:215], off
	global_load_dwordx2 v[98:99], v[216:217], off
	;; [unrolled: 1-line block ×4, first 2 shown]
	v_add_u32_e32 v8, s11, v8
	v_ashrrev_i32_e32 v9, 31, v8
	v_lshl_add_u64 v[222:223], v[8:9], 3, s[0:1]
	global_load_dwordx2 v[104:105], v[222:223], off
	s_bitcmp0_b32 s4, 0
	s_mov_b64 s[4:5], -1
	s_waitcnt vmcnt(48)
	scratch_store_dwordx4 off, v[4:7], off
	s_waitcnt vmcnt(47)
	scratch_store_dwordx4 off, v[10:13], off offset:16
	s_waitcnt vmcnt(46)
	scratch_store_dwordx4 off, v[14:17], off offset:32
	;; [unrolled: 2-line block ×24, first 2 shown]
	s_cbranch_scc1 .LBB49_212
; %bb.4:
	v_cmp_eq_u32_e64 s[0:1], 0, v0
	s_and_saveexec_b64 s[4:5], s[0:1]
; %bb.5:
	v_mov_b32_e32 v1, 0
	ds_write_b32 v1, v1 offset:800
; %bb.6:
	s_or_b64 exec, exec, s[4:5]
	s_waitcnt lgkmcnt(0)
	; wave barrier
	scratch_load_dwordx2 v[4:5], v2, off
	s_waitcnt vmcnt(0)
	v_cmp_eq_f32_e32 vcc, 0, v4
	v_cmp_eq_f32_e64 s[4:5], 0, v5
	s_and_b64 s[4:5], vcc, s[4:5]
	s_and_saveexec_b64 s[8:9], s[4:5]
	s_cbranch_execz .LBB49_10
; %bb.7:
	v_mov_b32_e32 v1, 0
	ds_read_b32 v4, v1 offset:800
	v_add_u32_e32 v3, 1, v0
	s_waitcnt lgkmcnt(0)
	v_readfirstlane_b32 s4, v4
	s_cmp_eq_u32 s4, 0
	s_cselect_b64 s[10:11], -1, 0
	v_cmp_gt_i32_e32 vcc, s4, v3
	s_or_b64 s[10:11], s[10:11], vcc
	s_and_b64 exec, exec, s[10:11]
	s_cbranch_execz .LBB49_10
; %bb.8:
	s_mov_b64 s[10:11], 0
	v_mov_b32_e32 v4, s4
.LBB49_9:                               ; =>This Inner Loop Header: Depth=1
	ds_cmpst_rtn_b32 v4, v1, v4, v3 offset:800
	s_waitcnt lgkmcnt(0)
	v_cmp_ne_u32_e32 vcc, 0, v4
	v_cmp_le_i32_e64 s[4:5], v4, v3
	s_and_b64 s[4:5], vcc, s[4:5]
	s_and_b64 s[4:5], exec, s[4:5]
	s_or_b64 s[10:11], s[4:5], s[10:11]
	s_andn2_b64 exec, exec, s[10:11]
	s_cbranch_execnz .LBB49_9
.LBB49_10:
	s_or_b64 exec, exec, s[8:9]
	v_mov_b32_e32 v3, 0
	; wave barrier
	ds_read_b32 v1, v3 offset:800
	s_and_saveexec_b64 s[4:5], s[0:1]
	s_cbranch_execz .LBB49_12
; %bb.11:
	s_lshl_b64 s[8:9], s[2:3], 2
	s_add_u32 s8, s6, s8
	s_addc_u32 s9, s7, s9
	s_waitcnt lgkmcnt(0)
	global_store_dword v3, v1, s[8:9]
.LBB49_12:
	s_or_b64 exec, exec, s[4:5]
	s_waitcnt lgkmcnt(0)
	v_cmp_ne_u32_e32 vcc, 0, v1
	s_mov_b64 s[4:5], 0
	s_cbranch_vccnz .LBB49_212
; %bb.13:
	v_mov_b32_e32 v3, v2
	scratch_load_dwordx2 v[4:5], v3, off
                                        ; implicit-def: $vgpr7
                                        ; implicit-def: $vgpr8
	s_waitcnt vmcnt(0)
	v_cmp_ngt_f32_e64 s[4:5], |v4|, |v5|
	s_and_saveexec_b64 s[8:9], s[4:5]
	s_xor_b64 s[4:5], exec, s[8:9]
	s_cbranch_execz .LBB49_15
; %bb.14:
	v_div_scale_f32 v1, s[8:9], v5, v5, v4
	v_rcp_f32_e32 v6, v1
	v_div_scale_f32 v7, vcc, v4, v5, v4
	v_fma_f32 v8, -v1, v6, 1.0
	v_fmac_f32_e32 v6, v8, v6
	v_mul_f32_e32 v8, v7, v6
	v_fma_f32 v9, -v1, v8, v7
	v_fmac_f32_e32 v8, v9, v6
	v_fma_f32 v1, -v1, v8, v7
	v_div_fmas_f32 v1, v1, v6, v8
	v_div_fixup_f32 v1, v1, v5, v4
	v_fmac_f32_e32 v5, v4, v1
	v_div_scale_f32 v4, s[8:9], v5, v5, -1.0
	v_rcp_f32_e32 v6, v4
	s_nop 0
	v_fma_f32 v7, -v4, v6, 1.0
	v_fmac_f32_e32 v6, v7, v6
	v_div_scale_f32 v7, vcc, -1.0, v5, -1.0
	v_mul_f32_e32 v8, v7, v6
	v_fma_f32 v9, -v4, v8, v7
	v_fmac_f32_e32 v8, v9, v6
	v_fma_f32 v4, -v4, v8, v7
	v_div_fmas_f32 v4, v4, v6, v8
	v_div_fixup_f32 v7, v4, v5, -1.0
	v_mul_f32_e32 v8, v1, v7
	v_xor_b32_e32 v6, 0x80000000, v8
                                        ; implicit-def: $vgpr4_vgpr5
.LBB49_15:
	s_andn2_saveexec_b64 s[4:5], s[4:5]
	s_cbranch_execz .LBB49_17
; %bb.16:
	v_div_scale_f32 v1, s[8:9], v4, v4, v5
	v_rcp_f32_e32 v6, v1
	v_div_scale_f32 v7, vcc, v5, v4, v5
	v_fma_f32 v8, -v1, v6, 1.0
	v_fmac_f32_e32 v6, v8, v6
	v_mul_f32_e32 v8, v7, v6
	v_fma_f32 v9, -v1, v8, v7
	v_fmac_f32_e32 v8, v9, v6
	v_fma_f32 v1, -v1, v8, v7
	v_div_fmas_f32 v1, v1, v6, v8
	v_div_fixup_f32 v1, v1, v4, v5
	v_fmac_f32_e32 v4, v5, v1
	v_div_scale_f32 v5, s[8:9], v4, v4, 1.0
	v_rcp_f32_e32 v6, v5
	s_nop 0
	v_fma_f32 v7, -v5, v6, 1.0
	v_fmac_f32_e32 v6, v7, v6
	v_div_scale_f32 v7, vcc, 1.0, v4, 1.0
	v_mul_f32_e32 v8, v7, v6
	v_fma_f32 v9, -v5, v8, v7
	v_fmac_f32_e32 v8, v9, v6
	v_fma_f32 v5, -v5, v8, v7
	v_div_fmas_f32 v5, v5, v6, v8
	v_div_fixup_f32 v6, v5, v4, 1.0
	v_xor_b32_e32 v8, 0x80000000, v6
	v_mul_f32_e64 v7, v1, -v6
.LBB49_17:
	s_or_b64 exec, exec, s[4:5]
	scratch_store_dwordx2 v3, v[6:7], off
	scratch_load_dwordx2 v[4:5], off, off offset:8
	v_xor_b32_e32 v9, 0x80000000, v7
	v_add_u32_e32 v1, 0x190, v2
	s_waitcnt vmcnt(0)
	ds_write2_b64 v2, v[8:9], v[4:5] offset1:50
	s_waitcnt lgkmcnt(0)
	; wave barrier
	s_and_saveexec_b64 s[4:5], s[0:1]
	s_cbranch_execz .LBB49_19
; %bb.18:
	scratch_load_dwordx2 v[4:5], v3, off
	ds_read_b64 v[6:7], v1
	v_mov_b32_e32 v8, 0
	ds_read_b64 v[8:9], v8 offset:8
	s_waitcnt vmcnt(0) lgkmcnt(1)
	v_pk_mul_f32 v[10:11], v[6:7], v[4:5] op_sel:[1,1] op_sel_hi:[0,1]
	v_pk_fma_f32 v[12:13], v[6:7], v[4:5], v[10:11] neg_lo:[0,0,1] neg_hi:[0,0,1]
	v_pk_fma_f32 v[4:5], v[6:7], v[4:5], v[10:11] op_sel_hi:[1,0,1]
	s_nop 0
	v_mov_b32_e32 v13, v5
	v_pk_add_f32 v[4:5], v[12:13], 0 op_sel_hi:[1,0]
	s_waitcnt lgkmcnt(0)
	v_pk_mul_f32 v[6:7], v[4:5], v[8:9] op_sel:[1,1] op_sel_hi:[0,1]
	v_pk_fma_f32 v[10:11], v[4:5], v[8:9], v[6:7] neg_lo:[0,0,1] neg_hi:[0,0,1]
	v_pk_fma_f32 v[4:5], v[4:5], v[8:9], v[6:7] op_sel_hi:[1,0,1]
	s_nop 0
	v_mov_b32_e32 v11, v5
	scratch_store_dwordx2 off, v[10:11], off offset:8
.LBB49_19:
	s_or_b64 exec, exec, s[4:5]
	; wave barrier
	scratch_load_dwordx2 v[4:5], off, off offset:16
	v_cmp_gt_u32_e32 vcc, 2, v0
	s_waitcnt vmcnt(0)
	ds_write_b64 v1, v[4:5]
	s_waitcnt lgkmcnt(0)
	; wave barrier
	s_and_saveexec_b64 s[4:5], vcc
	s_cbranch_execz .LBB49_23
; %bb.20:
	scratch_load_dwordx2 v[4:5], v3, off
	ds_read_b64 v[6:7], v1
	s_waitcnt vmcnt(0) lgkmcnt(0)
	v_pk_mul_f32 v[8:9], v[6:7], v[4:5] op_sel:[1,1] op_sel_hi:[0,1]
	v_pk_fma_f32 v[10:11], v[6:7], v[4:5], v[8:9] neg_lo:[0,0,1] neg_hi:[0,0,1]
	v_pk_fma_f32 v[4:5], v[6:7], v[4:5], v[8:9] op_sel_hi:[1,0,1]
	s_nop 0
	v_mov_b32_e32 v11, v5
	v_pk_add_f32 v[4:5], v[10:11], 0 op_sel_hi:[1,0]
	s_and_saveexec_b64 s[8:9], s[0:1]
	s_cbranch_execz .LBB49_22
; %bb.21:
	scratch_load_dwordx2 v[6:7], off, off offset:8
	v_mov_b32_e32 v3, 0
	ds_read_b64 v[8:9], v3 offset:408
	s_waitcnt vmcnt(0) lgkmcnt(0)
	v_pk_mul_f32 v[10:11], v[8:9], v[6:7] op_sel:[1,1] op_sel_hi:[0,1]
	v_pk_fma_f32 v[12:13], v[8:9], v[6:7], v[10:11] neg_lo:[0,0,1] neg_hi:[0,0,1]
	v_pk_fma_f32 v[6:7], v[8:9], v[6:7], v[10:11] op_sel_hi:[1,0,1]
	s_nop 0
	v_mov_b32_e32 v13, v7
	v_pk_add_f32 v[4:5], v[4:5], v[12:13]
.LBB49_22:
	s_or_b64 exec, exec, s[8:9]
	v_mov_b32_e32 v3, 0
	ds_read_b64 v[6:7], v3 offset:16
	s_waitcnt lgkmcnt(0)
	v_pk_mul_f32 v[8:9], v[4:5], v[6:7] op_sel:[1,1] op_sel_hi:[0,1]
	v_pk_fma_f32 v[10:11], v[4:5], v[6:7], v[8:9] neg_lo:[0,0,1] neg_hi:[0,0,1]
	v_pk_fma_f32 v[4:5], v[4:5], v[6:7], v[8:9] op_sel_hi:[1,0,1]
	s_nop 0
	v_mov_b32_e32 v11, v5
	scratch_store_dwordx2 off, v[10:11], off offset:16
.LBB49_23:
	s_or_b64 exec, exec, s[4:5]
	; wave barrier
	scratch_load_dwordx2 v[4:5], off, off offset:24
	v_cmp_gt_u32_e32 vcc, 3, v0
	v_add_u32_e32 v6, -1, v0
	s_waitcnt vmcnt(0)
	ds_write_b64 v1, v[4:5]
	s_waitcnt lgkmcnt(0)
	; wave barrier
	s_and_saveexec_b64 s[0:1], vcc
	s_cbranch_execz .LBB49_27
; %bb.24:
	v_mov_b32_e32 v4, 0
	v_add_u32_e32 v3, -1, v0
	v_add_u32_e32 v7, 0x190, v2
	v_mov_b32_e32 v8, v2
	s_mov_b64 s[4:5], 0
	v_mov_b32_e32 v5, v4
.LBB49_25:                              ; =>This Inner Loop Header: Depth=1
	scratch_load_dwordx2 v[10:11], v8, off
	ds_read_b64 v[12:13], v7
	v_add_u32_e32 v3, 1, v3
	v_cmp_lt_u32_e32 vcc, 1, v3
	v_add_u32_e32 v7, 8, v7
	v_add_u32_e32 v8, 8, v8
	s_or_b64 s[4:5], vcc, s[4:5]
	s_waitcnt vmcnt(0) lgkmcnt(0)
	v_pk_mul_f32 v[14:15], v[12:13], v[10:11] op_sel:[1,1] op_sel_hi:[0,1]
	v_pk_fma_f32 v[16:17], v[12:13], v[10:11], v[14:15] neg_lo:[0,0,1] neg_hi:[0,0,1]
	v_pk_fma_f32 v[10:11], v[12:13], v[10:11], v[14:15] op_sel_hi:[1,0,1]
	s_nop 0
	v_mov_b32_e32 v17, v11
	v_pk_add_f32 v[4:5], v[4:5], v[16:17]
	s_andn2_b64 exec, exec, s[4:5]
	s_cbranch_execnz .LBB49_25
; %bb.26:
	s_or_b64 exec, exec, s[4:5]
	v_mov_b32_e32 v3, 0
	ds_read_b64 v[8:9], v3 offset:24
	s_waitcnt lgkmcnt(0)
	v_pk_mul_f32 v[10:11], v[4:5], v[8:9] op_sel:[1,1] op_sel_hi:[0,1]
	v_pk_fma_f32 v[12:13], v[4:5], v[8:9], v[10:11] neg_lo:[0,0,1] neg_hi:[0,0,1]
	v_pk_fma_f32 v[4:5], v[4:5], v[8:9], v[10:11] op_sel_hi:[1,0,1]
	s_nop 0
	v_mov_b32_e32 v13, v5
	scratch_store_dwordx2 off, v[12:13], off offset:24
.LBB49_27:
	s_or_b64 exec, exec, s[0:1]
	; wave barrier
	scratch_load_dwordx2 v[4:5], off, off offset:32
	v_cmp_gt_u32_e32 vcc, 4, v0
	s_waitcnt vmcnt(0)
	ds_write_b64 v1, v[4:5]
	s_waitcnt lgkmcnt(0)
	; wave barrier
	s_and_saveexec_b64 s[0:1], vcc
	s_cbranch_execz .LBB49_31
; %bb.28:
	v_mov_b32_e32 v4, 0
	v_add_u32_e32 v3, -1, v0
	v_add_u32_e32 v7, 0x190, v2
	v_mov_b32_e32 v8, v2
	s_mov_b64 s[4:5], 0
	v_mov_b32_e32 v5, v4
.LBB49_29:                              ; =>This Inner Loop Header: Depth=1
	scratch_load_dwordx2 v[10:11], v8, off
	ds_read_b64 v[12:13], v7
	v_add_u32_e32 v3, 1, v3
	v_cmp_lt_u32_e32 vcc, 2, v3
	v_add_u32_e32 v7, 8, v7
	v_add_u32_e32 v8, 8, v8
	s_or_b64 s[4:5], vcc, s[4:5]
	s_waitcnt vmcnt(0) lgkmcnt(0)
	v_pk_mul_f32 v[14:15], v[12:13], v[10:11] op_sel:[1,1] op_sel_hi:[0,1]
	v_pk_fma_f32 v[16:17], v[12:13], v[10:11], v[14:15] neg_lo:[0,0,1] neg_hi:[0,0,1]
	v_pk_fma_f32 v[10:11], v[12:13], v[10:11], v[14:15] op_sel_hi:[1,0,1]
	s_nop 0
	v_mov_b32_e32 v17, v11
	v_pk_add_f32 v[4:5], v[4:5], v[16:17]
	s_andn2_b64 exec, exec, s[4:5]
	s_cbranch_execnz .LBB49_29
; %bb.30:
	s_or_b64 exec, exec, s[4:5]
	v_mov_b32_e32 v3, 0
	ds_read_b64 v[8:9], v3 offset:32
	s_waitcnt lgkmcnt(0)
	v_pk_mul_f32 v[10:11], v[4:5], v[8:9] op_sel:[1,1] op_sel_hi:[0,1]
	v_pk_fma_f32 v[12:13], v[4:5], v[8:9], v[10:11] neg_lo:[0,0,1] neg_hi:[0,0,1]
	v_pk_fma_f32 v[4:5], v[4:5], v[8:9], v[10:11] op_sel_hi:[1,0,1]
	s_nop 0
	v_mov_b32_e32 v13, v5
	scratch_store_dwordx2 off, v[12:13], off offset:32
.LBB49_31:
	s_or_b64 exec, exec, s[0:1]
	; wave barrier
	scratch_load_dwordx2 v[4:5], off, off offset:40
	v_cmp_gt_u32_e32 vcc, 5, v0
	;; [unrolled: 46-line block ×19, first 2 shown]
	s_waitcnt vmcnt(0)
	ds_write_b64 v1, v[4:5]
	s_waitcnt lgkmcnt(0)
	; wave barrier
	s_and_saveexec_b64 s[0:1], vcc
	s_cbranch_execz .LBB49_103
; %bb.100:
	v_mov_b32_e32 v4, 0
	v_add_u32_e32 v3, -1, v0
	v_add_u32_e32 v7, 0x190, v2
	v_mov_b32_e32 v8, v2
	s_mov_b64 s[4:5], 0
	v_mov_b32_e32 v5, v4
.LBB49_101:                             ; =>This Inner Loop Header: Depth=1
	scratch_load_dwordx2 v[10:11], v8, off
	ds_read_b64 v[12:13], v7
	v_add_u32_e32 v3, 1, v3
	v_cmp_lt_u32_e32 vcc, 20, v3
	v_add_u32_e32 v7, 8, v7
	v_add_u32_e32 v8, 8, v8
	s_or_b64 s[4:5], vcc, s[4:5]
	s_waitcnt vmcnt(0) lgkmcnt(0)
	v_pk_mul_f32 v[14:15], v[12:13], v[10:11] op_sel:[1,1] op_sel_hi:[0,1]
	v_pk_fma_f32 v[16:17], v[12:13], v[10:11], v[14:15] neg_lo:[0,0,1] neg_hi:[0,0,1]
	v_pk_fma_f32 v[10:11], v[12:13], v[10:11], v[14:15] op_sel_hi:[1,0,1]
	s_nop 0
	v_mov_b32_e32 v17, v11
	v_pk_add_f32 v[4:5], v[4:5], v[16:17]
	s_andn2_b64 exec, exec, s[4:5]
	s_cbranch_execnz .LBB49_101
; %bb.102:
	s_or_b64 exec, exec, s[4:5]
	v_mov_b32_e32 v3, 0
	ds_read_b64 v[8:9], v3 offset:176
	s_waitcnt lgkmcnt(0)
	v_pk_mul_f32 v[10:11], v[4:5], v[8:9] op_sel:[1,1] op_sel_hi:[0,1]
	v_pk_fma_f32 v[12:13], v[4:5], v[8:9], v[10:11] neg_lo:[0,0,1] neg_hi:[0,0,1]
	v_pk_fma_f32 v[4:5], v[4:5], v[8:9], v[10:11] op_sel_hi:[1,0,1]
	s_nop 0
	v_mov_b32_e32 v13, v5
	scratch_store_dwordx2 off, v[12:13], off offset:176
.LBB49_103:
	s_or_b64 exec, exec, s[0:1]
	; wave barrier
	scratch_load_dwordx2 v[4:5], off, off offset:184
	v_cmp_gt_u32_e32 vcc, 23, v0
	s_waitcnt vmcnt(0)
	ds_write_b64 v1, v[4:5]
	s_waitcnt lgkmcnt(0)
	; wave barrier
	s_and_saveexec_b64 s[0:1], vcc
	s_cbranch_execz .LBB49_107
; %bb.104:
	v_mov_b32_e32 v4, 0
	v_add_u32_e32 v3, -1, v0
	v_add_u32_e32 v7, 0x190, v2
	v_mov_b32_e32 v8, v2
	s_mov_b64 s[4:5], 0
	v_mov_b32_e32 v5, v4
.LBB49_105:                             ; =>This Inner Loop Header: Depth=1
	scratch_load_dwordx2 v[10:11], v8, off
	ds_read_b64 v[12:13], v7
	v_add_u32_e32 v3, 1, v3
	v_cmp_lt_u32_e32 vcc, 21, v3
	v_add_u32_e32 v7, 8, v7
	v_add_u32_e32 v8, 8, v8
	s_or_b64 s[4:5], vcc, s[4:5]
	s_waitcnt vmcnt(0) lgkmcnt(0)
	v_pk_mul_f32 v[14:15], v[12:13], v[10:11] op_sel:[1,1] op_sel_hi:[0,1]
	v_pk_fma_f32 v[16:17], v[12:13], v[10:11], v[14:15] neg_lo:[0,0,1] neg_hi:[0,0,1]
	v_pk_fma_f32 v[10:11], v[12:13], v[10:11], v[14:15] op_sel_hi:[1,0,1]
	s_nop 0
	v_mov_b32_e32 v17, v11
	v_pk_add_f32 v[4:5], v[4:5], v[16:17]
	s_andn2_b64 exec, exec, s[4:5]
	s_cbranch_execnz .LBB49_105
; %bb.106:
	s_or_b64 exec, exec, s[4:5]
	v_mov_b32_e32 v3, 0
	ds_read_b64 v[8:9], v3 offset:184
	s_waitcnt lgkmcnt(0)
	v_pk_mul_f32 v[10:11], v[4:5], v[8:9] op_sel:[1,1] op_sel_hi:[0,1]
	v_pk_fma_f32 v[12:13], v[4:5], v[8:9], v[10:11] neg_lo:[0,0,1] neg_hi:[0,0,1]
	v_pk_fma_f32 v[4:5], v[4:5], v[8:9], v[10:11] op_sel_hi:[1,0,1]
	s_nop 0
	v_mov_b32_e32 v13, v5
	scratch_store_dwordx2 off, v[12:13], off offset:184
.LBB49_107:
	s_or_b64 exec, exec, s[0:1]
	; wave barrier
	scratch_load_dwordx2 v[4:5], off, off offset:192
	v_cmp_gt_u32_e32 vcc, 24, v0
	;; [unrolled: 46-line block ×26, first 2 shown]
	s_waitcnt vmcnt(0)
	ds_write_b64 v1, v[4:5]
	s_waitcnt lgkmcnt(0)
	; wave barrier
	s_and_saveexec_b64 s[0:1], vcc
	s_cbranch_execz .LBB49_207
; %bb.204:
	v_mov_b32_e32 v4, 0
	v_add_u32_e32 v3, -1, v0
	v_add_u32_e32 v7, 0x190, v2
	v_mov_b32_e32 v8, v2
	s_mov_b64 s[4:5], 0
	v_mov_b32_e32 v5, v4
.LBB49_205:                             ; =>This Inner Loop Header: Depth=1
	scratch_load_dwordx2 v[10:11], v8, off
	ds_read_b64 v[12:13], v7
	v_add_u32_e32 v3, 1, v3
	v_cmp_lt_u32_e32 vcc, 46, v3
	v_add_u32_e32 v7, 8, v7
	v_add_u32_e32 v8, 8, v8
	s_or_b64 s[4:5], vcc, s[4:5]
	s_waitcnt vmcnt(0) lgkmcnt(0)
	v_pk_mul_f32 v[14:15], v[12:13], v[10:11] op_sel:[1,1] op_sel_hi:[0,1]
	v_pk_fma_f32 v[16:17], v[12:13], v[10:11], v[14:15] neg_lo:[0,0,1] neg_hi:[0,0,1]
	v_pk_fma_f32 v[10:11], v[12:13], v[10:11], v[14:15] op_sel_hi:[1,0,1]
	s_nop 0
	v_mov_b32_e32 v17, v11
	v_pk_add_f32 v[4:5], v[4:5], v[16:17]
	s_andn2_b64 exec, exec, s[4:5]
	s_cbranch_execnz .LBB49_205
; %bb.206:
	s_or_b64 exec, exec, s[4:5]
	v_mov_b32_e32 v3, 0
	ds_read_b64 v[8:9], v3 offset:384
	s_waitcnt lgkmcnt(0)
	v_pk_mul_f32 v[10:11], v[4:5], v[8:9] op_sel:[1,1] op_sel_hi:[0,1]
	v_pk_fma_f32 v[12:13], v[4:5], v[8:9], v[10:11] neg_lo:[0,0,1] neg_hi:[0,0,1]
	v_pk_fma_f32 v[4:5], v[4:5], v[8:9], v[10:11] op_sel_hi:[1,0,1]
	s_nop 0
	v_mov_b32_e32 v13, v5
	scratch_store_dwordx2 off, v[12:13], off offset:384
.LBB49_207:
	s_or_b64 exec, exec, s[0:1]
	; wave barrier
	scratch_load_dwordx2 v[4:5], off, off offset:392
	v_cmp_ne_u32_e32 vcc, 49, v0
	s_waitcnt vmcnt(0)
	ds_write_b64 v1, v[4:5]
	s_waitcnt lgkmcnt(0)
	; wave barrier
	s_and_saveexec_b64 s[0:1], vcc
	s_cbranch_execz .LBB49_211
; %bb.208:
	v_add_u32_e32 v1, 0x190, v2
	v_mov_b32_e32 v4, v2
	v_mov_b32_e32 v2, 0
	s_mov_b64 s[4:5], 0
	v_mov_b32_e32 v3, v2
.LBB49_209:                             ; =>This Inner Loop Header: Depth=1
	scratch_load_dwordx2 v[8:9], v4, off
	ds_read_b64 v[10:11], v1
	v_add_u32_e32 v6, 1, v6
	v_cmp_lt_u32_e32 vcc, 47, v6
	v_add_u32_e32 v1, 8, v1
	v_add_u32_e32 v4, 8, v4
	s_or_b64 s[4:5], vcc, s[4:5]
	s_waitcnt vmcnt(0) lgkmcnt(0)
	v_pk_mul_f32 v[12:13], v[10:11], v[8:9] op_sel:[1,1] op_sel_hi:[0,1]
	v_pk_fma_f32 v[14:15], v[10:11], v[8:9], v[12:13] neg_lo:[0,0,1] neg_hi:[0,0,1]
	v_pk_fma_f32 v[8:9], v[10:11], v[8:9], v[12:13] op_sel_hi:[1,0,1]
	s_nop 0
	v_mov_b32_e32 v15, v9
	v_pk_add_f32 v[2:3], v[2:3], v[14:15]
	s_andn2_b64 exec, exec, s[4:5]
	s_cbranch_execnz .LBB49_209
; %bb.210:
	s_or_b64 exec, exec, s[4:5]
	v_mov_b32_e32 v1, 0
	ds_read_b64 v[4:5], v1 offset:392
	s_waitcnt lgkmcnt(0)
	v_pk_mul_f32 v[6:7], v[2:3], v[4:5] op_sel:[1,1] op_sel_hi:[0,1]
	v_pk_fma_f32 v[8:9], v[2:3], v[4:5], v[6:7] neg_lo:[0,0,1] neg_hi:[0,0,1]
	v_pk_fma_f32 v[2:3], v[2:3], v[4:5], v[6:7] op_sel_hi:[1,0,1]
	s_nop 0
	v_mov_b32_e32 v9, v3
	scratch_store_dwordx2 off, v[8:9], off offset:392
.LBB49_211:
	s_or_b64 exec, exec, s[0:1]
	s_mov_b64 s[4:5], -1
	; wave barrier
.LBB49_212:
	s_and_b64 vcc, exec, s[4:5]
	s_cbranch_vccz .LBB49_214
; %bb.213:
	s_lshl_b64 s[0:1], s[2:3], 2
	s_add_u32 s0, s6, s0
	s_addc_u32 s1, s7, s1
	v_mov_b32_e32 v1, 0
	global_load_dword v1, v1, s[0:1]
	s_waitcnt vmcnt(0)
	v_cmp_ne_u32_e32 vcc, 0, v1
	s_cbranch_vccz .LBB49_215
.LBB49_214:
	s_endpgm
.LBB49_215:
	v_mov_b32_e32 v1, 0x190
	v_lshl_add_u32 v1, v0, 3, v1
	v_cmp_eq_u32_e32 vcc, 49, v0
	s_and_saveexec_b64 s[0:1], vcc
	s_cbranch_execz .LBB49_217
; %bb.216:
	scratch_load_dwordx2 v[2:3], off, off offset:384
	v_mov_b32_e32 v4, 0
	v_mov_b32_e32 v5, v4
	scratch_store_dwordx2 off, v[4:5], off offset:384
	s_waitcnt vmcnt(1)
	ds_write_b64 v1, v[2:3]
.LBB49_217:
	s_or_b64 exec, exec, s[0:1]
	s_waitcnt lgkmcnt(0)
	; wave barrier
	scratch_load_dwordx2 v[4:5], off, off offset:392
	scratch_load_dwordx2 v[6:7], off, off offset:384
	v_mov_b32_e32 v2, 0
	ds_read_b64 v[8:9], v2 offset:792
	v_cmp_lt_u32_e32 vcc, 47, v0
	s_waitcnt vmcnt(1) lgkmcnt(0)
	v_pk_mul_f32 v[10:11], v[8:9], v[4:5] op_sel:[1,1] op_sel_hi:[0,1]
	v_pk_fma_f32 v[12:13], v[8:9], v[4:5], v[10:11] neg_lo:[0,0,1] neg_hi:[0,0,1]
	v_pk_fma_f32 v[4:5], v[8:9], v[4:5], v[10:11] op_sel_hi:[1,0,1]
	s_nop 0
	v_mov_b32_e32 v13, v5
	v_pk_add_f32 v[4:5], v[12:13], 0 op_sel_hi:[1,0]
	s_waitcnt vmcnt(0)
	v_pk_add_f32 v[4:5], v[6:7], v[4:5] neg_lo:[0,1] neg_hi:[0,1]
	scratch_store_dwordx2 off, v[4:5], off offset:384
	s_and_saveexec_b64 s[0:1], vcc
	s_cbranch_execz .LBB49_219
; %bb.218:
	scratch_load_dwordx2 v[4:5], off, off offset:376
	v_mov_b32_e32 v3, v2
	scratch_store_dwordx2 off, v[2:3], off offset:376
	s_waitcnt vmcnt(1)
	ds_write_b64 v1, v[4:5]
.LBB49_219:
	s_or_b64 exec, exec, s[0:1]
	s_waitcnt lgkmcnt(0)
	; wave barrier
	scratch_load_dwordx4 v[4:7], off, off offset:384
	scratch_load_dwordx2 v[12:13], off, off offset:376
	ds_read_b128 v[8:11], v2 offset:784
	v_cmp_lt_u32_e32 vcc, 46, v0
	s_waitcnt vmcnt(1) lgkmcnt(0)
	v_pk_mul_f32 v[2:3], v[8:9], v[4:5] op_sel:[1,1] op_sel_hi:[0,1]
	v_mov_b32_e32 v14, v7
	v_pk_fma_f32 v[16:17], v[8:9], v[4:5], v[2:3] neg_lo:[0,0,1] neg_hi:[0,0,1]
	v_pk_fma_f32 v[2:3], v[8:9], v[4:5], v[2:3] op_sel_hi:[1,0,1]
	v_pk_mul_f32 v[4:5], v[10:11], v[14:15] op_sel:[1,0] op_sel_hi:[0,0]
	v_mov_b32_e32 v17, v3
	v_pk_fma_f32 v[2:3], v[10:11], v[6:7], v[4:5] neg_lo:[0,0,1] neg_hi:[0,0,1]
	v_pk_fma_f32 v[4:5], v[10:11], v[6:7], v[4:5] op_sel_hi:[1,0,1]
	v_pk_add_f32 v[6:7], v[16:17], 0 op_sel_hi:[1,0]
	v_mov_b32_e32 v3, v5
	v_pk_add_f32 v[2:3], v[6:7], v[2:3]
	s_waitcnt vmcnt(0)
	v_pk_add_f32 v[2:3], v[12:13], v[2:3] neg_lo:[0,1] neg_hi:[0,1]
	scratch_store_dwordx2 off, v[2:3], off offset:376
	s_and_saveexec_b64 s[0:1], vcc
	s_cbranch_execz .LBB49_221
; %bb.220:
	scratch_load_dwordx2 v[2:3], off, off offset:368
	v_mov_b32_e32 v4, 0
	v_mov_b32_e32 v5, v4
	scratch_store_dwordx2 off, v[4:5], off offset:368
	s_waitcnt vmcnt(1)
	ds_write_b64 v1, v[2:3]
.LBB49_221:
	s_or_b64 exec, exec, s[0:1]
	s_waitcnt lgkmcnt(0)
	; wave barrier
	scratch_load_dwordx4 v[4:7], off, off offset:376
	scratch_load_dwordx2 v[12:13], off, off offset:392
	scratch_load_dwordx2 v[14:15], off, off offset:368
	v_mov_b32_e32 v2, 0
	ds_read2_b64 v[8:11], v2 offset0:97 offset1:98
	ds_read_b64 v[16:17], v2 offset:792
	v_cmp_lt_u32_e32 vcc, 45, v0
	s_waitcnt vmcnt(2) lgkmcnt(1)
	v_pk_mul_f32 v[18:19], v[8:9], v[4:5] op_sel:[1,1] op_sel_hi:[0,1]
	v_mov_b32_e32 v20, v7
	v_pk_fma_f32 v[24:25], v[8:9], v[4:5], v[18:19] neg_lo:[0,0,1] neg_hi:[0,0,1]
	v_pk_fma_f32 v[4:5], v[8:9], v[4:5], v[18:19] op_sel_hi:[1,0,1]
	v_pk_mul_f32 v[8:9], v[10:11], v[20:21] op_sel:[1,0] op_sel_hi:[0,0]
	s_waitcnt vmcnt(1) lgkmcnt(0)
	v_pk_mul_f32 v[22:23], v[16:17], v[12:13] op_sel:[1,1] op_sel_hi:[0,1]
	v_mov_b32_e32 v25, v5
	v_pk_fma_f32 v[4:5], v[10:11], v[6:7], v[8:9] neg_lo:[0,0,1] neg_hi:[0,0,1]
	v_pk_fma_f32 v[6:7], v[10:11], v[6:7], v[8:9] op_sel_hi:[1,0,1]
	v_pk_fma_f32 v[18:19], v[16:17], v[12:13], v[22:23] neg_lo:[0,0,1] neg_hi:[0,0,1]
	v_pk_fma_f32 v[12:13], v[16:17], v[12:13], v[22:23] op_sel_hi:[1,0,1]
	v_pk_add_f32 v[8:9], v[24:25], 0 op_sel_hi:[1,0]
	v_mov_b32_e32 v5, v7
	v_mov_b32_e32 v19, v13
	v_pk_add_f32 v[4:5], v[8:9], v[4:5]
	s_nop 0
	v_pk_add_f32 v[4:5], v[4:5], v[18:19]
	s_waitcnt vmcnt(0)
	v_pk_add_f32 v[4:5], v[14:15], v[4:5] neg_lo:[0,1] neg_hi:[0,1]
	scratch_store_dwordx2 off, v[4:5], off offset:368
	s_and_saveexec_b64 s[0:1], vcc
	s_cbranch_execz .LBB49_223
; %bb.222:
	scratch_load_dwordx2 v[4:5], off, off offset:360
	v_mov_b32_e32 v3, v2
	scratch_store_dwordx2 off, v[2:3], off offset:360
	s_waitcnt vmcnt(1)
	ds_write_b64 v1, v[4:5]
.LBB49_223:
	s_or_b64 exec, exec, s[0:1]
	s_waitcnt lgkmcnt(0)
	; wave barrier
	scratch_load_dwordx4 v[4:7], off, off offset:368
	scratch_load_dwordx4 v[8:11], off, off offset:384
	ds_read_b128 v[12:15], v2 offset:768
	ds_read_b128 v[16:19], v2 offset:784
	v_cmp_lt_u32_e32 vcc, 44, v0
	s_waitcnt vmcnt(1) lgkmcnt(1)
	v_pk_mul_f32 v[2:3], v[12:13], v[4:5] op_sel:[1,1] op_sel_hi:[0,1]
	v_pk_fma_f32 v[20:21], v[12:13], v[4:5], v[2:3] neg_lo:[0,0,1] neg_hi:[0,0,1]
	v_pk_fma_f32 v[2:3], v[12:13], v[4:5], v[2:3] op_sel_hi:[1,0,1]
	v_mov_b32_e32 v4, v7
	v_pk_mul_f32 v[4:5], v[14:15], v[4:5] op_sel:[1,0] op_sel_hi:[0,0]
	v_pk_fma_f32 v[12:13], v[14:15], v[6:7], v[4:5] neg_lo:[0,0,1] neg_hi:[0,0,1]
	v_pk_fma_f32 v[4:5], v[14:15], v[6:7], v[4:5] op_sel_hi:[1,0,1]
	v_mov_b32_e32 v21, v3
	v_mov_b32_e32 v13, v5
	s_waitcnt vmcnt(0) lgkmcnt(0)
	v_pk_mul_f32 v[4:5], v[16:17], v[8:9] op_sel:[1,1] op_sel_hi:[0,1]
	v_pk_fma_f32 v[6:7], v[16:17], v[8:9], v[4:5] neg_lo:[0,0,1] neg_hi:[0,0,1]
	v_pk_fma_f32 v[4:5], v[16:17], v[8:9], v[4:5] op_sel_hi:[1,0,1]
	v_pk_add_f32 v[2:3], v[20:21], 0 op_sel_hi:[1,0]
	v_mov_b32_e32 v4, v11
	v_pk_add_f32 v[2:3], v[2:3], v[12:13]
	v_mov_b32_e32 v7, v5
	v_pk_mul_f32 v[4:5], v[18:19], v[4:5] op_sel:[1,0] op_sel_hi:[0,0]
	v_pk_add_f32 v[2:3], v[2:3], v[6:7]
	v_pk_fma_f32 v[6:7], v[18:19], v[10:11], v[4:5] neg_lo:[0,0,1] neg_hi:[0,0,1]
	v_pk_fma_f32 v[4:5], v[18:19], v[10:11], v[4:5] op_sel_hi:[1,0,1]
	s_nop 0
	v_mov_b32_e32 v7, v5
	scratch_load_dwordx2 v[4:5], off, off offset:360
	v_pk_add_f32 v[2:3], v[2:3], v[6:7]
	s_waitcnt vmcnt(0)
	v_pk_add_f32 v[2:3], v[4:5], v[2:3] neg_lo:[0,1] neg_hi:[0,1]
	scratch_store_dwordx2 off, v[2:3], off offset:360
	s_and_saveexec_b64 s[0:1], vcc
	s_cbranch_execz .LBB49_225
; %bb.224:
	scratch_load_dwordx2 v[2:3], off, off offset:352
	v_mov_b32_e32 v4, 0
	v_mov_b32_e32 v5, v4
	scratch_store_dwordx2 off, v[4:5], off offset:352
	s_waitcnt vmcnt(1)
	ds_write_b64 v1, v[2:3]
.LBB49_225:
	s_or_b64 exec, exec, s[0:1]
	s_waitcnt lgkmcnt(0)
	; wave barrier
	scratch_load_dwordx4 v[4:7], off, off offset:360
	scratch_load_dwordx4 v[8:11], off, off offset:376
	scratch_load_dwordx2 v[20:21], off, off offset:392
	v_mov_b32_e32 v2, 0
	ds_read2_b64 v[12:15], v2 offset0:95 offset1:96
	ds_read2_b64 v[16:19], v2 offset0:97 offset1:98
	ds_read_b64 v[22:23], v2 offset:792
	v_cmp_lt_u32_e32 vcc, 43, v0
	s_waitcnt vmcnt(2) lgkmcnt(2)
	v_pk_mul_f32 v[24:25], v[12:13], v[4:5] op_sel:[1,1] op_sel_hi:[0,1]
	v_pk_fma_f32 v[26:27], v[12:13], v[4:5], v[24:25] neg_lo:[0,0,1] neg_hi:[0,0,1]
	v_pk_fma_f32 v[4:5], v[12:13], v[4:5], v[24:25] op_sel_hi:[1,0,1]
	v_mov_b32_e32 v12, v7
	v_pk_mul_f32 v[12:13], v[14:15], v[12:13] op_sel:[1,0] op_sel_hi:[0,0]
	v_pk_fma_f32 v[24:25], v[14:15], v[6:7], v[12:13] neg_lo:[0,0,1] neg_hi:[0,0,1]
	v_pk_fma_f32 v[6:7], v[14:15], v[6:7], v[12:13] op_sel_hi:[1,0,1]
	v_mov_b32_e32 v27, v5
	v_mov_b32_e32 v25, v7
	s_waitcnt vmcnt(1) lgkmcnt(1)
	v_pk_mul_f32 v[6:7], v[16:17], v[8:9] op_sel:[1,1] op_sel_hi:[0,1]
	v_pk_fma_f32 v[12:13], v[16:17], v[8:9], v[6:7] neg_lo:[0,0,1] neg_hi:[0,0,1]
	v_pk_fma_f32 v[6:7], v[16:17], v[8:9], v[6:7] op_sel_hi:[1,0,1]
	v_pk_add_f32 v[4:5], v[26:27], 0 op_sel_hi:[1,0]
	v_mov_b32_e32 v6, v11
	v_mov_b32_e32 v13, v7
	v_pk_mul_f32 v[6:7], v[18:19], v[6:7] op_sel:[1,0] op_sel_hi:[0,0]
	v_pk_add_f32 v[4:5], v[4:5], v[24:25]
	v_pk_fma_f32 v[8:9], v[18:19], v[10:11], v[6:7] neg_lo:[0,0,1] neg_hi:[0,0,1]
	v_pk_fma_f32 v[6:7], v[18:19], v[10:11], v[6:7] op_sel_hi:[1,0,1]
	v_pk_add_f32 v[4:5], v[4:5], v[12:13]
	v_mov_b32_e32 v9, v7
	s_waitcnt vmcnt(0) lgkmcnt(0)
	v_pk_mul_f32 v[6:7], v[22:23], v[20:21] op_sel:[1,1] op_sel_hi:[0,1]
	v_pk_add_f32 v[4:5], v[4:5], v[8:9]
	v_pk_fma_f32 v[8:9], v[22:23], v[20:21], v[6:7] neg_lo:[0,0,1] neg_hi:[0,0,1]
	v_pk_fma_f32 v[6:7], v[22:23], v[20:21], v[6:7] op_sel_hi:[1,0,1]
	s_nop 0
	v_mov_b32_e32 v9, v7
	scratch_load_dwordx2 v[6:7], off, off offset:352
	v_pk_add_f32 v[4:5], v[4:5], v[8:9]
	s_waitcnt vmcnt(0)
	v_pk_add_f32 v[4:5], v[6:7], v[4:5] neg_lo:[0,1] neg_hi:[0,1]
	scratch_store_dwordx2 off, v[4:5], off offset:352
	s_and_saveexec_b64 s[0:1], vcc
	s_cbranch_execz .LBB49_227
; %bb.226:
	scratch_load_dwordx2 v[4:5], off, off offset:344
	v_mov_b32_e32 v3, v2
	scratch_store_dwordx2 off, v[2:3], off offset:344
	s_waitcnt vmcnt(1)
	ds_write_b64 v1, v[4:5]
.LBB49_227:
	s_or_b64 exec, exec, s[0:1]
	s_waitcnt lgkmcnt(0)
	; wave barrier
	scratch_load_dwordx4 v[4:7], off, off offset:352
	scratch_load_dwordx4 v[8:11], off, off offset:368
	;; [unrolled: 1-line block ×3, first 2 shown]
	scratch_load_dwordx2 v[28:29], off, off offset:344
	ds_read_b128 v[16:19], v2 offset:752
	ds_read_b128 v[20:23], v2 offset:768
	;; [unrolled: 1-line block ×3, first 2 shown]
	v_cmp_lt_u32_e32 vcc, 42, v0
	s_waitcnt vmcnt(3) lgkmcnt(2)
	v_pk_mul_f32 v[2:3], v[16:17], v[4:5] op_sel:[1,1] op_sel_hi:[0,1]
	v_mov_b32_e32 v30, v7
	s_waitcnt vmcnt(2) lgkmcnt(1)
	v_pk_mul_f32 v[32:33], v[20:21], v[8:9] op_sel:[1,1] op_sel_hi:[0,1]
	v_mov_b32_e32 v34, v11
	;; [unrolled: 3-line block ×3, first 2 shown]
	v_pk_fma_f32 v[40:41], v[16:17], v[4:5], v[2:3] neg_lo:[0,0,1] neg_hi:[0,0,1]
	v_pk_fma_f32 v[2:3], v[16:17], v[4:5], v[2:3] op_sel_hi:[1,0,1]
	v_pk_mul_f32 v[4:5], v[18:19], v[30:31] op_sel:[1,0] op_sel_hi:[0,0]
	v_pk_fma_f32 v[16:17], v[20:21], v[8:9], v[32:33] neg_lo:[0,0,1] neg_hi:[0,0,1]
	v_pk_fma_f32 v[8:9], v[20:21], v[8:9], v[32:33] op_sel_hi:[1,0,1]
	v_pk_mul_f32 v[20:21], v[22:23], v[34:35] op_sel:[1,0] op_sel_hi:[0,0]
	;; [unrolled: 3-line block ×3, first 2 shown]
	v_mov_b32_e32 v41, v3
	v_pk_fma_f32 v[2:3], v[18:19], v[6:7], v[4:5] neg_lo:[0,0,1] neg_hi:[0,0,1]
	v_pk_fma_f32 v[4:5], v[18:19], v[6:7], v[4:5] op_sel_hi:[1,0,1]
	v_mov_b32_e32 v17, v9
	v_pk_fma_f32 v[6:7], v[22:23], v[10:11], v[20:21] neg_lo:[0,0,1] neg_hi:[0,0,1]
	v_pk_fma_f32 v[8:9], v[22:23], v[10:11], v[20:21] op_sel_hi:[1,0,1]
	;; [unrolled: 3-line block ×3, first 2 shown]
	v_pk_add_f32 v[14:15], v[40:41], 0 op_sel_hi:[1,0]
	v_mov_b32_e32 v3, v5
	v_pk_add_f32 v[2:3], v[14:15], v[2:3]
	v_mov_b32_e32 v7, v9
	v_pk_add_f32 v[2:3], v[2:3], v[16:17]
	;; [unrolled: 2-line block ×3, first 2 shown]
	s_nop 0
	v_pk_add_f32 v[2:3], v[2:3], v[30:31]
	s_nop 0
	v_pk_add_f32 v[2:3], v[2:3], v[10:11]
	s_waitcnt vmcnt(0)
	v_pk_add_f32 v[2:3], v[28:29], v[2:3] neg_lo:[0,1] neg_hi:[0,1]
	scratch_store_dwordx2 off, v[2:3], off offset:344
	s_and_saveexec_b64 s[0:1], vcc
	s_cbranch_execz .LBB49_229
; %bb.228:
	scratch_load_dwordx2 v[2:3], off, off offset:336
	v_mov_b32_e32 v4, 0
	v_mov_b32_e32 v5, v4
	scratch_store_dwordx2 off, v[4:5], off offset:336
	s_waitcnt vmcnt(1)
	ds_write_b64 v1, v[2:3]
.LBB49_229:
	s_or_b64 exec, exec, s[0:1]
	s_waitcnt lgkmcnt(0)
	; wave barrier
	scratch_load_dwordx4 v[4:7], off, off offset:344
	scratch_load_dwordx4 v[8:11], off, off offset:360
	;; [unrolled: 1-line block ×3, first 2 shown]
	scratch_load_dwordx2 v[28:29], off, off offset:392
	scratch_load_dwordx2 v[30:31], off, off offset:336
	v_mov_b32_e32 v2, 0
	ds_read2_b64 v[16:19], v2 offset0:93 offset1:94
	ds_read2_b64 v[20:23], v2 offset0:95 offset1:96
	;; [unrolled: 1-line block ×3, first 2 shown]
	ds_read_b64 v[32:33], v2 offset:792
	v_cmp_lt_u32_e32 vcc, 41, v0
	s_waitcnt vmcnt(4) lgkmcnt(3)
	v_pk_mul_f32 v[34:35], v[16:17], v[4:5] op_sel:[1,1] op_sel_hi:[0,1]
	v_mov_b32_e32 v36, v7
	v_pk_fma_f32 v[48:49], v[16:17], v[4:5], v[34:35] neg_lo:[0,0,1] neg_hi:[0,0,1]
	v_pk_fma_f32 v[4:5], v[16:17], v[4:5], v[34:35] op_sel_hi:[1,0,1]
	v_pk_mul_f32 v[16:17], v[18:19], v[36:37] op_sel:[1,0] op_sel_hi:[0,0]
	s_waitcnt vmcnt(3) lgkmcnt(2)
	v_pk_mul_f32 v[38:39], v[20:21], v[8:9] op_sel:[1,1] op_sel_hi:[0,1]
	v_mov_b32_e32 v40, v11
	v_mov_b32_e32 v49, v5
	v_pk_fma_f32 v[4:5], v[18:19], v[6:7], v[16:17] neg_lo:[0,0,1] neg_hi:[0,0,1]
	v_pk_fma_f32 v[6:7], v[18:19], v[6:7], v[16:17] op_sel_hi:[1,0,1]
	v_pk_fma_f32 v[34:35], v[20:21], v[8:9], v[38:39] neg_lo:[0,0,1] neg_hi:[0,0,1]
	v_pk_fma_f32 v[8:9], v[20:21], v[8:9], v[38:39] op_sel_hi:[1,0,1]
	v_pk_mul_f32 v[20:21], v[22:23], v[40:41] op_sel:[1,0] op_sel_hi:[0,0]
	v_pk_add_f32 v[16:17], v[48:49], 0 op_sel_hi:[1,0]
	v_mov_b32_e32 v5, v7
	s_waitcnt vmcnt(2) lgkmcnt(1)
	v_pk_mul_f32 v[42:43], v[24:25], v[12:13] op_sel:[1,1] op_sel_hi:[0,1]
	v_mov_b32_e32 v44, v15
	v_mov_b32_e32 v35, v9
	v_pk_fma_f32 v[8:9], v[22:23], v[10:11], v[20:21] neg_lo:[0,0,1] neg_hi:[0,0,1]
	v_pk_fma_f32 v[10:11], v[22:23], v[10:11], v[20:21] op_sel_hi:[1,0,1]
	v_pk_add_f32 v[4:5], v[16:17], v[4:5]
	v_pk_fma_f32 v[36:37], v[24:25], v[12:13], v[42:43] neg_lo:[0,0,1] neg_hi:[0,0,1]
	v_pk_fma_f32 v[12:13], v[24:25], v[12:13], v[42:43] op_sel_hi:[1,0,1]
	v_pk_mul_f32 v[24:25], v[26:27], v[44:45] op_sel:[1,0] op_sel_hi:[0,0]
	v_mov_b32_e32 v9, v11
	v_pk_add_f32 v[4:5], v[4:5], v[34:35]
	s_waitcnt vmcnt(1) lgkmcnt(0)
	v_pk_mul_f32 v[46:47], v[32:33], v[28:29] op_sel:[1,1] op_sel_hi:[0,1]
	v_mov_b32_e32 v37, v13
	v_pk_fma_f32 v[12:13], v[26:27], v[14:15], v[24:25] neg_lo:[0,0,1] neg_hi:[0,0,1]
	v_pk_fma_f32 v[14:15], v[26:27], v[14:15], v[24:25] op_sel_hi:[1,0,1]
	v_pk_add_f32 v[4:5], v[4:5], v[8:9]
	v_pk_fma_f32 v[38:39], v[32:33], v[28:29], v[46:47] neg_lo:[0,0,1] neg_hi:[0,0,1]
	v_pk_fma_f32 v[28:29], v[32:33], v[28:29], v[46:47] op_sel_hi:[1,0,1]
	v_mov_b32_e32 v13, v15
	v_pk_add_f32 v[4:5], v[4:5], v[36:37]
	v_mov_b32_e32 v39, v29
	v_pk_add_f32 v[4:5], v[4:5], v[12:13]
	s_nop 0
	v_pk_add_f32 v[4:5], v[4:5], v[38:39]
	s_waitcnt vmcnt(0)
	v_pk_add_f32 v[4:5], v[30:31], v[4:5] neg_lo:[0,1] neg_hi:[0,1]
	scratch_store_dwordx2 off, v[4:5], off offset:336
	s_and_saveexec_b64 s[0:1], vcc
	s_cbranch_execz .LBB49_231
; %bb.230:
	scratch_load_dwordx2 v[4:5], off, off offset:328
	v_mov_b32_e32 v3, v2
	scratch_store_dwordx2 off, v[2:3], off offset:328
	s_waitcnt vmcnt(1)
	ds_write_b64 v1, v[4:5]
.LBB49_231:
	s_or_b64 exec, exec, s[0:1]
	s_waitcnt lgkmcnt(0)
	; wave barrier
	scratch_load_dwordx4 v[4:7], off, off offset:336
	scratch_load_dwordx4 v[8:11], off, off offset:352
	;; [unrolled: 1-line block ×4, first 2 shown]
	scratch_load_dwordx2 v[36:37], off, off offset:328
	ds_read_b128 v[20:23], v2 offset:736
	ds_read_b128 v[24:27], v2 offset:752
	;; [unrolled: 1-line block ×4, first 2 shown]
	v_cmp_lt_u32_e32 vcc, 40, v0
	s_waitcnt vmcnt(4) lgkmcnt(3)
	v_pk_mul_f32 v[2:3], v[20:21], v[4:5] op_sel:[1,1] op_sel_hi:[0,1]
	v_mov_b32_e32 v38, v7
	s_waitcnt vmcnt(3) lgkmcnt(2)
	v_pk_mul_f32 v[40:41], v[24:25], v[8:9] op_sel:[1,1] op_sel_hi:[0,1]
	v_mov_b32_e32 v42, v11
	;; [unrolled: 3-line block ×4, first 2 shown]
	v_pk_fma_f32 v[52:53], v[20:21], v[4:5], v[2:3] neg_lo:[0,0,1] neg_hi:[0,0,1]
	v_pk_fma_f32 v[2:3], v[20:21], v[4:5], v[2:3] op_sel_hi:[1,0,1]
	v_pk_mul_f32 v[4:5], v[22:23], v[38:39] op_sel:[1,0] op_sel_hi:[0,0]
	v_pk_fma_f32 v[20:21], v[24:25], v[8:9], v[40:41] neg_lo:[0,0,1] neg_hi:[0,0,1]
	v_pk_fma_f32 v[8:9], v[24:25], v[8:9], v[40:41] op_sel_hi:[1,0,1]
	v_pk_mul_f32 v[24:25], v[26:27], v[42:43] op_sel:[1,0] op_sel_hi:[0,0]
	;; [unrolled: 3-line block ×4, first 2 shown]
	v_mov_b32_e32 v53, v3
	v_pk_fma_f32 v[2:3], v[22:23], v[6:7], v[4:5] neg_lo:[0,0,1] neg_hi:[0,0,1]
	v_pk_fma_f32 v[4:5], v[22:23], v[6:7], v[4:5] op_sel_hi:[1,0,1]
	v_mov_b32_e32 v21, v9
	v_pk_fma_f32 v[6:7], v[26:27], v[10:11], v[24:25] neg_lo:[0,0,1] neg_hi:[0,0,1]
	v_pk_fma_f32 v[8:9], v[26:27], v[10:11], v[24:25] op_sel_hi:[1,0,1]
	;; [unrolled: 3-line block ×4, first 2 shown]
	v_pk_add_f32 v[18:19], v[52:53], 0 op_sel_hi:[1,0]
	v_mov_b32_e32 v3, v5
	v_pk_add_f32 v[2:3], v[18:19], v[2:3]
	v_mov_b32_e32 v7, v9
	v_pk_add_f32 v[2:3], v[2:3], v[20:21]
	;; [unrolled: 2-line block ×4, first 2 shown]
	s_nop 0
	v_pk_add_f32 v[2:3], v[2:3], v[10:11]
	s_nop 0
	v_pk_add_f32 v[2:3], v[2:3], v[40:41]
	;; [unrolled: 2-line block ×3, first 2 shown]
	s_waitcnt vmcnt(0)
	v_pk_add_f32 v[2:3], v[36:37], v[2:3] neg_lo:[0,1] neg_hi:[0,1]
	scratch_store_dwordx2 off, v[2:3], off offset:328
	s_and_saveexec_b64 s[0:1], vcc
	s_cbranch_execz .LBB49_233
; %bb.232:
	scratch_load_dwordx2 v[2:3], off, off offset:320
	v_mov_b32_e32 v4, 0
	v_mov_b32_e32 v5, v4
	scratch_store_dwordx2 off, v[4:5], off offset:320
	s_waitcnt vmcnt(1)
	ds_write_b64 v1, v[2:3]
.LBB49_233:
	s_or_b64 exec, exec, s[0:1]
	s_waitcnt lgkmcnt(0)
	; wave barrier
	scratch_load_dwordx4 v[4:7], off, off offset:328
	scratch_load_dwordx4 v[8:11], off, off offset:344
	;; [unrolled: 1-line block ×4, first 2 shown]
	scratch_load_dwordx2 v[36:37], off, off offset:392
	scratch_load_dwordx2 v[38:39], off, off offset:320
	v_mov_b32_e32 v2, 0
	ds_read2_b64 v[20:23], v2 offset0:91 offset1:92
	ds_read2_b64 v[24:27], v2 offset0:93 offset1:94
	;; [unrolled: 1-line block ×4, first 2 shown]
	ds_read_b64 v[40:41], v2 offset:792
	v_cmp_lt_u32_e32 vcc, 39, v0
	s_waitcnt vmcnt(5) lgkmcnt(4)
	v_mul_f32_e32 v43, v20, v5
	v_mul_f32_e32 v3, v21, v5
	v_mov_b32_e32 v44, v7
	s_waitcnt vmcnt(4) lgkmcnt(3)
	v_pk_mul_f32 v[46:47], v[24:25], v[8:9] op_sel:[1,1] op_sel_hi:[0,1]
	v_mov_b32_e32 v48, v11
	s_waitcnt vmcnt(1) lgkmcnt(0)
	v_pk_mul_f32 v[58:59], v[40:41], v[36:37] op_sel:[1,1] op_sel_hi:[0,1]
	v_fmac_f32_e32 v43, v21, v4
	v_fma_f32 v42, v20, v4, -v3
	v_pk_mul_f32 v[4:5], v[22:23], v[44:45] op_sel:[1,0] op_sel_hi:[0,0]
	v_pk_fma_f32 v[20:21], v[24:25], v[8:9], v[46:47] neg_lo:[0,0,1] neg_hi:[0,0,1]
	v_pk_fma_f32 v[8:9], v[24:25], v[8:9], v[46:47] op_sel_hi:[1,0,1]
	v_pk_mul_f32 v[24:25], v[26:27], v[48:49] op_sel:[1,0] op_sel_hi:[0,0]
	v_pk_fma_f32 v[48:49], v[40:41], v[36:37], v[58:59] neg_lo:[0,0,1] neg_hi:[0,0,1]
	v_pk_fma_f32 v[36:37], v[40:41], v[36:37], v[58:59] op_sel_hi:[1,0,1]
	v_pk_add_f32 v[40:41], v[42:43], 0 op_sel_hi:[1,0]
	v_pk_fma_f32 v[42:43], v[22:23], v[6:7], v[4:5] neg_lo:[0,0,1] neg_hi:[0,0,1]
	v_pk_fma_f32 v[4:5], v[22:23], v[6:7], v[4:5] op_sel_hi:[1,0,1]
	v_pk_mul_f32 v[50:51], v[28:29], v[12:13] op_sel:[1,1] op_sel_hi:[0,1]
	v_mov_b32_e32 v43, v5
	v_mov_b32_e32 v52, v15
	;; [unrolled: 1-line block ×3, first 2 shown]
	v_pk_fma_f32 v[6:7], v[26:27], v[10:11], v[24:25] neg_lo:[0,0,1] neg_hi:[0,0,1]
	v_pk_fma_f32 v[8:9], v[26:27], v[10:11], v[24:25] op_sel_hi:[1,0,1]
	v_pk_add_f32 v[4:5], v[40:41], v[42:43]
	v_pk_fma_f32 v[44:45], v[28:29], v[12:13], v[50:51] neg_lo:[0,0,1] neg_hi:[0,0,1]
	v_pk_fma_f32 v[12:13], v[28:29], v[12:13], v[50:51] op_sel_hi:[1,0,1]
	v_pk_mul_f32 v[28:29], v[30:31], v[52:53] op_sel:[1,0] op_sel_hi:[0,0]
	v_mov_b32_e32 v7, v9
	v_pk_add_f32 v[4:5], v[4:5], v[20:21]
	v_pk_mul_f32 v[54:55], v[32:33], v[16:17] op_sel:[1,1] op_sel_hi:[0,1]
	v_mov_b32_e32 v56, v19
	v_mov_b32_e32 v45, v13
	v_pk_fma_f32 v[10:11], v[30:31], v[14:15], v[28:29] neg_lo:[0,0,1] neg_hi:[0,0,1]
	v_pk_fma_f32 v[12:13], v[30:31], v[14:15], v[28:29] op_sel_hi:[1,0,1]
	v_pk_add_f32 v[4:5], v[4:5], v[6:7]
	v_pk_fma_f32 v[46:47], v[32:33], v[16:17], v[54:55] neg_lo:[0,0,1] neg_hi:[0,0,1]
	v_pk_fma_f32 v[16:17], v[32:33], v[16:17], v[54:55] op_sel_hi:[1,0,1]
	v_pk_mul_f32 v[32:33], v[34:35], v[56:57] op_sel:[1,0] op_sel_hi:[0,0]
	v_mov_b32_e32 v11, v13
	v_pk_add_f32 v[4:5], v[4:5], v[44:45]
	v_mov_b32_e32 v47, v17
	v_pk_fma_f32 v[14:15], v[34:35], v[18:19], v[32:33] neg_lo:[0,0,1] neg_hi:[0,0,1]
	v_pk_fma_f32 v[16:17], v[34:35], v[18:19], v[32:33] op_sel_hi:[1,0,1]
	v_pk_add_f32 v[4:5], v[4:5], v[10:11]
	v_mov_b32_e32 v15, v17
	v_pk_add_f32 v[4:5], v[4:5], v[46:47]
	v_mov_b32_e32 v49, v37
	v_pk_add_f32 v[4:5], v[4:5], v[14:15]
	s_nop 0
	v_pk_add_f32 v[4:5], v[4:5], v[48:49]
	s_waitcnt vmcnt(0)
	v_pk_add_f32 v[4:5], v[38:39], v[4:5] neg_lo:[0,1] neg_hi:[0,1]
	scratch_store_dwordx2 off, v[4:5], off offset:320
	s_and_saveexec_b64 s[0:1], vcc
	s_cbranch_execz .LBB49_235
; %bb.234:
	scratch_load_dwordx2 v[4:5], off, off offset:312
	v_mov_b32_e32 v3, v2
	scratch_store_dwordx2 off, v[2:3], off offset:312
	s_waitcnt vmcnt(1)
	ds_write_b64 v1, v[4:5]
.LBB49_235:
	s_or_b64 exec, exec, s[0:1]
	s_waitcnt lgkmcnt(0)
	; wave barrier
	scratch_load_dwordx4 v[4:7], off, off offset:320
	scratch_load_dwordx4 v[8:11], off, off offset:336
	scratch_load_dwordx4 v[12:15], off, off offset:352
	scratch_load_dwordx4 v[16:19], off, off offset:368
	scratch_load_dwordx4 v[20:23], off, off offset:384
	scratch_load_dwordx2 v[44:45], off, off offset:312
	ds_read_b128 v[24:27], v2 offset:720
	ds_read_b128 v[28:31], v2 offset:736
	;; [unrolled: 1-line block ×5, first 2 shown]
	v_cmp_lt_u32_e32 vcc, 38, v0
	s_waitcnt vmcnt(5) lgkmcnt(4)
	v_mul_f32_e32 v3, v24, v5
	v_mul_f32_e32 v2, v25, v5
	;; [unrolled: 1-line block ×4, first 2 shown]
	s_waitcnt vmcnt(4) lgkmcnt(3)
	v_pk_mul_f32 v[48:49], v[28:29], v[8:9] op_sel:[1,1] op_sel_hi:[0,1]
	v_mov_b32_e32 v50, v11
	v_fmac_f32_e32 v3, v25, v4
	v_fma_f32 v2, v24, v4, -v2
	v_fmac_f32_e32 v47, v27, v6
	v_fma_f32 v46, v26, v6, -v5
	v_pk_fma_f32 v[4:5], v[28:29], v[8:9], v[48:49] neg_lo:[0,0,1] neg_hi:[0,0,1]
	v_pk_fma_f32 v[6:7], v[28:29], v[8:9], v[48:49] op_sel_hi:[1,0,1]
	v_pk_mul_f32 v[8:9], v[30:31], v[50:51] op_sel:[1,0] op_sel_hi:[0,0]
	v_pk_add_f32 v[2:3], v[2:3], 0 op_sel_hi:[1,0]
	s_waitcnt vmcnt(3) lgkmcnt(2)
	v_pk_mul_f32 v[52:53], v[32:33], v[12:13] op_sel:[1,1] op_sel_hi:[0,1]
	v_mov_b32_e32 v54, v15
	v_mov_b32_e32 v5, v7
	v_pk_fma_f32 v[6:7], v[30:31], v[10:11], v[8:9] neg_lo:[0,0,1] neg_hi:[0,0,1]
	v_pk_fma_f32 v[8:9], v[30:31], v[10:11], v[8:9] op_sel_hi:[1,0,1]
	v_pk_add_f32 v[2:3], v[2:3], v[46:47]
	v_pk_fma_f32 v[24:25], v[32:33], v[12:13], v[52:53] neg_lo:[0,0,1] neg_hi:[0,0,1]
	v_pk_fma_f32 v[12:13], v[32:33], v[12:13], v[52:53] op_sel_hi:[1,0,1]
	v_pk_mul_f32 v[26:27], v[34:35], v[54:55] op_sel:[1,0] op_sel_hi:[0,0]
	v_mov_b32_e32 v7, v9
	v_pk_add_f32 v[2:3], v[2:3], v[4:5]
	s_waitcnt vmcnt(2) lgkmcnt(1)
	v_pk_mul_f32 v[56:57], v[36:37], v[16:17] op_sel:[1,1] op_sel_hi:[0,1]
	v_mov_b32_e32 v58, v19
	v_mov_b32_e32 v25, v13
	v_pk_fma_f32 v[10:11], v[34:35], v[14:15], v[26:27] neg_lo:[0,0,1] neg_hi:[0,0,1]
	v_pk_fma_f32 v[12:13], v[34:35], v[14:15], v[26:27] op_sel_hi:[1,0,1]
	v_pk_add_f32 v[2:3], v[2:3], v[6:7]
	v_pk_fma_f32 v[28:29], v[36:37], v[16:17], v[56:57] neg_lo:[0,0,1] neg_hi:[0,0,1]
	v_pk_fma_f32 v[16:17], v[36:37], v[16:17], v[56:57] op_sel_hi:[1,0,1]
	v_pk_mul_f32 v[32:33], v[38:39], v[58:59] op_sel:[1,0] op_sel_hi:[0,0]
	v_mov_b32_e32 v11, v13
	v_pk_add_f32 v[2:3], v[2:3], v[24:25]
	;; [unrolled: 12-line block ×3, first 2 shown]
	v_mov_b32_e32 v37, v21
	v_pk_fma_f32 v[18:19], v[42:43], v[22:23], v[40:41] neg_lo:[0,0,1] neg_hi:[0,0,1]
	v_pk_fma_f32 v[20:21], v[42:43], v[22:23], v[40:41] op_sel_hi:[1,0,1]
	v_pk_add_f32 v[2:3], v[2:3], v[14:15]
	v_mov_b32_e32 v19, v21
	v_pk_add_f32 v[2:3], v[2:3], v[36:37]
	s_nop 0
	v_pk_add_f32 v[2:3], v[2:3], v[18:19]
	s_waitcnt vmcnt(0)
	v_pk_add_f32 v[2:3], v[44:45], v[2:3] neg_lo:[0,1] neg_hi:[0,1]
	scratch_store_dwordx2 off, v[2:3], off offset:312
	s_and_saveexec_b64 s[0:1], vcc
	s_cbranch_execz .LBB49_237
; %bb.236:
	scratch_load_dwordx2 v[2:3], off, off offset:304
	v_mov_b32_e32 v4, 0
	v_mov_b32_e32 v5, v4
	scratch_store_dwordx2 off, v[4:5], off offset:304
	s_waitcnt vmcnt(1)
	ds_write_b64 v1, v[2:3]
.LBB49_237:
	s_or_b64 exec, exec, s[0:1]
	s_waitcnt lgkmcnt(0)
	; wave barrier
	scratch_load_dwordx4 v[4:7], off, off offset:312
	scratch_load_dwordx4 v[8:11], off, off offset:328
	scratch_load_dwordx4 v[12:15], off, off offset:344
	scratch_load_dwordx4 v[16:19], off, off offset:360
	scratch_load_dwordx4 v[20:23], off, off offset:376
	scratch_load_dwordx2 v[44:45], off, off offset:392
	scratch_load_dwordx2 v[46:47], off, off offset:304
	v_mov_b32_e32 v2, 0
	ds_read2_b64 v[24:27], v2 offset0:89 offset1:90
	ds_read2_b64 v[28:31], v2 offset0:91 offset1:92
	;; [unrolled: 1-line block ×5, first 2 shown]
	ds_read_b64 v[48:49], v2 offset:792
	v_cmp_lt_u32_e32 vcc, 37, v0
	s_waitcnt vmcnt(6) lgkmcnt(5)
	v_mul_f32_e32 v3, v24, v5
	v_mul_f32_e32 v5, v25, v5
	;; [unrolled: 1-line block ×3, first 2 shown]
	s_waitcnt vmcnt(5) lgkmcnt(4)
	v_mul_f32_e32 v53, v28, v9
	v_mul_f32_e32 v7, v27, v7
	;; [unrolled: 1-line block ×3, first 2 shown]
	v_mov_b32_e32 v54, v11
	s_waitcnt vmcnt(3) lgkmcnt(2)
	v_pk_mul_f32 v[60:61], v[36:37], v[16:17] op_sel:[1,1] op_sel_hi:[0,1]
	s_waitcnt vmcnt(2) lgkmcnt(1)
	v_pk_mul_f32 v[64:65], v[40:41], v[20:21] op_sel:[1,1] op_sel_hi:[0,1]
	;; [unrolled: 2-line block ×3, first 2 shown]
	v_fmac_f32_e32 v3, v25, v4
	v_fma_f32 v55, v24, v4, -v5
	v_fmac_f32_e32 v51, v27, v6
	v_fmac_f32_e32 v53, v29, v8
	v_fma_f32 v50, v26, v6, -v7
	v_fma_f32 v52, v28, v8, -v9
	v_pk_mul_f32 v[4:5], v[30:31], v[54:55] op_sel:[1,0] op_sel_hi:[0,0]
	v_pk_fma_f32 v[24:25], v[36:37], v[16:17], v[60:61] neg_lo:[0,0,1] neg_hi:[0,0,1]
	v_pk_fma_f32 v[16:17], v[36:37], v[16:17], v[60:61] op_sel_hi:[1,0,1]
	v_pk_fma_f32 v[28:29], v[40:41], v[20:21], v[64:65] neg_lo:[0,0,1] neg_hi:[0,0,1]
	v_pk_fma_f32 v[20:21], v[40:41], v[20:21], v[64:65] op_sel_hi:[1,0,1]
	;; [unrolled: 2-line block ×3, first 2 shown]
	v_add_f32_e32 v45, 0, v3
	v_add_f32_e32 v44, 0, v55
	v_pk_mul_f32 v[56:57], v[32:33], v[12:13] op_sel:[1,1] op_sel_hi:[0,1]
	v_mov_b32_e32 v58, v15
	v_pk_fma_f32 v[48:49], v[30:31], v[10:11], v[4:5] neg_lo:[0,0,1] neg_hi:[0,0,1]
	v_pk_fma_f32 v[4:5], v[30:31], v[10:11], v[4:5] op_sel_hi:[1,0,1]
	v_mov_b32_e32 v29, v21
	v_pk_add_f32 v[20:21], v[44:45], v[50:51]
	v_pk_fma_f32 v[6:7], v[32:33], v[12:13], v[56:57] neg_lo:[0,0,1] neg_hi:[0,0,1]
	v_pk_fma_f32 v[8:9], v[32:33], v[12:13], v[56:57] op_sel_hi:[1,0,1]
	v_pk_mul_f32 v[12:13], v[34:35], v[58:59] op_sel:[1,0] op_sel_hi:[0,0]
	v_mov_b32_e32 v49, v5
	v_pk_add_f32 v[4:5], v[20:21], v[52:53]
	v_mov_b32_e32 v62, v19
	v_mov_b32_e32 v7, v9
	v_pk_fma_f32 v[8:9], v[34:35], v[14:15], v[12:13] neg_lo:[0,0,1] neg_hi:[0,0,1]
	v_pk_fma_f32 v[10:11], v[34:35], v[14:15], v[12:13] op_sel_hi:[1,0,1]
	v_pk_add_f32 v[4:5], v[4:5], v[48:49]
	v_pk_mul_f32 v[26:27], v[38:39], v[62:63] op_sel:[1,0] op_sel_hi:[0,0]
	v_mov_b32_e32 v9, v11
	v_pk_add_f32 v[4:5], v[4:5], v[6:7]
	v_mov_b32_e32 v66, v23
	v_mov_b32_e32 v25, v17
	v_pk_fma_f32 v[12:13], v[38:39], v[18:19], v[26:27] neg_lo:[0,0,1] neg_hi:[0,0,1]
	v_pk_fma_f32 v[14:15], v[38:39], v[18:19], v[26:27] op_sel_hi:[1,0,1]
	v_pk_add_f32 v[4:5], v[4:5], v[8:9]
	v_pk_mul_f32 v[32:33], v[42:43], v[66:67] op_sel:[1,0] op_sel_hi:[0,0]
	v_mov_b32_e32 v13, v15
	v_pk_add_f32 v[4:5], v[4:5], v[24:25]
	v_pk_fma_f32 v[16:17], v[42:43], v[22:23], v[32:33] neg_lo:[0,0,1] neg_hi:[0,0,1]
	v_pk_fma_f32 v[18:19], v[42:43], v[22:23], v[32:33] op_sel_hi:[1,0,1]
	v_pk_add_f32 v[4:5], v[4:5], v[12:13]
	v_mov_b32_e32 v17, v19
	v_pk_add_f32 v[4:5], v[4:5], v[28:29]
	v_mov_b32_e32 v37, v41
	v_pk_add_f32 v[4:5], v[4:5], v[16:17]
	s_nop 0
	v_pk_add_f32 v[4:5], v[4:5], v[36:37]
	s_waitcnt vmcnt(0)
	v_pk_add_f32 v[4:5], v[46:47], v[4:5] neg_lo:[0,1] neg_hi:[0,1]
	scratch_store_dwordx2 off, v[4:5], off offset:304
	s_and_saveexec_b64 s[0:1], vcc
	s_cbranch_execz .LBB49_239
; %bb.238:
	scratch_load_dwordx2 v[4:5], off, off offset:296
	v_mov_b32_e32 v3, v2
	scratch_store_dwordx2 off, v[2:3], off offset:296
	s_waitcnt vmcnt(1)
	ds_write_b64 v1, v[4:5]
.LBB49_239:
	s_or_b64 exec, exec, s[0:1]
	s_waitcnt lgkmcnt(0)
	; wave barrier
	scratch_load_dwordx4 v[4:7], off, off offset:304
	scratch_load_dwordx4 v[8:11], off, off offset:320
	;; [unrolled: 1-line block ×6, first 2 shown]
	scratch_load_dwordx2 v[52:53], off, off offset:296
	ds_read_b128 v[28:31], v2 offset:704
	ds_read_b128 v[32:35], v2 offset:720
	;; [unrolled: 1-line block ×6, first 2 shown]
	v_cmp_lt_u32_e32 vcc, 36, v0
	s_waitcnt vmcnt(6) lgkmcnt(5)
	v_mul_f32_e32 v59, v28, v5
	v_mul_f32_e32 v63, v30, v7
	s_waitcnt vmcnt(5) lgkmcnt(4)
	v_mul_f32_e32 v3, v32, v9
	v_mul_f32_e32 v2, v29, v5
	;; [unrolled: 1-line block ×4, first 2 shown]
	s_waitcnt vmcnt(1) lgkmcnt(0)
	v_pk_mul_f32 v[68:69], v[48:49], v[24:25] op_sel:[1,1] op_sel_hi:[0,1]
	v_pk_mul_f32 v[56:57], v[36:37], v[12:13] op_sel:[1,1] op_sel_hi:[0,1]
	v_fmac_f32_e32 v59, v29, v4
	v_fmac_f32_e32 v3, v33, v8
	v_fma_f32 v67, v28, v4, -v2
	v_fma_f32 v2, v32, v8, -v7
	v_pk_fma_f32 v[32:33], v[48:49], v[24:25], v[68:69] neg_lo:[0,0,1] neg_hi:[0,0,1]
	v_pk_fma_f32 v[24:25], v[48:49], v[24:25], v[68:69] op_sel_hi:[1,0,1]
	v_fmac_f32_e32 v63, v31, v6
	v_fma_f32 v71, v30, v6, -v5
	v_pk_fma_f32 v[4:5], v[36:37], v[12:13], v[56:57] neg_lo:[0,0,1] neg_hi:[0,0,1]
	v_pk_fma_f32 v[6:7], v[36:37], v[12:13], v[56:57] op_sel_hi:[1,0,1]
	v_add_f32_e32 v24, 0, v59
	v_add_f32_e32 v36, 0, v67
	v_mul_f32_e32 v55, v34, v11
	v_mul_f32_e32 v9, v35, v11
	v_mov_b32_e32 v58, v15
	v_mov_b32_e32 v33, v25
	v_add_f32_e32 v25, v24, v63
	v_add_f32_e32 v24, v36, v71
	v_fmac_f32_e32 v55, v35, v10
	v_fma_f32 v54, v34, v10, -v9
	v_pk_mul_f32 v[8:9], v[38:39], v[58:59] op_sel:[1,0] op_sel_hi:[0,0]
	v_pk_add_f32 v[2:3], v[24:25], v[2:3]
	v_pk_mul_f32 v[60:61], v[40:41], v[16:17] op_sel:[1,1] op_sel_hi:[0,1]
	v_mov_b32_e32 v62, v19
	v_mov_b32_e32 v5, v7
	v_pk_fma_f32 v[6:7], v[38:39], v[14:15], v[8:9] neg_lo:[0,0,1] neg_hi:[0,0,1]
	v_pk_fma_f32 v[8:9], v[38:39], v[14:15], v[8:9] op_sel_hi:[1,0,1]
	v_pk_add_f32 v[2:3], v[2:3], v[54:55]
	v_pk_fma_f32 v[10:11], v[40:41], v[16:17], v[60:61] neg_lo:[0,0,1] neg_hi:[0,0,1]
	v_pk_fma_f32 v[12:13], v[40:41], v[16:17], v[60:61] op_sel_hi:[1,0,1]
	v_pk_mul_f32 v[16:17], v[42:43], v[62:63] op_sel:[1,0] op_sel_hi:[0,0]
	v_mov_b32_e32 v7, v9
	v_pk_add_f32 v[2:3], v[2:3], v[4:5]
	v_pk_mul_f32 v[64:65], v[44:45], v[20:21] op_sel:[1,1] op_sel_hi:[0,1]
	v_mov_b32_e32 v66, v23
	v_mov_b32_e32 v11, v13
	v_pk_fma_f32 v[12:13], v[42:43], v[18:19], v[16:17] neg_lo:[0,0,1] neg_hi:[0,0,1]
	v_pk_fma_f32 v[14:15], v[42:43], v[18:19], v[16:17] op_sel_hi:[1,0,1]
	v_pk_add_f32 v[2:3], v[2:3], v[6:7]
	v_pk_fma_f32 v[28:29], v[44:45], v[20:21], v[64:65] neg_lo:[0,0,1] neg_hi:[0,0,1]
	v_pk_fma_f32 v[20:21], v[44:45], v[20:21], v[64:65] op_sel_hi:[1,0,1]
	v_pk_mul_f32 v[30:31], v[46:47], v[66:67] op_sel:[1,0] op_sel_hi:[0,0]
	v_mov_b32_e32 v13, v15
	v_pk_add_f32 v[2:3], v[2:3], v[10:11]
	v_mov_b32_e32 v70, v27
	v_mov_b32_e32 v29, v21
	v_pk_fma_f32 v[16:17], v[46:47], v[22:23], v[30:31] neg_lo:[0,0,1] neg_hi:[0,0,1]
	v_pk_fma_f32 v[18:19], v[46:47], v[22:23], v[30:31] op_sel_hi:[1,0,1]
	v_pk_add_f32 v[2:3], v[2:3], v[12:13]
	v_pk_mul_f32 v[34:35], v[50:51], v[70:71] op_sel:[1,0] op_sel_hi:[0,0]
	v_mov_b32_e32 v17, v19
	v_pk_add_f32 v[2:3], v[2:3], v[28:29]
	v_pk_fma_f32 v[20:21], v[50:51], v[26:27], v[34:35] neg_lo:[0,0,1] neg_hi:[0,0,1]
	v_pk_fma_f32 v[22:23], v[50:51], v[26:27], v[34:35] op_sel_hi:[1,0,1]
	v_pk_add_f32 v[2:3], v[2:3], v[16:17]
	v_mov_b32_e32 v21, v23
	v_pk_add_f32 v[2:3], v[2:3], v[32:33]
	s_nop 0
	v_pk_add_f32 v[2:3], v[2:3], v[20:21]
	s_waitcnt vmcnt(0)
	v_pk_add_f32 v[2:3], v[52:53], v[2:3] neg_lo:[0,1] neg_hi:[0,1]
	scratch_store_dwordx2 off, v[2:3], off offset:296
	s_and_saveexec_b64 s[0:1], vcc
	s_cbranch_execz .LBB49_241
; %bb.240:
	scratch_load_dwordx2 v[2:3], off, off offset:288
	v_mov_b32_e32 v4, 0
	v_mov_b32_e32 v5, v4
	scratch_store_dwordx2 off, v[4:5], off offset:288
	s_waitcnt vmcnt(1)
	ds_write_b64 v1, v[2:3]
.LBB49_241:
	s_or_b64 exec, exec, s[0:1]
	s_waitcnt lgkmcnt(0)
	; wave barrier
	scratch_load_dwordx4 v[8:11], off, off offset:296
	scratch_load_dwordx4 v[16:19], off, off offset:312
	v_mov_b32_e32 v2, 0
	ds_read2_b64 v[4:7], v2 offset0:87 offset1:88
	scratch_load_dwordx4 v[24:27], off, off offset:328
	v_cmp_lt_u32_e32 vcc, 35, v0
	s_waitcnt vmcnt(2) lgkmcnt(0)
	v_mul_f32_e32 v3, v4, v9
	v_fmac_f32_e32 v3, v5, v8
	v_mul_f32_e32 v12, v6, v11
	v_add_f32_e32 v3, 0, v3
	v_fmac_f32_e32 v12, v7, v10
	v_add_f32_e32 v3, v3, v12
	ds_read2_b64 v[12:15], v2 offset0:89 offset1:90
	s_waitcnt vmcnt(1) lgkmcnt(0)
	v_mul_f32_e32 v20, v12, v17
	v_fmac_f32_e32 v20, v13, v16
	v_add_f32_e32 v41, v3, v20
	ds_read2_b64 v[20:23], v2 offset0:91 offset1:92
	scratch_load_dwordx4 v[28:31], off, off offset:344
	scratch_load_dwordx4 v[32:35], off, off offset:360
	scratch_load_dwordx4 v[36:39], off, off offset:376
	scratch_load_dwordx2 v[46:47], off, off offset:392
	v_mul_f32_e32 v3, v5, v9
	v_fma_f32 v3, v4, v8, -v3
	v_mul_f32_e32 v4, v7, v11
	v_add_f32_e32 v3, 0, v3
	v_fma_f32 v4, v6, v10, -v4
	v_add_f32_e32 v3, v3, v4
	v_mul_f32_e32 v4, v13, v17
	v_fma_f32 v4, v12, v16, -v4
	v_add_f32_e32 v40, v3, v4
	v_mul_f32_e32 v3, v15, v19
	v_fma_f32 v42, v14, v18, -v3
	s_waitcnt vmcnt(4) lgkmcnt(0)
	v_mul_f32_e32 v3, v21, v25
	v_mul_f32_e32 v43, v14, v19
	;; [unrolled: 1-line block ×3, first 2 shown]
	v_fma_f32 v44, v20, v24, -v3
	v_mov_b32_e32 v20, v27
	v_fmac_f32_e32 v43, v15, v18
	v_fmac_f32_e32 v45, v21, v24
	ds_read2_b64 v[4:7], v2 offset0:93 offset1:94
	ds_read2_b64 v[8:11], v2 offset0:95 offset1:96
	;; [unrolled: 1-line block ×3, first 2 shown]
	ds_read_b64 v[16:17], v2 offset:792
	v_pk_mul_f32 v[20:21], v[22:23], v[20:21] op_sel:[1,0] op_sel_hi:[0,0]
	v_pk_fma_f32 v[24:25], v[22:23], v[26:27], v[20:21] neg_lo:[0,0,1] neg_hi:[0,0,1]
	v_pk_fma_f32 v[20:21], v[22:23], v[26:27], v[20:21] op_sel_hi:[1,0,1]
	v_pk_add_f32 v[18:19], v[40:41], v[42:43]
	v_mov_b32_e32 v25, v21
	v_pk_add_f32 v[18:19], v[18:19], v[44:45]
	s_waitcnt vmcnt(3) lgkmcnt(3)
	v_pk_mul_f32 v[20:21], v[4:5], v[28:29] op_sel:[1,1] op_sel_hi:[0,1]
	v_pk_fma_f32 v[22:23], v[4:5], v[28:29], v[20:21] neg_lo:[0,0,1] neg_hi:[0,0,1]
	v_pk_fma_f32 v[4:5], v[4:5], v[28:29], v[20:21] op_sel_hi:[1,0,1]
	v_pk_add_f32 v[18:19], v[18:19], v[24:25]
	v_mov_b32_e32 v23, v5
	v_pk_add_f32 v[4:5], v[18:19], v[22:23]
	v_mov_b32_e32 v18, v31
	v_pk_mul_f32 v[18:19], v[6:7], v[18:19] op_sel:[1,0] op_sel_hi:[0,0]
	v_pk_fma_f32 v[20:21], v[6:7], v[30:31], v[18:19] neg_lo:[0,0,1] neg_hi:[0,0,1]
	v_pk_fma_f32 v[6:7], v[6:7], v[30:31], v[18:19] op_sel_hi:[1,0,1]
	s_nop 0
	v_mov_b32_e32 v21, v7
	s_waitcnt vmcnt(2) lgkmcnt(2)
	v_pk_mul_f32 v[6:7], v[8:9], v[32:33] op_sel:[1,1] op_sel_hi:[0,1]
	v_pk_fma_f32 v[18:19], v[8:9], v[32:33], v[6:7] neg_lo:[0,0,1] neg_hi:[0,0,1]
	v_pk_fma_f32 v[6:7], v[8:9], v[32:33], v[6:7] op_sel_hi:[1,0,1]
	v_pk_add_f32 v[4:5], v[4:5], v[20:21]
	v_mov_b32_e32 v6, v35
	v_mov_b32_e32 v19, v7
	v_pk_mul_f32 v[6:7], v[10:11], v[6:7] op_sel:[1,0] op_sel_hi:[0,0]
	v_pk_fma_f32 v[8:9], v[10:11], v[34:35], v[6:7] neg_lo:[0,0,1] neg_hi:[0,0,1]
	v_pk_fma_f32 v[6:7], v[10:11], v[34:35], v[6:7] op_sel_hi:[1,0,1]
	v_pk_add_f32 v[4:5], v[4:5], v[18:19]
	v_mov_b32_e32 v9, v7
	s_waitcnt vmcnt(1) lgkmcnt(1)
	v_pk_mul_f32 v[6:7], v[12:13], v[36:37] op_sel:[1,1] op_sel_hi:[0,1]
	v_pk_add_f32 v[4:5], v[4:5], v[8:9]
	v_pk_fma_f32 v[8:9], v[12:13], v[36:37], v[6:7] neg_lo:[0,0,1] neg_hi:[0,0,1]
	v_pk_fma_f32 v[6:7], v[12:13], v[36:37], v[6:7] op_sel_hi:[1,0,1]
	s_nop 0
	v_mov_b32_e32 v6, v39
	v_mov_b32_e32 v9, v7
	v_pk_mul_f32 v[6:7], v[14:15], v[6:7] op_sel:[1,0] op_sel_hi:[0,0]
	v_pk_add_f32 v[4:5], v[4:5], v[8:9]
	v_pk_fma_f32 v[8:9], v[14:15], v[38:39], v[6:7] neg_lo:[0,0,1] neg_hi:[0,0,1]
	v_pk_fma_f32 v[6:7], v[14:15], v[38:39], v[6:7] op_sel_hi:[1,0,1]
	s_nop 0
	v_mov_b32_e32 v9, v7
	s_waitcnt vmcnt(0) lgkmcnt(0)
	v_pk_mul_f32 v[6:7], v[16:17], v[46:47] op_sel:[1,1] op_sel_hi:[0,1]
	v_pk_add_f32 v[4:5], v[4:5], v[8:9]
	v_pk_fma_f32 v[8:9], v[16:17], v[46:47], v[6:7] neg_lo:[0,0,1] neg_hi:[0,0,1]
	v_pk_fma_f32 v[6:7], v[16:17], v[46:47], v[6:7] op_sel_hi:[1,0,1]
	s_nop 0
	v_mov_b32_e32 v9, v7
	scratch_load_dwordx2 v[6:7], off, off offset:288
	v_pk_add_f32 v[4:5], v[4:5], v[8:9]
	s_waitcnt vmcnt(0)
	v_pk_add_f32 v[4:5], v[6:7], v[4:5] neg_lo:[0,1] neg_hi:[0,1]
	scratch_store_dwordx2 off, v[4:5], off offset:288
	s_and_saveexec_b64 s[0:1], vcc
	s_cbranch_execz .LBB49_243
; %bb.242:
	scratch_load_dwordx2 v[4:5], off, off offset:280
	v_mov_b32_e32 v3, v2
	scratch_store_dwordx2 off, v[2:3], off offset:280
	s_waitcnt vmcnt(1)
	ds_write_b64 v1, v[4:5]
.LBB49_243:
	s_or_b64 exec, exec, s[0:1]
	s_waitcnt lgkmcnt(0)
	; wave barrier
	ds_read_b128 v[4:7], v2 offset:688
	ds_read_b128 v[8:11], v2 offset:704
	;; [unrolled: 1-line block ×4, first 2 shown]
	scratch_load_dwordx4 v[20:23], off, off offset:288
	v_cmp_lt_u32_e32 vcc, 34, v0
	s_waitcnt vmcnt(0) lgkmcnt(3)
	v_mul_f32_e32 v3, v4, v21
	v_fmac_f32_e32 v3, v5, v20
	v_mul_f32_e32 v24, v6, v23
	v_add_f32_e32 v3, 0, v3
	v_fmac_f32_e32 v24, v7, v22
	v_add_f32_e32 v3, v3, v24
	scratch_load_dwordx4 v[24:27], off, off offset:304
	s_waitcnt vmcnt(0) lgkmcnt(2)
	v_mul_f32_e32 v28, v8, v25
	v_fmac_f32_e32 v28, v9, v24
	v_add_f32_e32 v3, v3, v28
	v_mul_f32_e32 v28, v10, v27
	v_fmac_f32_e32 v28, v11, v26
	v_add_f32_e32 v49, v3, v28
	scratch_load_dwordx4 v[28:31], off, off offset:320
	scratch_load_dwordx4 v[32:35], off, off offset:336
	;; [unrolled: 1-line block ×5, first 2 shown]
	v_mul_f32_e32 v3, v5, v21
	v_fma_f32 v3, v4, v20, -v3
	v_mul_f32_e32 v4, v7, v23
	v_add_f32_e32 v3, 0, v3
	v_fma_f32 v4, v6, v22, -v4
	v_add_f32_e32 v3, v3, v4
	v_mul_f32_e32 v4, v9, v25
	v_fma_f32 v4, v8, v24, -v4
	v_add_f32_e32 v3, v3, v4
	v_mul_f32_e32 v4, v11, v27
	v_fma_f32 v4, v10, v26, -v4
	v_add_f32_e32 v48, v3, v4
	s_waitcnt vmcnt(3) lgkmcnt(0)
	v_pk_mul_f32 v[20:21], v[16:17], v[32:33] op_sel:[1,1] op_sel_hi:[0,1]
	v_pk_fma_f32 v[22:23], v[16:17], v[32:33], v[20:21] neg_lo:[0,0,1] neg_hi:[0,0,1]
	v_mul_f32_e32 v3, v13, v29
	v_mul_f32_e32 v51, v12, v29
	;; [unrolled: 1-line block ×3, first 2 shown]
	v_fma_f32 v50, v12, v28, -v3
	v_mul_f32_e32 v3, v15, v31
	v_pk_fma_f32 v[16:17], v[16:17], v[32:33], v[20:21] op_sel_hi:[1,0,1]
	v_fmac_f32_e32 v51, v13, v28
	v_fmac_f32_e32 v53, v15, v30
	v_fma_f32 v52, v14, v30, -v3
	ds_read_b128 v[4:7], v2 offset:752
	ds_read_b128 v[8:11], v2 offset:768
	;; [unrolled: 1-line block ×3, first 2 shown]
	v_mov_b32_e32 v16, v35
	v_mov_b32_e32 v23, v17
	v_pk_mul_f32 v[16:17], v[18:19], v[16:17] op_sel:[1,0] op_sel_hi:[0,0]
	v_pk_fma_f32 v[20:21], v[18:19], v[34:35], v[16:17] neg_lo:[0,0,1] neg_hi:[0,0,1]
	v_pk_fma_f32 v[16:17], v[18:19], v[34:35], v[16:17] op_sel_hi:[1,0,1]
	v_pk_add_f32 v[2:3], v[48:49], v[50:51]
	v_mov_b32_e32 v21, v17
	s_waitcnt vmcnt(2) lgkmcnt(2)
	v_pk_mul_f32 v[16:17], v[4:5], v[36:37] op_sel:[1,1] op_sel_hi:[0,1]
	v_pk_fma_f32 v[18:19], v[4:5], v[36:37], v[16:17] neg_lo:[0,0,1] neg_hi:[0,0,1]
	v_pk_fma_f32 v[4:5], v[4:5], v[36:37], v[16:17] op_sel_hi:[1,0,1]
	v_pk_add_f32 v[2:3], v[2:3], v[52:53]
	v_mov_b32_e32 v4, v39
	v_mov_b32_e32 v19, v5
	v_pk_mul_f32 v[4:5], v[6:7], v[4:5] op_sel:[1,0] op_sel_hi:[0,0]
	v_pk_fma_f32 v[16:17], v[6:7], v[38:39], v[4:5] neg_lo:[0,0,1] neg_hi:[0,0,1]
	v_pk_fma_f32 v[4:5], v[6:7], v[38:39], v[4:5] op_sel_hi:[1,0,1]
	v_pk_add_f32 v[2:3], v[2:3], v[22:23]
	v_mov_b32_e32 v17, v5
	s_waitcnt vmcnt(1) lgkmcnt(1)
	v_pk_mul_f32 v[4:5], v[8:9], v[40:41] op_sel:[1,1] op_sel_hi:[0,1]
	v_pk_add_f32 v[2:3], v[2:3], v[20:21]
	v_pk_fma_f32 v[6:7], v[8:9], v[40:41], v[4:5] neg_lo:[0,0,1] neg_hi:[0,0,1]
	v_pk_fma_f32 v[4:5], v[8:9], v[40:41], v[4:5] op_sel_hi:[1,0,1]
	v_pk_add_f32 v[2:3], v[2:3], v[18:19]
	v_mov_b32_e32 v4, v43
	v_pk_add_f32 v[2:3], v[2:3], v[16:17]
	v_mov_b32_e32 v7, v5
	v_pk_mul_f32 v[4:5], v[10:11], v[4:5] op_sel:[1,0] op_sel_hi:[0,0]
	v_pk_add_f32 v[2:3], v[2:3], v[6:7]
	v_pk_fma_f32 v[6:7], v[10:11], v[42:43], v[4:5] neg_lo:[0,0,1] neg_hi:[0,0,1]
	v_pk_fma_f32 v[4:5], v[10:11], v[42:43], v[4:5] op_sel_hi:[1,0,1]
	s_nop 0
	v_mov_b32_e32 v7, v5
	s_waitcnt vmcnt(0) lgkmcnt(0)
	v_pk_mul_f32 v[4:5], v[12:13], v[44:45] op_sel:[1,1] op_sel_hi:[0,1]
	v_pk_add_f32 v[2:3], v[2:3], v[6:7]
	v_pk_fma_f32 v[6:7], v[12:13], v[44:45], v[4:5] neg_lo:[0,0,1] neg_hi:[0,0,1]
	v_pk_fma_f32 v[4:5], v[12:13], v[44:45], v[4:5] op_sel_hi:[1,0,1]
	s_nop 0
	v_mov_b32_e32 v4, v47
	v_mov_b32_e32 v7, v5
	v_pk_mul_f32 v[4:5], v[14:15], v[4:5] op_sel:[1,0] op_sel_hi:[0,0]
	v_pk_add_f32 v[2:3], v[2:3], v[6:7]
	v_pk_fma_f32 v[6:7], v[14:15], v[46:47], v[4:5] neg_lo:[0,0,1] neg_hi:[0,0,1]
	v_pk_fma_f32 v[4:5], v[14:15], v[46:47], v[4:5] op_sel_hi:[1,0,1]
	s_nop 0
	v_mov_b32_e32 v7, v5
	scratch_load_dwordx2 v[4:5], off, off offset:280
	v_pk_add_f32 v[2:3], v[2:3], v[6:7]
	s_waitcnt vmcnt(0)
	v_pk_add_f32 v[2:3], v[4:5], v[2:3] neg_lo:[0,1] neg_hi:[0,1]
	scratch_store_dwordx2 off, v[2:3], off offset:280
	s_and_saveexec_b64 s[0:1], vcc
	s_cbranch_execz .LBB49_245
; %bb.244:
	scratch_load_dwordx2 v[2:3], off, off offset:272
	v_mov_b32_e32 v4, 0
	v_mov_b32_e32 v5, v4
	scratch_store_dwordx2 off, v[4:5], off offset:272
	s_waitcnt vmcnt(1)
	ds_write_b64 v1, v[2:3]
.LBB49_245:
	s_or_b64 exec, exec, s[0:1]
	s_waitcnt lgkmcnt(0)
	; wave barrier
	scratch_load_dwordx4 v[8:11], off, off offset:280
	scratch_load_dwordx4 v[16:19], off, off offset:296
	;; [unrolled: 1-line block ×4, first 2 shown]
	v_mov_b32_e32 v2, 0
	ds_read2_b64 v[4:7], v2 offset0:85 offset1:86
	v_cmp_lt_u32_e32 vcc, 33, v0
	s_waitcnt vmcnt(3) lgkmcnt(0)
	v_mul_f32_e32 v3, v4, v9
	v_fmac_f32_e32 v3, v5, v8
	v_mul_f32_e32 v12, v6, v11
	v_add_f32_e32 v3, 0, v3
	v_fmac_f32_e32 v12, v7, v10
	v_add_f32_e32 v3, v3, v12
	ds_read2_b64 v[12:15], v2 offset0:87 offset1:88
	s_waitcnt vmcnt(2) lgkmcnt(0)
	v_mul_f32_e32 v20, v12, v17
	v_fmac_f32_e32 v20, v13, v16
	v_add_f32_e32 v3, v3, v20
	v_mul_f32_e32 v20, v14, v19
	v_fmac_f32_e32 v20, v15, v18
	v_add_f32_e32 v3, v3, v20
	ds_read2_b64 v[20:23], v2 offset0:89 offset1:90
	s_waitcnt vmcnt(1) lgkmcnt(0)
	v_mul_f32_e32 v28, v20, v25
	v_fmac_f32_e32 v28, v21, v24
	v_add_f32_e32 v49, v3, v28
	ds_read2_b64 v[28:31], v2 offset0:91 offset1:92
	scratch_load_dwordx4 v[36:39], off, off offset:344
	scratch_load_dwordx4 v[40:43], off, off offset:360
	scratch_load_dwordx4 v[44:47], off, off offset:376
	scratch_load_dwordx2 v[54:55], off, off offset:392
	v_mul_f32_e32 v3, v5, v9
	v_fma_f32 v3, v4, v8, -v3
	v_mul_f32_e32 v4, v7, v11
	v_add_f32_e32 v3, 0, v3
	v_fma_f32 v4, v6, v10, -v4
	v_add_f32_e32 v3, v3, v4
	v_mul_f32_e32 v4, v13, v17
	v_fma_f32 v4, v12, v16, -v4
	v_add_f32_e32 v3, v3, v4
	v_mul_f32_e32 v4, v15, v19
	;; [unrolled: 3-line block ×3, first 2 shown]
	v_fma_f32 v4, v20, v24, -v4
	v_mul_f32_e32 v51, v22, v27
	v_add_f32_e32 v48, v3, v4
	v_mul_f32_e32 v3, v23, v27
	s_waitcnt vmcnt(4)
	v_mov_b32_e32 v20, v35
	v_fmac_f32_e32 v51, v23, v26
	s_waitcnt lgkmcnt(0)
	v_mul_f32_e32 v53, v28, v33
	v_fma_f32 v50, v22, v26, -v3
	v_mul_f32_e32 v3, v29, v33
	ds_read2_b64 v[4:7], v2 offset0:93 offset1:94
	ds_read2_b64 v[8:11], v2 offset0:95 offset1:96
	;; [unrolled: 1-line block ×3, first 2 shown]
	ds_read_b64 v[16:17], v2 offset:792
	v_pk_mul_f32 v[20:21], v[30:31], v[20:21] op_sel:[1,0] op_sel_hi:[0,0]
	v_fmac_f32_e32 v53, v29, v32
	v_fma_f32 v52, v28, v32, -v3
	v_pk_add_f32 v[18:19], v[48:49], v[50:51]
	v_pk_fma_f32 v[22:23], v[30:31], v[34:35], v[20:21] neg_lo:[0,0,1] neg_hi:[0,0,1]
	v_pk_fma_f32 v[20:21], v[30:31], v[34:35], v[20:21] op_sel_hi:[1,0,1]
	v_pk_add_f32 v[18:19], v[18:19], v[52:53]
	v_mov_b32_e32 v23, v21
	v_pk_add_f32 v[18:19], v[18:19], v[22:23]
	s_waitcnt vmcnt(3) lgkmcnt(3)
	v_pk_mul_f32 v[20:21], v[4:5], v[36:37] op_sel:[1,1] op_sel_hi:[0,1]
	v_pk_fma_f32 v[22:23], v[4:5], v[36:37], v[20:21] neg_lo:[0,0,1] neg_hi:[0,0,1]
	v_pk_fma_f32 v[4:5], v[4:5], v[36:37], v[20:21] op_sel_hi:[1,0,1]
	s_nop 0
	v_mov_b32_e32 v23, v5
	v_pk_add_f32 v[4:5], v[18:19], v[22:23]
	v_mov_b32_e32 v18, v39
	v_pk_mul_f32 v[18:19], v[6:7], v[18:19] op_sel:[1,0] op_sel_hi:[0,0]
	v_pk_fma_f32 v[20:21], v[6:7], v[38:39], v[18:19] neg_lo:[0,0,1] neg_hi:[0,0,1]
	v_pk_fma_f32 v[6:7], v[6:7], v[38:39], v[18:19] op_sel_hi:[1,0,1]
	s_nop 0
	v_mov_b32_e32 v21, v7
	s_waitcnt vmcnt(2) lgkmcnt(2)
	v_pk_mul_f32 v[6:7], v[8:9], v[40:41] op_sel:[1,1] op_sel_hi:[0,1]
	v_pk_fma_f32 v[18:19], v[8:9], v[40:41], v[6:7] neg_lo:[0,0,1] neg_hi:[0,0,1]
	v_pk_fma_f32 v[6:7], v[8:9], v[40:41], v[6:7] op_sel_hi:[1,0,1]
	v_pk_add_f32 v[4:5], v[4:5], v[20:21]
	v_mov_b32_e32 v6, v43
	v_mov_b32_e32 v19, v7
	v_pk_mul_f32 v[6:7], v[10:11], v[6:7] op_sel:[1,0] op_sel_hi:[0,0]
	v_pk_fma_f32 v[8:9], v[10:11], v[42:43], v[6:7] neg_lo:[0,0,1] neg_hi:[0,0,1]
	v_pk_fma_f32 v[6:7], v[10:11], v[42:43], v[6:7] op_sel_hi:[1,0,1]
	v_pk_add_f32 v[4:5], v[4:5], v[18:19]
	v_mov_b32_e32 v9, v7
	s_waitcnt vmcnt(1) lgkmcnt(1)
	v_pk_mul_f32 v[6:7], v[12:13], v[44:45] op_sel:[1,1] op_sel_hi:[0,1]
	v_pk_add_f32 v[4:5], v[4:5], v[8:9]
	v_pk_fma_f32 v[8:9], v[12:13], v[44:45], v[6:7] neg_lo:[0,0,1] neg_hi:[0,0,1]
	v_pk_fma_f32 v[6:7], v[12:13], v[44:45], v[6:7] op_sel_hi:[1,0,1]
	s_nop 0
	v_mov_b32_e32 v6, v47
	v_mov_b32_e32 v9, v7
	v_pk_mul_f32 v[6:7], v[14:15], v[6:7] op_sel:[1,0] op_sel_hi:[0,0]
	v_pk_add_f32 v[4:5], v[4:5], v[8:9]
	v_pk_fma_f32 v[8:9], v[14:15], v[46:47], v[6:7] neg_lo:[0,0,1] neg_hi:[0,0,1]
	v_pk_fma_f32 v[6:7], v[14:15], v[46:47], v[6:7] op_sel_hi:[1,0,1]
	s_nop 0
	v_mov_b32_e32 v9, v7
	s_waitcnt vmcnt(0) lgkmcnt(0)
	v_pk_mul_f32 v[6:7], v[16:17], v[54:55] op_sel:[1,1] op_sel_hi:[0,1]
	v_pk_add_f32 v[4:5], v[4:5], v[8:9]
	v_pk_fma_f32 v[8:9], v[16:17], v[54:55], v[6:7] neg_lo:[0,0,1] neg_hi:[0,0,1]
	v_pk_fma_f32 v[6:7], v[16:17], v[54:55], v[6:7] op_sel_hi:[1,0,1]
	s_nop 0
	v_mov_b32_e32 v9, v7
	scratch_load_dwordx2 v[6:7], off, off offset:272
	v_pk_add_f32 v[4:5], v[4:5], v[8:9]
	s_waitcnt vmcnt(0)
	v_pk_add_f32 v[4:5], v[6:7], v[4:5] neg_lo:[0,1] neg_hi:[0,1]
	scratch_store_dwordx2 off, v[4:5], off offset:272
	s_and_saveexec_b64 s[0:1], vcc
	s_cbranch_execz .LBB49_247
; %bb.246:
	scratch_load_dwordx2 v[4:5], off, off offset:264
	v_mov_b32_e32 v3, v2
	scratch_store_dwordx2 off, v[2:3], off offset:264
	s_waitcnt vmcnt(1)
	ds_write_b64 v1, v[4:5]
.LBB49_247:
	s_or_b64 exec, exec, s[0:1]
	s_waitcnt lgkmcnt(0)
	; wave barrier
	ds_read_b128 v[4:7], v2 offset:672
	ds_read_b128 v[8:11], v2 offset:688
	;; [unrolled: 1-line block ×4, first 2 shown]
	scratch_load_dwordx4 v[20:23], off, off offset:272
	v_cmp_lt_u32_e32 vcc, 32, v0
	s_waitcnt vmcnt(0) lgkmcnt(3)
	v_mul_f32_e32 v3, v4, v21
	v_fmac_f32_e32 v3, v5, v20
	v_mul_f32_e32 v24, v6, v23
	v_add_f32_e32 v3, 0, v3
	v_fmac_f32_e32 v24, v7, v22
	v_add_f32_e32 v3, v3, v24
	scratch_load_dwordx4 v[24:27], off, off offset:288
	s_waitcnt vmcnt(0) lgkmcnt(2)
	v_mul_f32_e32 v28, v8, v25
	v_fmac_f32_e32 v28, v9, v24
	v_add_f32_e32 v3, v3, v28
	v_mul_f32_e32 v28, v10, v27
	v_fmac_f32_e32 v28, v11, v26
	v_add_f32_e32 v3, v3, v28
	scratch_load_dwordx4 v[28:31], off, off offset:304
	s_waitcnt vmcnt(0) lgkmcnt(1)
	v_mul_f32_e32 v32, v12, v29
	v_fmac_f32_e32 v32, v13, v28
	v_add_f32_e32 v3, v3, v32
	v_mul_f32_e32 v32, v14, v31
	v_fmac_f32_e32 v32, v15, v30
	v_add_f32_e32 v53, v3, v32
	scratch_load_dwordx4 v[32:35], off, off offset:320
	scratch_load_dwordx4 v[36:39], off, off offset:336
	;; [unrolled: 1-line block ×5, first 2 shown]
	v_mul_f32_e32 v3, v5, v21
	v_fma_f32 v3, v4, v20, -v3
	v_mul_f32_e32 v4, v7, v23
	v_add_f32_e32 v3, 0, v3
	v_fma_f32 v4, v6, v22, -v4
	v_add_f32_e32 v3, v3, v4
	v_mul_f32_e32 v4, v9, v25
	v_fma_f32 v4, v8, v24, -v4
	v_add_f32_e32 v3, v3, v4
	v_mul_f32_e32 v4, v11, v27
	;; [unrolled: 3-line block ×4, first 2 shown]
	v_fma_f32 v4, v14, v30, -v4
	v_add_f32_e32 v52, v3, v4
	s_waitcnt vmcnt(4) lgkmcnt(0)
	v_mul_f32_e32 v3, v17, v33
	v_mul_f32_e32 v55, v16, v33
	;; [unrolled: 1-line block ×3, first 2 shown]
	v_fma_f32 v54, v16, v32, -v3
	v_mul_f32_e32 v3, v19, v35
	v_fmac_f32_e32 v55, v17, v32
	v_fmac_f32_e32 v57, v19, v34
	v_fma_f32 v56, v18, v34, -v3
	ds_read_b128 v[4:7], v2 offset:736
	ds_read_b128 v[8:11], v2 offset:752
	;; [unrolled: 1-line block ×4, first 2 shown]
	v_pk_add_f32 v[2:3], v[52:53], v[54:55]
	s_waitcnt vmcnt(3) lgkmcnt(3)
	v_pk_mul_f32 v[20:21], v[4:5], v[36:37] op_sel:[1,1] op_sel_hi:[0,1]
	v_pk_fma_f32 v[22:23], v[4:5], v[36:37], v[20:21] neg_lo:[0,0,1] neg_hi:[0,0,1]
	v_pk_fma_f32 v[4:5], v[4:5], v[36:37], v[20:21] op_sel_hi:[1,0,1]
	v_pk_add_f32 v[2:3], v[2:3], v[56:57]
	v_mov_b32_e32 v4, v39
	v_mov_b32_e32 v23, v5
	v_pk_mul_f32 v[4:5], v[6:7], v[4:5] op_sel:[1,0] op_sel_hi:[0,0]
	v_pk_fma_f32 v[20:21], v[6:7], v[38:39], v[4:5] neg_lo:[0,0,1] neg_hi:[0,0,1]
	v_pk_fma_f32 v[4:5], v[6:7], v[38:39], v[4:5] op_sel_hi:[1,0,1]
	v_pk_add_f32 v[2:3], v[2:3], v[22:23]
	v_mov_b32_e32 v21, v5
	s_waitcnt vmcnt(2) lgkmcnt(2)
	v_pk_mul_f32 v[4:5], v[8:9], v[40:41] op_sel:[1,1] op_sel_hi:[0,1]
	v_pk_fma_f32 v[6:7], v[8:9], v[40:41], v[4:5] neg_lo:[0,0,1] neg_hi:[0,0,1]
	v_pk_fma_f32 v[4:5], v[8:9], v[40:41], v[4:5] op_sel_hi:[1,0,1]
	v_pk_add_f32 v[2:3], v[2:3], v[20:21]
	v_mov_b32_e32 v4, v43
	v_mov_b32_e32 v7, v5
	v_pk_mul_f32 v[4:5], v[10:11], v[4:5] op_sel:[1,0] op_sel_hi:[0,0]
	v_pk_add_f32 v[2:3], v[2:3], v[6:7]
	v_pk_fma_f32 v[6:7], v[10:11], v[42:43], v[4:5] neg_lo:[0,0,1] neg_hi:[0,0,1]
	v_pk_fma_f32 v[4:5], v[10:11], v[42:43], v[4:5] op_sel_hi:[1,0,1]
	s_nop 0
	v_mov_b32_e32 v7, v5
	s_waitcnt vmcnt(1) lgkmcnt(1)
	v_pk_mul_f32 v[4:5], v[12:13], v[44:45] op_sel:[1,1] op_sel_hi:[0,1]
	v_pk_add_f32 v[2:3], v[2:3], v[6:7]
	v_pk_fma_f32 v[6:7], v[12:13], v[44:45], v[4:5] neg_lo:[0,0,1] neg_hi:[0,0,1]
	v_pk_fma_f32 v[4:5], v[12:13], v[44:45], v[4:5] op_sel_hi:[1,0,1]
	s_nop 0
	v_mov_b32_e32 v4, v47
	v_mov_b32_e32 v7, v5
	v_pk_mul_f32 v[4:5], v[14:15], v[4:5] op_sel:[1,0] op_sel_hi:[0,0]
	v_pk_add_f32 v[2:3], v[2:3], v[6:7]
	v_pk_fma_f32 v[6:7], v[14:15], v[46:47], v[4:5] neg_lo:[0,0,1] neg_hi:[0,0,1]
	v_pk_fma_f32 v[4:5], v[14:15], v[46:47], v[4:5] op_sel_hi:[1,0,1]
	s_nop 0
	v_mov_b32_e32 v7, v5
	s_waitcnt vmcnt(0) lgkmcnt(0)
	v_pk_mul_f32 v[4:5], v[16:17], v[48:49] op_sel:[1,1] op_sel_hi:[0,1]
	v_pk_add_f32 v[2:3], v[2:3], v[6:7]
	v_pk_fma_f32 v[6:7], v[16:17], v[48:49], v[4:5] neg_lo:[0,0,1] neg_hi:[0,0,1]
	v_pk_fma_f32 v[4:5], v[16:17], v[48:49], v[4:5] op_sel_hi:[1,0,1]
	s_nop 0
	v_mov_b32_e32 v4, v51
	v_mov_b32_e32 v7, v5
	v_pk_mul_f32 v[4:5], v[18:19], v[4:5] op_sel:[1,0] op_sel_hi:[0,0]
	v_pk_add_f32 v[2:3], v[2:3], v[6:7]
	v_pk_fma_f32 v[6:7], v[18:19], v[50:51], v[4:5] neg_lo:[0,0,1] neg_hi:[0,0,1]
	v_pk_fma_f32 v[4:5], v[18:19], v[50:51], v[4:5] op_sel_hi:[1,0,1]
	s_nop 0
	v_mov_b32_e32 v7, v5
	scratch_load_dwordx2 v[4:5], off, off offset:264
	v_pk_add_f32 v[2:3], v[2:3], v[6:7]
	s_waitcnt vmcnt(0)
	v_pk_add_f32 v[2:3], v[4:5], v[2:3] neg_lo:[0,1] neg_hi:[0,1]
	scratch_store_dwordx2 off, v[2:3], off offset:264
	s_and_saveexec_b64 s[0:1], vcc
	s_cbranch_execz .LBB49_249
; %bb.248:
	scratch_load_dwordx2 v[2:3], off, off offset:256
	v_mov_b32_e32 v4, 0
	v_mov_b32_e32 v5, v4
	scratch_store_dwordx2 off, v[4:5], off offset:256
	s_waitcnt vmcnt(1)
	ds_write_b64 v1, v[2:3]
.LBB49_249:
	s_or_b64 exec, exec, s[0:1]
	s_waitcnt lgkmcnt(0)
	; wave barrier
	scratch_load_dwordx4 v[8:11], off, off offset:264
	scratch_load_dwordx4 v[16:19], off, off offset:280
	;; [unrolled: 1-line block ×4, first 2 shown]
	v_mov_b32_e32 v2, 0
	ds_read2_b64 v[4:7], v2 offset0:83 offset1:84
	scratch_load_dwordx4 v[40:43], off, off offset:328
	v_cmp_lt_u32_e32 vcc, 31, v0
	s_waitcnt vmcnt(4) lgkmcnt(0)
	v_mul_f32_e32 v3, v4, v9
	v_fmac_f32_e32 v3, v5, v8
	v_mul_f32_e32 v12, v6, v11
	v_add_f32_e32 v3, 0, v3
	v_fmac_f32_e32 v12, v7, v10
	v_add_f32_e32 v3, v3, v12
	ds_read2_b64 v[12:15], v2 offset0:85 offset1:86
	s_waitcnt vmcnt(3) lgkmcnt(0)
	v_mul_f32_e32 v20, v12, v17
	v_fmac_f32_e32 v20, v13, v16
	v_add_f32_e32 v3, v3, v20
	v_mul_f32_e32 v20, v14, v19
	v_fmac_f32_e32 v20, v15, v18
	v_add_f32_e32 v3, v3, v20
	ds_read2_b64 v[20:23], v2 offset0:87 offset1:88
	s_waitcnt vmcnt(2) lgkmcnt(0)
	v_mul_f32_e32 v28, v20, v25
	v_fmac_f32_e32 v28, v21, v24
	v_add_f32_e32 v3, v3, v28
	v_mul_f32_e32 v28, v22, v27
	v_fmac_f32_e32 v28, v23, v26
	v_add_f32_e32 v3, v3, v28
	ds_read2_b64 v[28:31], v2 offset0:89 offset1:90
	s_waitcnt vmcnt(1) lgkmcnt(0)
	v_mul_f32_e32 v36, v28, v33
	v_fmac_f32_e32 v36, v29, v32
	v_add_f32_e32 v57, v3, v36
	ds_read2_b64 v[36:39], v2 offset0:91 offset1:92
	scratch_load_dwordx4 v[44:47], off, off offset:344
	scratch_load_dwordx4 v[48:51], off, off offset:360
	;; [unrolled: 1-line block ×3, first 2 shown]
	scratch_load_dwordx2 v[62:63], off, off offset:392
	v_mul_f32_e32 v3, v5, v9
	v_fma_f32 v3, v4, v8, -v3
	v_mul_f32_e32 v4, v7, v11
	v_add_f32_e32 v3, 0, v3
	v_fma_f32 v4, v6, v10, -v4
	v_add_f32_e32 v3, v3, v4
	v_mul_f32_e32 v4, v13, v17
	v_fma_f32 v4, v12, v16, -v4
	v_add_f32_e32 v3, v3, v4
	v_mul_f32_e32 v4, v15, v19
	;; [unrolled: 3-line block ×5, first 2 shown]
	v_fma_f32 v4, v28, v32, -v4
	v_mul_f32_e32 v59, v30, v35
	v_add_f32_e32 v56, v3, v4
	v_mul_f32_e32 v3, v31, v35
	s_waitcnt vmcnt(4)
	v_mov_b32_e32 v20, v43
	v_fmac_f32_e32 v59, v31, v34
	s_waitcnt lgkmcnt(0)
	v_mul_f32_e32 v61, v36, v41
	v_fma_f32 v58, v30, v34, -v3
	v_mul_f32_e32 v3, v37, v41
	ds_read2_b64 v[4:7], v2 offset0:93 offset1:94
	ds_read2_b64 v[8:11], v2 offset0:95 offset1:96
	;; [unrolled: 1-line block ×3, first 2 shown]
	ds_read_b64 v[16:17], v2 offset:792
	v_pk_mul_f32 v[20:21], v[38:39], v[20:21] op_sel:[1,0] op_sel_hi:[0,0]
	v_fmac_f32_e32 v61, v37, v40
	v_fma_f32 v60, v36, v40, -v3
	v_pk_add_f32 v[18:19], v[56:57], v[58:59]
	v_pk_fma_f32 v[22:23], v[38:39], v[42:43], v[20:21] neg_lo:[0,0,1] neg_hi:[0,0,1]
	v_pk_fma_f32 v[20:21], v[38:39], v[42:43], v[20:21] op_sel_hi:[1,0,1]
	v_pk_add_f32 v[18:19], v[18:19], v[60:61]
	v_mov_b32_e32 v23, v21
	v_pk_add_f32 v[18:19], v[18:19], v[22:23]
	s_waitcnt vmcnt(3) lgkmcnt(3)
	v_pk_mul_f32 v[20:21], v[4:5], v[44:45] op_sel:[1,1] op_sel_hi:[0,1]
	v_pk_fma_f32 v[22:23], v[4:5], v[44:45], v[20:21] neg_lo:[0,0,1] neg_hi:[0,0,1]
	v_pk_fma_f32 v[4:5], v[4:5], v[44:45], v[20:21] op_sel_hi:[1,0,1]
	s_nop 0
	v_mov_b32_e32 v23, v5
	v_pk_add_f32 v[4:5], v[18:19], v[22:23]
	v_mov_b32_e32 v18, v47
	v_pk_mul_f32 v[18:19], v[6:7], v[18:19] op_sel:[1,0] op_sel_hi:[0,0]
	v_pk_fma_f32 v[20:21], v[6:7], v[46:47], v[18:19] neg_lo:[0,0,1] neg_hi:[0,0,1]
	v_pk_fma_f32 v[6:7], v[6:7], v[46:47], v[18:19] op_sel_hi:[1,0,1]
	s_nop 0
	v_mov_b32_e32 v21, v7
	s_waitcnt vmcnt(2) lgkmcnt(2)
	v_pk_mul_f32 v[6:7], v[8:9], v[48:49] op_sel:[1,1] op_sel_hi:[0,1]
	v_pk_fma_f32 v[18:19], v[8:9], v[48:49], v[6:7] neg_lo:[0,0,1] neg_hi:[0,0,1]
	v_pk_fma_f32 v[6:7], v[8:9], v[48:49], v[6:7] op_sel_hi:[1,0,1]
	v_pk_add_f32 v[4:5], v[4:5], v[20:21]
	v_mov_b32_e32 v6, v51
	v_mov_b32_e32 v19, v7
	v_pk_mul_f32 v[6:7], v[10:11], v[6:7] op_sel:[1,0] op_sel_hi:[0,0]
	v_pk_fma_f32 v[8:9], v[10:11], v[50:51], v[6:7] neg_lo:[0,0,1] neg_hi:[0,0,1]
	v_pk_fma_f32 v[6:7], v[10:11], v[50:51], v[6:7] op_sel_hi:[1,0,1]
	v_pk_add_f32 v[4:5], v[4:5], v[18:19]
	v_mov_b32_e32 v9, v7
	s_waitcnt vmcnt(1) lgkmcnt(1)
	v_pk_mul_f32 v[6:7], v[12:13], v[52:53] op_sel:[1,1] op_sel_hi:[0,1]
	v_pk_add_f32 v[4:5], v[4:5], v[8:9]
	v_pk_fma_f32 v[8:9], v[12:13], v[52:53], v[6:7] neg_lo:[0,0,1] neg_hi:[0,0,1]
	v_pk_fma_f32 v[6:7], v[12:13], v[52:53], v[6:7] op_sel_hi:[1,0,1]
	s_nop 0
	v_mov_b32_e32 v6, v55
	v_mov_b32_e32 v9, v7
	v_pk_mul_f32 v[6:7], v[14:15], v[6:7] op_sel:[1,0] op_sel_hi:[0,0]
	v_pk_add_f32 v[4:5], v[4:5], v[8:9]
	v_pk_fma_f32 v[8:9], v[14:15], v[54:55], v[6:7] neg_lo:[0,0,1] neg_hi:[0,0,1]
	v_pk_fma_f32 v[6:7], v[14:15], v[54:55], v[6:7] op_sel_hi:[1,0,1]
	s_nop 0
	v_mov_b32_e32 v9, v7
	s_waitcnt vmcnt(0) lgkmcnt(0)
	v_pk_mul_f32 v[6:7], v[16:17], v[62:63] op_sel:[1,1] op_sel_hi:[0,1]
	v_pk_add_f32 v[4:5], v[4:5], v[8:9]
	v_pk_fma_f32 v[8:9], v[16:17], v[62:63], v[6:7] neg_lo:[0,0,1] neg_hi:[0,0,1]
	v_pk_fma_f32 v[6:7], v[16:17], v[62:63], v[6:7] op_sel_hi:[1,0,1]
	s_nop 0
	v_mov_b32_e32 v9, v7
	scratch_load_dwordx2 v[6:7], off, off offset:256
	v_pk_add_f32 v[4:5], v[4:5], v[8:9]
	s_waitcnt vmcnt(0)
	v_pk_add_f32 v[4:5], v[6:7], v[4:5] neg_lo:[0,1] neg_hi:[0,1]
	scratch_store_dwordx2 off, v[4:5], off offset:256
	s_and_saveexec_b64 s[0:1], vcc
	s_cbranch_execz .LBB49_251
; %bb.250:
	scratch_load_dwordx2 v[4:5], off, off offset:248
	v_mov_b32_e32 v3, v2
	scratch_store_dwordx2 off, v[2:3], off offset:248
	s_waitcnt vmcnt(1)
	ds_write_b64 v1, v[4:5]
.LBB49_251:
	s_or_b64 exec, exec, s[0:1]
	s_waitcnt lgkmcnt(0)
	; wave barrier
	ds_read_b128 v[4:7], v2 offset:656
	ds_read_b128 v[8:11], v2 offset:672
	;; [unrolled: 1-line block ×4, first 2 shown]
	scratch_load_dwordx4 v[20:23], off, off offset:256
	scratch_load_dwordx4 v[40:43], off, off offset:320
	v_cmp_lt_u32_e32 vcc, 30, v0
	s_waitcnt vmcnt(1) lgkmcnt(3)
	v_mul_f32_e32 v3, v4, v21
	v_fmac_f32_e32 v3, v5, v20
	v_mul_f32_e32 v24, v6, v23
	v_add_f32_e32 v3, 0, v3
	v_fmac_f32_e32 v24, v7, v22
	v_add_f32_e32 v3, v3, v24
	scratch_load_dwordx4 v[24:27], off, off offset:272
	s_waitcnt vmcnt(0) lgkmcnt(2)
	v_mul_f32_e32 v28, v8, v25
	v_fmac_f32_e32 v28, v9, v24
	v_add_f32_e32 v3, v3, v28
	v_mul_f32_e32 v28, v10, v27
	v_fmac_f32_e32 v28, v11, v26
	v_add_f32_e32 v3, v3, v28
	scratch_load_dwordx4 v[28:31], off, off offset:288
	s_waitcnt vmcnt(0) lgkmcnt(1)
	v_mul_f32_e32 v32, v12, v29
	v_fmac_f32_e32 v32, v13, v28
	v_add_f32_e32 v3, v3, v32
	v_mul_f32_e32 v32, v14, v31
	;; [unrolled: 8-line block ×3, first 2 shown]
	v_fmac_f32_e32 v36, v19, v34
	v_add_f32_e32 v61, v3, v36
	ds_read_b128 v[36:39], v2 offset:720
	scratch_load_dwordx4 v[44:47], off, off offset:336
	scratch_load_dwordx4 v[48:51], off, off offset:352
	;; [unrolled: 1-line block ×4, first 2 shown]
	v_mul_f32_e32 v3, v5, v21
	v_fma_f32 v3, v4, v20, -v3
	v_mul_f32_e32 v4, v7, v23
	v_add_f32_e32 v3, 0, v3
	v_fma_f32 v4, v6, v22, -v4
	v_add_f32_e32 v3, v3, v4
	v_mul_f32_e32 v4, v9, v25
	v_fma_f32 v4, v8, v24, -v4
	v_add_f32_e32 v3, v3, v4
	v_mul_f32_e32 v4, v11, v27
	;; [unrolled: 3-line block ×6, first 2 shown]
	v_fma_f32 v4, v18, v34, -v4
	v_add_f32_e32 v60, v3, v4
	ds_read_b128 v[4:7], v2 offset:736
	ds_read_b128 v[8:11], v2 offset:752
	;; [unrolled: 1-line block ×4, first 2 shown]
	s_waitcnt lgkmcnt(4)
	v_mul_f32_e32 v63, v36, v41
	v_mul_f32_e32 v3, v37, v41
	v_fmac_f32_e32 v63, v37, v40
	v_mul_f32_e32 v65, v38, v43
	v_fma_f32 v62, v36, v40, -v3
	v_mul_f32_e32 v3, v39, v43
	v_fmac_f32_e32 v65, v39, v42
	v_fma_f32 v64, v38, v42, -v3
	v_pk_add_f32 v[2:3], v[60:61], v[62:63]
	s_waitcnt vmcnt(3) lgkmcnt(3)
	v_pk_mul_f32 v[20:21], v[4:5], v[44:45] op_sel:[1,1] op_sel_hi:[0,1]
	v_pk_fma_f32 v[22:23], v[4:5], v[44:45], v[20:21] neg_lo:[0,0,1] neg_hi:[0,0,1]
	v_pk_fma_f32 v[4:5], v[4:5], v[44:45], v[20:21] op_sel_hi:[1,0,1]
	v_pk_add_f32 v[2:3], v[2:3], v[64:65]
	v_mov_b32_e32 v4, v47
	v_mov_b32_e32 v23, v5
	v_pk_mul_f32 v[4:5], v[6:7], v[4:5] op_sel:[1,0] op_sel_hi:[0,0]
	v_pk_fma_f32 v[20:21], v[6:7], v[46:47], v[4:5] neg_lo:[0,0,1] neg_hi:[0,0,1]
	v_pk_fma_f32 v[4:5], v[6:7], v[46:47], v[4:5] op_sel_hi:[1,0,1]
	v_pk_add_f32 v[2:3], v[2:3], v[22:23]
	v_mov_b32_e32 v21, v5
	s_waitcnt vmcnt(2) lgkmcnt(2)
	v_pk_mul_f32 v[4:5], v[8:9], v[48:49] op_sel:[1,1] op_sel_hi:[0,1]
	v_pk_fma_f32 v[6:7], v[8:9], v[48:49], v[4:5] neg_lo:[0,0,1] neg_hi:[0,0,1]
	v_pk_fma_f32 v[4:5], v[8:9], v[48:49], v[4:5] op_sel_hi:[1,0,1]
	v_pk_add_f32 v[2:3], v[2:3], v[20:21]
	v_mov_b32_e32 v4, v51
	v_mov_b32_e32 v7, v5
	v_pk_mul_f32 v[4:5], v[10:11], v[4:5] op_sel:[1,0] op_sel_hi:[0,0]
	v_pk_add_f32 v[2:3], v[2:3], v[6:7]
	v_pk_fma_f32 v[6:7], v[10:11], v[50:51], v[4:5] neg_lo:[0,0,1] neg_hi:[0,0,1]
	v_pk_fma_f32 v[4:5], v[10:11], v[50:51], v[4:5] op_sel_hi:[1,0,1]
	s_nop 0
	v_mov_b32_e32 v7, v5
	s_waitcnt vmcnt(1) lgkmcnt(1)
	v_pk_mul_f32 v[4:5], v[12:13], v[52:53] op_sel:[1,1] op_sel_hi:[0,1]
	v_pk_add_f32 v[2:3], v[2:3], v[6:7]
	v_pk_fma_f32 v[6:7], v[12:13], v[52:53], v[4:5] neg_lo:[0,0,1] neg_hi:[0,0,1]
	v_pk_fma_f32 v[4:5], v[12:13], v[52:53], v[4:5] op_sel_hi:[1,0,1]
	s_nop 0
	v_mov_b32_e32 v4, v55
	v_mov_b32_e32 v7, v5
	v_pk_mul_f32 v[4:5], v[14:15], v[4:5] op_sel:[1,0] op_sel_hi:[0,0]
	v_pk_add_f32 v[2:3], v[2:3], v[6:7]
	v_pk_fma_f32 v[6:7], v[14:15], v[54:55], v[4:5] neg_lo:[0,0,1] neg_hi:[0,0,1]
	v_pk_fma_f32 v[4:5], v[14:15], v[54:55], v[4:5] op_sel_hi:[1,0,1]
	s_nop 0
	v_mov_b32_e32 v7, v5
	s_waitcnt vmcnt(0) lgkmcnt(0)
	v_pk_mul_f32 v[4:5], v[16:17], v[56:57] op_sel:[1,1] op_sel_hi:[0,1]
	v_pk_add_f32 v[2:3], v[2:3], v[6:7]
	v_pk_fma_f32 v[6:7], v[16:17], v[56:57], v[4:5] neg_lo:[0,0,1] neg_hi:[0,0,1]
	v_pk_fma_f32 v[4:5], v[16:17], v[56:57], v[4:5] op_sel_hi:[1,0,1]
	s_nop 0
	v_mov_b32_e32 v4, v59
	v_mov_b32_e32 v7, v5
	v_pk_mul_f32 v[4:5], v[18:19], v[4:5] op_sel:[1,0] op_sel_hi:[0,0]
	v_pk_add_f32 v[2:3], v[2:3], v[6:7]
	v_pk_fma_f32 v[6:7], v[18:19], v[58:59], v[4:5] neg_lo:[0,0,1] neg_hi:[0,0,1]
	v_pk_fma_f32 v[4:5], v[18:19], v[58:59], v[4:5] op_sel_hi:[1,0,1]
	s_nop 0
	v_mov_b32_e32 v7, v5
	scratch_load_dwordx2 v[4:5], off, off offset:248
	v_pk_add_f32 v[2:3], v[2:3], v[6:7]
	s_waitcnt vmcnt(0)
	v_pk_add_f32 v[2:3], v[4:5], v[2:3] neg_lo:[0,1] neg_hi:[0,1]
	scratch_store_dwordx2 off, v[2:3], off offset:248
	s_and_saveexec_b64 s[0:1], vcc
	s_cbranch_execz .LBB49_253
; %bb.252:
	scratch_load_dwordx2 v[2:3], off, off offset:240
	v_mov_b32_e32 v4, 0
	v_mov_b32_e32 v5, v4
	scratch_store_dwordx2 off, v[4:5], off offset:240
	s_waitcnt vmcnt(1)
	ds_write_b64 v1, v[2:3]
.LBB49_253:
	s_or_b64 exec, exec, s[0:1]
	s_waitcnt lgkmcnt(0)
	; wave barrier
	scratch_load_dwordx4 v[4:7], off, off offset:248
	scratch_load_dwordx4 v[8:11], off, off offset:264
	;; [unrolled: 1-line block ×9, first 2 shown]
	scratch_load_dwordx2 v[76:77], off, off offset:392
	scratch_load_dwordx2 v[78:79], off, off offset:240
	v_mov_b32_e32 v2, 0
	ds_read2_b64 v[40:43], v2 offset0:81 offset1:82
	ds_read2_b64 v[44:47], v2 offset0:83 offset1:84
	;; [unrolled: 1-line block ×9, first 2 shown]
	ds_read_b64 v[80:81], v2 offset:792
	v_cmp_lt_u32_e32 vcc, 29, v0
	s_waitcnt vmcnt(10) lgkmcnt(9)
	v_mul_f32_e32 v87, v42, v7
	v_mul_f32_e32 v3, v40, v5
	v_mul_f32_e32 v5, v41, v5
	v_fmac_f32_e32 v87, v43, v6
	s_waitcnt vmcnt(9) lgkmcnt(8)
	v_mul_f32_e32 v88, v44, v9
	s_waitcnt vmcnt(5)
	v_mov_b32_e32 v86, v27
	v_mul_f32_e32 v89, v46, v11
	s_waitcnt lgkmcnt(7)
	v_mul_f32_e32 v91, v50, v15
	v_mul_f32_e32 v7, v43, v7
	;; [unrolled: 1-line block ×5, first 2 shown]
	v_fmac_f32_e32 v3, v41, v4
	v_fma_f32 v40, v40, v4, -v5
	s_waitcnt lgkmcnt(4)
	v_pk_mul_f32 v[4:5], v[62:63], v[86:87] op_sel:[1,0] op_sel_hi:[0,0]
	v_fmac_f32_e32 v88, v45, v8
	v_fma_f32 v41, v42, v6, -v7
	v_fma_f32 v8, v44, v8, -v9
	;; [unrolled: 1-line block ×4, first 2 shown]
	v_add_f32_e32 v3, 0, v3
	v_add_f32_e32 v15, 0, v40
	v_pk_fma_f32 v[6:7], v[62:63], v[26:27], v[4:5] neg_lo:[0,0,1] neg_hi:[0,0,1]
	v_pk_fma_f32 v[4:5], v[62:63], v[26:27], v[4:5] op_sel_hi:[1,0,1]
	v_add_f32_e32 v3, v3, v87
	v_add_f32_e32 v4, v15, v41
	v_mul_f32_e32 v90, v48, v13
	v_mul_f32_e32 v13, v49, v13
	v_fmac_f32_e32 v89, v47, v10
	v_add_f32_e32 v3, v3, v88
	v_add_f32_e32 v4, v4, v8
	v_fmac_f32_e32 v90, v49, v12
	v_fma_f32 v10, v48, v12, -v13
	v_add_f32_e32 v3, v3, v89
	v_add_f32_e32 v4, v4, v9
	v_mul_f32_e32 v92, v52, v17
	v_mul_f32_e32 v17, v53, v17
	v_fmac_f32_e32 v91, v51, v14
	v_add_f32_e32 v3, v3, v90
	v_add_f32_e32 v4, v4, v10
	v_mul_f32_e32 v93, v54, v19
	v_mul_f32_e32 v19, v55, v19
	v_fmac_f32_e32 v92, v53, v16
	v_fma_f32 v12, v52, v16, -v17
	v_add_f32_e32 v3, v3, v91
	v_add_f32_e32 v4, v4, v11
	v_mul_f32_e32 v94, v56, v21
	v_mul_f32_e32 v21, v57, v21
	v_fmac_f32_e32 v93, v55, v18
	v_fma_f32 v13, v54, v18, -v19
	;; [unrolled: 6-line block ×4, first 2 shown]
	v_mov_b32_e32 v7, v5
	v_add_f32_e32 v5, v3, v94
	v_add_f32_e32 v4, v4, v14
	v_fmac_f32_e32 v85, v61, v24
	v_fma_f32 v84, v60, v24, -v25
	v_pk_add_f32 v[4:5], v[4:5], v[82:83]
	s_nop 0
	v_pk_add_f32 v[4:5], v[4:5], v[84:85]
	s_nop 0
	v_pk_add_f32 v[4:5], v[4:5], v[6:7]
	s_waitcnt vmcnt(4) lgkmcnt(3)
	v_pk_mul_f32 v[6:7], v[64:65], v[28:29] op_sel:[1,1] op_sel_hi:[0,1]
	v_pk_fma_f32 v[8:9], v[64:65], v[28:29], v[6:7] neg_lo:[0,0,1] neg_hi:[0,0,1]
	v_pk_fma_f32 v[6:7], v[64:65], v[28:29], v[6:7] op_sel_hi:[1,0,1]
	s_nop 0
	v_mov_b32_e32 v6, v31
	v_mov_b32_e32 v9, v7
	v_pk_mul_f32 v[6:7], v[66:67], v[6:7] op_sel:[1,0] op_sel_hi:[0,0]
	v_pk_add_f32 v[4:5], v[4:5], v[8:9]
	v_pk_fma_f32 v[8:9], v[66:67], v[30:31], v[6:7] neg_lo:[0,0,1] neg_hi:[0,0,1]
	v_pk_fma_f32 v[6:7], v[66:67], v[30:31], v[6:7] op_sel_hi:[1,0,1]
	s_nop 0
	v_mov_b32_e32 v9, v7
	s_waitcnt vmcnt(3) lgkmcnt(2)
	v_pk_mul_f32 v[6:7], v[68:69], v[32:33] op_sel:[1,1] op_sel_hi:[0,1]
	v_pk_add_f32 v[4:5], v[4:5], v[8:9]
	v_pk_fma_f32 v[8:9], v[68:69], v[32:33], v[6:7] neg_lo:[0,0,1] neg_hi:[0,0,1]
	v_pk_fma_f32 v[6:7], v[68:69], v[32:33], v[6:7] op_sel_hi:[1,0,1]
	s_nop 0
	v_mov_b32_e32 v6, v35
	v_mov_b32_e32 v9, v7
	v_pk_mul_f32 v[6:7], v[70:71], v[6:7] op_sel:[1,0] op_sel_hi:[0,0]
	v_pk_add_f32 v[4:5], v[4:5], v[8:9]
	v_pk_fma_f32 v[8:9], v[70:71], v[34:35], v[6:7] neg_lo:[0,0,1] neg_hi:[0,0,1]
	v_pk_fma_f32 v[6:7], v[70:71], v[34:35], v[6:7] op_sel_hi:[1,0,1]
	s_nop 0
	v_mov_b32_e32 v9, v7
	s_waitcnt vmcnt(2) lgkmcnt(1)
	v_pk_mul_f32 v[6:7], v[72:73], v[36:37] op_sel:[1,1] op_sel_hi:[0,1]
	v_pk_add_f32 v[4:5], v[4:5], v[8:9]
	;; [unrolled: 14-line block ×3, first 2 shown]
	v_pk_fma_f32 v[8:9], v[80:81], v[76:77], v[6:7] neg_lo:[0,0,1] neg_hi:[0,0,1]
	v_pk_fma_f32 v[6:7], v[80:81], v[76:77], v[6:7] op_sel_hi:[1,0,1]
	s_nop 0
	v_mov_b32_e32 v9, v7
	v_pk_add_f32 v[4:5], v[4:5], v[8:9]
	s_waitcnt vmcnt(0)
	v_pk_add_f32 v[4:5], v[78:79], v[4:5] neg_lo:[0,1] neg_hi:[0,1]
	scratch_store_dwordx2 off, v[4:5], off offset:240
	s_and_saveexec_b64 s[0:1], vcc
	s_cbranch_execz .LBB49_255
; %bb.254:
	scratch_load_dwordx2 v[4:5], off, off offset:232
	v_mov_b32_e32 v3, v2
	scratch_store_dwordx2 off, v[2:3], off offset:232
	s_waitcnt vmcnt(1)
	ds_write_b64 v1, v[4:5]
.LBB49_255:
	s_or_b64 exec, exec, s[0:1]
	s_waitcnt lgkmcnt(0)
	; wave barrier
	scratch_load_dwordx4 v[4:7], off, off offset:240
	scratch_load_dwordx4 v[8:11], off, off offset:256
	scratch_load_dwordx4 v[12:15], off, off offset:272
	scratch_load_dwordx4 v[16:19], off, off offset:288
	scratch_load_dwordx4 v[20:23], off, off offset:304
	scratch_load_dwordx4 v[24:27], off, off offset:320
	scratch_load_dwordx4 v[28:31], off, off offset:336
	ds_read_b128 v[32:35], v2 offset:640
	ds_read_b128 v[36:39], v2 offset:656
	;; [unrolled: 1-line block ×6, first 2 shown]
	scratch_load_dwordx4 v[56:59], off, off offset:352
	scratch_load_dwordx4 v[60:63], off, off offset:368
	;; [unrolled: 1-line block ×3, first 2 shown]
	ds_read_b128 v[68:71], v2 offset:736
	ds_read_b128 v[72:75], v2 offset:752
	;; [unrolled: 1-line block ×4, first 2 shown]
	scratch_load_dwordx2 v[2:3], off, off offset:232
	v_cmp_lt_u32_e32 vcc, 28, v0
	s_waitcnt vmcnt(10) lgkmcnt(9)
	v_mul_f32_e32 v90, v32, v5
	v_mul_f32_e32 v5, v33, v5
	;; [unrolled: 1-line block ×3, first 2 shown]
	s_waitcnt vmcnt(9) lgkmcnt(8)
	v_mul_f32_e32 v92, v36, v9
	s_waitcnt vmcnt(8) lgkmcnt(7)
	v_mul_f32_e32 v95, v42, v15
	v_mul_f32_e32 v7, v35, v7
	;; [unrolled: 1-line block ×4, first 2 shown]
	v_fmac_f32_e32 v90, v33, v4
	v_fma_f32 v4, v32, v4, -v5
	v_fmac_f32_e32 v91, v35, v6
	v_fmac_f32_e32 v95, v43, v14
	v_fma_f32 v5, v34, v6, -v7
	v_fma_f32 v6, v36, v8, -v9
	;; [unrolled: 1-line block ×3, first 2 shown]
	v_add_f32_e32 v14, 0, v90
	v_add_f32_e32 v4, 0, v4
	v_mul_f32_e32 v93, v38, v11
	v_mul_f32_e32 v11, v39, v11
	v_fmac_f32_e32 v92, v37, v8
	v_add_f32_e32 v14, v14, v91
	v_add_f32_e32 v4, v4, v5
	v_mul_f32_e32 v94, v40, v13
	v_mul_f32_e32 v13, v41, v13
	v_fmac_f32_e32 v93, v39, v10
	v_fma_f32 v7, v38, v10, -v11
	v_add_f32_e32 v5, v14, v92
	v_add_f32_e32 v4, v4, v6
	v_fmac_f32_e32 v94, v41, v12
	v_fma_f32 v8, v40, v12, -v13
	v_add_f32_e32 v5, v5, v93
	v_add_f32_e32 v4, v4, v7
	s_waitcnt vmcnt(7) lgkmcnt(6)
	v_mul_f32_e32 v96, v44, v17
	v_mul_f32_e32 v17, v45, v17
	v_add_f32_e32 v5, v5, v94
	v_add_f32_e32 v4, v4, v8
	v_mul_f32_e32 v97, v46, v19
	v_mul_f32_e32 v19, v47, v19
	v_fmac_f32_e32 v96, v45, v16
	v_fma_f32 v10, v44, v16, -v17
	v_add_f32_e32 v5, v5, v95
	v_add_f32_e32 v4, v4, v9
	s_waitcnt vmcnt(6) lgkmcnt(5)
	v_mul_f32_e32 v98, v48, v21
	v_mul_f32_e32 v21, v49, v21
	v_fmac_f32_e32 v97, v47, v18
	v_fma_f32 v11, v46, v18, -v19
	v_add_f32_e32 v5, v5, v96
	v_add_f32_e32 v4, v4, v10
	v_mul_f32_e32 v99, v50, v23
	v_mul_f32_e32 v23, v51, v23
	v_fmac_f32_e32 v98, v49, v20
	v_fma_f32 v12, v48, v20, -v21
	v_add_f32_e32 v5, v5, v97
	v_add_f32_e32 v4, v4, v11
	s_waitcnt vmcnt(5) lgkmcnt(4)
	v_mul_f32_e32 v85, v52, v25
	v_mul_f32_e32 v25, v53, v25
	v_fmac_f32_e32 v99, v51, v22
	v_fma_f32 v13, v50, v22, -v23
	v_add_f32_e32 v5, v5, v98
	v_add_f32_e32 v4, v4, v12
	v_mul_f32_e32 v87, v54, v27
	v_mul_f32_e32 v27, v55, v27
	s_waitcnt vmcnt(4) lgkmcnt(3)
	v_pk_mul_f32 v[88:89], v[68:69], v[28:29] op_sel:[1,1] op_sel_hi:[0,1]
	v_fmac_f32_e32 v85, v53, v24
	v_fma_f32 v84, v52, v24, -v25
	v_add_f32_e32 v5, v5, v99
	v_add_f32_e32 v4, v4, v13
	v_fmac_f32_e32 v87, v55, v26
	v_fma_f32 v86, v54, v26, -v27
	v_pk_add_f32 v[4:5], v[4:5], v[84:85]
	v_pk_fma_f32 v[6:7], v[68:69], v[28:29], v[88:89] neg_lo:[0,0,1] neg_hi:[0,0,1]
	v_pk_fma_f32 v[8:9], v[68:69], v[28:29], v[88:89] op_sel_hi:[1,0,1]
	v_pk_add_f32 v[4:5], v[4:5], v[86:87]
	v_mov_b32_e32 v7, v9
	v_pk_add_f32 v[4:5], v[4:5], v[6:7]
	v_mov_b32_e32 v6, v31
	v_pk_mul_f32 v[6:7], v[70:71], v[6:7] op_sel:[1,0] op_sel_hi:[0,0]
	v_pk_fma_f32 v[8:9], v[70:71], v[30:31], v[6:7] neg_lo:[0,0,1] neg_hi:[0,0,1]
	v_pk_fma_f32 v[6:7], v[70:71], v[30:31], v[6:7] op_sel_hi:[1,0,1]
	s_nop 0
	v_mov_b32_e32 v9, v7
	s_waitcnt vmcnt(3) lgkmcnt(2)
	v_pk_mul_f32 v[6:7], v[72:73], v[56:57] op_sel:[1,1] op_sel_hi:[0,1]
	v_pk_add_f32 v[4:5], v[4:5], v[8:9]
	v_pk_fma_f32 v[8:9], v[72:73], v[56:57], v[6:7] neg_lo:[0,0,1] neg_hi:[0,0,1]
	v_pk_fma_f32 v[6:7], v[72:73], v[56:57], v[6:7] op_sel_hi:[1,0,1]
	s_nop 0
	v_mov_b32_e32 v6, v59
	v_mov_b32_e32 v9, v7
	v_pk_mul_f32 v[6:7], v[74:75], v[6:7] op_sel:[1,0] op_sel_hi:[0,0]
	v_pk_add_f32 v[4:5], v[4:5], v[8:9]
	v_pk_fma_f32 v[8:9], v[74:75], v[58:59], v[6:7] neg_lo:[0,0,1] neg_hi:[0,0,1]
	v_pk_fma_f32 v[6:7], v[74:75], v[58:59], v[6:7] op_sel_hi:[1,0,1]
	s_nop 0
	v_mov_b32_e32 v9, v7
	s_waitcnt vmcnt(2) lgkmcnt(1)
	v_pk_mul_f32 v[6:7], v[76:77], v[60:61] op_sel:[1,1] op_sel_hi:[0,1]
	v_pk_add_f32 v[4:5], v[4:5], v[8:9]
	v_pk_fma_f32 v[8:9], v[76:77], v[60:61], v[6:7] neg_lo:[0,0,1] neg_hi:[0,0,1]
	v_pk_fma_f32 v[6:7], v[76:77], v[60:61], v[6:7] op_sel_hi:[1,0,1]
	s_nop 0
	v_mov_b32_e32 v6, v63
	v_mov_b32_e32 v9, v7
	v_pk_mul_f32 v[6:7], v[78:79], v[6:7] op_sel:[1,0] op_sel_hi:[0,0]
	v_pk_add_f32 v[4:5], v[4:5], v[8:9]
	;; [unrolled: 14-line block ×3, first 2 shown]
	v_pk_fma_f32 v[8:9], v[82:83], v[66:67], v[6:7] neg_lo:[0,0,1] neg_hi:[0,0,1]
	v_pk_fma_f32 v[6:7], v[82:83], v[66:67], v[6:7] op_sel_hi:[1,0,1]
	s_nop 0
	v_mov_b32_e32 v9, v7
	v_pk_add_f32 v[4:5], v[4:5], v[8:9]
	s_waitcnt vmcnt(0)
	v_pk_add_f32 v[2:3], v[2:3], v[4:5] neg_lo:[0,1] neg_hi:[0,1]
	scratch_store_dwordx2 off, v[2:3], off offset:232
	s_and_saveexec_b64 s[0:1], vcc
	s_cbranch_execz .LBB49_257
; %bb.256:
	scratch_load_dwordx2 v[2:3], off, off offset:224
	v_mov_b32_e32 v4, 0
	v_mov_b32_e32 v5, v4
	scratch_store_dwordx2 off, v[4:5], off offset:224
	s_waitcnt vmcnt(1)
	ds_write_b64 v1, v[2:3]
.LBB49_257:
	s_or_b64 exec, exec, s[0:1]
	s_waitcnt lgkmcnt(0)
	; wave barrier
	scratch_load_dwordx4 v[2:5], off, off offset:232
	scratch_load_dwordx4 v[8:11], off, off offset:248
	;; [unrolled: 1-line block ×10, first 2 shown]
	scratch_load_dwordx2 v[76:77], off, off offset:392
	scratch_load_dwordx2 v[78:79], off, off offset:224
	v_mov_b32_e32 v6, 0
	ds_read2_b64 v[44:47], v6 offset0:79 offset1:80
	ds_read2_b64 v[48:51], v6 offset0:81 offset1:82
	ds_read2_b64 v[52:55], v6 offset0:83 offset1:84
	ds_read2_b64 v[56:59], v6 offset0:85 offset1:86
	ds_read2_b64 v[60:63], v6 offset0:87 offset1:88
	ds_read2_b64 v[64:67], v6 offset0:89 offset1:90
	ds_read2_b64 v[68:71], v6 offset0:91 offset1:92
	ds_read2_b64 v[72:75], v6 offset0:93 offset1:94
	v_cmp_lt_u32_e32 vcc, 27, v0
	s_waitcnt vmcnt(11) lgkmcnt(7)
	v_mul_f32_e32 v7, v44, v3
	v_mul_f32_e32 v3, v45, v3
	;; [unrolled: 1-line block ×4, first 2 shown]
	v_fmac_f32_e32 v7, v45, v2
	v_fma_f32 v2, v44, v2, -v3
	s_waitcnt vmcnt(10) lgkmcnt(6)
	v_mul_f32_e32 v82, v48, v9
	v_mul_f32_e32 v9, v49, v9
	v_fma_f32 v3, v46, v4, -v5
	v_add_f32_e32 v2, 0, v2
	v_mul_f32_e32 v84, v50, v11
	v_mul_f32_e32 v11, v51, v11
	v_fmac_f32_e32 v80, v47, v4
	v_fma_f32 v4, v48, v8, -v9
	v_add_f32_e32 v7, 0, v7
	v_add_f32_e32 v2, v2, v3
	s_waitcnt vmcnt(9) lgkmcnt(5)
	v_mul_f32_e32 v85, v52, v13
	v_mul_f32_e32 v13, v53, v13
	v_fmac_f32_e32 v82, v49, v8
	v_fma_f32 v5, v50, v10, -v11
	v_add_f32_e32 v7, v7, v80
	v_add_f32_e32 v2, v2, v4
	v_mul_f32_e32 v86, v54, v15
	v_mul_f32_e32 v15, v55, v15
	v_fmac_f32_e32 v84, v51, v10
	v_fma_f32 v8, v52, v12, -v13
	v_add_f32_e32 v3, v7, v82
	v_add_f32_e32 v2, v2, v5
	s_waitcnt vmcnt(8) lgkmcnt(4)
	v_mul_f32_e32 v87, v56, v17
	v_mul_f32_e32 v17, v57, v17
	v_fmac_f32_e32 v85, v53, v12
	v_fma_f32 v9, v54, v14, -v15
	v_add_f32_e32 v3, v3, v84
	;; [unrolled: 13-line block ×4, first 2 shown]
	v_add_f32_e32 v2, v2, v12
	v_fmac_f32_e32 v90, v63, v22
	v_fma_f32 v14, v64, v24, -v25
	v_add_f32_e32 v3, v3, v89
	v_add_f32_e32 v2, v2, v13
	v_mul_f32_e32 v81, v66, v27
	v_fmac_f32_e32 v91, v65, v24
	v_add_f32_e32 v3, v3, v90
	v_add_f32_e32 v12, v2, v14
	v_mul_f32_e32 v2, v67, v27
	s_waitcnt vmcnt(5)
	v_mov_b32_e32 v16, v31
	s_waitcnt lgkmcnt(1)
	v_mul_f32_e32 v83, v68, v29
	v_fmac_f32_e32 v81, v67, v26
	v_add_f32_e32 v13, v3, v91
	v_fma_f32 v80, v66, v26, -v2
	v_mul_f32_e32 v2, v69, v29
	v_pk_mul_f32 v[16:17], v[70:71], v[16:17] op_sel:[1,0] op_sel_hi:[0,0]
	v_fmac_f32_e32 v83, v69, v28
	v_fma_f32 v82, v68, v28, -v2
	v_pk_add_f32 v[12:13], v[12:13], v[80:81]
	v_pk_fma_f32 v[18:19], v[70:71], v[30:31], v[16:17] neg_lo:[0,0,1] neg_hi:[0,0,1]
	v_pk_fma_f32 v[16:17], v[70:71], v[30:31], v[16:17] op_sel_hi:[1,0,1]
	v_pk_add_f32 v[12:13], v[12:13], v[82:83]
	v_mov_b32_e32 v19, v17
	s_waitcnt vmcnt(4) lgkmcnt(0)
	v_pk_mul_f32 v[16:17], v[72:73], v[32:33] op_sel:[1,1] op_sel_hi:[0,1]
	v_pk_add_f32 v[12:13], v[12:13], v[18:19]
	v_pk_fma_f32 v[18:19], v[72:73], v[32:33], v[16:17] neg_lo:[0,0,1] neg_hi:[0,0,1]
	v_pk_fma_f32 v[16:17], v[72:73], v[32:33], v[16:17] op_sel_hi:[1,0,1]
	ds_read2_b64 v[2:5], v6 offset0:95 offset1:96
	ds_read2_b64 v[8:11], v6 offset0:97 offset1:98
	ds_read_b64 v[14:15], v6 offset:792
	v_mov_b32_e32 v16, v35
	v_mov_b32_e32 v19, v17
	v_pk_mul_f32 v[16:17], v[74:75], v[16:17] op_sel:[1,0] op_sel_hi:[0,0]
	v_pk_add_f32 v[12:13], v[12:13], v[18:19]
	v_pk_fma_f32 v[18:19], v[74:75], v[34:35], v[16:17] neg_lo:[0,0,1] neg_hi:[0,0,1]
	v_pk_fma_f32 v[16:17], v[74:75], v[34:35], v[16:17] op_sel_hi:[1,0,1]
	s_nop 0
	v_mov_b32_e32 v19, v17
	s_waitcnt vmcnt(3) lgkmcnt(2)
	v_pk_mul_f32 v[16:17], v[2:3], v[36:37] op_sel:[1,1] op_sel_hi:[0,1]
	v_pk_add_f32 v[12:13], v[12:13], v[18:19]
	v_pk_fma_f32 v[18:19], v[2:3], v[36:37], v[16:17] neg_lo:[0,0,1] neg_hi:[0,0,1]
	v_pk_fma_f32 v[2:3], v[2:3], v[36:37], v[16:17] op_sel_hi:[1,0,1]
	s_nop 0
	v_mov_b32_e32 v19, v3
	v_pk_add_f32 v[2:3], v[12:13], v[18:19]
	v_mov_b32_e32 v12, v39
	v_pk_mul_f32 v[12:13], v[4:5], v[12:13] op_sel:[1,0] op_sel_hi:[0,0]
	v_pk_fma_f32 v[16:17], v[4:5], v[38:39], v[12:13] neg_lo:[0,0,1] neg_hi:[0,0,1]
	v_pk_fma_f32 v[4:5], v[4:5], v[38:39], v[12:13] op_sel_hi:[1,0,1]
	s_nop 0
	v_mov_b32_e32 v17, v5
	s_waitcnt vmcnt(2) lgkmcnt(1)
	v_pk_mul_f32 v[4:5], v[8:9], v[40:41] op_sel:[1,1] op_sel_hi:[0,1]
	v_pk_fma_f32 v[12:13], v[8:9], v[40:41], v[4:5] neg_lo:[0,0,1] neg_hi:[0,0,1]
	v_pk_fma_f32 v[4:5], v[8:9], v[40:41], v[4:5] op_sel_hi:[1,0,1]
	v_pk_add_f32 v[2:3], v[2:3], v[16:17]
	v_mov_b32_e32 v4, v43
	v_mov_b32_e32 v13, v5
	v_pk_mul_f32 v[4:5], v[10:11], v[4:5] op_sel:[1,0] op_sel_hi:[0,0]
	v_pk_fma_f32 v[8:9], v[10:11], v[42:43], v[4:5] neg_lo:[0,0,1] neg_hi:[0,0,1]
	v_pk_fma_f32 v[4:5], v[10:11], v[42:43], v[4:5] op_sel_hi:[1,0,1]
	v_pk_add_f32 v[2:3], v[2:3], v[12:13]
	v_mov_b32_e32 v9, v5
	s_waitcnt vmcnt(1) lgkmcnt(0)
	v_pk_mul_f32 v[4:5], v[14:15], v[76:77] op_sel:[1,1] op_sel_hi:[0,1]
	v_pk_add_f32 v[2:3], v[2:3], v[8:9]
	v_pk_fma_f32 v[8:9], v[14:15], v[76:77], v[4:5] neg_lo:[0,0,1] neg_hi:[0,0,1]
	v_pk_fma_f32 v[4:5], v[14:15], v[76:77], v[4:5] op_sel_hi:[1,0,1]
	s_nop 0
	v_mov_b32_e32 v9, v5
	v_pk_add_f32 v[2:3], v[2:3], v[8:9]
	s_waitcnt vmcnt(0)
	v_pk_add_f32 v[2:3], v[78:79], v[2:3] neg_lo:[0,1] neg_hi:[0,1]
	scratch_store_dwordx2 off, v[2:3], off offset:224
	s_and_saveexec_b64 s[0:1], vcc
	s_cbranch_execz .LBB49_259
; %bb.258:
	scratch_load_dwordx2 v[2:3], off, off offset:216
	v_mov_b32_e32 v7, v6
	scratch_store_dwordx2 off, v[6:7], off offset:216
	s_waitcnt vmcnt(1)
	ds_write_b64 v1, v[2:3]
.LBB49_259:
	s_or_b64 exec, exec, s[0:1]
	s_waitcnt lgkmcnt(0)
	; wave barrier
	scratch_load_dwordx4 v[8:11], off, off offset:224
	scratch_load_dwordx4 v[12:15], off, off offset:240
	;; [unrolled: 1-line block ×7, first 2 shown]
	ds_read_b128 v[36:39], v6 offset:624
	ds_read_b128 v[40:43], v6 offset:640
	;; [unrolled: 1-line block ×6, first 2 shown]
	scratch_load_dwordx4 v[60:63], off, off offset:336
	scratch_load_dwordx4 v[64:67], off, off offset:352
	;; [unrolled: 1-line block ×4, first 2 shown]
	ds_read_b128 v[72:75], v6 offset:720
	ds_read_b128 v[76:79], v6 offset:736
	scratch_load_dwordx2 v[80:81], off, off offset:216
	v_cmp_lt_u32_e32 vcc, 26, v0
	s_waitcnt vmcnt(11) lgkmcnt(7)
	v_mul_f32_e32 v7, v36, v9
	v_mul_f32_e32 v82, v38, v11
	;; [unrolled: 1-line block ×3, first 2 shown]
	v_fmac_f32_e32 v7, v37, v8
	s_waitcnt vmcnt(10) lgkmcnt(6)
	v_mul_f32_e32 v84, v40, v13
	v_mul_f32_e32 v11, v39, v11
	v_fmac_f32_e32 v82, v39, v10
	v_fma_f32 v8, v36, v8, -v9
	v_add_f32_e32 v7, 0, v7
	v_mul_f32_e32 v86, v42, v15
	v_mul_f32_e32 v13, v41, v13
	v_fmac_f32_e32 v84, v41, v12
	v_fma_f32 v9, v38, v10, -v11
	v_add_f32_e32 v8, 0, v8
	v_add_f32_e32 v7, v7, v82
	s_waitcnt vmcnt(9) lgkmcnt(5)
	v_mul_f32_e32 v87, v44, v17
	v_mul_f32_e32 v15, v43, v15
	v_fmac_f32_e32 v86, v43, v14
	v_fma_f32 v10, v40, v12, -v13
	v_add_f32_e32 v8, v8, v9
	v_add_f32_e32 v7, v7, v84
	v_mul_f32_e32 v88, v46, v19
	v_mul_f32_e32 v17, v45, v17
	v_fmac_f32_e32 v87, v45, v16
	v_fma_f32 v11, v42, v14, -v15
	v_add_f32_e32 v8, v8, v10
	v_add_f32_e32 v7, v7, v86
	s_waitcnt vmcnt(8) lgkmcnt(4)
	v_mul_f32_e32 v89, v48, v21
	v_mul_f32_e32 v19, v47, v19
	v_fmac_f32_e32 v88, v47, v18
	v_fma_f32 v12, v44, v16, -v17
	v_add_f32_e32 v8, v8, v11
	;; [unrolled: 13-line block ×4, first 2 shown]
	v_add_f32_e32 v7, v7, v91
	v_mul_f32_e32 v94, v58, v31
	v_mul_f32_e32 v29, v57, v29
	v_fmac_f32_e32 v93, v57, v28
	v_fma_f32 v17, v54, v26, -v27
	v_add_f32_e32 v8, v8, v16
	v_add_f32_e32 v7, v7, v92
	v_fmac_f32_e32 v94, v59, v30
	v_fma_f32 v18, v56, v28, -v29
	v_add_f32_e32 v8, v8, v17
	v_add_f32_e32 v7, v7, v93
	;; [unrolled: 1-line block ×4, first 2 shown]
	v_mul_f32_e32 v8, v59, v31
	v_fma_f32 v8, v58, v30, -v8
	s_waitcnt vmcnt(5) lgkmcnt(1)
	v_mul_f32_e32 v83, v72, v33
	v_add_f32_e32 v20, v7, v8
	v_mul_f32_e32 v7, v73, v33
	v_fmac_f32_e32 v83, v73, v32
	v_fma_f32 v82, v72, v32, -v7
	v_mul_f32_e32 v7, v75, v35
	v_fma_f32 v84, v74, v34, -v7
	ds_read_b128 v[8:11], v6 offset:752
	ds_read_b128 v[12:15], v6 offset:768
	;; [unrolled: 1-line block ×3, first 2 shown]
	v_pk_add_f32 v[6:7], v[20:21], v[82:83]
	s_waitcnt vmcnt(4) lgkmcnt(3)
	v_pk_mul_f32 v[20:21], v[76:77], v[60:61] op_sel:[1,1] op_sel_hi:[0,1]
	v_mul_f32_e32 v85, v74, v35
	v_pk_fma_f32 v[22:23], v[76:77], v[60:61], v[20:21] neg_lo:[0,0,1] neg_hi:[0,0,1]
	v_pk_fma_f32 v[20:21], v[76:77], v[60:61], v[20:21] op_sel_hi:[1,0,1]
	v_fmac_f32_e32 v85, v75, v34
	v_mov_b32_e32 v20, v63
	v_pk_add_f32 v[6:7], v[6:7], v[84:85]
	v_mov_b32_e32 v23, v21
	v_pk_mul_f32 v[20:21], v[78:79], v[20:21] op_sel:[1,0] op_sel_hi:[0,0]
	v_pk_add_f32 v[6:7], v[6:7], v[22:23]
	v_pk_fma_f32 v[22:23], v[78:79], v[62:63], v[20:21] neg_lo:[0,0,1] neg_hi:[0,0,1]
	v_pk_fma_f32 v[20:21], v[78:79], v[62:63], v[20:21] op_sel_hi:[1,0,1]
	s_nop 0
	v_mov_b32_e32 v23, v21
	s_waitcnt vmcnt(3) lgkmcnt(2)
	v_pk_mul_f32 v[20:21], v[8:9], v[64:65] op_sel:[1,1] op_sel_hi:[0,1]
	v_pk_add_f32 v[6:7], v[6:7], v[22:23]
	v_pk_fma_f32 v[22:23], v[8:9], v[64:65], v[20:21] neg_lo:[0,0,1] neg_hi:[0,0,1]
	v_pk_fma_f32 v[8:9], v[8:9], v[64:65], v[20:21] op_sel_hi:[1,0,1]
	s_nop 0
	v_mov_b32_e32 v8, v67
	v_mov_b32_e32 v23, v9
	v_pk_mul_f32 v[8:9], v[10:11], v[8:9] op_sel:[1,0] op_sel_hi:[0,0]
	v_pk_fma_f32 v[20:21], v[10:11], v[66:67], v[8:9] neg_lo:[0,0,1] neg_hi:[0,0,1]
	v_pk_fma_f32 v[8:9], v[10:11], v[66:67], v[8:9] op_sel_hi:[1,0,1]
	v_pk_add_f32 v[6:7], v[6:7], v[22:23]
	v_mov_b32_e32 v21, v9
	s_waitcnt vmcnt(2) lgkmcnt(1)
	v_pk_mul_f32 v[8:9], v[12:13], v[68:69] op_sel:[1,1] op_sel_hi:[0,1]
	v_pk_fma_f32 v[10:11], v[12:13], v[68:69], v[8:9] neg_lo:[0,0,1] neg_hi:[0,0,1]
	v_pk_fma_f32 v[8:9], v[12:13], v[68:69], v[8:9] op_sel_hi:[1,0,1]
	v_pk_add_f32 v[6:7], v[6:7], v[20:21]
	v_mov_b32_e32 v8, v71
	v_mov_b32_e32 v11, v9
	v_pk_mul_f32 v[8:9], v[14:15], v[8:9] op_sel:[1,0] op_sel_hi:[0,0]
	v_pk_add_f32 v[6:7], v[6:7], v[10:11]
	v_pk_fma_f32 v[10:11], v[14:15], v[70:71], v[8:9] neg_lo:[0,0,1] neg_hi:[0,0,1]
	v_pk_fma_f32 v[8:9], v[14:15], v[70:71], v[8:9] op_sel_hi:[1,0,1]
	s_nop 0
	v_mov_b32_e32 v11, v9
	s_waitcnt vmcnt(1) lgkmcnt(0)
	v_pk_mul_f32 v[8:9], v[16:17], v[2:3] op_sel:[1,1] op_sel_hi:[0,1]
	v_pk_add_f32 v[6:7], v[6:7], v[10:11]
	v_pk_fma_f32 v[10:11], v[16:17], v[2:3], v[8:9] neg_lo:[0,0,1] neg_hi:[0,0,1]
	v_pk_fma_f32 v[2:3], v[16:17], v[2:3], v[8:9] op_sel_hi:[1,0,1]
	s_nop 0
	v_mov_b32_e32 v11, v3
	v_pk_add_f32 v[2:3], v[6:7], v[10:11]
	v_mov_b32_e32 v6, v5
	v_pk_mul_f32 v[6:7], v[18:19], v[6:7] op_sel:[1,0] op_sel_hi:[0,0]
	v_pk_fma_f32 v[8:9], v[18:19], v[4:5], v[6:7] neg_lo:[0,0,1] neg_hi:[0,0,1]
	v_pk_fma_f32 v[4:5], v[18:19], v[4:5], v[6:7] op_sel_hi:[1,0,1]
	s_nop 0
	v_mov_b32_e32 v9, v5
	v_pk_add_f32 v[2:3], v[2:3], v[8:9]
	s_waitcnt vmcnt(0)
	v_pk_add_f32 v[2:3], v[80:81], v[2:3] neg_lo:[0,1] neg_hi:[0,1]
	scratch_store_dwordx2 off, v[2:3], off offset:216
	s_and_saveexec_b64 s[0:1], vcc
	s_cbranch_execz .LBB49_261
; %bb.260:
	scratch_load_dwordx2 v[2:3], off, off offset:208
	v_mov_b32_e32 v4, 0
	v_mov_b32_e32 v5, v4
	scratch_store_dwordx2 off, v[4:5], off offset:208
	s_waitcnt vmcnt(1)
	ds_write_b64 v1, v[2:3]
.LBB49_261:
	s_or_b64 exec, exec, s[0:1]
	s_waitcnt lgkmcnt(0)
	; wave barrier
	scratch_load_dwordx4 v[2:5], off, off offset:216
	scratch_load_dwordx4 v[14:17], off, off offset:232
	;; [unrolled: 1-line block ×11, first 2 shown]
	scratch_load_dwordx2 v[22:23], off, off offset:392
	scratch_load_dwordx2 v[36:37], off, off offset:208
	v_mov_b32_e32 v38, 0
	ds_read2_b64 v[52:55], v38 offset0:77 offset1:78
	ds_read2_b64 v[56:59], v38 offset0:79 offset1:80
	;; [unrolled: 1-line block ×8, first 2 shown]
	v_cmp_lt_u32_e32 vcc, 25, v0
	s_waitcnt vmcnt(12) lgkmcnt(7)
	v_mul_f32_e32 v39, v52, v3
	v_mul_f32_e32 v84, v54, v5
	v_mul_f32_e32 v3, v53, v3
	v_fmac_f32_e32 v39, v53, v2
	s_waitcnt vmcnt(8) lgkmcnt(3)
	v_mul_f32_e32 v93, v68, v19
	v_mul_f32_e32 v19, v69, v19
	;; [unrolled: 1-line block ×4, first 2 shown]
	v_fmac_f32_e32 v84, v55, v4
	v_fmac_f32_e32 v93, v69, v18
	v_fma_f32 v2, v52, v2, -v3
	v_fma_f32 v18, v68, v18, -v19
	v_add_f32_e32 v19, 0, v39
	v_mul_f32_e32 v88, v58, v17
	v_fmac_f32_e32 v86, v57, v14
	v_fma_f32 v3, v54, v4, -v5
	v_add_f32_e32 v2, 0, v2
	v_add_f32_e32 v19, v19, v84
	v_mul_f32_e32 v89, v60, v25
	v_fmac_f32_e32 v88, v59, v16
	v_add_f32_e32 v2, v2, v3
	v_add_f32_e32 v3, v19, v86
	v_mul_f32_e32 v90, v62, v27
	v_fmac_f32_e32 v89, v61, v24
	v_add_f32_e32 v3, v3, v88
	v_mul_f32_e32 v91, v64, v29
	v_mul_f32_e32 v15, v57, v15
	v_fmac_f32_e32 v90, v63, v26
	v_add_f32_e32 v3, v3, v89
	v_mul_f32_e32 v92, v66, v31
	v_mul_f32_e32 v17, v59, v17
	v_fmac_f32_e32 v91, v65, v28
	v_fma_f32 v4, v56, v14, -v15
	v_add_f32_e32 v3, v3, v90
	v_mul_f32_e32 v25, v61, v25
	v_fmac_f32_e32 v92, v67, v30
	v_fma_f32 v5, v58, v16, -v17
	v_add_f32_e32 v2, v2, v4
	v_add_f32_e32 v3, v3, v91
	v_mul_f32_e32 v94, v70, v21
	v_mul_f32_e32 v27, v63, v27
	v_fma_f32 v14, v60, v24, -v25
	v_add_f32_e32 v2, v2, v5
	v_add_f32_e32 v3, v3, v92
	s_waitcnt vmcnt(7) lgkmcnt(2)
	v_mul_f32_e32 v95, v72, v33
	v_mul_f32_e32 v29, v65, v29
	v_fmac_f32_e32 v94, v71, v20
	v_fma_f32 v15, v62, v26, -v27
	v_add_f32_e32 v2, v2, v14
	v_add_f32_e32 v3, v3, v93
	v_mul_f32_e32 v96, v74, v35
	v_mul_f32_e32 v31, v67, v31
	v_fmac_f32_e32 v95, v73, v32
	v_fma_f32 v16, v64, v28, -v29
	v_add_f32_e32 v2, v2, v15
	v_add_f32_e32 v3, v3, v94
	s_waitcnt vmcnt(6) lgkmcnt(1)
	v_mul_f32_e32 v97, v76, v41
	v_fmac_f32_e32 v96, v75, v34
	v_fma_f32 v17, v66, v30, -v31
	v_add_f32_e32 v2, v2, v16
	v_add_f32_e32 v3, v3, v95
	v_mul_f32_e32 v21, v71, v21
	v_fmac_f32_e32 v97, v77, v40
	v_add_f32_e32 v2, v2, v17
	v_add_f32_e32 v3, v3, v96
	;; [unrolled: 1-line block ×4, first 2 shown]
	v_fma_f32 v3, v70, v20, -v21
	v_add_f32_e32 v2, v2, v3
	v_mul_f32_e32 v3, v73, v33
	v_fma_f32 v3, v72, v32, -v3
	v_add_f32_e32 v2, v2, v3
	v_mul_f32_e32 v3, v75, v35
	;; [unrolled: 3-line block ×4, first 2 shown]
	v_mul_f32_e32 v85, v78, v43
	v_fma_f32 v84, v78, v42, -v2
	s_waitcnt vmcnt(5) lgkmcnt(0)
	v_mul_f32_e32 v2, v81, v45
	v_mov_b32_e32 v28, v47
	v_mul_f32_e32 v87, v80, v45
	v_fmac_f32_e32 v85, v79, v42
	v_fma_f32 v86, v80, v44, -v2
	ds_read2_b64 v[2:5], v38 offset0:93 offset1:94
	ds_read2_b64 v[14:17], v38 offset0:95 offset1:96
	;; [unrolled: 1-line block ×3, first 2 shown]
	ds_read_b64 v[26:27], v38 offset:792
	v_pk_mul_f32 v[28:29], v[82:83], v[28:29] op_sel:[1,0] op_sel_hi:[0,0]
	v_fmac_f32_e32 v87, v81, v44
	v_pk_add_f32 v[24:25], v[24:25], v[84:85]
	v_pk_fma_f32 v[30:31], v[82:83], v[46:47], v[28:29] neg_lo:[0,0,1] neg_hi:[0,0,1]
	v_pk_fma_f32 v[28:29], v[82:83], v[46:47], v[28:29] op_sel_hi:[1,0,1]
	v_pk_add_f32 v[24:25], v[24:25], v[86:87]
	v_mov_b32_e32 v31, v29
	s_waitcnt vmcnt(4) lgkmcnt(3)
	v_pk_mul_f32 v[28:29], v[2:3], v[48:49] op_sel:[1,1] op_sel_hi:[0,1]
	v_pk_add_f32 v[24:25], v[24:25], v[30:31]
	v_pk_fma_f32 v[30:31], v[2:3], v[48:49], v[28:29] neg_lo:[0,0,1] neg_hi:[0,0,1]
	v_pk_fma_f32 v[2:3], v[2:3], v[48:49], v[28:29] op_sel_hi:[1,0,1]
	s_nop 0
	v_mov_b32_e32 v31, v3
	v_pk_add_f32 v[2:3], v[24:25], v[30:31]
	v_mov_b32_e32 v24, v51
	v_pk_mul_f32 v[24:25], v[4:5], v[24:25] op_sel:[1,0] op_sel_hi:[0,0]
	v_pk_fma_f32 v[28:29], v[4:5], v[50:51], v[24:25] neg_lo:[0,0,1] neg_hi:[0,0,1]
	v_pk_fma_f32 v[4:5], v[4:5], v[50:51], v[24:25] op_sel_hi:[1,0,1]
	s_nop 0
	v_mov_b32_e32 v29, v5
	s_waitcnt vmcnt(3) lgkmcnt(2)
	v_pk_mul_f32 v[4:5], v[14:15], v[10:11] op_sel:[1,1] op_sel_hi:[0,1]
	v_pk_fma_f32 v[24:25], v[14:15], v[10:11], v[4:5] neg_lo:[0,0,1] neg_hi:[0,0,1]
	v_pk_fma_f32 v[4:5], v[14:15], v[10:11], v[4:5] op_sel_hi:[1,0,1]
	v_pk_add_f32 v[2:3], v[2:3], v[28:29]
	v_mov_b32_e32 v4, v13
	v_mov_b32_e32 v25, v5
	v_pk_mul_f32 v[4:5], v[16:17], v[4:5] op_sel:[1,0] op_sel_hi:[0,0]
	v_pk_fma_f32 v[10:11], v[16:17], v[12:13], v[4:5] neg_lo:[0,0,1] neg_hi:[0,0,1]
	v_pk_fma_f32 v[4:5], v[16:17], v[12:13], v[4:5] op_sel_hi:[1,0,1]
	v_pk_add_f32 v[2:3], v[2:3], v[24:25]
	v_mov_b32_e32 v11, v5
	s_waitcnt vmcnt(2) lgkmcnt(1)
	v_pk_mul_f32 v[4:5], v[18:19], v[6:7] op_sel:[1,1] op_sel_hi:[0,1]
	v_pk_add_f32 v[2:3], v[2:3], v[10:11]
	v_pk_fma_f32 v[10:11], v[18:19], v[6:7], v[4:5] neg_lo:[0,0,1] neg_hi:[0,0,1]
	v_pk_fma_f32 v[4:5], v[18:19], v[6:7], v[4:5] op_sel_hi:[1,0,1]
	s_nop 0
	v_mov_b32_e32 v4, v9
	v_mov_b32_e32 v11, v5
	v_pk_mul_f32 v[4:5], v[20:21], v[4:5] op_sel:[1,0] op_sel_hi:[0,0]
	v_pk_fma_f32 v[6:7], v[20:21], v[8:9], v[4:5] neg_lo:[0,0,1] neg_hi:[0,0,1]
	v_pk_fma_f32 v[4:5], v[20:21], v[8:9], v[4:5] op_sel_hi:[1,0,1]
	v_pk_add_f32 v[2:3], v[2:3], v[10:11]
	v_mov_b32_e32 v7, v5
	s_waitcnt vmcnt(1) lgkmcnt(0)
	v_pk_mul_f32 v[4:5], v[26:27], v[22:23] op_sel:[1,1] op_sel_hi:[0,1]
	v_pk_add_f32 v[2:3], v[2:3], v[6:7]
	v_pk_fma_f32 v[6:7], v[26:27], v[22:23], v[4:5] neg_lo:[0,0,1] neg_hi:[0,0,1]
	v_pk_fma_f32 v[4:5], v[26:27], v[22:23], v[4:5] op_sel_hi:[1,0,1]
	s_nop 0
	v_mov_b32_e32 v7, v5
	v_pk_add_f32 v[2:3], v[2:3], v[6:7]
	s_waitcnt vmcnt(0)
	v_pk_add_f32 v[2:3], v[36:37], v[2:3] neg_lo:[0,1] neg_hi:[0,1]
	scratch_store_dwordx2 off, v[2:3], off offset:208
	s_and_saveexec_b64 s[0:1], vcc
	s_cbranch_execz .LBB49_263
; %bb.262:
	scratch_load_dwordx2 v[2:3], off, off offset:200
	v_mov_b32_e32 v39, v38
	scratch_store_dwordx2 off, v[38:39], off offset:200
	s_waitcnt vmcnt(1)
	ds_write_b64 v1, v[2:3]
.LBB49_263:
	s_or_b64 exec, exec, s[0:1]
	s_waitcnt lgkmcnt(0)
	; wave barrier
	scratch_load_dwordx4 v[6:9], off, off offset:208
	scratch_load_dwordx4 v[18:21], off, off offset:224
	;; [unrolled: 1-line block ×8, first 2 shown]
	ds_read_b128 v[48:51], v38 offset:608
	ds_read_b128 v[52:55], v38 offset:624
	;; [unrolled: 1-line block ×8, first 2 shown]
	scratch_load_dwordx4 v[80:83], off, off offset:336
	scratch_load_dwordx4 v[26:29], off, off offset:352
	;; [unrolled: 1-line block ×4, first 2 shown]
	scratch_load_dwordx2 v[84:85], off, off offset:200
	v_cmp_lt_u32_e32 vcc, 24, v0
	s_waitcnt vmcnt(12) lgkmcnt(7)
	v_mul_f32_e32 v39, v48, v7
	v_mul_f32_e32 v86, v50, v9
	v_mul_f32_e32 v7, v49, v7
	v_fmac_f32_e32 v39, v49, v6
	s_waitcnt vmcnt(8) lgkmcnt(3)
	v_mul_f32_e32 v95, v64, v15
	v_mul_f32_e32 v15, v65, v15
	;; [unrolled: 1-line block ×4, first 2 shown]
	v_fmac_f32_e32 v86, v51, v8
	v_fmac_f32_e32 v95, v65, v14
	v_fma_f32 v6, v48, v6, -v7
	v_fma_f32 v14, v64, v14, -v15
	v_add_f32_e32 v15, 0, v39
	v_mul_f32_e32 v90, v54, v21
	v_fmac_f32_e32 v88, v53, v18
	v_fma_f32 v7, v50, v8, -v9
	v_add_f32_e32 v6, 0, v6
	v_add_f32_e32 v15, v15, v86
	v_mul_f32_e32 v91, v56, v35
	v_fmac_f32_e32 v90, v55, v20
	v_add_f32_e32 v6, v6, v7
	v_add_f32_e32 v7, v15, v88
	v_mul_f32_e32 v92, v58, v37
	v_fmac_f32_e32 v91, v57, v34
	v_add_f32_e32 v7, v7, v90
	v_mul_f32_e32 v93, v60, v41
	v_fmac_f32_e32 v92, v59, v36
	v_add_f32_e32 v7, v7, v91
	v_mul_f32_e32 v94, v62, v43
	v_fmac_f32_e32 v93, v61, v40
	v_add_f32_e32 v7, v7, v92
	v_mul_f32_e32 v19, v53, v19
	v_fmac_f32_e32 v94, v63, v42
	v_add_f32_e32 v7, v7, v93
	v_mul_f32_e32 v96, v66, v17
	v_mul_f32_e32 v21, v55, v21
	v_fma_f32 v8, v52, v18, -v19
	v_add_f32_e32 v7, v7, v94
	s_waitcnt vmcnt(7) lgkmcnt(2)
	v_mul_f32_e32 v97, v68, v23
	v_mul_f32_e32 v35, v57, v35
	v_fmac_f32_e32 v96, v67, v16
	v_fma_f32 v9, v54, v20, -v21
	v_add_f32_e32 v6, v6, v8
	v_add_f32_e32 v7, v7, v95
	v_mul_f32_e32 v98, v70, v25
	v_mul_f32_e32 v37, v59, v37
	v_fmac_f32_e32 v97, v69, v22
	v_fma_f32 v18, v56, v34, -v35
	v_add_f32_e32 v6, v6, v9
	v_add_f32_e32 v7, v7, v96
	s_waitcnt vmcnt(6) lgkmcnt(1)
	v_mul_f32_e32 v99, v72, v31
	v_mul_f32_e32 v41, v61, v41
	v_fmac_f32_e32 v98, v71, v24
	v_fma_f32 v19, v58, v36, -v37
	v_add_f32_e32 v6, v6, v18
	v_add_f32_e32 v7, v7, v97
	v_mul_f32_e32 v100, v74, v33
	v_mul_f32_e32 v43, v63, v43
	v_fmac_f32_e32 v99, v73, v30
	v_fma_f32 v20, v60, v40, -v41
	v_add_f32_e32 v6, v6, v19
	v_add_f32_e32 v7, v7, v98
	v_fmac_f32_e32 v100, v75, v32
	v_fma_f32 v21, v62, v42, -v43
	v_add_f32_e32 v6, v6, v20
	v_add_f32_e32 v7, v7, v99
	v_add_f32_e32 v6, v6, v21
	v_add_f32_e32 v35, v7, v100
	v_mul_f32_e32 v7, v67, v17
	v_add_f32_e32 v6, v6, v14
	v_fma_f32 v7, v66, v16, -v7
	v_add_f32_e32 v6, v6, v7
	v_mul_f32_e32 v7, v69, v23
	v_fma_f32 v7, v68, v22, -v7
	v_add_f32_e32 v6, v6, v7
	v_mul_f32_e32 v7, v71, v25
	v_fma_f32 v7, v70, v24, -v7
	v_add_f32_e32 v6, v6, v7
	v_mul_f32_e32 v7, v73, v31
	v_fma_f32 v7, v72, v30, -v7
	v_add_f32_e32 v6, v6, v7
	v_mul_f32_e32 v7, v75, v33
	v_fma_f32 v7, v74, v32, -v7
	v_add_f32_e32 v34, v6, v7
	s_waitcnt vmcnt(5) lgkmcnt(0)
	v_mul_f32_e32 v6, v77, v45
	v_fma_f32 v86, v76, v44, -v6
	v_mul_f32_e32 v6, v79, v47
	v_fma_f32 v88, v78, v46, -v6
	ds_read_b128 v[6:9], v38 offset:736
	ds_read_b128 v[14:17], v38 offset:752
	;; [unrolled: 1-line block ×4, first 2 shown]
	v_mul_f32_e32 v87, v76, v45
	v_mul_f32_e32 v89, v78, v47
	v_fmac_f32_e32 v87, v77, v44
	s_waitcnt vmcnt(4) lgkmcnt(3)
	v_pk_mul_f32 v[32:33], v[6:7], v[80:81] op_sel:[1,1] op_sel_hi:[0,1]
	v_fmac_f32_e32 v89, v79, v46
	v_pk_add_f32 v[30:31], v[34:35], v[86:87]
	v_pk_fma_f32 v[34:35], v[6:7], v[80:81], v[32:33] neg_lo:[0,0,1] neg_hi:[0,0,1]
	v_pk_fma_f32 v[6:7], v[6:7], v[80:81], v[32:33] op_sel_hi:[1,0,1]
	v_pk_add_f32 v[30:31], v[30:31], v[88:89]
	v_mov_b32_e32 v35, v7
	v_pk_add_f32 v[6:7], v[30:31], v[34:35]
	v_mov_b32_e32 v30, v83
	v_pk_mul_f32 v[30:31], v[8:9], v[30:31] op_sel:[1,0] op_sel_hi:[0,0]
	v_pk_fma_f32 v[32:33], v[8:9], v[82:83], v[30:31] neg_lo:[0,0,1] neg_hi:[0,0,1]
	v_pk_fma_f32 v[8:9], v[8:9], v[82:83], v[30:31] op_sel_hi:[1,0,1]
	s_nop 0
	v_mov_b32_e32 v33, v9
	s_waitcnt vmcnt(3) lgkmcnt(2)
	v_pk_mul_f32 v[8:9], v[14:15], v[26:27] op_sel:[1,1] op_sel_hi:[0,1]
	v_pk_fma_f32 v[30:31], v[14:15], v[26:27], v[8:9] neg_lo:[0,0,1] neg_hi:[0,0,1]
	v_pk_fma_f32 v[8:9], v[14:15], v[26:27], v[8:9] op_sel_hi:[1,0,1]
	v_pk_add_f32 v[6:7], v[6:7], v[32:33]
	v_mov_b32_e32 v8, v29
	v_mov_b32_e32 v31, v9
	v_pk_mul_f32 v[8:9], v[16:17], v[8:9] op_sel:[1,0] op_sel_hi:[0,0]
	v_pk_fma_f32 v[14:15], v[16:17], v[28:29], v[8:9] neg_lo:[0,0,1] neg_hi:[0,0,1]
	v_pk_fma_f32 v[8:9], v[16:17], v[28:29], v[8:9] op_sel_hi:[1,0,1]
	v_pk_add_f32 v[6:7], v[6:7], v[30:31]
	v_mov_b32_e32 v15, v9
	s_waitcnt vmcnt(2) lgkmcnt(1)
	v_pk_mul_f32 v[8:9], v[18:19], v[10:11] op_sel:[1,1] op_sel_hi:[0,1]
	v_pk_add_f32 v[6:7], v[6:7], v[14:15]
	v_pk_fma_f32 v[14:15], v[18:19], v[10:11], v[8:9] neg_lo:[0,0,1] neg_hi:[0,0,1]
	v_pk_fma_f32 v[8:9], v[18:19], v[10:11], v[8:9] op_sel_hi:[1,0,1]
	s_nop 0
	v_mov_b32_e32 v8, v13
	v_mov_b32_e32 v15, v9
	v_pk_mul_f32 v[8:9], v[20:21], v[8:9] op_sel:[1,0] op_sel_hi:[0,0]
	v_pk_fma_f32 v[10:11], v[20:21], v[12:13], v[8:9] neg_lo:[0,0,1] neg_hi:[0,0,1]
	v_pk_fma_f32 v[8:9], v[20:21], v[12:13], v[8:9] op_sel_hi:[1,0,1]
	v_pk_add_f32 v[6:7], v[6:7], v[14:15]
	v_mov_b32_e32 v11, v9
	s_waitcnt vmcnt(1) lgkmcnt(0)
	v_pk_mul_f32 v[8:9], v[22:23], v[2:3] op_sel:[1,1] op_sel_hi:[0,1]
	v_pk_add_f32 v[6:7], v[6:7], v[10:11]
	v_pk_fma_f32 v[10:11], v[22:23], v[2:3], v[8:9] neg_lo:[0,0,1] neg_hi:[0,0,1]
	v_pk_fma_f32 v[2:3], v[22:23], v[2:3], v[8:9] op_sel_hi:[1,0,1]
	s_nop 0
	v_mov_b32_e32 v11, v3
	v_pk_add_f32 v[2:3], v[6:7], v[10:11]
	v_mov_b32_e32 v6, v5
	v_pk_mul_f32 v[6:7], v[24:25], v[6:7] op_sel:[1,0] op_sel_hi:[0,0]
	v_pk_fma_f32 v[8:9], v[24:25], v[4:5], v[6:7] neg_lo:[0,0,1] neg_hi:[0,0,1]
	v_pk_fma_f32 v[4:5], v[24:25], v[4:5], v[6:7] op_sel_hi:[1,0,1]
	s_nop 0
	v_mov_b32_e32 v9, v5
	v_pk_add_f32 v[2:3], v[2:3], v[8:9]
	s_waitcnt vmcnt(0)
	v_pk_add_f32 v[2:3], v[84:85], v[2:3] neg_lo:[0,1] neg_hi:[0,1]
	scratch_store_dwordx2 off, v[2:3], off offset:200
	s_and_saveexec_b64 s[0:1], vcc
	s_cbranch_execz .LBB49_265
; %bb.264:
	scratch_load_dwordx2 v[2:3], off, off offset:192
	v_mov_b32_e32 v4, 0
	v_mov_b32_e32 v5, v4
	scratch_store_dwordx2 off, v[4:5], off offset:192
	s_waitcnt vmcnt(1)
	ds_write_b64 v1, v[2:3]
.LBB49_265:
	s_or_b64 exec, exec, s[0:1]
	s_waitcnt lgkmcnt(0)
	; wave barrier
	scratch_load_dwordx4 v[2:5], off, off offset:200
	scratch_load_dwordx4 v[22:25], off, off offset:216
	;; [unrolled: 1-line block ×12, first 2 shown]
	scratch_load_dwordx2 v[50:51], off, off offset:392
	scratch_load_dwordx2 v[56:57], off, off offset:192
	v_mov_b32_e32 v58, 0
	ds_read2_b64 v[52:55], v58 offset0:75 offset1:76
	ds_read2_b64 v[60:63], v58 offset0:77 offset1:78
	;; [unrolled: 1-line block ×10, first 2 shown]
	v_cmp_lt_u32_e32 vcc, 23, v0
	s_waitcnt vmcnt(13) lgkmcnt(9)
	v_mul_f32_e32 v59, v52, v3
	v_mul_f32_e32 v96, v54, v5
	;; [unrolled: 1-line block ×3, first 2 shown]
	s_waitcnt vmcnt(10) lgkmcnt(6)
	v_mul_f32_e32 v103, v68, v11
	v_mul_f32_e32 v11, v69, v11
	v_fmac_f32_e32 v59, v53, v2
	v_mul_f32_e32 v98, v60, v23
	v_mul_f32_e32 v5, v55, v5
	v_fmac_f32_e32 v96, v55, v4
	v_fmac_f32_e32 v103, v69, v10
	v_fma_f32 v2, v52, v2, -v3
	v_fma_f32 v10, v68, v10, -v11
	v_add_f32_e32 v11, 0, v59
	v_mul_f32_e32 v100, v62, v25
	v_fmac_f32_e32 v98, v61, v22
	v_fma_f32 v3, v54, v4, -v5
	v_add_f32_e32 v2, 0, v2
	v_add_f32_e32 v11, v11, v96
	v_mul_f32_e32 v101, v64, v39
	v_fmac_f32_e32 v100, v63, v24
	v_add_f32_e32 v2, v2, v3
	v_add_f32_e32 v3, v11, v98
	v_mul_f32_e32 v102, v66, v41
	v_fmac_f32_e32 v101, v65, v38
	v_add_f32_e32 v3, v3, v100
	v_fmac_f32_e32 v102, v67, v40
	v_add_f32_e32 v3, v3, v101
	v_mul_f32_e32 v104, v70, v13
	v_add_f32_e32 v3, v3, v102
	s_waitcnt vmcnt(9) lgkmcnt(5)
	v_mul_f32_e32 v105, v72, v15
	v_fmac_f32_e32 v104, v71, v12
	v_add_f32_e32 v3, v3, v103
	v_mul_f32_e32 v106, v74, v17
	v_fmac_f32_e32 v105, v73, v14
	v_add_f32_e32 v3, v3, v104
	s_waitcnt vmcnt(8) lgkmcnt(4)
	v_mul_f32_e32 v107, v76, v27
	v_fmac_f32_e32 v106, v75, v16
	v_add_f32_e32 v3, v3, v105
	v_mul_f32_e32 v108, v78, v29
	v_mul_f32_e32 v23, v61, v23
	v_fmac_f32_e32 v107, v77, v26
	v_add_f32_e32 v3, v3, v106
	s_waitcnt vmcnt(7) lgkmcnt(3)
	v_mul_f32_e32 v109, v80, v31
	v_mul_f32_e32 v25, v63, v25
	v_fmac_f32_e32 v108, v79, v28
	v_fma_f32 v4, v60, v22, -v23
	v_add_f32_e32 v3, v3, v107
	v_mul_f32_e32 v110, v82, v33
	v_mul_f32_e32 v39, v65, v39
	v_fmac_f32_e32 v109, v81, v30
	v_fma_f32 v5, v62, v24, -v25
	v_add_f32_e32 v2, v2, v4
	v_add_f32_e32 v3, v3, v108
	s_waitcnt vmcnt(6) lgkmcnt(2)
	v_mul_f32_e32 v111, v84, v43
	v_mul_f32_e32 v41, v67, v41
	v_fmac_f32_e32 v110, v83, v32
	v_fma_f32 v22, v64, v38, -v39
	v_add_f32_e32 v2, v2, v5
	v_add_f32_e32 v3, v3, v109
	v_fmac_f32_e32 v111, v85, v42
	v_fma_f32 v23, v66, v40, -v41
	v_add_f32_e32 v2, v2, v22
	v_add_f32_e32 v3, v3, v110
	;; [unrolled: 1-line block ×4, first 2 shown]
	v_mul_f32_e32 v3, v71, v13
	v_add_f32_e32 v2, v2, v10
	v_fma_f32 v3, v70, v12, -v3
	v_add_f32_e32 v2, v2, v3
	v_mul_f32_e32 v3, v73, v15
	v_fma_f32 v3, v72, v14, -v3
	v_add_f32_e32 v2, v2, v3
	v_mul_f32_e32 v3, v75, v17
	;; [unrolled: 3-line block ×7, first 2 shown]
	v_fma_f32 v3, v84, v42, -v3
	v_mul_f32_e32 v97, v86, v45
	v_add_f32_e32 v22, v2, v3
	v_mul_f32_e32 v2, v87, v45
	v_fmac_f32_e32 v97, v87, v44
	v_fma_f32 v96, v86, v44, -v2
	v_pk_add_f32 v[16:17], v[22:23], v[96:97]
	s_waitcnt vmcnt(5)
	v_mov_b32_e32 v22, v49
	s_waitcnt lgkmcnt(1)
	v_mul_f32_e32 v99, v88, v47
	v_mul_f32_e32 v2, v89, v47
	v_pk_mul_f32 v[22:23], v[90:91], v[22:23] op_sel:[1,0] op_sel_hi:[0,0]
	v_fmac_f32_e32 v99, v89, v46
	v_fma_f32 v98, v88, v46, -v2
	v_pk_fma_f32 v[24:25], v[90:91], v[48:49], v[22:23] neg_lo:[0,0,1] neg_hi:[0,0,1]
	v_pk_fma_f32 v[22:23], v[90:91], v[48:49], v[22:23] op_sel_hi:[1,0,1]
	v_pk_add_f32 v[16:17], v[16:17], v[98:99]
	v_mov_b32_e32 v25, v23
	s_waitcnt vmcnt(4) lgkmcnt(0)
	v_pk_mul_f32 v[22:23], v[92:93], v[34:35] op_sel:[1,1] op_sel_hi:[0,1]
	v_pk_add_f32 v[16:17], v[16:17], v[24:25]
	v_pk_fma_f32 v[24:25], v[92:93], v[34:35], v[22:23] neg_lo:[0,0,1] neg_hi:[0,0,1]
	v_pk_fma_f32 v[22:23], v[92:93], v[34:35], v[22:23] op_sel_hi:[1,0,1]
	ds_read2_b64 v[2:5], v58 offset0:95 offset1:96
	ds_read2_b64 v[10:13], v58 offset0:97 offset1:98
	ds_read_b64 v[14:15], v58 offset:792
	v_mov_b32_e32 v22, v37
	v_mov_b32_e32 v25, v23
	v_pk_mul_f32 v[22:23], v[94:95], v[22:23] op_sel:[1,0] op_sel_hi:[0,0]
	v_pk_add_f32 v[16:17], v[16:17], v[24:25]
	v_pk_fma_f32 v[24:25], v[94:95], v[36:37], v[22:23] neg_lo:[0,0,1] neg_hi:[0,0,1]
	v_pk_fma_f32 v[22:23], v[94:95], v[36:37], v[22:23] op_sel_hi:[1,0,1]
	s_nop 0
	v_mov_b32_e32 v25, v23
	s_waitcnt vmcnt(3) lgkmcnt(2)
	v_pk_mul_f32 v[22:23], v[2:3], v[18:19] op_sel:[1,1] op_sel_hi:[0,1]
	v_pk_add_f32 v[16:17], v[16:17], v[24:25]
	v_pk_fma_f32 v[24:25], v[2:3], v[18:19], v[22:23] neg_lo:[0,0,1] neg_hi:[0,0,1]
	v_pk_fma_f32 v[2:3], v[2:3], v[18:19], v[22:23] op_sel_hi:[1,0,1]
	s_nop 0
	v_mov_b32_e32 v25, v3
	v_pk_add_f32 v[2:3], v[16:17], v[24:25]
	v_mov_b32_e32 v16, v21
	v_pk_mul_f32 v[16:17], v[4:5], v[16:17] op_sel:[1,0] op_sel_hi:[0,0]
	v_pk_fma_f32 v[18:19], v[4:5], v[20:21], v[16:17] neg_lo:[0,0,1] neg_hi:[0,0,1]
	v_pk_fma_f32 v[4:5], v[4:5], v[20:21], v[16:17] op_sel_hi:[1,0,1]
	s_nop 0
	v_mov_b32_e32 v19, v5
	s_waitcnt vmcnt(2) lgkmcnt(1)
	v_pk_mul_f32 v[4:5], v[10:11], v[6:7] op_sel:[1,1] op_sel_hi:[0,1]
	v_pk_fma_f32 v[16:17], v[10:11], v[6:7], v[4:5] neg_lo:[0,0,1] neg_hi:[0,0,1]
	v_pk_fma_f32 v[4:5], v[10:11], v[6:7], v[4:5] op_sel_hi:[1,0,1]
	v_pk_add_f32 v[2:3], v[2:3], v[18:19]
	v_mov_b32_e32 v4, v9
	v_mov_b32_e32 v17, v5
	v_pk_mul_f32 v[4:5], v[12:13], v[4:5] op_sel:[1,0] op_sel_hi:[0,0]
	v_pk_fma_f32 v[6:7], v[12:13], v[8:9], v[4:5] neg_lo:[0,0,1] neg_hi:[0,0,1]
	v_pk_fma_f32 v[4:5], v[12:13], v[8:9], v[4:5] op_sel_hi:[1,0,1]
	v_pk_add_f32 v[2:3], v[2:3], v[16:17]
	v_mov_b32_e32 v7, v5
	s_waitcnt vmcnt(1) lgkmcnt(0)
	v_pk_mul_f32 v[4:5], v[14:15], v[50:51] op_sel:[1,1] op_sel_hi:[0,1]
	v_pk_add_f32 v[2:3], v[2:3], v[6:7]
	v_pk_fma_f32 v[6:7], v[14:15], v[50:51], v[4:5] neg_lo:[0,0,1] neg_hi:[0,0,1]
	v_pk_fma_f32 v[4:5], v[14:15], v[50:51], v[4:5] op_sel_hi:[1,0,1]
	s_nop 0
	v_mov_b32_e32 v7, v5
	v_pk_add_f32 v[2:3], v[2:3], v[6:7]
	s_waitcnt vmcnt(0)
	v_pk_add_f32 v[2:3], v[56:57], v[2:3] neg_lo:[0,1] neg_hi:[0,1]
	scratch_store_dwordx2 off, v[2:3], off offset:192
	s_and_saveexec_b64 s[0:1], vcc
	s_cbranch_execz .LBB49_267
; %bb.266:
	scratch_load_dwordx2 v[2:3], off, off offset:184
	v_mov_b32_e32 v59, v58
	scratch_store_dwordx2 off, v[58:59], off offset:184
	s_waitcnt vmcnt(1)
	ds_write_b64 v1, v[2:3]
.LBB49_267:
	s_or_b64 exec, exec, s[0:1]
	s_waitcnt lgkmcnt(0)
	; wave barrier
	scratch_load_dwordx4 v[10:13], off, off offset:192
	scratch_load_dwordx4 v[26:29], off, off offset:208
	;; [unrolled: 1-line block ×9, first 2 shown]
	ds_read_b128 v[60:63], v58 offset:592
	ds_read_b128 v[64:67], v58 offset:608
	;; [unrolled: 1-line block ×8, first 2 shown]
	scratch_load_dwordx4 v[50:53], off, off offset:336
	scratch_load_dwordx4 v[34:37], off, off offset:352
	;; [unrolled: 1-line block ×4, first 2 shown]
	ds_read_b128 v[88:91], v58 offset:720
	ds_read_b128 v[92:95], v58 offset:736
	scratch_load_dwordx2 v[96:97], off, off offset:184
	v_cmp_lt_u32_e32 vcc, 22, v0
	s_waitcnt vmcnt(13) lgkmcnt(9)
	v_mul_f32_e32 v59, v60, v11
	v_mul_f32_e32 v98, v62, v13
	v_fmac_f32_e32 v59, v61, v10
	s_waitcnt vmcnt(10) lgkmcnt(6)
	v_mul_f32_e32 v105, v72, v3
	v_mul_f32_e32 v3, v73, v3
	;; [unrolled: 1-line block ×3, first 2 shown]
	v_fmac_f32_e32 v98, v63, v12
	v_fmac_f32_e32 v105, v73, v2
	v_fma_f32 v2, v72, v2, -v3
	v_add_f32_e32 v3, 0, v59
	v_mul_f32_e32 v102, v66, v29
	v_fmac_f32_e32 v100, v65, v26
	v_add_f32_e32 v3, v3, v98
	v_mul_f32_e32 v103, v68, v43
	v_fmac_f32_e32 v102, v67, v28
	;; [unrolled: 3-line block ×3, first 2 shown]
	v_add_f32_e32 v3, v3, v102
	v_fmac_f32_e32 v104, v71, v44
	v_add_f32_e32 v3, v3, v103
	v_mul_f32_e32 v106, v74, v5
	v_add_f32_e32 v3, v3, v104
	s_waitcnt vmcnt(9) lgkmcnt(5)
	v_mul_f32_e32 v107, v76, v15
	v_fmac_f32_e32 v106, v75, v4
	v_add_f32_e32 v3, v3, v105
	v_mul_f32_e32 v108, v78, v17
	v_fmac_f32_e32 v107, v77, v14
	v_add_f32_e32 v3, v3, v106
	s_waitcnt vmcnt(8) lgkmcnt(4)
	v_mul_f32_e32 v109, v80, v19
	v_mul_f32_e32 v11, v61, v11
	v_fmac_f32_e32 v108, v79, v16
	v_add_f32_e32 v3, v3, v107
	v_mul_f32_e32 v110, v82, v21
	v_mul_f32_e32 v13, v63, v13
	v_fmac_f32_e32 v109, v81, v18
	v_fma_f32 v10, v60, v10, -v11
	v_add_f32_e32 v3, v3, v108
	s_waitcnt vmcnt(7) lgkmcnt(3)
	v_mul_f32_e32 v111, v84, v31
	v_mul_f32_e32 v27, v65, v27
	v_fmac_f32_e32 v110, v83, v20
	v_fma_f32 v11, v62, v12, -v13
	v_add_f32_e32 v10, 0, v10
	v_add_f32_e32 v3, v3, v109
	v_mul_f32_e32 v112, v86, v33
	v_mul_f32_e32 v29, v67, v29
	v_fmac_f32_e32 v111, v85, v30
	v_fma_f32 v12, v64, v26, -v27
	v_add_f32_e32 v10, v10, v11
	v_add_f32_e32 v3, v3, v110
	s_waitcnt vmcnt(6) lgkmcnt(2)
	v_mul_f32_e32 v113, v54, v39
	v_mul_f32_e32 v43, v69, v43
	v_fmac_f32_e32 v112, v87, v32
	v_fma_f32 v13, v66, v28, -v29
	v_add_f32_e32 v10, v10, v12
	v_add_f32_e32 v3, v3, v111
	v_mul_f32_e32 v114, v56, v41
	v_mul_f32_e32 v45, v71, v45
	v_fmac_f32_e32 v113, v55, v38
	v_fma_f32 v26, v68, v42, -v43
	v_add_f32_e32 v10, v10, v13
	v_add_f32_e32 v3, v3, v112
	v_fmac_f32_e32 v114, v57, v40
	v_fma_f32 v27, v70, v44, -v45
	v_add_f32_e32 v10, v10, v26
	v_add_f32_e32 v3, v3, v113
	;; [unrolled: 1-line block ×4, first 2 shown]
	v_mul_f32_e32 v3, v75, v5
	v_add_f32_e32 v2, v10, v2
	v_fma_f32 v3, v74, v4, -v3
	v_add_f32_e32 v2, v2, v3
	v_mul_f32_e32 v3, v77, v15
	v_fma_f32 v3, v76, v14, -v3
	v_add_f32_e32 v2, v2, v3
	v_mul_f32_e32 v3, v79, v17
	;; [unrolled: 3-line block ×8, first 2 shown]
	v_fma_f32 v3, v56, v40, -v3
	s_waitcnt vmcnt(5) lgkmcnt(1)
	v_mul_f32_e32 v99, v88, v47
	v_add_f32_e32 v26, v2, v3
	v_mul_f32_e32 v2, v89, v47
	v_fmac_f32_e32 v99, v89, v46
	v_fma_f32 v98, v88, v46, -v2
	s_waitcnt vmcnt(4) lgkmcnt(0)
	v_pk_mul_f32 v[20:21], v[92:93], v[50:51] op_sel:[1,1] op_sel_hi:[0,1]
	v_mul_f32_e32 v101, v90, v49
	v_mul_f32_e32 v2, v91, v49
	v_pk_add_f32 v[18:19], v[26:27], v[98:99]
	v_pk_fma_f32 v[26:27], v[92:93], v[50:51], v[20:21] neg_lo:[0,0,1] neg_hi:[0,0,1]
	v_pk_fma_f32 v[20:21], v[92:93], v[50:51], v[20:21] op_sel_hi:[1,0,1]
	v_fmac_f32_e32 v101, v91, v48
	v_fma_f32 v100, v90, v48, -v2
	ds_read_b128 v[2:5], v58 offset:752
	ds_read_b128 v[10:13], v58 offset:768
	;; [unrolled: 1-line block ×3, first 2 shown]
	v_mov_b32_e32 v20, v53
	v_pk_add_f32 v[18:19], v[18:19], v[100:101]
	v_mov_b32_e32 v27, v21
	v_pk_mul_f32 v[20:21], v[94:95], v[20:21] op_sel:[1,0] op_sel_hi:[0,0]
	v_pk_add_f32 v[18:19], v[18:19], v[26:27]
	v_pk_fma_f32 v[26:27], v[94:95], v[52:53], v[20:21] neg_lo:[0,0,1] neg_hi:[0,0,1]
	v_pk_fma_f32 v[20:21], v[94:95], v[52:53], v[20:21] op_sel_hi:[1,0,1]
	s_nop 0
	v_mov_b32_e32 v27, v21
	s_waitcnt vmcnt(3) lgkmcnt(2)
	v_pk_mul_f32 v[20:21], v[2:3], v[34:35] op_sel:[1,1] op_sel_hi:[0,1]
	v_pk_add_f32 v[18:19], v[18:19], v[26:27]
	v_pk_fma_f32 v[26:27], v[2:3], v[34:35], v[20:21] neg_lo:[0,0,1] neg_hi:[0,0,1]
	v_pk_fma_f32 v[2:3], v[2:3], v[34:35], v[20:21] op_sel_hi:[1,0,1]
	s_nop 0
	v_mov_b32_e32 v27, v3
	v_pk_add_f32 v[2:3], v[18:19], v[26:27]
	v_mov_b32_e32 v18, v37
	v_pk_mul_f32 v[18:19], v[4:5], v[18:19] op_sel:[1,0] op_sel_hi:[0,0]
	v_pk_fma_f32 v[20:21], v[4:5], v[36:37], v[18:19] neg_lo:[0,0,1] neg_hi:[0,0,1]
	v_pk_fma_f32 v[4:5], v[4:5], v[36:37], v[18:19] op_sel_hi:[1,0,1]
	s_nop 0
	v_mov_b32_e32 v21, v5
	s_waitcnt vmcnt(2) lgkmcnt(1)
	v_pk_mul_f32 v[4:5], v[10:11], v[22:23] op_sel:[1,1] op_sel_hi:[0,1]
	v_pk_fma_f32 v[18:19], v[10:11], v[22:23], v[4:5] neg_lo:[0,0,1] neg_hi:[0,0,1]
	v_pk_fma_f32 v[4:5], v[10:11], v[22:23], v[4:5] op_sel_hi:[1,0,1]
	v_pk_add_f32 v[2:3], v[2:3], v[20:21]
	v_mov_b32_e32 v4, v25
	v_mov_b32_e32 v19, v5
	v_pk_mul_f32 v[4:5], v[12:13], v[4:5] op_sel:[1,0] op_sel_hi:[0,0]
	v_pk_fma_f32 v[10:11], v[12:13], v[24:25], v[4:5] neg_lo:[0,0,1] neg_hi:[0,0,1]
	v_pk_fma_f32 v[4:5], v[12:13], v[24:25], v[4:5] op_sel_hi:[1,0,1]
	v_pk_add_f32 v[2:3], v[2:3], v[18:19]
	v_mov_b32_e32 v11, v5
	s_waitcnt vmcnt(1) lgkmcnt(0)
	v_pk_mul_f32 v[4:5], v[14:15], v[6:7] op_sel:[1,1] op_sel_hi:[0,1]
	v_pk_add_f32 v[2:3], v[2:3], v[10:11]
	v_pk_fma_f32 v[10:11], v[14:15], v[6:7], v[4:5] neg_lo:[0,0,1] neg_hi:[0,0,1]
	v_pk_fma_f32 v[4:5], v[14:15], v[6:7], v[4:5] op_sel_hi:[1,0,1]
	s_nop 0
	v_mov_b32_e32 v4, v9
	v_mov_b32_e32 v11, v5
	v_pk_mul_f32 v[4:5], v[16:17], v[4:5] op_sel:[1,0] op_sel_hi:[0,0]
	v_pk_fma_f32 v[6:7], v[16:17], v[8:9], v[4:5] neg_lo:[0,0,1] neg_hi:[0,0,1]
	v_pk_fma_f32 v[4:5], v[16:17], v[8:9], v[4:5] op_sel_hi:[1,0,1]
	v_pk_add_f32 v[2:3], v[2:3], v[10:11]
	v_mov_b32_e32 v7, v5
	v_pk_add_f32 v[2:3], v[2:3], v[6:7]
	s_waitcnt vmcnt(0)
	v_pk_add_f32 v[2:3], v[96:97], v[2:3] neg_lo:[0,1] neg_hi:[0,1]
	scratch_store_dwordx2 off, v[2:3], off offset:184
	s_and_saveexec_b64 s[0:1], vcc
	s_cbranch_execz .LBB49_269
; %bb.268:
	scratch_load_dwordx2 v[2:3], off, off offset:176
	v_mov_b32_e32 v4, 0
	v_mov_b32_e32 v5, v4
	scratch_store_dwordx2 off, v[4:5], off offset:176
	s_waitcnt vmcnt(1)
	ds_write_b64 v1, v[2:3]
.LBB49_269:
	s_or_b64 exec, exec, s[0:1]
	s_waitcnt lgkmcnt(0)
	; wave barrier
	scratch_load_dwordx4 v[10:13], off, off offset:184
	scratch_load_dwordx4 v[30:33], off, off offset:200
	;; [unrolled: 1-line block ×13, first 2 shown]
	scratch_load_dwordx2 v[54:55], off, off offset:392
	scratch_load_dwordx2 v[80:81], off, off offset:176
	v_mov_b32_e32 v82, 0
	ds_read2_b64 v[56:59], v82 offset0:73 offset1:74
	ds_read2_b64 v[60:63], v82 offset0:75 offset1:76
	;; [unrolled: 1-line block ×10, first 2 shown]
	v_cmp_lt_u32_e32 vcc, 21, v0
	s_waitcnt vmcnt(14) lgkmcnt(9)
	v_mul_f32_e32 v83, v56, v11
	v_mul_f32_e32 v100, v58, v13
	s_waitcnt vmcnt(12) lgkmcnt(7)
	v_mul_f32_e32 v105, v64, v3
	v_mul_f32_e32 v3, v65, v3
	v_fmac_f32_e32 v83, v57, v10
	v_mul_f32_e32 v102, v60, v31
	v_fmac_f32_e32 v100, v59, v12
	v_fmac_f32_e32 v105, v65, v2
	v_fma_f32 v2, v64, v2, -v3
	v_add_f32_e32 v3, 0, v83
	v_mul_f32_e32 v104, v62, v33
	v_fmac_f32_e32 v102, v61, v30
	v_add_f32_e32 v3, v3, v100
	v_fmac_f32_e32 v104, v63, v32
	v_add_f32_e32 v3, v3, v102
	v_mul_f32_e32 v106, v66, v5
	v_add_f32_e32 v3, v3, v104
	s_waitcnt vmcnt(11) lgkmcnt(6)
	v_mul_f32_e32 v107, v68, v7
	v_fmac_f32_e32 v106, v67, v4
	v_add_f32_e32 v3, v3, v105
	v_mul_f32_e32 v108, v70, v9
	v_fmac_f32_e32 v107, v69, v6
	v_add_f32_e32 v3, v3, v106
	s_waitcnt vmcnt(10) lgkmcnt(5)
	v_mul_f32_e32 v109, v72, v19
	v_fmac_f32_e32 v108, v71, v8
	v_add_f32_e32 v3, v3, v107
	v_mul_f32_e32 v110, v74, v21
	v_fmac_f32_e32 v109, v73, v18
	;; [unrolled: 7-line block ×3, first 2 shown]
	v_add_f32_e32 v3, v3, v110
	s_waitcnt vmcnt(8) lgkmcnt(3)
	v_mul_f32_e32 v113, v84, v35
	v_mul_f32_e32 v11, v57, v11
	v_fmac_f32_e32 v112, v79, v24
	v_add_f32_e32 v3, v3, v111
	v_mul_f32_e32 v114, v86, v37
	v_mul_f32_e32 v13, v59, v13
	v_fmac_f32_e32 v113, v85, v34
	v_fma_f32 v10, v56, v10, -v11
	v_add_f32_e32 v3, v3, v112
	s_waitcnt vmcnt(7) lgkmcnt(2)
	v_mul_f32_e32 v115, v88, v39
	v_mul_f32_e32 v31, v61, v31
	v_fmac_f32_e32 v114, v87, v36
	v_fma_f32 v11, v58, v12, -v13
	v_add_f32_e32 v10, 0, v10
	v_add_f32_e32 v3, v3, v113
	v_mul_f32_e32 v116, v90, v41
	v_mul_f32_e32 v33, v63, v33
	v_fmac_f32_e32 v115, v89, v38
	v_fma_f32 v12, v60, v30, -v31
	v_add_f32_e32 v10, v10, v11
	v_add_f32_e32 v3, v3, v114
	s_waitcnt vmcnt(6) lgkmcnt(1)
	v_mul_f32_e32 v117, v92, v51
	v_fmac_f32_e32 v116, v91, v40
	v_fma_f32 v13, v62, v32, -v33
	v_add_f32_e32 v10, v10, v12
	v_add_f32_e32 v3, v3, v115
	v_mul_f32_e32 v5, v67, v5
	v_fmac_f32_e32 v117, v93, v50
	v_add_f32_e32 v10, v10, v13
	v_add_f32_e32 v3, v3, v116
	;; [unrolled: 1-line block ×4, first 2 shown]
	v_fma_f32 v3, v66, v4, -v5
	v_add_f32_e32 v2, v2, v3
	v_mul_f32_e32 v3, v69, v7
	v_fma_f32 v3, v68, v6, -v3
	v_add_f32_e32 v2, v2, v3
	v_mul_f32_e32 v3, v71, v9
	;; [unrolled: 3-line block ×12, first 2 shown]
	v_mul_f32_e32 v101, v94, v53
	v_fma_f32 v100, v94, v52, -v2
	s_waitcnt vmcnt(5) lgkmcnt(0)
	v_mul_f32_e32 v2, v97, v47
	v_mov_b32_e32 v22, v49
	v_mul_f32_e32 v103, v96, v47
	v_fmac_f32_e32 v101, v95, v52
	v_fma_f32 v102, v96, v46, -v2
	ds_read2_b64 v[2:5], v82 offset0:93 offset1:94
	ds_read2_b64 v[6:9], v82 offset0:95 offset1:96
	ds_read2_b64 v[10:13], v82 offset0:97 offset1:98
	ds_read_b64 v[18:19], v82 offset:792
	v_pk_mul_f32 v[22:23], v[98:99], v[22:23] op_sel:[1,0] op_sel_hi:[0,0]
	v_fmac_f32_e32 v103, v97, v46
	v_pk_add_f32 v[20:21], v[30:31], v[100:101]
	v_pk_fma_f32 v[24:25], v[98:99], v[48:49], v[22:23] neg_lo:[0,0,1] neg_hi:[0,0,1]
	v_pk_fma_f32 v[22:23], v[98:99], v[48:49], v[22:23] op_sel_hi:[1,0,1]
	v_pk_add_f32 v[20:21], v[20:21], v[102:103]
	v_mov_b32_e32 v25, v23
	s_waitcnt vmcnt(4) lgkmcnt(3)
	v_pk_mul_f32 v[22:23], v[2:3], v[42:43] op_sel:[1,1] op_sel_hi:[0,1]
	v_pk_add_f32 v[20:21], v[20:21], v[24:25]
	v_pk_fma_f32 v[24:25], v[2:3], v[42:43], v[22:23] neg_lo:[0,0,1] neg_hi:[0,0,1]
	v_pk_fma_f32 v[2:3], v[2:3], v[42:43], v[22:23] op_sel_hi:[1,0,1]
	s_nop 0
	v_mov_b32_e32 v25, v3
	v_pk_add_f32 v[2:3], v[20:21], v[24:25]
	v_mov_b32_e32 v20, v45
	v_pk_mul_f32 v[20:21], v[4:5], v[20:21] op_sel:[1,0] op_sel_hi:[0,0]
	v_pk_fma_f32 v[22:23], v[4:5], v[44:45], v[20:21] neg_lo:[0,0,1] neg_hi:[0,0,1]
	v_pk_fma_f32 v[4:5], v[4:5], v[44:45], v[20:21] op_sel_hi:[1,0,1]
	s_nop 0
	v_mov_b32_e32 v23, v5
	s_waitcnt vmcnt(3) lgkmcnt(2)
	v_pk_mul_f32 v[4:5], v[6:7], v[26:27] op_sel:[1,1] op_sel_hi:[0,1]
	v_pk_fma_f32 v[20:21], v[6:7], v[26:27], v[4:5] neg_lo:[0,0,1] neg_hi:[0,0,1]
	v_pk_fma_f32 v[4:5], v[6:7], v[26:27], v[4:5] op_sel_hi:[1,0,1]
	v_pk_add_f32 v[2:3], v[2:3], v[22:23]
	v_mov_b32_e32 v4, v29
	v_mov_b32_e32 v21, v5
	v_pk_mul_f32 v[4:5], v[8:9], v[4:5] op_sel:[1,0] op_sel_hi:[0,0]
	v_pk_fma_f32 v[6:7], v[8:9], v[28:29], v[4:5] neg_lo:[0,0,1] neg_hi:[0,0,1]
	v_pk_fma_f32 v[4:5], v[8:9], v[28:29], v[4:5] op_sel_hi:[1,0,1]
	v_pk_add_f32 v[2:3], v[2:3], v[20:21]
	v_mov_b32_e32 v7, v5
	s_waitcnt vmcnt(2) lgkmcnt(1)
	v_pk_mul_f32 v[4:5], v[10:11], v[14:15] op_sel:[1,1] op_sel_hi:[0,1]
	v_pk_add_f32 v[2:3], v[2:3], v[6:7]
	v_pk_fma_f32 v[6:7], v[10:11], v[14:15], v[4:5] neg_lo:[0,0,1] neg_hi:[0,0,1]
	v_pk_fma_f32 v[4:5], v[10:11], v[14:15], v[4:5] op_sel_hi:[1,0,1]
	s_nop 0
	v_mov_b32_e32 v4, v17
	v_mov_b32_e32 v7, v5
	v_pk_mul_f32 v[4:5], v[12:13], v[4:5] op_sel:[1,0] op_sel_hi:[0,0]
	v_pk_add_f32 v[2:3], v[2:3], v[6:7]
	v_pk_fma_f32 v[6:7], v[12:13], v[16:17], v[4:5] neg_lo:[0,0,1] neg_hi:[0,0,1]
	v_pk_fma_f32 v[4:5], v[12:13], v[16:17], v[4:5] op_sel_hi:[1,0,1]
	s_nop 0
	v_mov_b32_e32 v7, v5
	s_waitcnt vmcnt(1) lgkmcnt(0)
	v_pk_mul_f32 v[4:5], v[18:19], v[54:55] op_sel:[1,1] op_sel_hi:[0,1]
	v_pk_add_f32 v[2:3], v[2:3], v[6:7]
	v_pk_fma_f32 v[6:7], v[18:19], v[54:55], v[4:5] neg_lo:[0,0,1] neg_hi:[0,0,1]
	v_pk_fma_f32 v[4:5], v[18:19], v[54:55], v[4:5] op_sel_hi:[1,0,1]
	s_nop 0
	v_mov_b32_e32 v7, v5
	v_pk_add_f32 v[2:3], v[2:3], v[6:7]
	s_waitcnt vmcnt(0)
	v_pk_add_f32 v[2:3], v[80:81], v[2:3] neg_lo:[0,1] neg_hi:[0,1]
	scratch_store_dwordx2 off, v[2:3], off offset:176
	s_and_saveexec_b64 s[0:1], vcc
	s_cbranch_execz .LBB49_271
; %bb.270:
	scratch_load_dwordx2 v[2:3], off, off offset:168
	v_mov_b32_e32 v83, v82
	scratch_store_dwordx2 off, v[82:83], off offset:168
	s_waitcnt vmcnt(1)
	ds_write_b64 v1, v[2:3]
.LBB49_271:
	s_or_b64 exec, exec, s[0:1]
	s_waitcnt lgkmcnt(0)
	; wave barrier
	scratch_load_dwordx4 v[18:21], off, off offset:176
	scratch_load_dwordx4 v[34:37], off, off offset:192
	;; [unrolled: 1-line block ×10, first 2 shown]
	ds_read_b128 v[84:87], v82 offset:576
	ds_read_b128 v[88:91], v82 offset:592
	ds_read_b128 v[92:95], v82 offset:608
	ds_read_b128 v[96:99], v82 offset:624
	ds_read_b128 v[78:81], v82 offset:640
	ds_read_b128 v[74:77], v82 offset:656
	ds_read_b128 v[70:73], v82 offset:672
	ds_read_b128 v[66:69], v82 offset:688
	ds_read_b128 v[62:65], v82 offset:704
	ds_read_b128 v[58:61], v82 offset:720
	scratch_load_dwordx4 v[54:57], off, off offset:336
	scratch_load_dwordx4 v[46:49], off, off offset:352
	;; [unrolled: 1-line block ×4, first 2 shown]
	scratch_load_dwordx2 v[100:101], off, off offset:168
	v_cmp_lt_u32_e32 vcc, 20, v0
	s_waitcnt vmcnt(14) lgkmcnt(9)
	v_mul_f32_e32 v83, v84, v19
	v_mul_f32_e32 v102, v86, v21
	s_waitcnt vmcnt(12) lgkmcnt(7)
	v_mul_f32_e32 v107, v92, v3
	v_mul_f32_e32 v3, v93, v3
	v_fmac_f32_e32 v83, v85, v18
	v_mul_f32_e32 v104, v88, v35
	v_fmac_f32_e32 v102, v87, v20
	v_fmac_f32_e32 v107, v93, v2
	v_fma_f32 v2, v92, v2, -v3
	v_add_f32_e32 v3, 0, v83
	v_mul_f32_e32 v106, v90, v37
	v_fmac_f32_e32 v104, v89, v34
	v_add_f32_e32 v3, v3, v102
	v_fmac_f32_e32 v106, v91, v36
	v_add_f32_e32 v3, v3, v104
	v_mul_f32_e32 v108, v94, v5
	v_add_f32_e32 v3, v3, v106
	s_waitcnt vmcnt(11) lgkmcnt(6)
	v_mul_f32_e32 v109, v96, v7
	v_fmac_f32_e32 v108, v95, v4
	v_add_f32_e32 v3, v3, v107
	v_mul_f32_e32 v110, v98, v9
	v_fmac_f32_e32 v109, v97, v6
	v_add_f32_e32 v3, v3, v108
	s_waitcnt vmcnt(10) lgkmcnt(5)
	v_mul_f32_e32 v111, v78, v11
	v_fmac_f32_e32 v110, v99, v8
	v_add_f32_e32 v3, v3, v109
	v_mul_f32_e32 v112, v80, v13
	v_fmac_f32_e32 v111, v79, v10
	;; [unrolled: 7-line block ×4, first 2 shown]
	v_add_f32_e32 v3, v3, v114
	s_waitcnt vmcnt(7) lgkmcnt(2)
	v_mul_f32_e32 v117, v66, v39
	v_mul_f32_e32 v19, v85, v19
	v_fmac_f32_e32 v116, v73, v28
	v_add_f32_e32 v3, v3, v115
	v_mul_f32_e32 v118, v68, v41
	v_mul_f32_e32 v21, v87, v21
	v_fmac_f32_e32 v117, v67, v38
	v_fma_f32 v18, v84, v18, -v19
	v_add_f32_e32 v3, v3, v116
	s_waitcnt vmcnt(6) lgkmcnt(1)
	v_mul_f32_e32 v119, v62, v43
	v_mul_f32_e32 v35, v89, v35
	v_fmac_f32_e32 v118, v69, v40
	v_fma_f32 v19, v86, v20, -v21
	v_add_f32_e32 v18, 0, v18
	v_add_f32_e32 v3, v3, v117
	v_mul_f32_e32 v120, v64, v45
	v_mul_f32_e32 v37, v91, v37
	v_fmac_f32_e32 v119, v63, v42
	v_fma_f32 v20, v88, v34, -v35
	v_add_f32_e32 v18, v18, v19
	v_add_f32_e32 v3, v3, v118
	v_fmac_f32_e32 v120, v65, v44
	v_fma_f32 v21, v90, v36, -v37
	v_add_f32_e32 v18, v18, v20
	v_add_f32_e32 v3, v3, v119
	;; [unrolled: 1-line block ×4, first 2 shown]
	v_mul_f32_e32 v3, v95, v5
	v_add_f32_e32 v2, v18, v2
	v_fma_f32 v3, v94, v4, -v3
	v_add_f32_e32 v2, v2, v3
	v_mul_f32_e32 v3, v97, v7
	v_fma_f32 v3, v96, v6, -v3
	v_add_f32_e32 v2, v2, v3
	v_mul_f32_e32 v3, v99, v9
	;; [unrolled: 3-line block ×12, first 2 shown]
	v_fma_f32 v3, v64, v44, -v3
	v_add_f32_e32 v34, v2, v3
	s_waitcnt vmcnt(5) lgkmcnt(0)
	v_mul_f32_e32 v2, v59, v51
	v_fma_f32 v102, v58, v50, -v2
	v_mul_f32_e32 v2, v61, v53
	v_fma_f32 v104, v60, v52, -v2
	ds_read_b128 v[2:5], v82 offset:736
	ds_read_b128 v[6:9], v82 offset:752
	;; [unrolled: 1-line block ×4, first 2 shown]
	v_mul_f32_e32 v103, v58, v51
	v_mul_f32_e32 v105, v60, v53
	v_fmac_f32_e32 v103, v59, v50
	s_waitcnt vmcnt(4) lgkmcnt(3)
	v_pk_mul_f32 v[24:25], v[2:3], v[54:55] op_sel:[1,1] op_sel_hi:[0,1]
	v_fmac_f32_e32 v105, v61, v52
	v_pk_add_f32 v[22:23], v[34:35], v[102:103]
	v_pk_fma_f32 v[26:27], v[2:3], v[54:55], v[24:25] neg_lo:[0,0,1] neg_hi:[0,0,1]
	v_pk_fma_f32 v[2:3], v[2:3], v[54:55], v[24:25] op_sel_hi:[1,0,1]
	v_pk_add_f32 v[22:23], v[22:23], v[104:105]
	v_mov_b32_e32 v27, v3
	v_pk_add_f32 v[2:3], v[22:23], v[26:27]
	v_mov_b32_e32 v22, v57
	v_pk_mul_f32 v[22:23], v[4:5], v[22:23] op_sel:[1,0] op_sel_hi:[0,0]
	v_pk_fma_f32 v[24:25], v[4:5], v[56:57], v[22:23] neg_lo:[0,0,1] neg_hi:[0,0,1]
	v_pk_fma_f32 v[4:5], v[4:5], v[56:57], v[22:23] op_sel_hi:[1,0,1]
	s_nop 0
	v_mov_b32_e32 v25, v5
	s_waitcnt vmcnt(3) lgkmcnt(2)
	v_pk_mul_f32 v[4:5], v[6:7], v[46:47] op_sel:[1,1] op_sel_hi:[0,1]
	v_pk_fma_f32 v[22:23], v[6:7], v[46:47], v[4:5] neg_lo:[0,0,1] neg_hi:[0,0,1]
	v_pk_fma_f32 v[4:5], v[6:7], v[46:47], v[4:5] op_sel_hi:[1,0,1]
	v_pk_add_f32 v[2:3], v[2:3], v[24:25]
	v_mov_b32_e32 v4, v49
	v_mov_b32_e32 v23, v5
	v_pk_mul_f32 v[4:5], v[8:9], v[4:5] op_sel:[1,0] op_sel_hi:[0,0]
	v_pk_fma_f32 v[6:7], v[8:9], v[48:49], v[4:5] neg_lo:[0,0,1] neg_hi:[0,0,1]
	v_pk_fma_f32 v[4:5], v[8:9], v[48:49], v[4:5] op_sel_hi:[1,0,1]
	v_pk_add_f32 v[2:3], v[2:3], v[22:23]
	v_mov_b32_e32 v7, v5
	s_waitcnt vmcnt(2) lgkmcnt(1)
	v_pk_mul_f32 v[4:5], v[10:11], v[30:31] op_sel:[1,1] op_sel_hi:[0,1]
	v_pk_add_f32 v[2:3], v[2:3], v[6:7]
	v_pk_fma_f32 v[6:7], v[10:11], v[30:31], v[4:5] neg_lo:[0,0,1] neg_hi:[0,0,1]
	v_pk_fma_f32 v[4:5], v[10:11], v[30:31], v[4:5] op_sel_hi:[1,0,1]
	s_nop 0
	v_mov_b32_e32 v4, v33
	v_mov_b32_e32 v7, v5
	v_pk_mul_f32 v[4:5], v[12:13], v[4:5] op_sel:[1,0] op_sel_hi:[0,0]
	v_pk_add_f32 v[2:3], v[2:3], v[6:7]
	v_pk_fma_f32 v[6:7], v[12:13], v[32:33], v[4:5] neg_lo:[0,0,1] neg_hi:[0,0,1]
	v_pk_fma_f32 v[4:5], v[12:13], v[32:33], v[4:5] op_sel_hi:[1,0,1]
	s_nop 0
	v_mov_b32_e32 v7, v5
	s_waitcnt vmcnt(1) lgkmcnt(0)
	v_pk_mul_f32 v[4:5], v[18:19], v[14:15] op_sel:[1,1] op_sel_hi:[0,1]
	v_pk_add_f32 v[2:3], v[2:3], v[6:7]
	v_pk_fma_f32 v[6:7], v[18:19], v[14:15], v[4:5] neg_lo:[0,0,1] neg_hi:[0,0,1]
	v_pk_fma_f32 v[4:5], v[18:19], v[14:15], v[4:5] op_sel_hi:[1,0,1]
	s_nop 0
	v_mov_b32_e32 v4, v17
	v_mov_b32_e32 v7, v5
	v_pk_mul_f32 v[4:5], v[20:21], v[4:5] op_sel:[1,0] op_sel_hi:[0,0]
	v_pk_add_f32 v[2:3], v[2:3], v[6:7]
	v_pk_fma_f32 v[6:7], v[20:21], v[16:17], v[4:5] neg_lo:[0,0,1] neg_hi:[0,0,1]
	v_pk_fma_f32 v[4:5], v[20:21], v[16:17], v[4:5] op_sel_hi:[1,0,1]
	s_nop 0
	v_mov_b32_e32 v7, v5
	v_pk_add_f32 v[2:3], v[2:3], v[6:7]
	s_waitcnt vmcnt(0)
	v_pk_add_f32 v[2:3], v[100:101], v[2:3] neg_lo:[0,1] neg_hi:[0,1]
	scratch_store_dwordx2 off, v[2:3], off offset:168
	s_and_saveexec_b64 s[0:1], vcc
	s_cbranch_execz .LBB49_273
; %bb.272:
	scratch_load_dwordx2 v[2:3], off, off offset:160
	v_mov_b32_e32 v4, 0
	v_mov_b32_e32 v5, v4
	scratch_store_dwordx2 off, v[4:5], off offset:160
	s_waitcnt vmcnt(1)
	ds_write_b64 v1, v[2:3]
.LBB49_273:
	s_or_b64 exec, exec, s[0:1]
	s_waitcnt lgkmcnt(0)
	; wave barrier
	scratch_load_dwordx4 v[18:21], off, off offset:168
	scratch_load_dwordx4 v[2:5], off, off offset:184
	;; [unrolled: 1-line block ×14, first 2 shown]
	scratch_load_dwordx2 v[58:59], off, off offset:392
	scratch_load_dwordx2 v[100:101], off, off offset:160
	v_mov_b32_e32 v102, 0
	ds_read2_b64 v[60:63], v102 offset0:71 offset1:72
	ds_read2_b64 v[64:67], v102 offset0:73 offset1:74
	;; [unrolled: 1-line block ×12, first 2 shown]
	v_cmp_lt_u32_e32 vcc, 19, v0
	s_waitcnt vmcnt(15) lgkmcnt(11)
	v_mul_f32_e32 v103, v60, v19
	v_mul_f32_e32 v112, v62, v21
	s_waitcnt vmcnt(14) lgkmcnt(10)
	v_mul_f32_e32 v114, v64, v3
	v_mul_f32_e32 v3, v65, v3
	v_fmac_f32_e32 v103, v61, v18
	v_fmac_f32_e32 v112, v63, v20
	;; [unrolled: 1-line block ×3, first 2 shown]
	v_fma_f32 v2, v64, v2, -v3
	v_add_f32_e32 v3, 0, v103
	v_mul_f32_e32 v116, v66, v5
	v_add_f32_e32 v3, v3, v112
	s_waitcnt vmcnt(13) lgkmcnt(9)
	v_mul_f32_e32 v117, v68, v7
	v_fmac_f32_e32 v116, v67, v4
	v_add_f32_e32 v3, v3, v114
	v_mul_f32_e32 v118, v70, v9
	v_fmac_f32_e32 v117, v69, v6
	v_add_f32_e32 v3, v3, v116
	s_waitcnt vmcnt(12) lgkmcnt(8)
	v_mul_f32_e32 v119, v72, v11
	v_fmac_f32_e32 v118, v71, v8
	v_add_f32_e32 v3, v3, v117
	v_mul_f32_e32 v120, v74, v13
	v_fmac_f32_e32 v119, v73, v10
	v_add_f32_e32 v3, v3, v118
	s_waitcnt vmcnt(11) lgkmcnt(7)
	v_mul_f32_e32 v121, v76, v15
	v_fmac_f32_e32 v120, v75, v12
	v_add_f32_e32 v3, v3, v119
	v_mul_f32_e32 v122, v78, v17
	v_fmac_f32_e32 v121, v77, v14
	v_add_f32_e32 v3, v3, v120
	s_waitcnt vmcnt(10) lgkmcnt(6)
	v_mul_f32_e32 v123, v80, v27
	v_fmac_f32_e32 v122, v79, v16
	v_add_f32_e32 v3, v3, v121
	v_mul_f32_e32 v124, v82, v29
	v_fmac_f32_e32 v123, v81, v26
	v_add_f32_e32 v3, v3, v122
	s_waitcnt vmcnt(9) lgkmcnt(5)
	v_mul_f32_e32 v125, v84, v31
	v_fmac_f32_e32 v124, v83, v28
	v_add_f32_e32 v3, v3, v123
	v_mul_f32_e32 v126, v86, v33
	v_fmac_f32_e32 v125, v85, v30
	v_add_f32_e32 v3, v3, v124
	s_waitcnt vmcnt(8) lgkmcnt(4)
	v_mul_f32_e32 v127, v88, v39
	v_fmac_f32_e32 v126, v87, v32
	v_add_f32_e32 v3, v3, v125
	v_mul_f32_e32 v128, v90, v41
	v_fmac_f32_e32 v127, v89, v38
	v_add_f32_e32 v3, v3, v126
	s_waitcnt vmcnt(7) lgkmcnt(3)
	v_mul_f32_e32 v129, v92, v43
	v_fmac_f32_e32 v128, v91, v40
	v_add_f32_e32 v3, v3, v127
	v_mul_f32_e32 v130, v94, v45
	v_mul_f32_e32 v19, v61, v19
	v_fmac_f32_e32 v129, v93, v42
	v_add_f32_e32 v3, v3, v128
	s_waitcnt vmcnt(6) lgkmcnt(2)
	v_mul_f32_e32 v131, v96, v51
	v_mul_f32_e32 v21, v63, v21
	v_fmac_f32_e32 v130, v95, v44
	v_fma_f32 v18, v60, v18, -v19
	v_add_f32_e32 v3, v3, v129
	v_fmac_f32_e32 v131, v97, v50
	v_fma_f32 v19, v62, v20, -v21
	v_add_f32_e32 v18, 0, v18
	v_add_f32_e32 v3, v3, v130
	;; [unrolled: 1-line block ×4, first 2 shown]
	v_mul_f32_e32 v3, v67, v5
	v_add_f32_e32 v2, v18, v2
	v_fma_f32 v3, v66, v4, -v3
	v_add_f32_e32 v2, v2, v3
	v_mul_f32_e32 v3, v69, v7
	v_fma_f32 v3, v68, v6, -v3
	v_add_f32_e32 v2, v2, v3
	v_mul_f32_e32 v3, v71, v9
	;; [unrolled: 3-line block ×15, first 2 shown]
	v_fma_f32 v3, v96, v50, -v3
	v_mul_f32_e32 v113, v98, v53
	v_add_f32_e32 v18, v2, v3
	v_mul_f32_e32 v2, v99, v53
	s_waitcnt vmcnt(5)
	v_mov_b32_e32 v14, v57
	s_waitcnt lgkmcnt(1)
	v_mul_f32_e32 v115, v104, v55
	v_fmac_f32_e32 v113, v99, v52
	v_fma_f32 v112, v98, v52, -v2
	v_mul_f32_e32 v2, v105, v55
	v_pk_mul_f32 v[14:15], v[106:107], v[14:15] op_sel:[1,0] op_sel_hi:[0,0]
	v_fmac_f32_e32 v115, v105, v54
	v_fma_f32 v114, v104, v54, -v2
	v_pk_add_f32 v[12:13], v[18:19], v[112:113]
	v_pk_fma_f32 v[16:17], v[106:107], v[56:57], v[14:15] neg_lo:[0,0,1] neg_hi:[0,0,1]
	v_pk_fma_f32 v[14:15], v[106:107], v[56:57], v[14:15] op_sel_hi:[1,0,1]
	v_pk_add_f32 v[12:13], v[12:13], v[114:115]
	v_mov_b32_e32 v17, v15
	s_waitcnt vmcnt(4) lgkmcnt(0)
	v_pk_mul_f32 v[14:15], v[108:109], v[46:47] op_sel:[1,1] op_sel_hi:[0,1]
	v_pk_add_f32 v[12:13], v[12:13], v[16:17]
	v_pk_fma_f32 v[16:17], v[108:109], v[46:47], v[14:15] neg_lo:[0,0,1] neg_hi:[0,0,1]
	v_pk_fma_f32 v[14:15], v[108:109], v[46:47], v[14:15] op_sel_hi:[1,0,1]
	ds_read2_b64 v[2:5], v102 offset0:95 offset1:96
	ds_read2_b64 v[6:9], v102 offset0:97 offset1:98
	ds_read_b64 v[10:11], v102 offset:792
	v_mov_b32_e32 v14, v49
	v_mov_b32_e32 v17, v15
	v_pk_mul_f32 v[14:15], v[110:111], v[14:15] op_sel:[1,0] op_sel_hi:[0,0]
	v_pk_add_f32 v[12:13], v[12:13], v[16:17]
	v_pk_fma_f32 v[16:17], v[110:111], v[48:49], v[14:15] neg_lo:[0,0,1] neg_hi:[0,0,1]
	v_pk_fma_f32 v[14:15], v[110:111], v[48:49], v[14:15] op_sel_hi:[1,0,1]
	s_nop 0
	v_mov_b32_e32 v17, v15
	s_waitcnt vmcnt(3) lgkmcnt(2)
	v_pk_mul_f32 v[14:15], v[2:3], v[34:35] op_sel:[1,1] op_sel_hi:[0,1]
	v_pk_add_f32 v[12:13], v[12:13], v[16:17]
	v_pk_fma_f32 v[16:17], v[2:3], v[34:35], v[14:15] neg_lo:[0,0,1] neg_hi:[0,0,1]
	v_pk_fma_f32 v[2:3], v[2:3], v[34:35], v[14:15] op_sel_hi:[1,0,1]
	s_nop 0
	v_mov_b32_e32 v17, v3
	v_pk_add_f32 v[2:3], v[12:13], v[16:17]
	v_mov_b32_e32 v12, v37
	v_pk_mul_f32 v[12:13], v[4:5], v[12:13] op_sel:[1,0] op_sel_hi:[0,0]
	v_pk_fma_f32 v[14:15], v[4:5], v[36:37], v[12:13] neg_lo:[0,0,1] neg_hi:[0,0,1]
	v_pk_fma_f32 v[4:5], v[4:5], v[36:37], v[12:13] op_sel_hi:[1,0,1]
	s_nop 0
	v_mov_b32_e32 v15, v5
	s_waitcnt vmcnt(2) lgkmcnt(1)
	v_pk_mul_f32 v[4:5], v[6:7], v[22:23] op_sel:[1,1] op_sel_hi:[0,1]
	v_pk_fma_f32 v[12:13], v[6:7], v[22:23], v[4:5] neg_lo:[0,0,1] neg_hi:[0,0,1]
	v_pk_fma_f32 v[4:5], v[6:7], v[22:23], v[4:5] op_sel_hi:[1,0,1]
	v_pk_add_f32 v[2:3], v[2:3], v[14:15]
	v_mov_b32_e32 v4, v25
	v_mov_b32_e32 v13, v5
	v_pk_mul_f32 v[4:5], v[8:9], v[4:5] op_sel:[1,0] op_sel_hi:[0,0]
	v_pk_fma_f32 v[6:7], v[8:9], v[24:25], v[4:5] neg_lo:[0,0,1] neg_hi:[0,0,1]
	v_pk_fma_f32 v[4:5], v[8:9], v[24:25], v[4:5] op_sel_hi:[1,0,1]
	v_pk_add_f32 v[2:3], v[2:3], v[12:13]
	v_mov_b32_e32 v7, v5
	s_waitcnt vmcnt(1) lgkmcnt(0)
	v_pk_mul_f32 v[4:5], v[10:11], v[58:59] op_sel:[1,1] op_sel_hi:[0,1]
	v_pk_add_f32 v[2:3], v[2:3], v[6:7]
	v_pk_fma_f32 v[6:7], v[10:11], v[58:59], v[4:5] neg_lo:[0,0,1] neg_hi:[0,0,1]
	v_pk_fma_f32 v[4:5], v[10:11], v[58:59], v[4:5] op_sel_hi:[1,0,1]
	s_nop 0
	v_mov_b32_e32 v7, v5
	v_pk_add_f32 v[2:3], v[2:3], v[6:7]
	s_waitcnt vmcnt(0)
	v_pk_add_f32 v[2:3], v[100:101], v[2:3] neg_lo:[0,1] neg_hi:[0,1]
	scratch_store_dwordx2 off, v[2:3], off offset:160
	s_and_saveexec_b64 s[0:1], vcc
	s_cbranch_execz .LBB49_275
; %bb.274:
	scratch_load_dwordx2 v[2:3], off, off offset:152
	v_mov_b32_e32 v103, v102
	scratch_store_dwordx2 off, v[102:103], off offset:152
	s_waitcnt vmcnt(1)
	ds_write_b64 v1, v[2:3]
.LBB49_275:
	s_or_b64 exec, exec, s[0:1]
	s_waitcnt lgkmcnt(0)
	; wave barrier
	scratch_load_dwordx4 v[22:25], off, off offset:160
	scratch_load_dwordx4 v[2:5], off, off offset:176
	;; [unrolled: 1-line block ×11, first 2 shown]
	ds_read_b128 v[104:107], v102 offset:560
	ds_read_b128 v[98:101], v102 offset:576
	;; [unrolled: 1-line block ×10, first 2 shown]
	scratch_load_dwordx4 v[58:61], off, off offset:336
	scratch_load_dwordx4 v[50:53], off, off offset:352
	;; [unrolled: 1-line block ×4, first 2 shown]
	ds_read_b128 v[78:81], v102 offset:720
	ds_read_b128 v[108:111], v102 offset:736
	scratch_load_dwordx2 v[112:113], off, off offset:152
	v_cmp_lt_u32_e32 vcc, 18, v0
	s_waitcnt vmcnt(15) lgkmcnt(11)
	v_mul_f32_e32 v103, v104, v23
	v_mul_f32_e32 v114, v106, v25
	s_waitcnt vmcnt(14) lgkmcnt(10)
	v_mul_f32_e32 v116, v98, v3
	v_mul_f32_e32 v3, v99, v3
	v_fmac_f32_e32 v103, v105, v22
	v_fmac_f32_e32 v114, v107, v24
	;; [unrolled: 1-line block ×3, first 2 shown]
	v_fma_f32 v2, v98, v2, -v3
	v_add_f32_e32 v3, 0, v103
	v_mul_f32_e32 v118, v100, v5
	v_add_f32_e32 v3, v3, v114
	s_waitcnt vmcnt(13) lgkmcnt(9)
	v_mul_f32_e32 v119, v94, v7
	v_fmac_f32_e32 v118, v101, v4
	v_add_f32_e32 v3, v3, v116
	v_mul_f32_e32 v120, v96, v9
	v_fmac_f32_e32 v119, v95, v6
	v_add_f32_e32 v3, v3, v118
	s_waitcnt vmcnt(12) lgkmcnt(8)
	v_mul_f32_e32 v121, v90, v11
	v_fmac_f32_e32 v120, v97, v8
	v_add_f32_e32 v3, v3, v119
	v_mul_f32_e32 v122, v92, v13
	v_fmac_f32_e32 v121, v91, v10
	;; [unrolled: 7-line block ×7, first 2 shown]
	v_add_f32_e32 v3, v3, v130
	s_waitcnt vmcnt(6) lgkmcnt(2)
	v_mul_f32_e32 v133, v62, v47
	v_mul_f32_e32 v23, v105, v23
	v_fmac_f32_e32 v132, v69, v44
	v_add_f32_e32 v3, v3, v131
	v_mul_f32_e32 v134, v64, v49
	v_mul_f32_e32 v25, v107, v25
	v_fmac_f32_e32 v133, v63, v46
	v_fma_f32 v22, v104, v22, -v23
	v_add_f32_e32 v3, v3, v132
	v_fmac_f32_e32 v134, v65, v48
	v_fma_f32 v23, v106, v24, -v25
	v_add_f32_e32 v22, 0, v22
	v_add_f32_e32 v3, v3, v133
	;; [unrolled: 1-line block ×4, first 2 shown]
	v_mul_f32_e32 v3, v101, v5
	v_add_f32_e32 v2, v22, v2
	v_fma_f32 v3, v100, v4, -v3
	v_add_f32_e32 v2, v2, v3
	v_mul_f32_e32 v3, v95, v7
	v_fma_f32 v3, v94, v6, -v3
	v_add_f32_e32 v2, v2, v3
	v_mul_f32_e32 v3, v97, v9
	;; [unrolled: 3-line block ×16, first 2 shown]
	v_fma_f32 v3, v64, v48, -v3
	s_waitcnt vmcnt(5) lgkmcnt(1)
	v_mul_f32_e32 v115, v78, v55
	v_add_f32_e32 v22, v2, v3
	v_mul_f32_e32 v2, v79, v55
	s_waitcnt vmcnt(4) lgkmcnt(0)
	v_pk_mul_f32 v[16:17], v[108:109], v[58:59] op_sel:[1,1] op_sel_hi:[0,1]
	v_mul_f32_e32 v117, v80, v57
	v_fmac_f32_e32 v115, v79, v54
	v_fma_f32 v114, v78, v54, -v2
	v_mul_f32_e32 v2, v81, v57
	v_pk_fma_f32 v[18:19], v[108:109], v[58:59], v[16:17] neg_lo:[0,0,1] neg_hi:[0,0,1]
	v_pk_fma_f32 v[16:17], v[108:109], v[58:59], v[16:17] op_sel_hi:[1,0,1]
	v_fmac_f32_e32 v117, v81, v56
	v_fma_f32 v116, v80, v56, -v2
	ds_read_b128 v[2:5], v102 offset:752
	ds_read_b128 v[6:9], v102 offset:768
	;; [unrolled: 1-line block ×3, first 2 shown]
	v_pk_add_f32 v[14:15], v[22:23], v[114:115]
	v_mov_b32_e32 v16, v61
	v_pk_add_f32 v[14:15], v[14:15], v[116:117]
	v_mov_b32_e32 v19, v17
	v_pk_mul_f32 v[16:17], v[110:111], v[16:17] op_sel:[1,0] op_sel_hi:[0,0]
	v_pk_add_f32 v[14:15], v[14:15], v[18:19]
	v_pk_fma_f32 v[18:19], v[110:111], v[60:61], v[16:17] neg_lo:[0,0,1] neg_hi:[0,0,1]
	v_pk_fma_f32 v[16:17], v[110:111], v[60:61], v[16:17] op_sel_hi:[1,0,1]
	s_nop 0
	v_mov_b32_e32 v19, v17
	s_waitcnt vmcnt(3) lgkmcnt(2)
	v_pk_mul_f32 v[16:17], v[2:3], v[50:51] op_sel:[1,1] op_sel_hi:[0,1]
	v_pk_add_f32 v[14:15], v[14:15], v[18:19]
	v_pk_fma_f32 v[18:19], v[2:3], v[50:51], v[16:17] neg_lo:[0,0,1] neg_hi:[0,0,1]
	v_pk_fma_f32 v[2:3], v[2:3], v[50:51], v[16:17] op_sel_hi:[1,0,1]
	s_nop 0
	v_mov_b32_e32 v19, v3
	v_pk_add_f32 v[2:3], v[14:15], v[18:19]
	v_mov_b32_e32 v14, v53
	v_pk_mul_f32 v[14:15], v[4:5], v[14:15] op_sel:[1,0] op_sel_hi:[0,0]
	v_pk_fma_f32 v[16:17], v[4:5], v[52:53], v[14:15] neg_lo:[0,0,1] neg_hi:[0,0,1]
	v_pk_fma_f32 v[4:5], v[4:5], v[52:53], v[14:15] op_sel_hi:[1,0,1]
	s_nop 0
	v_mov_b32_e32 v17, v5
	s_waitcnt vmcnt(2) lgkmcnt(1)
	v_pk_mul_f32 v[4:5], v[6:7], v[38:39] op_sel:[1,1] op_sel_hi:[0,1]
	v_pk_fma_f32 v[14:15], v[6:7], v[38:39], v[4:5] neg_lo:[0,0,1] neg_hi:[0,0,1]
	v_pk_fma_f32 v[4:5], v[6:7], v[38:39], v[4:5] op_sel_hi:[1,0,1]
	v_pk_add_f32 v[2:3], v[2:3], v[16:17]
	v_mov_b32_e32 v4, v41
	v_mov_b32_e32 v15, v5
	v_pk_mul_f32 v[4:5], v[8:9], v[4:5] op_sel:[1,0] op_sel_hi:[0,0]
	v_pk_fma_f32 v[6:7], v[8:9], v[40:41], v[4:5] neg_lo:[0,0,1] neg_hi:[0,0,1]
	v_pk_fma_f32 v[4:5], v[8:9], v[40:41], v[4:5] op_sel_hi:[1,0,1]
	v_pk_add_f32 v[2:3], v[2:3], v[14:15]
	v_mov_b32_e32 v7, v5
	s_waitcnt vmcnt(1) lgkmcnt(0)
	v_pk_mul_f32 v[4:5], v[10:11], v[26:27] op_sel:[1,1] op_sel_hi:[0,1]
	v_pk_add_f32 v[2:3], v[2:3], v[6:7]
	v_pk_fma_f32 v[6:7], v[10:11], v[26:27], v[4:5] neg_lo:[0,0,1] neg_hi:[0,0,1]
	v_pk_fma_f32 v[4:5], v[10:11], v[26:27], v[4:5] op_sel_hi:[1,0,1]
	s_nop 0
	v_mov_b32_e32 v4, v29
	v_mov_b32_e32 v7, v5
	v_pk_mul_f32 v[4:5], v[12:13], v[4:5] op_sel:[1,0] op_sel_hi:[0,0]
	v_pk_add_f32 v[2:3], v[2:3], v[6:7]
	v_pk_fma_f32 v[6:7], v[12:13], v[28:29], v[4:5] neg_lo:[0,0,1] neg_hi:[0,0,1]
	v_pk_fma_f32 v[4:5], v[12:13], v[28:29], v[4:5] op_sel_hi:[1,0,1]
	s_nop 0
	v_mov_b32_e32 v7, v5
	v_pk_add_f32 v[2:3], v[2:3], v[6:7]
	s_waitcnt vmcnt(0)
	v_pk_add_f32 v[2:3], v[112:113], v[2:3] neg_lo:[0,1] neg_hi:[0,1]
	scratch_store_dwordx2 off, v[2:3], off offset:152
	s_and_saveexec_b64 s[0:1], vcc
	s_cbranch_execz .LBB49_277
; %bb.276:
	scratch_load_dwordx2 v[2:3], off, off offset:144
	v_mov_b32_e32 v4, 0
	v_mov_b32_e32 v5, v4
	scratch_store_dwordx2 off, v[4:5], off offset:144
	s_waitcnt vmcnt(1)
	ds_write_b64 v1, v[2:3]
.LBB49_277:
	s_or_b64 exec, exec, s[0:1]
	s_waitcnt lgkmcnt(0)
	; wave barrier
	scratch_load_dwordx4 v[2:5], off, off offset:152
	scratch_load_dwordx4 v[6:9], off, off offset:168
	;; [unrolled: 1-line block ×15, first 2 shown]
	scratch_load_dwordx2 v[62:63], off, off offset:392
	scratch_load_dwordx2 v[112:113], off, off offset:144
	v_mov_b32_e32 v114, 0
	ds_read2_b64 v[64:67], v114 offset0:69 offset1:70
	ds_read2_b64 v[68:71], v114 offset0:71 offset1:72
	;; [unrolled: 1-line block ×12, first 2 shown]
	v_cmp_lt_u32_e32 vcc, 17, v0
	s_waitcnt vmcnt(16) lgkmcnt(11)
	v_mul_f32_e32 v115, v64, v3
	v_mul_f32_e32 v116, v66, v5
	;; [unrolled: 1-line block ×3, first 2 shown]
	v_fmac_f32_e32 v115, v65, v2
	s_waitcnt vmcnt(15) lgkmcnt(10)
	v_mul_f32_e32 v118, v68, v7
	v_fmac_f32_e32 v116, v67, v4
	v_fma_f32 v2, v64, v2, -v3
	v_add_f32_e32 v3, 0, v115
	v_mul_f32_e32 v120, v70, v9
	v_fmac_f32_e32 v118, v69, v6
	v_add_f32_e32 v3, v3, v116
	s_waitcnt vmcnt(14) lgkmcnt(9)
	v_mul_f32_e32 v121, v72, v11
	v_fmac_f32_e32 v120, v71, v8
	v_add_f32_e32 v3, v3, v118
	v_mul_f32_e32 v122, v74, v13
	v_fmac_f32_e32 v121, v73, v10
	v_add_f32_e32 v3, v3, v120
	s_waitcnt vmcnt(13) lgkmcnt(8)
	v_mul_f32_e32 v123, v76, v15
	v_fmac_f32_e32 v122, v75, v12
	;; [unrolled: 7-line block ×9, first 2 shown]
	v_add_f32_e32 v3, v3, v135
	v_mul_f32_e32 v5, v67, v5
	v_fmac_f32_e32 v137, v105, v58
	v_add_f32_e32 v3, v3, v136
	v_add_f32_e32 v2, 0, v2
	;; [unrolled: 1-line block ×3, first 2 shown]
	v_fma_f32 v3, v66, v4, -v5
	v_add_f32_e32 v2, v2, v3
	v_mul_f32_e32 v3, v69, v7
	v_fma_f32 v3, v68, v6, -v3
	v_add_f32_e32 v2, v2, v3
	v_mul_f32_e32 v3, v71, v9
	;; [unrolled: 3-line block ×20, first 2 shown]
	v_mul_f32_e32 v117, v106, v61
	v_fma_f32 v116, v106, v60, -v2
	s_waitcnt vmcnt(5) lgkmcnt(0)
	v_mul_f32_e32 v2, v109, v55
	v_mov_b32_e32 v18, v57
	v_mul_f32_e32 v119, v108, v55
	v_fmac_f32_e32 v117, v107, v60
	v_fma_f32 v118, v108, v54, -v2
	ds_read2_b64 v[2:5], v114 offset0:93 offset1:94
	ds_read2_b64 v[6:9], v114 offset0:95 offset1:96
	;; [unrolled: 1-line block ×3, first 2 shown]
	ds_read_b64 v[14:15], v114 offset:792
	v_pk_mul_f32 v[18:19], v[110:111], v[18:19] op_sel:[1,0] op_sel_hi:[0,0]
	v_fmac_f32_e32 v119, v109, v54
	v_pk_add_f32 v[16:17], v[64:65], v[116:117]
	v_pk_fma_f32 v[20:21], v[110:111], v[56:57], v[18:19] neg_lo:[0,0,1] neg_hi:[0,0,1]
	v_pk_fma_f32 v[18:19], v[110:111], v[56:57], v[18:19] op_sel_hi:[1,0,1]
	v_pk_add_f32 v[16:17], v[16:17], v[118:119]
	v_mov_b32_e32 v21, v19
	s_waitcnt vmcnt(4) lgkmcnt(3)
	v_pk_mul_f32 v[18:19], v[2:3], v[50:51] op_sel:[1,1] op_sel_hi:[0,1]
	v_pk_add_f32 v[16:17], v[16:17], v[20:21]
	v_pk_fma_f32 v[20:21], v[2:3], v[50:51], v[18:19] neg_lo:[0,0,1] neg_hi:[0,0,1]
	v_pk_fma_f32 v[2:3], v[2:3], v[50:51], v[18:19] op_sel_hi:[1,0,1]
	s_nop 0
	v_mov_b32_e32 v21, v3
	v_pk_add_f32 v[2:3], v[16:17], v[20:21]
	v_mov_b32_e32 v16, v53
	v_pk_mul_f32 v[16:17], v[4:5], v[16:17] op_sel:[1,0] op_sel_hi:[0,0]
	v_pk_fma_f32 v[18:19], v[4:5], v[52:53], v[16:17] neg_lo:[0,0,1] neg_hi:[0,0,1]
	v_pk_fma_f32 v[4:5], v[4:5], v[52:53], v[16:17] op_sel_hi:[1,0,1]
	s_nop 0
	v_mov_b32_e32 v19, v5
	s_waitcnt vmcnt(3) lgkmcnt(2)
	v_pk_mul_f32 v[4:5], v[6:7], v[38:39] op_sel:[1,1] op_sel_hi:[0,1]
	v_pk_fma_f32 v[16:17], v[6:7], v[38:39], v[4:5] neg_lo:[0,0,1] neg_hi:[0,0,1]
	v_pk_fma_f32 v[4:5], v[6:7], v[38:39], v[4:5] op_sel_hi:[1,0,1]
	v_pk_add_f32 v[2:3], v[2:3], v[18:19]
	v_mov_b32_e32 v4, v41
	v_mov_b32_e32 v17, v5
	v_pk_mul_f32 v[4:5], v[8:9], v[4:5] op_sel:[1,0] op_sel_hi:[0,0]
	v_pk_fma_f32 v[6:7], v[8:9], v[40:41], v[4:5] neg_lo:[0,0,1] neg_hi:[0,0,1]
	v_pk_fma_f32 v[4:5], v[8:9], v[40:41], v[4:5] op_sel_hi:[1,0,1]
	v_pk_add_f32 v[2:3], v[2:3], v[16:17]
	v_mov_b32_e32 v7, v5
	s_waitcnt vmcnt(2) lgkmcnt(1)
	v_pk_mul_f32 v[4:5], v[10:11], v[26:27] op_sel:[1,1] op_sel_hi:[0,1]
	v_pk_add_f32 v[2:3], v[2:3], v[6:7]
	v_pk_fma_f32 v[6:7], v[10:11], v[26:27], v[4:5] neg_lo:[0,0,1] neg_hi:[0,0,1]
	v_pk_fma_f32 v[4:5], v[10:11], v[26:27], v[4:5] op_sel_hi:[1,0,1]
	s_nop 0
	v_mov_b32_e32 v4, v29
	v_mov_b32_e32 v7, v5
	v_pk_mul_f32 v[4:5], v[12:13], v[4:5] op_sel:[1,0] op_sel_hi:[0,0]
	v_pk_add_f32 v[2:3], v[2:3], v[6:7]
	v_pk_fma_f32 v[6:7], v[12:13], v[28:29], v[4:5] neg_lo:[0,0,1] neg_hi:[0,0,1]
	v_pk_fma_f32 v[4:5], v[12:13], v[28:29], v[4:5] op_sel_hi:[1,0,1]
	s_nop 0
	v_mov_b32_e32 v7, v5
	s_waitcnt vmcnt(1) lgkmcnt(0)
	v_pk_mul_f32 v[4:5], v[14:15], v[62:63] op_sel:[1,1] op_sel_hi:[0,1]
	v_pk_add_f32 v[2:3], v[2:3], v[6:7]
	v_pk_fma_f32 v[6:7], v[14:15], v[62:63], v[4:5] neg_lo:[0,0,1] neg_hi:[0,0,1]
	v_pk_fma_f32 v[4:5], v[14:15], v[62:63], v[4:5] op_sel_hi:[1,0,1]
	s_nop 0
	v_mov_b32_e32 v7, v5
	v_pk_add_f32 v[2:3], v[2:3], v[6:7]
	s_waitcnt vmcnt(0)
	v_pk_add_f32 v[2:3], v[112:113], v[2:3] neg_lo:[0,1] neg_hi:[0,1]
	scratch_store_dwordx2 off, v[2:3], off offset:144
	s_and_saveexec_b64 s[0:1], vcc
	s_cbranch_execz .LBB49_279
; %bb.278:
	scratch_load_dwordx2 v[2:3], off, off offset:136
	v_mov_b32_e32 v115, v114
	scratch_store_dwordx2 off, v[114:115], off offset:136
	s_waitcnt vmcnt(1)
	ds_write_b64 v1, v[2:3]
.LBB49_279:
	s_or_b64 exec, exec, s[0:1]
	s_waitcnt lgkmcnt(0)
	; wave barrier
	scratch_load_dwordx4 v[2:5], off, off offset:144
	scratch_load_dwordx4 v[6:9], off, off offset:160
	;; [unrolled: 1-line block ×12, first 2 shown]
	ds_read_b128 v[110:113], v114 offset:544
	ds_read_b128 v[106:109], v114 offset:560
	;; [unrolled: 1-line block ×12, first 2 shown]
	scratch_load_dwordx4 v[62:65], off, off offset:336
	scratch_load_dwordx4 v[54:57], off, off offset:352
	;; [unrolled: 1-line block ×4, first 2 shown]
	scratch_load_dwordx2 v[116:117], off, off offset:136
	v_cmp_lt_u32_e32 vcc, 16, v0
	s_waitcnt vmcnt(16) lgkmcnt(11)
	v_mul_f32_e32 v115, v110, v3
	v_mul_f32_e32 v118, v112, v5
	;; [unrolled: 1-line block ×3, first 2 shown]
	v_fmac_f32_e32 v115, v111, v2
	s_waitcnt vmcnt(15) lgkmcnt(10)
	v_mul_f32_e32 v120, v106, v7
	v_fmac_f32_e32 v118, v113, v4
	v_fma_f32 v2, v110, v2, -v3
	v_add_f32_e32 v3, 0, v115
	v_mul_f32_e32 v122, v108, v9
	v_fmac_f32_e32 v120, v107, v6
	v_add_f32_e32 v3, v3, v118
	s_waitcnt vmcnt(14) lgkmcnt(9)
	v_mul_f32_e32 v123, v102, v11
	v_fmac_f32_e32 v122, v109, v8
	v_add_f32_e32 v3, v3, v120
	v_mul_f32_e32 v124, v104, v13
	v_fmac_f32_e32 v123, v103, v10
	v_add_f32_e32 v3, v3, v122
	s_waitcnt vmcnt(13) lgkmcnt(8)
	v_mul_f32_e32 v125, v98, v15
	v_fmac_f32_e32 v124, v105, v12
	;; [unrolled: 7-line block ×9, first 2 shown]
	v_add_f32_e32 v3, v3, v137
	v_mul_f32_e32 v140, v72, v53
	v_fmac_f32_e32 v139, v71, v50
	v_add_f32_e32 v3, v3, v138
	v_fmac_f32_e32 v140, v73, v52
	v_add_f32_e32 v3, v3, v139
	v_add_f32_e32 v111, v3, v140
	v_mul_f32_e32 v3, v113, v5
	v_add_f32_e32 v2, 0, v2
	v_fma_f32 v3, v112, v4, -v3
	v_add_f32_e32 v2, v2, v3
	v_mul_f32_e32 v3, v107, v7
	v_fma_f32 v3, v106, v6, -v3
	v_add_f32_e32 v2, v2, v3
	v_mul_f32_e32 v3, v109, v9
	;; [unrolled: 3-line block ×20, first 2 shown]
	v_fma_f32 v3, v72, v52, -v3
	v_add_f32_e32 v110, v2, v3
	s_waitcnt vmcnt(5) lgkmcnt(0)
	v_mul_f32_e32 v2, v67, v59
	v_fma_f32 v118, v66, v58, -v2
	v_mul_f32_e32 v2, v69, v61
	v_fma_f32 v120, v68, v60, -v2
	ds_read_b128 v[2:5], v114 offset:736
	ds_read_b128 v[6:9], v114 offset:752
	;; [unrolled: 1-line block ×4, first 2 shown]
	v_mul_f32_e32 v119, v66, v59
	v_mul_f32_e32 v121, v68, v61
	v_fmac_f32_e32 v119, v67, v58
	s_waitcnt vmcnt(4) lgkmcnt(3)
	v_pk_mul_f32 v[20:21], v[2:3], v[62:63] op_sel:[1,1] op_sel_hi:[0,1]
	v_fmac_f32_e32 v121, v69, v60
	v_pk_add_f32 v[18:19], v[110:111], v[118:119]
	v_pk_fma_f32 v[22:23], v[2:3], v[62:63], v[20:21] neg_lo:[0,0,1] neg_hi:[0,0,1]
	v_pk_fma_f32 v[2:3], v[2:3], v[62:63], v[20:21] op_sel_hi:[1,0,1]
	v_pk_add_f32 v[18:19], v[18:19], v[120:121]
	v_mov_b32_e32 v23, v3
	v_pk_add_f32 v[2:3], v[18:19], v[22:23]
	v_mov_b32_e32 v18, v65
	v_pk_mul_f32 v[18:19], v[4:5], v[18:19] op_sel:[1,0] op_sel_hi:[0,0]
	v_pk_fma_f32 v[20:21], v[4:5], v[64:65], v[18:19] neg_lo:[0,0,1] neg_hi:[0,0,1]
	v_pk_fma_f32 v[4:5], v[4:5], v[64:65], v[18:19] op_sel_hi:[1,0,1]
	s_nop 0
	v_mov_b32_e32 v21, v5
	s_waitcnt vmcnt(3) lgkmcnt(2)
	v_pk_mul_f32 v[4:5], v[6:7], v[54:55] op_sel:[1,1] op_sel_hi:[0,1]
	v_pk_fma_f32 v[18:19], v[6:7], v[54:55], v[4:5] neg_lo:[0,0,1] neg_hi:[0,0,1]
	v_pk_fma_f32 v[4:5], v[6:7], v[54:55], v[4:5] op_sel_hi:[1,0,1]
	v_pk_add_f32 v[2:3], v[2:3], v[20:21]
	v_mov_b32_e32 v4, v57
	v_mov_b32_e32 v19, v5
	v_pk_mul_f32 v[4:5], v[8:9], v[4:5] op_sel:[1,0] op_sel_hi:[0,0]
	v_pk_fma_f32 v[6:7], v[8:9], v[56:57], v[4:5] neg_lo:[0,0,1] neg_hi:[0,0,1]
	v_pk_fma_f32 v[4:5], v[8:9], v[56:57], v[4:5] op_sel_hi:[1,0,1]
	v_pk_add_f32 v[2:3], v[2:3], v[18:19]
	v_mov_b32_e32 v7, v5
	s_waitcnt vmcnt(2) lgkmcnt(1)
	v_pk_mul_f32 v[4:5], v[10:11], v[42:43] op_sel:[1,1] op_sel_hi:[0,1]
	v_pk_add_f32 v[2:3], v[2:3], v[6:7]
	v_pk_fma_f32 v[6:7], v[10:11], v[42:43], v[4:5] neg_lo:[0,0,1] neg_hi:[0,0,1]
	v_pk_fma_f32 v[4:5], v[10:11], v[42:43], v[4:5] op_sel_hi:[1,0,1]
	s_nop 0
	v_mov_b32_e32 v4, v45
	v_mov_b32_e32 v7, v5
	v_pk_mul_f32 v[4:5], v[12:13], v[4:5] op_sel:[1,0] op_sel_hi:[0,0]
	v_pk_add_f32 v[2:3], v[2:3], v[6:7]
	v_pk_fma_f32 v[6:7], v[12:13], v[44:45], v[4:5] neg_lo:[0,0,1] neg_hi:[0,0,1]
	v_pk_fma_f32 v[4:5], v[12:13], v[44:45], v[4:5] op_sel_hi:[1,0,1]
	s_nop 0
	v_mov_b32_e32 v7, v5
	s_waitcnt vmcnt(1) lgkmcnt(0)
	v_pk_mul_f32 v[4:5], v[14:15], v[34:35] op_sel:[1,1] op_sel_hi:[0,1]
	v_pk_add_f32 v[2:3], v[2:3], v[6:7]
	v_pk_fma_f32 v[6:7], v[14:15], v[34:35], v[4:5] neg_lo:[0,0,1] neg_hi:[0,0,1]
	v_pk_fma_f32 v[4:5], v[14:15], v[34:35], v[4:5] op_sel_hi:[1,0,1]
	s_nop 0
	v_mov_b32_e32 v4, v37
	v_mov_b32_e32 v7, v5
	v_pk_mul_f32 v[4:5], v[16:17], v[4:5] op_sel:[1,0] op_sel_hi:[0,0]
	v_pk_add_f32 v[2:3], v[2:3], v[6:7]
	v_pk_fma_f32 v[6:7], v[16:17], v[36:37], v[4:5] neg_lo:[0,0,1] neg_hi:[0,0,1]
	v_pk_fma_f32 v[4:5], v[16:17], v[36:37], v[4:5] op_sel_hi:[1,0,1]
	s_nop 0
	v_mov_b32_e32 v7, v5
	v_pk_add_f32 v[2:3], v[2:3], v[6:7]
	s_waitcnt vmcnt(0)
	v_pk_add_f32 v[2:3], v[116:117], v[2:3] neg_lo:[0,1] neg_hi:[0,1]
	scratch_store_dwordx2 off, v[2:3], off offset:136
	s_and_saveexec_b64 s[0:1], vcc
	s_cbranch_execz .LBB49_281
; %bb.280:
	scratch_load_dwordx2 v[2:3], off, off offset:128
	v_mov_b32_e32 v4, 0
	v_mov_b32_e32 v5, v4
	scratch_store_dwordx2 off, v[4:5], off offset:128
	s_waitcnt vmcnt(1)
	ds_write_b64 v1, v[2:3]
.LBB49_281:
	s_or_b64 exec, exec, s[0:1]
	s_waitcnt lgkmcnt(0)
	; wave barrier
	scratch_load_dwordx4 v[2:5], off, off offset:136
	scratch_load_dwordx4 v[6:9], off, off offset:152
	;; [unrolled: 1-line block ×13, first 2 shown]
	v_mov_b32_e32 v106, 0
	scratch_load_dwordx2 v[124:125], off, off offset:128
	ds_read2_b64 v[54:57], v106 offset0:67 offset1:68
	ds_read2_b64 v[58:61], v106 offset0:69 offset1:70
	;; [unrolled: 1-line block ×14, first 2 shown]
	v_cmp_lt_u32_e32 vcc, 15, v0
	s_waitcnt vmcnt(13) lgkmcnt(13)
	v_mul_f32_e32 v107, v54, v3
	v_mul_f32_e32 v112, v56, v5
	v_fmac_f32_e32 v107, v55, v2
	s_waitcnt vmcnt(12) lgkmcnt(12)
	v_mul_f32_e32 v113, v58, v7
	v_fmac_f32_e32 v112, v57, v4
	v_add_f32_e32 v107, 0, v107
	v_mul_f32_e32 v114, v60, v9
	v_fmac_f32_e32 v113, v59, v6
	v_add_f32_e32 v107, v107, v112
	s_waitcnt vmcnt(11) lgkmcnt(11)
	v_mul_f32_e32 v115, v62, v11
	v_fmac_f32_e32 v114, v61, v8
	v_add_f32_e32 v107, v107, v113
	v_mul_f32_e32 v116, v64, v13
	v_fmac_f32_e32 v115, v63, v10
	v_add_f32_e32 v107, v107, v114
	;; [unrolled: 7-line block ×8, first 2 shown]
	s_waitcnt vmcnt(4) lgkmcnt(4)
	v_mul_f32_e32 v133, v90, v39
	v_fmac_f32_e32 v132, v89, v36
	v_add_f32_e32 v107, v107, v131
	v_fmac_f32_e32 v133, v91, v38
	v_add_f32_e32 v107, v107, v132
	v_add_f32_e32 v107, v107, v133
	scratch_load_dwordx4 v[112:115], off, off offset:344
	scratch_load_dwordx4 v[116:119], off, off offset:360
	;; [unrolled: 1-line block ×3, first 2 shown]
	scratch_load_dwordx2 v[132:133], off, off offset:392
	v_mul_f32_e32 v3, v55, v3
	v_fma_f32 v2, v54, v2, -v3
	v_mul_f32_e32 v3, v57, v5
	v_add_f32_e32 v2, 0, v2
	v_fma_f32 v3, v56, v4, -v3
	v_add_f32_e32 v2, v2, v3
	v_mul_f32_e32 v3, v59, v7
	v_fma_f32 v3, v58, v6, -v3
	v_add_f32_e32 v2, v2, v3
	v_mul_f32_e32 v3, v61, v9
	;; [unrolled: 3-line block ×18, first 2 shown]
	v_fma_f32 v3, v92, v40, -v3
	v_add_f32_e32 v2, v2, v3
	s_waitcnt vmcnt(7) lgkmcnt(3)
	v_mul_f32_e32 v3, v95, v43
	v_fma_f32 v3, v94, v42, -v3
	v_mul_f32_e32 v134, v92, v41
	v_add_f32_e32 v2, v2, v3
	v_mul_f32_e32 v3, v97, v45
	v_mul_f32_e32 v135, v94, v43
	v_fmac_f32_e32 v134, v93, v40
	v_fma_f32 v3, v96, v44, -v3
	v_mul_f32_e32 v136, v96, v45
	v_fmac_f32_e32 v135, v95, v42
	v_add_f32_e32 v107, v107, v134
	v_add_f32_e32 v2, v2, v3
	s_waitcnt vmcnt(6) lgkmcnt(2)
	v_mul_f32_e32 v3, v99, v47
	v_mul_f32_e32 v137, v98, v47
	v_fmac_f32_e32 v136, v97, v44
	v_add_f32_e32 v107, v107, v135
	v_fma_f32 v3, v98, v46, -v3
	v_mul_f32_e32 v127, v100, v49
	v_fmac_f32_e32 v137, v99, v46
	v_add_f32_e32 v107, v107, v136
	v_add_f32_e32 v130, v2, v3
	v_mul_f32_e32 v2, v101, v49
	s_waitcnt vmcnt(5)
	v_mov_b32_e32 v14, v53
	s_waitcnt lgkmcnt(1)
	v_mul_f32_e32 v129, v102, v51
	v_fmac_f32_e32 v127, v101, v48
	v_add_f32_e32 v131, v107, v137
	v_fma_f32 v126, v100, v48, -v2
	v_mul_f32_e32 v2, v103, v51
	v_pk_mul_f32 v[14:15], v[104:105], v[14:15] op_sel:[1,0] op_sel_hi:[0,0]
	v_fmac_f32_e32 v129, v103, v50
	v_fma_f32 v128, v102, v50, -v2
	v_pk_add_f32 v[12:13], v[130:131], v[126:127]
	v_pk_fma_f32 v[16:17], v[104:105], v[52:53], v[14:15] neg_lo:[0,0,1] neg_hi:[0,0,1]
	v_pk_fma_f32 v[14:15], v[104:105], v[52:53], v[14:15] op_sel_hi:[1,0,1]
	v_pk_add_f32 v[12:13], v[12:13], v[128:129]
	v_mov_b32_e32 v17, v15
	s_waitcnt vmcnt(3) lgkmcnt(0)
	v_pk_mul_f32 v[14:15], v[108:109], v[112:113] op_sel:[1,1] op_sel_hi:[0,1]
	v_pk_add_f32 v[12:13], v[12:13], v[16:17]
	v_pk_fma_f32 v[16:17], v[108:109], v[112:113], v[14:15] neg_lo:[0,0,1] neg_hi:[0,0,1]
	v_pk_fma_f32 v[14:15], v[108:109], v[112:113], v[14:15] op_sel_hi:[1,0,1]
	ds_read2_b64 v[2:5], v106 offset0:95 offset1:96
	ds_read2_b64 v[6:9], v106 offset0:97 offset1:98
	ds_read_b64 v[10:11], v106 offset:792
	v_mov_b32_e32 v14, v115
	v_mov_b32_e32 v17, v15
	v_pk_mul_f32 v[14:15], v[110:111], v[14:15] op_sel:[1,0] op_sel_hi:[0,0]
	v_pk_add_f32 v[12:13], v[12:13], v[16:17]
	v_pk_fma_f32 v[16:17], v[110:111], v[114:115], v[14:15] neg_lo:[0,0,1] neg_hi:[0,0,1]
	v_pk_fma_f32 v[14:15], v[110:111], v[114:115], v[14:15] op_sel_hi:[1,0,1]
	s_nop 0
	v_mov_b32_e32 v17, v15
	s_waitcnt vmcnt(2) lgkmcnt(2)
	v_pk_mul_f32 v[14:15], v[2:3], v[116:117] op_sel:[1,1] op_sel_hi:[0,1]
	v_pk_add_f32 v[12:13], v[12:13], v[16:17]
	v_pk_fma_f32 v[16:17], v[2:3], v[116:117], v[14:15] neg_lo:[0,0,1] neg_hi:[0,0,1]
	v_pk_fma_f32 v[2:3], v[2:3], v[116:117], v[14:15] op_sel_hi:[1,0,1]
	s_nop 0
	v_mov_b32_e32 v17, v3
	v_pk_add_f32 v[2:3], v[12:13], v[16:17]
	v_mov_b32_e32 v12, v119
	v_pk_mul_f32 v[12:13], v[4:5], v[12:13] op_sel:[1,0] op_sel_hi:[0,0]
	v_pk_fma_f32 v[14:15], v[4:5], v[118:119], v[12:13] neg_lo:[0,0,1] neg_hi:[0,0,1]
	v_pk_fma_f32 v[4:5], v[4:5], v[118:119], v[12:13] op_sel_hi:[1,0,1]
	s_nop 0
	v_mov_b32_e32 v15, v5
	s_waitcnt vmcnt(1) lgkmcnt(1)
	v_pk_mul_f32 v[4:5], v[6:7], v[120:121] op_sel:[1,1] op_sel_hi:[0,1]
	v_pk_fma_f32 v[12:13], v[6:7], v[120:121], v[4:5] neg_lo:[0,0,1] neg_hi:[0,0,1]
	v_pk_fma_f32 v[4:5], v[6:7], v[120:121], v[4:5] op_sel_hi:[1,0,1]
	v_pk_add_f32 v[2:3], v[2:3], v[14:15]
	v_mov_b32_e32 v4, v123
	v_mov_b32_e32 v13, v5
	v_pk_mul_f32 v[4:5], v[8:9], v[4:5] op_sel:[1,0] op_sel_hi:[0,0]
	v_pk_fma_f32 v[6:7], v[8:9], v[122:123], v[4:5] neg_lo:[0,0,1] neg_hi:[0,0,1]
	v_pk_fma_f32 v[4:5], v[8:9], v[122:123], v[4:5] op_sel_hi:[1,0,1]
	v_pk_add_f32 v[2:3], v[2:3], v[12:13]
	v_mov_b32_e32 v7, v5
	s_waitcnt vmcnt(0) lgkmcnt(0)
	v_pk_mul_f32 v[4:5], v[10:11], v[132:133] op_sel:[1,1] op_sel_hi:[0,1]
	v_pk_add_f32 v[2:3], v[2:3], v[6:7]
	v_pk_fma_f32 v[6:7], v[10:11], v[132:133], v[4:5] neg_lo:[0,0,1] neg_hi:[0,0,1]
	v_pk_fma_f32 v[4:5], v[10:11], v[132:133], v[4:5] op_sel_hi:[1,0,1]
	s_nop 0
	v_mov_b32_e32 v7, v5
	v_pk_add_f32 v[2:3], v[2:3], v[6:7]
	s_nop 0
	v_pk_add_f32 v[2:3], v[124:125], v[2:3] neg_lo:[0,1] neg_hi:[0,1]
	scratch_store_dwordx2 off, v[2:3], off offset:128
	s_and_saveexec_b64 s[0:1], vcc
	s_cbranch_execz .LBB49_283
; %bb.282:
	scratch_load_dwordx2 v[2:3], off, off offset:120
	v_mov_b32_e32 v107, v106
	scratch_store_dwordx2 off, v[106:107], off offset:120
	s_waitcnt vmcnt(1)
	ds_write_b64 v1, v[2:3]
.LBB49_283:
	s_or_b64 exec, exec, s[0:1]
	s_waitcnt lgkmcnt(0)
	; wave barrier
	scratch_load_dwordx4 v[2:5], off, off offset:128
	scratch_load_dwordx4 v[6:9], off, off offset:144
	;; [unrolled: 1-line block ×13, first 2 shown]
	ds_read_b128 v[102:105], v106 offset:528
	ds_read_b128 v[98:101], v106 offset:544
	;; [unrolled: 1-line block ×14, first 2 shown]
	scratch_load_dwordx2 v[124:125], off, off offset:120
	v_cmp_lt_u32_e32 vcc, 14, v0
	s_waitcnt vmcnt(13) lgkmcnt(13)
	v_mul_f32_e32 v107, v102, v3
	v_mul_f32_e32 v112, v104, v5
	v_fmac_f32_e32 v107, v103, v2
	s_waitcnt vmcnt(12) lgkmcnt(12)
	v_mul_f32_e32 v113, v98, v7
	v_fmac_f32_e32 v112, v105, v4
	v_add_f32_e32 v107, 0, v107
	v_mul_f32_e32 v114, v100, v9
	v_fmac_f32_e32 v113, v99, v6
	v_add_f32_e32 v107, v107, v112
	s_waitcnt vmcnt(11) lgkmcnt(11)
	v_mul_f32_e32 v115, v94, v11
	v_fmac_f32_e32 v114, v101, v8
	v_add_f32_e32 v107, v107, v113
	v_mul_f32_e32 v116, v96, v13
	v_fmac_f32_e32 v115, v95, v10
	v_add_f32_e32 v107, v107, v114
	;; [unrolled: 7-line block ×5, first 2 shown]
	s_waitcnt vmcnt(7) lgkmcnt(7)
	v_mul_f32_e32 v123, v78, v27
	v_fmac_f32_e32 v122, v85, v24
	v_add_f32_e32 v107, v107, v121
	v_fmac_f32_e32 v123, v79, v26
	v_add_f32_e32 v107, v107, v122
	v_add_f32_e32 v107, v107, v123
	scratch_load_dwordx4 v[112:115], off, off offset:336
	scratch_load_dwordx4 v[116:119], off, off offset:352
	;; [unrolled: 1-line block ×4, first 2 shown]
	v_mul_f32_e32 v3, v103, v3
	v_fma_f32 v2, v102, v2, -v3
	v_mul_f32_e32 v3, v105, v5
	v_add_f32_e32 v2, 0, v2
	v_fma_f32 v3, v104, v4, -v3
	v_add_f32_e32 v2, v2, v3
	v_mul_f32_e32 v3, v99, v7
	v_fma_f32 v3, v98, v6, -v3
	v_add_f32_e32 v2, v2, v3
	v_mul_f32_e32 v3, v101, v9
	;; [unrolled: 3-line block ×12, first 2 shown]
	v_fma_f32 v3, v80, v28, -v3
	v_add_f32_e32 v2, v2, v3
	s_waitcnt vmcnt(10) lgkmcnt(6)
	v_mul_f32_e32 v3, v75, v31
	v_fma_f32 v3, v74, v30, -v3
	v_add_f32_e32 v2, v2, v3
	v_mul_f32_e32 v3, v77, v33
	v_fma_f32 v3, v76, v32, -v3
	v_add_f32_e32 v2, v2, v3
	s_waitcnt vmcnt(9) lgkmcnt(5)
	v_mul_f32_e32 v3, v71, v35
	v_fma_f32 v3, v70, v34, -v3
	v_add_f32_e32 v2, v2, v3
	v_mul_f32_e32 v3, v73, v37
	v_fma_f32 v3, v72, v36, -v3
	v_add_f32_e32 v2, v2, v3
	s_waitcnt vmcnt(8) lgkmcnt(4)
	v_mul_f32_e32 v3, v67, v39
	v_mul_f32_e32 v126, v80, v29
	v_fma_f32 v3, v66, v38, -v3
	v_mul_f32_e32 v128, v74, v31
	v_fmac_f32_e32 v126, v81, v28
	v_add_f32_e32 v2, v2, v3
	v_mul_f32_e32 v3, v69, v41
	v_mul_f32_e32 v130, v76, v33
	v_fmac_f32_e32 v128, v75, v30
	v_add_f32_e32 v107, v107, v126
	v_fma_f32 v3, v68, v40, -v3
	v_mul_f32_e32 v131, v70, v35
	v_fmac_f32_e32 v130, v77, v32
	v_add_f32_e32 v107, v107, v128
	v_add_f32_e32 v2, v2, v3
	s_waitcnt vmcnt(7) lgkmcnt(3)
	v_mul_f32_e32 v3, v63, v43
	v_mul_f32_e32 v132, v72, v37
	v_fmac_f32_e32 v131, v71, v34
	v_add_f32_e32 v107, v107, v130
	v_fma_f32 v3, v62, v42, -v3
	v_mul_f32_e32 v133, v66, v39
	v_fmac_f32_e32 v132, v73, v36
	v_add_f32_e32 v107, v107, v131
	v_add_f32_e32 v2, v2, v3
	v_mul_f32_e32 v3, v65, v45
	v_mul_f32_e32 v134, v68, v41
	v_fmac_f32_e32 v133, v67, v38
	v_add_f32_e32 v107, v107, v132
	v_fma_f32 v3, v64, v44, -v3
	v_mul_f32_e32 v135, v62, v43
	v_fmac_f32_e32 v134, v69, v40
	v_add_f32_e32 v107, v107, v133
	v_add_f32_e32 v2, v2, v3
	s_waitcnt vmcnt(6) lgkmcnt(2)
	v_mul_f32_e32 v3, v59, v47
	v_mul_f32_e32 v136, v64, v45
	v_fmac_f32_e32 v135, v63, v42
	v_add_f32_e32 v107, v107, v134
	v_fma_f32 v3, v58, v46, -v3
	v_mul_f32_e32 v137, v58, v47
	v_fmac_f32_e32 v136, v65, v44
	v_add_f32_e32 v107, v107, v135
	v_add_f32_e32 v2, v2, v3
	v_mul_f32_e32 v3, v61, v49
	v_mul_f32_e32 v138, v60, v49
	v_fmac_f32_e32 v137, v59, v46
	v_add_f32_e32 v107, v107, v136
	v_fma_f32 v3, v60, v48, -v3
	s_waitcnt vmcnt(5) lgkmcnt(1)
	v_mul_f32_e32 v127, v54, v51
	v_fmac_f32_e32 v138, v61, v48
	v_add_f32_e32 v107, v107, v137
	v_add_f32_e32 v130, v2, v3
	v_mul_f32_e32 v2, v55, v51
	s_waitcnt vmcnt(3) lgkmcnt(0)
	v_pk_mul_f32 v[16:17], v[108:109], v[112:113] op_sel:[1,1] op_sel_hi:[0,1]
	v_mul_f32_e32 v129, v56, v53
	v_fmac_f32_e32 v127, v55, v50
	v_add_f32_e32 v131, v107, v138
	v_fma_f32 v126, v54, v50, -v2
	v_mul_f32_e32 v2, v57, v53
	v_pk_fma_f32 v[18:19], v[108:109], v[112:113], v[16:17] neg_lo:[0,0,1] neg_hi:[0,0,1]
	v_pk_fma_f32 v[16:17], v[108:109], v[112:113], v[16:17] op_sel_hi:[1,0,1]
	v_fmac_f32_e32 v129, v57, v52
	v_fma_f32 v128, v56, v52, -v2
	ds_read_b128 v[2:5], v106 offset:752
	ds_read_b128 v[6:9], v106 offset:768
	;; [unrolled: 1-line block ×3, first 2 shown]
	v_pk_add_f32 v[14:15], v[130:131], v[126:127]
	v_mov_b32_e32 v16, v115
	v_pk_add_f32 v[14:15], v[14:15], v[128:129]
	v_mov_b32_e32 v19, v17
	v_pk_mul_f32 v[16:17], v[110:111], v[16:17] op_sel:[1,0] op_sel_hi:[0,0]
	v_pk_add_f32 v[14:15], v[14:15], v[18:19]
	v_pk_fma_f32 v[18:19], v[110:111], v[114:115], v[16:17] neg_lo:[0,0,1] neg_hi:[0,0,1]
	v_pk_fma_f32 v[16:17], v[110:111], v[114:115], v[16:17] op_sel_hi:[1,0,1]
	s_nop 0
	v_mov_b32_e32 v19, v17
	s_waitcnt vmcnt(2) lgkmcnt(2)
	v_pk_mul_f32 v[16:17], v[2:3], v[116:117] op_sel:[1,1] op_sel_hi:[0,1]
	v_pk_add_f32 v[14:15], v[14:15], v[18:19]
	v_pk_fma_f32 v[18:19], v[2:3], v[116:117], v[16:17] neg_lo:[0,0,1] neg_hi:[0,0,1]
	v_pk_fma_f32 v[2:3], v[2:3], v[116:117], v[16:17] op_sel_hi:[1,0,1]
	s_nop 0
	v_mov_b32_e32 v19, v3
	v_pk_add_f32 v[2:3], v[14:15], v[18:19]
	v_mov_b32_e32 v14, v119
	v_pk_mul_f32 v[14:15], v[4:5], v[14:15] op_sel:[1,0] op_sel_hi:[0,0]
	v_pk_fma_f32 v[16:17], v[4:5], v[118:119], v[14:15] neg_lo:[0,0,1] neg_hi:[0,0,1]
	v_pk_fma_f32 v[4:5], v[4:5], v[118:119], v[14:15] op_sel_hi:[1,0,1]
	s_nop 0
	v_mov_b32_e32 v17, v5
	s_waitcnt vmcnt(1) lgkmcnt(1)
	v_pk_mul_f32 v[4:5], v[6:7], v[120:121] op_sel:[1,1] op_sel_hi:[0,1]
	v_pk_fma_f32 v[14:15], v[6:7], v[120:121], v[4:5] neg_lo:[0,0,1] neg_hi:[0,0,1]
	v_pk_fma_f32 v[4:5], v[6:7], v[120:121], v[4:5] op_sel_hi:[1,0,1]
	v_pk_add_f32 v[2:3], v[2:3], v[16:17]
	v_mov_b32_e32 v4, v123
	v_mov_b32_e32 v15, v5
	v_pk_mul_f32 v[4:5], v[8:9], v[4:5] op_sel:[1,0] op_sel_hi:[0,0]
	v_pk_fma_f32 v[6:7], v[8:9], v[122:123], v[4:5] neg_lo:[0,0,1] neg_hi:[0,0,1]
	v_pk_fma_f32 v[4:5], v[8:9], v[122:123], v[4:5] op_sel_hi:[1,0,1]
	v_pk_add_f32 v[2:3], v[2:3], v[14:15]
	v_mov_b32_e32 v7, v5
	s_waitcnt vmcnt(0) lgkmcnt(0)
	v_pk_mul_f32 v[4:5], v[10:11], v[224:225] op_sel:[1,1] op_sel_hi:[0,1]
	v_pk_add_f32 v[2:3], v[2:3], v[6:7]
	v_pk_fma_f32 v[6:7], v[10:11], v[224:225], v[4:5] neg_lo:[0,0,1] neg_hi:[0,0,1]
	v_pk_fma_f32 v[4:5], v[10:11], v[224:225], v[4:5] op_sel_hi:[1,0,1]
	s_nop 0
	v_mov_b32_e32 v4, v227
	v_mov_b32_e32 v7, v5
	v_pk_mul_f32 v[4:5], v[12:13], v[4:5] op_sel:[1,0] op_sel_hi:[0,0]
	v_pk_add_f32 v[2:3], v[2:3], v[6:7]
	v_pk_fma_f32 v[6:7], v[12:13], v[226:227], v[4:5] neg_lo:[0,0,1] neg_hi:[0,0,1]
	v_pk_fma_f32 v[4:5], v[12:13], v[226:227], v[4:5] op_sel_hi:[1,0,1]
	s_nop 0
	v_mov_b32_e32 v7, v5
	v_pk_add_f32 v[2:3], v[2:3], v[6:7]
	s_nop 0
	v_pk_add_f32 v[2:3], v[124:125], v[2:3] neg_lo:[0,1] neg_hi:[0,1]
	scratch_store_dwordx2 off, v[2:3], off offset:120
	s_and_saveexec_b64 s[0:1], vcc
	s_cbranch_execz .LBB49_285
; %bb.284:
	scratch_load_dwordx2 v[2:3], off, off offset:112
	v_mov_b32_e32 v4, 0
	v_mov_b32_e32 v5, v4
	scratch_store_dwordx2 off, v[4:5], off offset:112
	s_waitcnt vmcnt(1)
	ds_write_b64 v1, v[2:3]
.LBB49_285:
	s_or_b64 exec, exec, s[0:1]
	s_waitcnt lgkmcnt(0)
	; wave barrier
	scratch_load_dwordx4 v[2:5], off, off offset:120
	scratch_load_dwordx4 v[6:9], off, off offset:136
	;; [unrolled: 1-line block ×13, first 2 shown]
	v_mov_b32_e32 v114, 0
	scratch_load_dwordx4 v[54:57], off, off offset:328
	scratch_load_dwordx2 v[124:125], off, off offset:112
	ds_read2_b64 v[58:61], v114 offset0:65 offset1:66
	ds_read2_b64 v[62:65], v114 offset0:67 offset1:68
	;; [unrolled: 1-line block ×14, first 2 shown]
	v_cmp_lt_u32_e32 vcc, 13, v0
	s_waitcnt vmcnt(14) lgkmcnt(13)
	v_mul_f32_e32 v115, v58, v3
	v_mul_f32_e32 v116, v60, v5
	v_fmac_f32_e32 v115, v59, v2
	s_waitcnt vmcnt(13) lgkmcnt(12)
	v_mul_f32_e32 v117, v62, v7
	v_fmac_f32_e32 v116, v61, v4
	v_add_f32_e32 v115, 0, v115
	v_mul_f32_e32 v118, v64, v9
	v_fmac_f32_e32 v117, v63, v6
	v_add_f32_e32 v115, v115, v116
	s_waitcnt vmcnt(12) lgkmcnt(11)
	v_mul_f32_e32 v119, v66, v11
	v_fmac_f32_e32 v118, v65, v8
	v_add_f32_e32 v115, v115, v117
	v_mul_f32_e32 v120, v68, v13
	v_fmac_f32_e32 v119, v67, v10
	v_add_f32_e32 v115, v115, v118
	;; [unrolled: 7-line block ×4, first 2 shown]
	s_waitcnt vmcnt(9) lgkmcnt(8)
	v_mul_f32_e32 v127, v78, v23
	v_fmac_f32_e32 v126, v77, v20
	v_add_f32_e32 v115, v115, v123
	scratch_load_dwordx4 v[116:119], off, off offset:344
	v_mul_f32_e32 v128, v80, v25
	v_fmac_f32_e32 v127, v79, v22
	v_add_f32_e32 v115, v115, v126
	s_waitcnt vmcnt(9) lgkmcnt(7)
	v_mul_f32_e32 v129, v82, v27
	v_fmac_f32_e32 v128, v81, v24
	v_add_f32_e32 v115, v115, v127
	v_mul_f32_e32 v130, v84, v29
	v_fmac_f32_e32 v129, v83, v26
	v_add_f32_e32 v115, v115, v128
	s_waitcnt vmcnt(8) lgkmcnt(6)
	v_mul_f32_e32 v131, v86, v31
	v_fmac_f32_e32 v130, v85, v28
	v_add_f32_e32 v115, v115, v129
	;; [unrolled: 7-line block ×3, first 2 shown]
	v_fmac_f32_e32 v133, v91, v34
	v_add_f32_e32 v115, v115, v132
	v_add_f32_e32 v115, v115, v133
	scratch_load_dwordx4 v[120:123], off, off offset:360
	scratch_load_dwordx4 v[224:227], off, off offset:376
	scratch_load_dwordx2 v[132:133], off, off offset:392
	v_mul_f32_e32 v3, v59, v3
	v_fma_f32 v2, v58, v2, -v3
	v_mul_f32_e32 v3, v61, v5
	v_add_f32_e32 v2, 0, v2
	v_fma_f32 v3, v60, v4, -v3
	v_add_f32_e32 v2, v2, v3
	v_mul_f32_e32 v3, v63, v7
	v_fma_f32 v3, v62, v6, -v3
	v_add_f32_e32 v2, v2, v3
	v_mul_f32_e32 v3, v65, v9
	v_fma_f32 v3, v64, v8, -v3
	v_add_f32_e32 v2, v2, v3
	v_mul_f32_e32 v3, v67, v11
	v_fma_f32 v3, v66, v10, -v3
	v_add_f32_e32 v2, v2, v3
	v_mul_f32_e32 v3, v69, v13
	v_fma_f32 v3, v68, v12, -v3
	v_add_f32_e32 v2, v2, v3
	v_mul_f32_e32 v3, v71, v15
	v_fma_f32 v3, v70, v14, -v3
	v_add_f32_e32 v2, v2, v3
	v_mul_f32_e32 v3, v73, v17
	v_fma_f32 v3, v72, v16, -v3
	v_add_f32_e32 v2, v2, v3
	v_mul_f32_e32 v3, v75, v19
	v_fma_f32 v3, v74, v18, -v3
	v_add_f32_e32 v2, v2, v3
	v_mul_f32_e32 v3, v77, v21
	v_fma_f32 v3, v76, v20, -v3
	v_add_f32_e32 v2, v2, v3
	v_mul_f32_e32 v3, v79, v23
	v_fma_f32 v3, v78, v22, -v3
	v_add_f32_e32 v2, v2, v3
	v_mul_f32_e32 v3, v81, v25
	v_fma_f32 v3, v80, v24, -v3
	v_add_f32_e32 v2, v2, v3
	v_mul_f32_e32 v3, v83, v27
	v_fma_f32 v3, v82, v26, -v3
	v_add_f32_e32 v2, v2, v3
	v_mul_f32_e32 v3, v85, v29
	v_fma_f32 v3, v84, v28, -v3
	v_add_f32_e32 v2, v2, v3
	v_mul_f32_e32 v3, v87, v31
	v_fma_f32 v3, v86, v30, -v3
	v_add_f32_e32 v2, v2, v3
	v_mul_f32_e32 v3, v89, v33
	v_fma_f32 v3, v88, v32, -v3
	v_add_f32_e32 v2, v2, v3
	v_mul_f32_e32 v3, v91, v35
	v_fma_f32 v3, v90, v34, -v3
	v_add_f32_e32 v2, v2, v3
	v_mul_f32_e32 v3, v93, v37
	v_fma_f32 v3, v92, v36, -v3
	v_add_f32_e32 v2, v2, v3
	s_waitcnt vmcnt(9) lgkmcnt(4)
	v_mul_f32_e32 v3, v95, v39
	v_fma_f32 v3, v94, v38, -v3
	v_add_f32_e32 v2, v2, v3
	v_mul_f32_e32 v3, v97, v41
	v_fma_f32 v3, v96, v40, -v3
	v_add_f32_e32 v2, v2, v3
	s_waitcnt vmcnt(8) lgkmcnt(3)
	v_mul_f32_e32 v3, v99, v43
	v_fma_f32 v3, v98, v42, -v3
	v_add_f32_e32 v2, v2, v3
	v_mul_f32_e32 v3, v101, v45
	v_mul_f32_e32 v134, v92, v37
	v_fma_f32 v3, v100, v44, -v3
	v_mul_f32_e32 v135, v94, v39
	v_fmac_f32_e32 v134, v93, v36
	v_add_f32_e32 v2, v2, v3
	s_waitcnt vmcnt(7) lgkmcnt(2)
	v_mul_f32_e32 v3, v103, v47
	v_mul_f32_e32 v136, v96, v41
	v_fmac_f32_e32 v135, v95, v38
	v_add_f32_e32 v115, v115, v134
	v_fma_f32 v3, v102, v46, -v3
	v_mul_f32_e32 v137, v98, v43
	v_fmac_f32_e32 v136, v97, v40
	v_add_f32_e32 v115, v115, v135
	v_add_f32_e32 v2, v2, v3
	v_mul_f32_e32 v3, v105, v49
	v_mul_f32_e32 v138, v100, v45
	v_fmac_f32_e32 v137, v99, v42
	v_add_f32_e32 v115, v115, v136
	v_fma_f32 v3, v104, v48, -v3
	v_mul_f32_e32 v139, v102, v47
	v_fmac_f32_e32 v138, v101, v44
	v_add_f32_e32 v115, v115, v137
	v_add_f32_e32 v2, v2, v3
	s_waitcnt vmcnt(6) lgkmcnt(1)
	v_mul_f32_e32 v3, v107, v51
	v_mul_f32_e32 v140, v104, v49
	v_fmac_f32_e32 v139, v103, v46
	v_add_f32_e32 v115, v115, v138
	v_fma_f32 v3, v106, v50, -v3
	v_mul_f32_e32 v141, v106, v51
	v_fmac_f32_e32 v140, v105, v48
	v_add_f32_e32 v115, v115, v139
	v_add_f32_e32 v126, v2, v3
	v_mul_f32_e32 v2, v109, v53
	v_fmac_f32_e32 v141, v107, v50
	v_add_f32_e32 v115, v115, v140
	v_mul_f32_e32 v129, v108, v53
	v_fma_f32 v128, v108, v52, -v2
	s_waitcnt vmcnt(5) lgkmcnt(0)
	v_mul_f32_e32 v2, v111, v55
	v_mov_b32_e32 v18, v57
	v_add_f32_e32 v127, v115, v141
	v_fmac_f32_e32 v129, v109, v52
	v_mul_f32_e32 v131, v110, v55
	v_fma_f32 v130, v110, v54, -v2
	ds_read2_b64 v[2:5], v114 offset0:93 offset1:94
	ds_read2_b64 v[6:9], v114 offset0:95 offset1:96
	;; [unrolled: 1-line block ×3, first 2 shown]
	ds_read_b64 v[14:15], v114 offset:792
	v_pk_mul_f32 v[18:19], v[112:113], v[18:19] op_sel:[1,0] op_sel_hi:[0,0]
	v_fmac_f32_e32 v131, v111, v54
	v_pk_add_f32 v[16:17], v[126:127], v[128:129]
	v_pk_fma_f32 v[20:21], v[112:113], v[56:57], v[18:19] neg_lo:[0,0,1] neg_hi:[0,0,1]
	v_pk_fma_f32 v[18:19], v[112:113], v[56:57], v[18:19] op_sel_hi:[1,0,1]
	v_pk_add_f32 v[16:17], v[16:17], v[130:131]
	v_mov_b32_e32 v21, v19
	s_waitcnt vmcnt(3) lgkmcnt(3)
	v_pk_mul_f32 v[18:19], v[2:3], v[116:117] op_sel:[1,1] op_sel_hi:[0,1]
	v_pk_add_f32 v[16:17], v[16:17], v[20:21]
	v_pk_fma_f32 v[20:21], v[2:3], v[116:117], v[18:19] neg_lo:[0,0,1] neg_hi:[0,0,1]
	v_pk_fma_f32 v[2:3], v[2:3], v[116:117], v[18:19] op_sel_hi:[1,0,1]
	s_nop 0
	v_mov_b32_e32 v21, v3
	v_pk_add_f32 v[2:3], v[16:17], v[20:21]
	v_mov_b32_e32 v16, v119
	v_pk_mul_f32 v[16:17], v[4:5], v[16:17] op_sel:[1,0] op_sel_hi:[0,0]
	v_pk_fma_f32 v[18:19], v[4:5], v[118:119], v[16:17] neg_lo:[0,0,1] neg_hi:[0,0,1]
	v_pk_fma_f32 v[4:5], v[4:5], v[118:119], v[16:17] op_sel_hi:[1,0,1]
	s_nop 0
	v_mov_b32_e32 v19, v5
	s_waitcnt vmcnt(2) lgkmcnt(2)
	v_pk_mul_f32 v[4:5], v[6:7], v[120:121] op_sel:[1,1] op_sel_hi:[0,1]
	v_pk_fma_f32 v[16:17], v[6:7], v[120:121], v[4:5] neg_lo:[0,0,1] neg_hi:[0,0,1]
	v_pk_fma_f32 v[4:5], v[6:7], v[120:121], v[4:5] op_sel_hi:[1,0,1]
	v_pk_add_f32 v[2:3], v[2:3], v[18:19]
	v_mov_b32_e32 v4, v123
	v_mov_b32_e32 v17, v5
	v_pk_mul_f32 v[4:5], v[8:9], v[4:5] op_sel:[1,0] op_sel_hi:[0,0]
	v_pk_fma_f32 v[6:7], v[8:9], v[122:123], v[4:5] neg_lo:[0,0,1] neg_hi:[0,0,1]
	v_pk_fma_f32 v[4:5], v[8:9], v[122:123], v[4:5] op_sel_hi:[1,0,1]
	v_pk_add_f32 v[2:3], v[2:3], v[16:17]
	v_mov_b32_e32 v7, v5
	s_waitcnt vmcnt(1) lgkmcnt(1)
	v_pk_mul_f32 v[4:5], v[10:11], v[224:225] op_sel:[1,1] op_sel_hi:[0,1]
	v_pk_add_f32 v[2:3], v[2:3], v[6:7]
	v_pk_fma_f32 v[6:7], v[10:11], v[224:225], v[4:5] neg_lo:[0,0,1] neg_hi:[0,0,1]
	v_pk_fma_f32 v[4:5], v[10:11], v[224:225], v[4:5] op_sel_hi:[1,0,1]
	s_nop 0
	v_mov_b32_e32 v4, v227
	v_mov_b32_e32 v7, v5
	v_pk_mul_f32 v[4:5], v[12:13], v[4:5] op_sel:[1,0] op_sel_hi:[0,0]
	v_pk_add_f32 v[2:3], v[2:3], v[6:7]
	v_pk_fma_f32 v[6:7], v[12:13], v[226:227], v[4:5] neg_lo:[0,0,1] neg_hi:[0,0,1]
	v_pk_fma_f32 v[4:5], v[12:13], v[226:227], v[4:5] op_sel_hi:[1,0,1]
	s_nop 0
	v_mov_b32_e32 v7, v5
	s_waitcnt vmcnt(0) lgkmcnt(0)
	v_pk_mul_f32 v[4:5], v[14:15], v[132:133] op_sel:[1,1] op_sel_hi:[0,1]
	v_pk_add_f32 v[2:3], v[2:3], v[6:7]
	v_pk_fma_f32 v[6:7], v[14:15], v[132:133], v[4:5] neg_lo:[0,0,1] neg_hi:[0,0,1]
	v_pk_fma_f32 v[4:5], v[14:15], v[132:133], v[4:5] op_sel_hi:[1,0,1]
	s_nop 0
	v_mov_b32_e32 v7, v5
	v_pk_add_f32 v[2:3], v[2:3], v[6:7]
	s_nop 0
	v_pk_add_f32 v[2:3], v[124:125], v[2:3] neg_lo:[0,1] neg_hi:[0,1]
	scratch_store_dwordx2 off, v[2:3], off offset:112
	s_and_saveexec_b64 s[0:1], vcc
	s_cbranch_execz .LBB49_287
; %bb.286:
	scratch_load_dwordx2 v[2:3], off, off offset:104
	v_mov_b32_e32 v115, v114
	scratch_store_dwordx2 off, v[114:115], off offset:104
	s_waitcnt vmcnt(1)
	ds_write_b64 v1, v[2:3]
.LBB49_287:
	s_or_b64 exec, exec, s[0:1]
	s_waitcnt lgkmcnt(0)
	; wave barrier
	scratch_load_dwordx4 v[2:5], off, off offset:112
	scratch_load_dwordx4 v[6:9], off, off offset:128
	;; [unrolled: 1-line block ×13, first 2 shown]
	ds_read_b128 v[110:113], v114 offset:512
	ds_read_b128 v[106:109], v114 offset:528
	;; [unrolled: 1-line block ×14, first 2 shown]
	scratch_load_dwordx4 v[66:69], off, off offset:320
	scratch_load_dwordx2 v[124:125], off, off offset:104
	v_cmp_lt_u32_e32 vcc, 12, v0
	s_waitcnt vmcnt(14) lgkmcnt(13)
	v_mul_f32_e32 v115, v110, v3
	v_mul_f32_e32 v116, v112, v5
	v_fmac_f32_e32 v115, v111, v2
	s_waitcnt vmcnt(13) lgkmcnt(12)
	v_mul_f32_e32 v117, v106, v7
	v_fmac_f32_e32 v116, v113, v4
	v_add_f32_e32 v115, 0, v115
	v_mul_f32_e32 v118, v108, v9
	v_fmac_f32_e32 v117, v107, v6
	v_add_f32_e32 v115, v115, v116
	s_waitcnt vmcnt(12) lgkmcnt(11)
	v_mul_f32_e32 v119, v102, v11
	v_fmac_f32_e32 v118, v109, v8
	v_add_f32_e32 v115, v115, v117
	v_fmac_f32_e32 v119, v103, v10
	v_add_f32_e32 v115, v115, v118
	v_add_f32_e32 v115, v115, v119
	scratch_load_dwordx4 v[116:119], off, off offset:336
	v_mul_f32_e32 v120, v104, v13
	s_waitcnt vmcnt(12) lgkmcnt(10)
	v_mul_f32_e32 v121, v98, v15
	v_fmac_f32_e32 v120, v105, v12
	v_mul_f32_e32 v122, v100, v17
	v_fmac_f32_e32 v121, v99, v14
	v_add_f32_e32 v115, v115, v120
	s_waitcnt vmcnt(11) lgkmcnt(9)
	v_mul_f32_e32 v123, v94, v19
	v_fmac_f32_e32 v122, v101, v16
	v_add_f32_e32 v115, v115, v121
	v_fmac_f32_e32 v123, v95, v18
	v_add_f32_e32 v115, v115, v122
	v_add_f32_e32 v115, v115, v123
	scratch_load_dwordx4 v[120:123], off, off offset:352
	scratch_load_dwordx4 v[224:227], off, off offset:368
	;; [unrolled: 1-line block ×3, first 2 shown]
	v_mul_f32_e32 v3, v111, v3
	v_fma_f32 v2, v110, v2, -v3
	v_mul_f32_e32 v3, v113, v5
	v_add_f32_e32 v2, 0, v2
	v_fma_f32 v3, v112, v4, -v3
	v_add_f32_e32 v2, v2, v3
	v_mul_f32_e32 v3, v107, v7
	v_fma_f32 v3, v106, v6, -v3
	v_add_f32_e32 v2, v2, v3
	v_mul_f32_e32 v3, v109, v9
	v_fma_f32 v3, v108, v8, -v3
	v_add_f32_e32 v2, v2, v3
	v_mul_f32_e32 v3, v103, v11
	v_fma_f32 v3, v102, v10, -v3
	v_add_f32_e32 v2, v2, v3
	v_mul_f32_e32 v3, v105, v13
	v_fma_f32 v3, v104, v12, -v3
	v_add_f32_e32 v2, v2, v3
	v_mul_f32_e32 v3, v99, v15
	v_fma_f32 v3, v98, v14, -v3
	v_add_f32_e32 v2, v2, v3
	v_mul_f32_e32 v3, v101, v17
	v_fma_f32 v3, v100, v16, -v3
	v_add_f32_e32 v2, v2, v3
	v_mul_f32_e32 v3, v95, v19
	v_fma_f32 v3, v94, v18, -v3
	v_add_f32_e32 v2, v2, v3
	v_mul_f32_e32 v3, v97, v21
	v_fma_f32 v3, v96, v20, -v3
	v_add_f32_e32 v2, v2, v3
	s_waitcnt vmcnt(13) lgkmcnt(8)
	v_mul_f32_e32 v3, v91, v23
	v_fma_f32 v3, v90, v22, -v3
	v_add_f32_e32 v2, v2, v3
	v_mul_f32_e32 v3, v93, v25
	v_fma_f32 v3, v92, v24, -v3
	v_add_f32_e32 v2, v2, v3
	s_waitcnt vmcnt(12) lgkmcnt(7)
	v_mul_f32_e32 v3, v87, v27
	v_fma_f32 v3, v86, v26, -v3
	v_add_f32_e32 v2, v2, v3
	v_mul_f32_e32 v3, v89, v29
	;; [unrolled: 7-line block ×4, first 2 shown]
	v_fma_f32 v3, v80, v36, -v3
	v_add_f32_e32 v2, v2, v3
	s_waitcnt vmcnt(9) lgkmcnt(4)
	v_mul_f32_e32 v3, v75, v39
	v_fma_f32 v3, v74, v38, -v3
	v_mul_f32_e32 v126, v96, v21
	v_add_f32_e32 v2, v2, v3
	v_mul_f32_e32 v3, v77, v41
	v_mul_f32_e32 v127, v90, v23
	v_fmac_f32_e32 v126, v97, v20
	v_fma_f32 v3, v76, v40, -v3
	v_mul_f32_e32 v128, v92, v25
	v_fmac_f32_e32 v127, v91, v22
	v_add_f32_e32 v115, v115, v126
	v_add_f32_e32 v2, v2, v3
	s_waitcnt vmcnt(8) lgkmcnt(3)
	v_mul_f32_e32 v3, v71, v43
	v_mul_f32_e32 v129, v86, v27
	v_fmac_f32_e32 v128, v93, v24
	v_add_f32_e32 v115, v115, v127
	v_fma_f32 v3, v70, v42, -v3
	v_mul_f32_e32 v130, v88, v29
	v_fmac_f32_e32 v129, v87, v26
	v_add_f32_e32 v115, v115, v128
	v_add_f32_e32 v2, v2, v3
	v_mul_f32_e32 v3, v73, v45
	v_mul_f32_e32 v131, v82, v31
	v_fmac_f32_e32 v130, v89, v28
	v_add_f32_e32 v115, v115, v129
	v_fma_f32 v3, v72, v44, -v3
	v_mul_f32_e32 v132, v84, v33
	v_fmac_f32_e32 v131, v83, v30
	v_add_f32_e32 v115, v115, v130
	v_add_f32_e32 v2, v2, v3
	s_waitcnt vmcnt(7) lgkmcnt(2)
	v_mul_f32_e32 v3, v63, v47
	v_mul_f32_e32 v133, v78, v35
	v_fmac_f32_e32 v132, v85, v32
	v_add_f32_e32 v115, v115, v131
	v_fma_f32 v3, v62, v46, -v3
	v_mul_f32_e32 v134, v80, v37
	v_fmac_f32_e32 v133, v79, v34
	v_add_f32_e32 v115, v115, v132
	v_add_f32_e32 v2, v2, v3
	v_mul_f32_e32 v3, v65, v49
	v_mul_f32_e32 v135, v74, v39
	v_fmac_f32_e32 v134, v81, v36
	v_add_f32_e32 v115, v115, v133
	;; [unrolled: 19-line block ×3, first 2 shown]
	v_fma_f32 v3, v56, v52, -v3
	v_mul_f32_e32 v140, v64, v49
	v_fmac_f32_e32 v139, v63, v46
	v_add_f32_e32 v115, v115, v138
	v_add_f32_e32 v126, v2, v3
	s_waitcnt vmcnt(5) lgkmcnt(0)
	v_mul_f32_e32 v2, v59, v67
	v_mul_f32_e32 v141, v54, v51
	v_fmac_f32_e32 v140, v65, v48
	v_add_f32_e32 v115, v115, v139
	v_fma_f32 v128, v58, v66, -v2
	v_mul_f32_e32 v2, v61, v69
	v_mul_f32_e32 v142, v56, v53
	v_fmac_f32_e32 v141, v55, v50
	v_add_f32_e32 v115, v115, v140
	v_fma_f32 v130, v60, v68, -v2
	ds_read_b128 v[2:5], v114 offset:736
	ds_read_b128 v[6:9], v114 offset:752
	ds_read_b128 v[10:13], v114 offset:768
	ds_read_b128 v[14:17], v114 offset:784
	v_add_f32_e32 v115, v115, v141
	v_fmac_f32_e32 v142, v57, v52
	v_mul_f32_e32 v129, v58, v67
	v_add_f32_e32 v127, v115, v142
	v_fmac_f32_e32 v129, v59, v66
	v_mul_f32_e32 v131, v60, v69
	s_waitcnt vmcnt(3) lgkmcnt(3)
	v_pk_mul_f32 v[20:21], v[2:3], v[116:117] op_sel:[1,1] op_sel_hi:[0,1]
	v_fmac_f32_e32 v131, v61, v68
	v_pk_add_f32 v[18:19], v[126:127], v[128:129]
	v_pk_fma_f32 v[22:23], v[2:3], v[116:117], v[20:21] neg_lo:[0,0,1] neg_hi:[0,0,1]
	v_pk_fma_f32 v[2:3], v[2:3], v[116:117], v[20:21] op_sel_hi:[1,0,1]
	v_pk_add_f32 v[18:19], v[18:19], v[130:131]
	v_mov_b32_e32 v23, v3
	v_pk_add_f32 v[2:3], v[18:19], v[22:23]
	v_mov_b32_e32 v18, v119
	v_pk_mul_f32 v[18:19], v[4:5], v[18:19] op_sel:[1,0] op_sel_hi:[0,0]
	v_pk_fma_f32 v[20:21], v[4:5], v[118:119], v[18:19] neg_lo:[0,0,1] neg_hi:[0,0,1]
	v_pk_fma_f32 v[4:5], v[4:5], v[118:119], v[18:19] op_sel_hi:[1,0,1]
	s_nop 0
	v_mov_b32_e32 v21, v5
	s_waitcnt vmcnt(2) lgkmcnt(2)
	v_pk_mul_f32 v[4:5], v[6:7], v[120:121] op_sel:[1,1] op_sel_hi:[0,1]
	v_pk_fma_f32 v[18:19], v[6:7], v[120:121], v[4:5] neg_lo:[0,0,1] neg_hi:[0,0,1]
	v_pk_fma_f32 v[4:5], v[6:7], v[120:121], v[4:5] op_sel_hi:[1,0,1]
	v_pk_add_f32 v[2:3], v[2:3], v[20:21]
	v_mov_b32_e32 v4, v123
	v_mov_b32_e32 v19, v5
	v_pk_mul_f32 v[4:5], v[8:9], v[4:5] op_sel:[1,0] op_sel_hi:[0,0]
	v_pk_fma_f32 v[6:7], v[8:9], v[122:123], v[4:5] neg_lo:[0,0,1] neg_hi:[0,0,1]
	v_pk_fma_f32 v[4:5], v[8:9], v[122:123], v[4:5] op_sel_hi:[1,0,1]
	v_pk_add_f32 v[2:3], v[2:3], v[18:19]
	v_mov_b32_e32 v7, v5
	s_waitcnt vmcnt(1) lgkmcnt(1)
	v_pk_mul_f32 v[4:5], v[10:11], v[224:225] op_sel:[1,1] op_sel_hi:[0,1]
	v_pk_add_f32 v[2:3], v[2:3], v[6:7]
	v_pk_fma_f32 v[6:7], v[10:11], v[224:225], v[4:5] neg_lo:[0,0,1] neg_hi:[0,0,1]
	v_pk_fma_f32 v[4:5], v[10:11], v[224:225], v[4:5] op_sel_hi:[1,0,1]
	s_nop 0
	v_mov_b32_e32 v4, v227
	v_mov_b32_e32 v7, v5
	v_pk_mul_f32 v[4:5], v[12:13], v[4:5] op_sel:[1,0] op_sel_hi:[0,0]
	v_pk_add_f32 v[2:3], v[2:3], v[6:7]
	v_pk_fma_f32 v[6:7], v[12:13], v[226:227], v[4:5] neg_lo:[0,0,1] neg_hi:[0,0,1]
	v_pk_fma_f32 v[4:5], v[12:13], v[226:227], v[4:5] op_sel_hi:[1,0,1]
	s_nop 0
	v_mov_b32_e32 v7, v5
	s_waitcnt vmcnt(0) lgkmcnt(0)
	v_pk_mul_f32 v[4:5], v[14:15], v[228:229] op_sel:[1,1] op_sel_hi:[0,1]
	v_pk_add_f32 v[2:3], v[2:3], v[6:7]
	v_pk_fma_f32 v[6:7], v[14:15], v[228:229], v[4:5] neg_lo:[0,0,1] neg_hi:[0,0,1]
	v_pk_fma_f32 v[4:5], v[14:15], v[228:229], v[4:5] op_sel_hi:[1,0,1]
	s_nop 0
	v_mov_b32_e32 v4, v231
	v_mov_b32_e32 v7, v5
	v_pk_mul_f32 v[4:5], v[16:17], v[4:5] op_sel:[1,0] op_sel_hi:[0,0]
	v_pk_add_f32 v[2:3], v[2:3], v[6:7]
	v_pk_fma_f32 v[6:7], v[16:17], v[230:231], v[4:5] neg_lo:[0,0,1] neg_hi:[0,0,1]
	v_pk_fma_f32 v[4:5], v[16:17], v[230:231], v[4:5] op_sel_hi:[1,0,1]
	s_nop 0
	v_mov_b32_e32 v7, v5
	v_pk_add_f32 v[2:3], v[2:3], v[6:7]
	s_nop 0
	v_pk_add_f32 v[2:3], v[124:125], v[2:3] neg_lo:[0,1] neg_hi:[0,1]
	scratch_store_dwordx2 off, v[2:3], off offset:104
	s_and_saveexec_b64 s[0:1], vcc
	s_cbranch_execz .LBB49_289
; %bb.288:
	scratch_load_dwordx2 v[2:3], off, off offset:96
	v_mov_b32_e32 v4, 0
	v_mov_b32_e32 v5, v4
	scratch_store_dwordx2 off, v[4:5], off offset:96
	s_waitcnt vmcnt(1)
	ds_write_b64 v1, v[2:3]
.LBB49_289:
	s_or_b64 exec, exec, s[0:1]
	s_waitcnt lgkmcnt(0)
	; wave barrier
	scratch_load_dwordx4 v[2:5], off, off offset:104
	scratch_load_dwordx4 v[6:9], off, off offset:120
	;; [unrolled: 1-line block ×13, first 2 shown]
	v_mov_b32_e32 v118, 0
	scratch_load_dwordx4 v[54:57], off, off offset:312
	scratch_load_dwordx4 v[58:61], off, off offset:328
	scratch_load_dwordx2 v[124:125], off, off offset:96
	ds_read2_b64 v[62:65], v118 offset0:63 offset1:64
	ds_read2_b64 v[66:69], v118 offset0:65 offset1:66
	;; [unrolled: 1-line block ×14, first 2 shown]
	v_cmp_lt_u32_e32 vcc, 11, v0
	ds_read2_b64 v[224:227], v118 offset0:93 offset1:94
	s_waitcnt vmcnt(15) lgkmcnt(14)
	v_mul_f32_e32 v119, v62, v3
	v_mul_f32_e32 v120, v64, v5
	v_fmac_f32_e32 v119, v63, v2
	s_waitcnt vmcnt(14) lgkmcnt(13)
	v_mul_f32_e32 v121, v66, v7
	v_fmac_f32_e32 v120, v65, v4
	v_add_f32_e32 v119, 0, v119
	v_mul_f32_e32 v122, v68, v9
	v_fmac_f32_e32 v121, v67, v6
	v_add_f32_e32 v119, v119, v120
	s_waitcnt vmcnt(13) lgkmcnt(12)
	v_mul_f32_e32 v123, v70, v11
	v_fmac_f32_e32 v122, v69, v8
	v_add_f32_e32 v119, v119, v121
	v_mul_f32_e32 v126, v72, v13
	v_fmac_f32_e32 v123, v71, v10
	v_add_f32_e32 v119, v119, v122
	;; [unrolled: 7-line block ×11, first 2 shown]
	s_waitcnt vmcnt(3) lgkmcnt(2)
	v_mul_f32_e32 v145, v110, v51
	v_fmac_f32_e32 v144, v109, v48
	v_add_f32_e32 v119, v119, v143
	v_add_f32_e32 v119, v119, v144
	v_fmac_f32_e32 v145, v111, v50
	v_mul_f32_e32 v120, v112, v53
	v_add_f32_e32 v119, v119, v145
	v_fmac_f32_e32 v120, v113, v52
	v_add_f32_e32 v119, v119, v120
	ds_read2_b64 v[120:123], v118 offset0:91 offset1:92
	scratch_load_dwordx4 v[228:231], off, off offset:344
	scratch_load_dwordx4 v[232:235], off, off offset:360
	;; [unrolled: 1-line block ×3, first 2 shown]
	scratch_load_dwordx2 v[132:133], off, off offset:392
	v_mul_f32_e32 v3, v63, v3
	v_fma_f32 v2, v62, v2, -v3
	v_mul_f32_e32 v3, v65, v5
	v_add_f32_e32 v2, 0, v2
	v_fma_f32 v3, v64, v4, -v3
	v_add_f32_e32 v2, v2, v3
	v_mul_f32_e32 v3, v67, v7
	v_fma_f32 v3, v66, v6, -v3
	v_add_f32_e32 v2, v2, v3
	v_mul_f32_e32 v3, v69, v9
	;; [unrolled: 3-line block ×24, first 2 shown]
	v_fma_f32 v3, v112, v52, -v3
	s_waitcnt vmcnt(6) lgkmcnt(2)
	v_mul_f32_e32 v126, v114, v55
	v_add_f32_e32 v2, v2, v3
	v_mul_f32_e32 v3, v115, v55
	v_fmac_f32_e32 v126, v115, v54
	v_fma_f32 v3, v114, v54, -v3
	v_add_f32_e32 v127, v119, v126
	v_mul_f32_e32 v129, v116, v57
	v_add_f32_e32 v126, v2, v3
	v_mul_f32_e32 v2, v117, v57
	s_waitcnt vmcnt(5)
	v_mov_b32_e32 v14, v61
	v_fmac_f32_e32 v129, v117, v56
	s_waitcnt lgkmcnt(0)
	v_mul_f32_e32 v131, v120, v59
	v_fma_f32 v128, v116, v56, -v2
	v_mul_f32_e32 v2, v121, v59
	v_pk_mul_f32 v[14:15], v[122:123], v[14:15] op_sel:[1,0] op_sel_hi:[0,0]
	v_fmac_f32_e32 v131, v121, v58
	v_fma_f32 v130, v120, v58, -v2
	v_pk_add_f32 v[12:13], v[126:127], v[128:129]
	v_pk_fma_f32 v[16:17], v[122:123], v[60:61], v[14:15] neg_lo:[0,0,1] neg_hi:[0,0,1]
	v_pk_fma_f32 v[14:15], v[122:123], v[60:61], v[14:15] op_sel_hi:[1,0,1]
	v_pk_add_f32 v[12:13], v[12:13], v[130:131]
	v_mov_b32_e32 v17, v15
	s_waitcnt vmcnt(3)
	v_pk_mul_f32 v[14:15], v[224:225], v[228:229] op_sel:[1,1] op_sel_hi:[0,1]
	v_pk_add_f32 v[12:13], v[12:13], v[16:17]
	v_pk_fma_f32 v[16:17], v[224:225], v[228:229], v[14:15] neg_lo:[0,0,1] neg_hi:[0,0,1]
	v_pk_fma_f32 v[14:15], v[224:225], v[228:229], v[14:15] op_sel_hi:[1,0,1]
	ds_read2_b64 v[2:5], v118 offset0:95 offset1:96
	ds_read2_b64 v[6:9], v118 offset0:97 offset1:98
	ds_read_b64 v[10:11], v118 offset:792
	v_mov_b32_e32 v14, v231
	v_mov_b32_e32 v17, v15
	v_pk_mul_f32 v[14:15], v[226:227], v[14:15] op_sel:[1,0] op_sel_hi:[0,0]
	v_pk_add_f32 v[12:13], v[12:13], v[16:17]
	v_pk_fma_f32 v[16:17], v[226:227], v[230:231], v[14:15] neg_lo:[0,0,1] neg_hi:[0,0,1]
	v_pk_fma_f32 v[14:15], v[226:227], v[230:231], v[14:15] op_sel_hi:[1,0,1]
	s_nop 0
	v_mov_b32_e32 v17, v15
	s_waitcnt vmcnt(2) lgkmcnt(2)
	v_pk_mul_f32 v[14:15], v[2:3], v[232:233] op_sel:[1,1] op_sel_hi:[0,1]
	v_pk_add_f32 v[12:13], v[12:13], v[16:17]
	v_pk_fma_f32 v[16:17], v[2:3], v[232:233], v[14:15] neg_lo:[0,0,1] neg_hi:[0,0,1]
	v_pk_fma_f32 v[2:3], v[2:3], v[232:233], v[14:15] op_sel_hi:[1,0,1]
	s_nop 0
	v_mov_b32_e32 v17, v3
	v_pk_add_f32 v[2:3], v[12:13], v[16:17]
	v_mov_b32_e32 v12, v235
	v_pk_mul_f32 v[12:13], v[4:5], v[12:13] op_sel:[1,0] op_sel_hi:[0,0]
	v_pk_fma_f32 v[14:15], v[4:5], v[234:235], v[12:13] neg_lo:[0,0,1] neg_hi:[0,0,1]
	v_pk_fma_f32 v[4:5], v[4:5], v[234:235], v[12:13] op_sel_hi:[1,0,1]
	s_nop 0
	v_mov_b32_e32 v15, v5
	s_waitcnt vmcnt(1) lgkmcnt(1)
	v_pk_mul_f32 v[4:5], v[6:7], v[236:237] op_sel:[1,1] op_sel_hi:[0,1]
	v_pk_fma_f32 v[12:13], v[6:7], v[236:237], v[4:5] neg_lo:[0,0,1] neg_hi:[0,0,1]
	v_pk_fma_f32 v[4:5], v[6:7], v[236:237], v[4:5] op_sel_hi:[1,0,1]
	v_pk_add_f32 v[2:3], v[2:3], v[14:15]
	v_mov_b32_e32 v4, v239
	v_mov_b32_e32 v13, v5
	v_pk_mul_f32 v[4:5], v[8:9], v[4:5] op_sel:[1,0] op_sel_hi:[0,0]
	v_pk_fma_f32 v[6:7], v[8:9], v[238:239], v[4:5] neg_lo:[0,0,1] neg_hi:[0,0,1]
	v_pk_fma_f32 v[4:5], v[8:9], v[238:239], v[4:5] op_sel_hi:[1,0,1]
	v_pk_add_f32 v[2:3], v[2:3], v[12:13]
	v_mov_b32_e32 v7, v5
	s_waitcnt vmcnt(0) lgkmcnt(0)
	v_pk_mul_f32 v[4:5], v[10:11], v[132:133] op_sel:[1,1] op_sel_hi:[0,1]
	v_pk_add_f32 v[2:3], v[2:3], v[6:7]
	v_pk_fma_f32 v[6:7], v[10:11], v[132:133], v[4:5] neg_lo:[0,0,1] neg_hi:[0,0,1]
	v_pk_fma_f32 v[4:5], v[10:11], v[132:133], v[4:5] op_sel_hi:[1,0,1]
	s_nop 0
	v_mov_b32_e32 v7, v5
	v_pk_add_f32 v[2:3], v[2:3], v[6:7]
	s_nop 0
	v_pk_add_f32 v[2:3], v[124:125], v[2:3] neg_lo:[0,1] neg_hi:[0,1]
	scratch_store_dwordx2 off, v[2:3], off offset:96
	s_and_saveexec_b64 s[0:1], vcc
	s_cbranch_execz .LBB49_291
; %bb.290:
	scratch_load_dwordx2 v[2:3], off, off offset:88
	v_mov_b32_e32 v119, v118
	scratch_store_dwordx2 off, v[118:119], off offset:88
	s_waitcnt vmcnt(1)
	ds_write_b64 v1, v[2:3]
.LBB49_291:
	s_or_b64 exec, exec, s[0:1]
	s_waitcnt lgkmcnt(0)
	; wave barrier
	scratch_load_dwordx4 v[2:5], off, off offset:96
	scratch_load_dwordx4 v[6:9], off, off offset:112
	;; [unrolled: 1-line block ×13, first 2 shown]
	ds_read_b128 v[114:117], v118 offset:496
	ds_read_b128 v[110:113], v118 offset:512
	;; [unrolled: 1-line block ×14, first 2 shown]
	scratch_load_dwordx4 v[62:65], off, off offset:304
	scratch_load_dwordx4 v[70:73], off, off offset:320
	scratch_load_dwordx2 v[124:125], off, off offset:88
	v_cmp_lt_u32_e32 vcc, 10, v0
	ds_read_b128 v[224:227], v118 offset:736
	s_waitcnt vmcnt(15) lgkmcnt(14)
	v_mul_f32_e32 v119, v114, v3
	v_mul_f32_e32 v120, v116, v5
	v_fmac_f32_e32 v119, v115, v2
	s_waitcnt vmcnt(14) lgkmcnt(13)
	v_mul_f32_e32 v121, v110, v7
	v_fmac_f32_e32 v120, v117, v4
	v_add_f32_e32 v119, 0, v119
	v_mul_f32_e32 v122, v112, v9
	v_fmac_f32_e32 v121, v111, v6
	v_add_f32_e32 v119, v119, v120
	s_waitcnt vmcnt(13) lgkmcnt(12)
	v_mul_f32_e32 v123, v106, v11
	v_fmac_f32_e32 v122, v113, v8
	v_add_f32_e32 v119, v119, v121
	v_mul_f32_e32 v126, v108, v13
	v_fmac_f32_e32 v123, v107, v10
	v_add_f32_e32 v119, v119, v122
	;; [unrolled: 7-line block ×11, first 2 shown]
	s_waitcnt vmcnt(3) lgkmcnt(2)
	v_mul_f32_e32 v145, v54, v51
	v_fmac_f32_e32 v144, v69, v48
	v_add_f32_e32 v119, v119, v143
	v_fmac_f32_e32 v145, v55, v50
	v_add_f32_e32 v119, v119, v144
	v_mul_f32_e32 v120, v56, v53
	v_add_f32_e32 v119, v119, v145
	v_fmac_f32_e32 v120, v57, v52
	v_add_f32_e32 v119, v119, v120
	s_waitcnt vmcnt(2) lgkmcnt(1)
	v_mul_f32_e32 v120, v58, v63
	v_fmac_f32_e32 v120, v59, v62
	v_add_f32_e32 v119, v119, v120
	ds_read_b128 v[120:123], v118 offset:720
	scratch_load_dwordx4 v[228:231], off, off offset:336
	scratch_load_dwordx4 v[232:235], off, off offset:352
	;; [unrolled: 1-line block ×4, first 2 shown]
	v_mul_f32_e32 v3, v115, v3
	v_fma_f32 v2, v114, v2, -v3
	v_mul_f32_e32 v3, v117, v5
	v_add_f32_e32 v2, 0, v2
	v_fma_f32 v3, v116, v4, -v3
	v_add_f32_e32 v2, v2, v3
	v_mul_f32_e32 v3, v111, v7
	v_fma_f32 v3, v110, v6, -v3
	v_add_f32_e32 v2, v2, v3
	v_mul_f32_e32 v3, v113, v9
	;; [unrolled: 3-line block ×25, first 2 shown]
	v_fma_f32 v3, v58, v62, -v3
	v_mul_f32_e32 v126, v60, v65
	v_add_f32_e32 v2, v2, v3
	v_mul_f32_e32 v3, v61, v65
	v_fmac_f32_e32 v126, v61, v64
	v_fma_f32 v3, v60, v64, -v3
	v_add_f32_e32 v127, v119, v126
	s_waitcnt vmcnt(5) lgkmcnt(0)
	v_mul_f32_e32 v129, v120, v71
	v_add_f32_e32 v126, v2, v3
	v_mul_f32_e32 v2, v121, v71
	s_waitcnt vmcnt(3)
	v_pk_mul_f32 v[16:17], v[224:225], v[228:229] op_sel:[1,1] op_sel_hi:[0,1]
	v_fmac_f32_e32 v129, v121, v70
	v_mul_f32_e32 v131, v122, v73
	v_fma_f32 v128, v120, v70, -v2
	v_mul_f32_e32 v2, v123, v73
	v_pk_fma_f32 v[18:19], v[224:225], v[228:229], v[16:17] neg_lo:[0,0,1] neg_hi:[0,0,1]
	v_pk_fma_f32 v[16:17], v[224:225], v[228:229], v[16:17] op_sel_hi:[1,0,1]
	v_fmac_f32_e32 v131, v123, v72
	v_fma_f32 v130, v122, v72, -v2
	ds_read_b128 v[2:5], v118 offset:752
	ds_read_b128 v[6:9], v118 offset:768
	;; [unrolled: 1-line block ×3, first 2 shown]
	v_pk_add_f32 v[14:15], v[126:127], v[128:129]
	v_mov_b32_e32 v16, v231
	v_pk_add_f32 v[14:15], v[14:15], v[130:131]
	v_mov_b32_e32 v19, v17
	v_pk_mul_f32 v[16:17], v[226:227], v[16:17] op_sel:[1,0] op_sel_hi:[0,0]
	v_pk_add_f32 v[14:15], v[14:15], v[18:19]
	v_pk_fma_f32 v[18:19], v[226:227], v[230:231], v[16:17] neg_lo:[0,0,1] neg_hi:[0,0,1]
	v_pk_fma_f32 v[16:17], v[226:227], v[230:231], v[16:17] op_sel_hi:[1,0,1]
	s_nop 0
	v_mov_b32_e32 v19, v17
	s_waitcnt vmcnt(2) lgkmcnt(2)
	v_pk_mul_f32 v[16:17], v[2:3], v[232:233] op_sel:[1,1] op_sel_hi:[0,1]
	v_pk_add_f32 v[14:15], v[14:15], v[18:19]
	v_pk_fma_f32 v[18:19], v[2:3], v[232:233], v[16:17] neg_lo:[0,0,1] neg_hi:[0,0,1]
	v_pk_fma_f32 v[2:3], v[2:3], v[232:233], v[16:17] op_sel_hi:[1,0,1]
	s_nop 0
	v_mov_b32_e32 v19, v3
	v_pk_add_f32 v[2:3], v[14:15], v[18:19]
	v_mov_b32_e32 v14, v235
	v_pk_mul_f32 v[14:15], v[4:5], v[14:15] op_sel:[1,0] op_sel_hi:[0,0]
	v_pk_fma_f32 v[16:17], v[4:5], v[234:235], v[14:15] neg_lo:[0,0,1] neg_hi:[0,0,1]
	v_pk_fma_f32 v[4:5], v[4:5], v[234:235], v[14:15] op_sel_hi:[1,0,1]
	s_nop 0
	v_mov_b32_e32 v17, v5
	s_waitcnt vmcnt(1) lgkmcnt(1)
	v_pk_mul_f32 v[4:5], v[6:7], v[236:237] op_sel:[1,1] op_sel_hi:[0,1]
	v_pk_fma_f32 v[14:15], v[6:7], v[236:237], v[4:5] neg_lo:[0,0,1] neg_hi:[0,0,1]
	v_pk_fma_f32 v[4:5], v[6:7], v[236:237], v[4:5] op_sel_hi:[1,0,1]
	v_pk_add_f32 v[2:3], v[2:3], v[16:17]
	v_mov_b32_e32 v4, v239
	v_mov_b32_e32 v15, v5
	v_pk_mul_f32 v[4:5], v[8:9], v[4:5] op_sel:[1,0] op_sel_hi:[0,0]
	v_pk_fma_f32 v[6:7], v[8:9], v[238:239], v[4:5] neg_lo:[0,0,1] neg_hi:[0,0,1]
	v_pk_fma_f32 v[4:5], v[8:9], v[238:239], v[4:5] op_sel_hi:[1,0,1]
	v_pk_add_f32 v[2:3], v[2:3], v[14:15]
	v_mov_b32_e32 v7, v5
	s_waitcnt vmcnt(0) lgkmcnt(0)
	v_pk_mul_f32 v[4:5], v[10:11], v[240:241] op_sel:[1,1] op_sel_hi:[0,1]
	v_pk_add_f32 v[2:3], v[2:3], v[6:7]
	v_pk_fma_f32 v[6:7], v[10:11], v[240:241], v[4:5] neg_lo:[0,0,1] neg_hi:[0,0,1]
	v_pk_fma_f32 v[4:5], v[10:11], v[240:241], v[4:5] op_sel_hi:[1,0,1]
	s_nop 0
	v_mov_b32_e32 v4, v243
	v_mov_b32_e32 v7, v5
	v_pk_mul_f32 v[4:5], v[12:13], v[4:5] op_sel:[1,0] op_sel_hi:[0,0]
	v_pk_add_f32 v[2:3], v[2:3], v[6:7]
	v_pk_fma_f32 v[6:7], v[12:13], v[242:243], v[4:5] neg_lo:[0,0,1] neg_hi:[0,0,1]
	v_pk_fma_f32 v[4:5], v[12:13], v[242:243], v[4:5] op_sel_hi:[1,0,1]
	s_nop 0
	v_mov_b32_e32 v7, v5
	v_pk_add_f32 v[2:3], v[2:3], v[6:7]
	s_nop 0
	v_pk_add_f32 v[2:3], v[124:125], v[2:3] neg_lo:[0,1] neg_hi:[0,1]
	scratch_store_dwordx2 off, v[2:3], off offset:88
	s_and_saveexec_b64 s[0:1], vcc
	s_cbranch_execz .LBB49_293
; %bb.292:
	scratch_load_dwordx2 v[2:3], off, off offset:80
	v_mov_b32_e32 v4, 0
	v_mov_b32_e32 v5, v4
	scratch_store_dwordx2 off, v[4:5], off offset:80
	s_waitcnt vmcnt(1)
	ds_write_b64 v1, v[2:3]
.LBB49_293:
	s_or_b64 exec, exec, s[0:1]
	s_waitcnt lgkmcnt(0)
	; wave barrier
	scratch_load_dwordx4 v[2:5], off, off offset:88
	scratch_load_dwordx4 v[6:9], off, off offset:104
	;; [unrolled: 1-line block ×16, first 2 shown]
	scratch_load_dwordx2 v[124:125], off, off offset:80
	v_mov_b32_e32 v122, 0
	ds_read2_b64 v[66:69], v122 offset0:61 offset1:62
	ds_read2_b64 v[70:73], v122 offset0:63 offset1:64
	;; [unrolled: 1-line block ×14, first 2 shown]
	scratch_load_dwordx4 v[232:235], off, off offset:344
	ds_read2_b64 v[224:227], v122 offset0:89 offset1:90
	ds_read2_b64 v[228:231], v122 offset0:91 offset1:92
	v_cmp_lt_u32_e32 vcc, 9, v0
	s_waitcnt vmcnt(17) lgkmcnt(14)
	v_mul_f32_e32 v123, v66, v3
	v_mul_f32_e32 v126, v68, v5
	v_fmac_f32_e32 v123, v67, v2
	s_waitcnt vmcnt(16)
	v_mul_f32_e32 v127, v70, v7
	v_fmac_f32_e32 v126, v69, v4
	v_add_f32_e32 v123, 0, v123
	v_mul_f32_e32 v128, v72, v9
	v_fmac_f32_e32 v127, v71, v6
	v_add_f32_e32 v123, v123, v126
	s_waitcnt vmcnt(15) lgkmcnt(13)
	v_mul_f32_e32 v129, v74, v11
	v_fmac_f32_e32 v128, v73, v8
	v_add_f32_e32 v123, v123, v127
	v_mul_f32_e32 v130, v76, v13
	v_fmac_f32_e32 v129, v75, v10
	v_add_f32_e32 v123, v123, v128
	s_waitcnt vmcnt(14) lgkmcnt(12)
	;; [unrolled: 7-line block ×3, first 2 shown]
	v_mul_f32_e32 v133, v82, v19
	v_fmac_f32_e32 v132, v81, v16
	v_add_f32_e32 v123, v123, v131
	v_fmac_f32_e32 v133, v83, v18
	v_add_f32_e32 v123, v123, v132
	v_add_f32_e32 v123, v123, v133
	scratch_load_dwordx4 v[236:239], off, off offset:360
	scratch_load_dwordx4 v[240:243], off, off offset:376
	scratch_load_dwordx2 v[132:133], off, off offset:392
	v_mul_f32_e32 v3, v67, v3
	v_fma_f32 v2, v66, v2, -v3
	v_mul_f32_e32 v3, v69, v5
	v_add_f32_e32 v2, 0, v2
	v_fma_f32 v3, v68, v4, -v3
	v_add_f32_e32 v2, v2, v3
	v_mul_f32_e32 v3, v71, v7
	v_fma_f32 v3, v70, v6, -v3
	v_add_f32_e32 v2, v2, v3
	v_mul_f32_e32 v3, v73, v9
	;; [unrolled: 3-line block ×8, first 2 shown]
	v_fma_f32 v3, v84, v20, -v3
	v_add_f32_e32 v2, v2, v3
	s_waitcnt vmcnt(15) lgkmcnt(10)
	v_mul_f32_e32 v3, v87, v23
	v_fma_f32 v3, v86, v22, -v3
	v_add_f32_e32 v2, v2, v3
	v_mul_f32_e32 v3, v89, v25
	v_fma_f32 v3, v88, v24, -v3
	v_add_f32_e32 v2, v2, v3
	s_waitcnt vmcnt(14) lgkmcnt(9)
	v_mul_f32_e32 v3, v91, v27
	v_fma_f32 v3, v90, v26, -v3
	v_add_f32_e32 v2, v2, v3
	v_mul_f32_e32 v3, v93, v29
	;; [unrolled: 7-line block ×3, first 2 shown]
	v_fma_f32 v3, v96, v32, -v3
	v_add_f32_e32 v2, v2, v3
	s_waitcnt vmcnt(12) lgkmcnt(7)
	v_mul_f32_e32 v3, v99, v35
	v_mul_f32_e32 v134, v84, v21
	v_fma_f32 v3, v98, v34, -v3
	v_mul_f32_e32 v135, v86, v23
	v_fmac_f32_e32 v134, v85, v20
	v_add_f32_e32 v2, v2, v3
	v_mul_f32_e32 v3, v101, v37
	v_mul_f32_e32 v136, v88, v25
	v_fmac_f32_e32 v135, v87, v22
	v_add_f32_e32 v123, v123, v134
	v_fma_f32 v3, v100, v36, -v3
	v_mul_f32_e32 v137, v90, v27
	v_fmac_f32_e32 v136, v89, v24
	v_add_f32_e32 v123, v123, v135
	v_add_f32_e32 v2, v2, v3
	s_waitcnt vmcnt(11) lgkmcnt(6)
	v_mul_f32_e32 v3, v103, v39
	v_mul_f32_e32 v138, v92, v29
	v_fmac_f32_e32 v137, v91, v26
	v_add_f32_e32 v123, v123, v136
	v_fma_f32 v3, v102, v38, -v3
	v_mul_f32_e32 v139, v94, v31
	v_fmac_f32_e32 v138, v93, v28
	v_add_f32_e32 v123, v123, v137
	v_add_f32_e32 v2, v2, v3
	v_mul_f32_e32 v3, v105, v41
	v_mul_f32_e32 v140, v96, v33
	v_fmac_f32_e32 v139, v95, v30
	v_add_f32_e32 v123, v123, v138
	v_fma_f32 v3, v104, v40, -v3
	v_mul_f32_e32 v141, v98, v35
	v_fmac_f32_e32 v140, v97, v32
	v_add_f32_e32 v123, v123, v139
	v_add_f32_e32 v2, v2, v3
	s_waitcnt vmcnt(10) lgkmcnt(5)
	v_mul_f32_e32 v3, v107, v43
	v_mul_f32_e32 v142, v100, v37
	v_fmac_f32_e32 v141, v99, v34
	v_add_f32_e32 v123, v123, v140
	v_fma_f32 v3, v106, v42, -v3
	v_mul_f32_e32 v143, v102, v39
	v_fmac_f32_e32 v142, v101, v36
	v_add_f32_e32 v123, v123, v141
	v_add_f32_e32 v2, v2, v3
	v_mul_f32_e32 v3, v109, v45
	v_mul_f32_e32 v144, v104, v41
	v_fmac_f32_e32 v143, v103, v38
	v_add_f32_e32 v123, v123, v142
	v_fma_f32 v3, v108, v44, -v3
	v_mul_f32_e32 v145, v106, v43
	v_fmac_f32_e32 v144, v105, v40
	v_add_f32_e32 v123, v123, v143
	v_add_f32_e32 v2, v2, v3
	s_waitcnt vmcnt(9) lgkmcnt(4)
	v_mul_f32_e32 v3, v111, v47
	v_mul_f32_e32 v146, v108, v45
	v_fmac_f32_e32 v145, v107, v42
	v_add_f32_e32 v123, v123, v144
	v_fma_f32 v3, v110, v46, -v3
	v_mul_f32_e32 v147, v110, v47
	v_fmac_f32_e32 v146, v109, v44
	v_add_f32_e32 v123, v123, v145
	v_add_f32_e32 v2, v2, v3
	v_mul_f32_e32 v3, v113, v49
	v_mul_f32_e32 v148, v112, v49
	v_fmac_f32_e32 v147, v111, v46
	v_add_f32_e32 v123, v123, v146
	v_fma_f32 v3, v112, v48, -v3
	v_fmac_f32_e32 v148, v113, v48
	v_add_f32_e32 v123, v123, v147
	s_waitcnt vmcnt(8) lgkmcnt(3)
	v_mul_f32_e32 v126, v114, v51
	v_add_f32_e32 v2, v2, v3
	v_mul_f32_e32 v3, v115, v51
	v_add_f32_e32 v123, v123, v148
	v_fmac_f32_e32 v126, v115, v50
	v_fma_f32 v3, v114, v50, -v3
	v_add_f32_e32 v123, v123, v126
	v_mul_f32_e32 v126, v116, v53
	v_add_f32_e32 v2, v2, v3
	v_mul_f32_e32 v3, v117, v53
	v_fmac_f32_e32 v126, v117, v52
	v_fma_f32 v3, v116, v52, -v3
	v_add_f32_e32 v123, v123, v126
	s_waitcnt vmcnt(7) lgkmcnt(2)
	v_mul_f32_e32 v126, v118, v55
	v_add_f32_e32 v2, v2, v3
	v_mul_f32_e32 v3, v119, v55
	v_fmac_f32_e32 v126, v119, v54
	v_fma_f32 v3, v118, v54, -v3
	v_add_f32_e32 v123, v123, v126
	v_mul_f32_e32 v126, v120, v57
	v_add_f32_e32 v2, v2, v3
	v_mul_f32_e32 v3, v121, v57
	v_fmac_f32_e32 v126, v121, v56
	v_fma_f32 v3, v120, v56, -v3
	v_add_f32_e32 v123, v123, v126
	s_waitcnt vmcnt(6) lgkmcnt(1)
	v_mul_f32_e32 v126, v224, v63
	v_add_f32_e32 v2, v2, v3
	v_mul_f32_e32 v3, v225, v63
	v_fmac_f32_e32 v126, v225, v62
	v_fma_f32 v3, v224, v62, -v3
	v_add_f32_e32 v127, v123, v126
	v_add_f32_e32 v126, v2, v3
	v_mul_f32_e32 v2, v227, v65
	v_mul_f32_e32 v129, v226, v65
	v_fma_f32 v128, v226, v64, -v2
	s_waitcnt vmcnt(5) lgkmcnt(0)
	v_mul_f32_e32 v2, v229, v59
	v_mov_b32_e32 v18, v61
	v_fmac_f32_e32 v129, v227, v64
	v_mul_f32_e32 v131, v228, v59
	v_fma_f32 v130, v228, v58, -v2
	ds_read2_b64 v[2:5], v122 offset0:93 offset1:94
	ds_read2_b64 v[6:9], v122 offset0:95 offset1:96
	;; [unrolled: 1-line block ×3, first 2 shown]
	ds_read_b64 v[14:15], v122 offset:792
	v_pk_mul_f32 v[18:19], v[230:231], v[18:19] op_sel:[1,0] op_sel_hi:[0,0]
	v_fmac_f32_e32 v131, v229, v58
	v_pk_add_f32 v[16:17], v[126:127], v[128:129]
	v_pk_fma_f32 v[20:21], v[230:231], v[60:61], v[18:19] neg_lo:[0,0,1] neg_hi:[0,0,1]
	v_pk_fma_f32 v[18:19], v[230:231], v[60:61], v[18:19] op_sel_hi:[1,0,1]
	v_pk_add_f32 v[16:17], v[16:17], v[130:131]
	v_mov_b32_e32 v21, v19
	s_waitcnt vmcnt(3) lgkmcnt(3)
	v_pk_mul_f32 v[18:19], v[2:3], v[232:233] op_sel:[1,1] op_sel_hi:[0,1]
	v_pk_add_f32 v[16:17], v[16:17], v[20:21]
	v_pk_fma_f32 v[20:21], v[2:3], v[232:233], v[18:19] neg_lo:[0,0,1] neg_hi:[0,0,1]
	v_pk_fma_f32 v[2:3], v[2:3], v[232:233], v[18:19] op_sel_hi:[1,0,1]
	s_nop 0
	v_mov_b32_e32 v21, v3
	v_pk_add_f32 v[2:3], v[16:17], v[20:21]
	v_mov_b32_e32 v16, v235
	v_pk_mul_f32 v[16:17], v[4:5], v[16:17] op_sel:[1,0] op_sel_hi:[0,0]
	v_pk_fma_f32 v[18:19], v[4:5], v[234:235], v[16:17] neg_lo:[0,0,1] neg_hi:[0,0,1]
	v_pk_fma_f32 v[4:5], v[4:5], v[234:235], v[16:17] op_sel_hi:[1,0,1]
	s_nop 0
	v_mov_b32_e32 v19, v5
	s_waitcnt vmcnt(2) lgkmcnt(2)
	v_pk_mul_f32 v[4:5], v[6:7], v[236:237] op_sel:[1,1] op_sel_hi:[0,1]
	v_pk_fma_f32 v[16:17], v[6:7], v[236:237], v[4:5] neg_lo:[0,0,1] neg_hi:[0,0,1]
	v_pk_fma_f32 v[4:5], v[6:7], v[236:237], v[4:5] op_sel_hi:[1,0,1]
	v_pk_add_f32 v[2:3], v[2:3], v[18:19]
	v_mov_b32_e32 v4, v239
	v_mov_b32_e32 v17, v5
	v_pk_mul_f32 v[4:5], v[8:9], v[4:5] op_sel:[1,0] op_sel_hi:[0,0]
	v_pk_fma_f32 v[6:7], v[8:9], v[238:239], v[4:5] neg_lo:[0,0,1] neg_hi:[0,0,1]
	v_pk_fma_f32 v[4:5], v[8:9], v[238:239], v[4:5] op_sel_hi:[1,0,1]
	v_pk_add_f32 v[2:3], v[2:3], v[16:17]
	v_mov_b32_e32 v7, v5
	s_waitcnt vmcnt(1) lgkmcnt(1)
	v_pk_mul_f32 v[4:5], v[10:11], v[240:241] op_sel:[1,1] op_sel_hi:[0,1]
	v_pk_add_f32 v[2:3], v[2:3], v[6:7]
	v_pk_fma_f32 v[6:7], v[10:11], v[240:241], v[4:5] neg_lo:[0,0,1] neg_hi:[0,0,1]
	v_pk_fma_f32 v[4:5], v[10:11], v[240:241], v[4:5] op_sel_hi:[1,0,1]
	s_nop 0
	v_mov_b32_e32 v4, v243
	v_mov_b32_e32 v7, v5
	v_pk_mul_f32 v[4:5], v[12:13], v[4:5] op_sel:[1,0] op_sel_hi:[0,0]
	v_pk_add_f32 v[2:3], v[2:3], v[6:7]
	v_pk_fma_f32 v[6:7], v[12:13], v[242:243], v[4:5] neg_lo:[0,0,1] neg_hi:[0,0,1]
	v_pk_fma_f32 v[4:5], v[12:13], v[242:243], v[4:5] op_sel_hi:[1,0,1]
	s_nop 0
	v_mov_b32_e32 v7, v5
	s_waitcnt vmcnt(0) lgkmcnt(0)
	v_pk_mul_f32 v[4:5], v[14:15], v[132:133] op_sel:[1,1] op_sel_hi:[0,1]
	v_pk_add_f32 v[2:3], v[2:3], v[6:7]
	v_pk_fma_f32 v[6:7], v[14:15], v[132:133], v[4:5] neg_lo:[0,0,1] neg_hi:[0,0,1]
	v_pk_fma_f32 v[4:5], v[14:15], v[132:133], v[4:5] op_sel_hi:[1,0,1]
	s_nop 0
	v_mov_b32_e32 v7, v5
	v_pk_add_f32 v[2:3], v[2:3], v[6:7]
	s_nop 0
	v_pk_add_f32 v[2:3], v[124:125], v[2:3] neg_lo:[0,1] neg_hi:[0,1]
	scratch_store_dwordx2 off, v[2:3], off offset:80
	s_and_saveexec_b64 s[0:1], vcc
	s_cbranch_execz .LBB49_295
; %bb.294:
	scratch_load_dwordx2 v[2:3], off, off offset:72
	v_mov_b32_e32 v123, v122
	scratch_store_dwordx2 off, v[122:123], off offset:72
	s_waitcnt vmcnt(1)
	ds_write_b64 v1, v[2:3]
.LBB49_295:
	s_or_b64 exec, exec, s[0:1]
	s_waitcnt lgkmcnt(0)
	; wave barrier
	scratch_load_dwordx4 v[2:5], off, off offset:80
	scratch_load_dwordx4 v[6:9], off, off offset:96
	;; [unrolled: 1-line block ×13, first 2 shown]
	ds_read_b128 v[118:121], v122 offset:480
	ds_read_b128 v[114:117], v122 offset:496
	;; [unrolled: 1-line block ×14, first 2 shown]
	scratch_load_dwordx4 v[62:65], off, off offset:288
	scratch_load_dwordx4 v[70:73], off, off offset:304
	scratch_load_dwordx4 v[78:81], off, off offset:320
	scratch_load_dwordx2 v[124:125], off, off offset:72
	scratch_load_dwordx4 v[232:235], off, off offset:336
	ds_read_b128 v[224:227], v122 offset:704
	ds_read_b128 v[228:231], v122 offset:720
	scratch_load_dwordx4 v[236:239], off, off offset:352
	scratch_load_dwordx4 v[240:243], off, off offset:368
	;; [unrolled: 1-line block ×3, first 2 shown]
	v_cmp_lt_u32_e32 vcc, 8, v0
	s_waitcnt vmcnt(20) lgkmcnt(14)
	v_mul_f32_e32 v123, v118, v3
	v_mul_f32_e32 v3, v119, v3
	v_fmac_f32_e32 v123, v119, v2
	v_fma_f32 v2, v118, v2, -v3
	v_mul_f32_e32 v3, v121, v5
	v_add_f32_e32 v2, 0, v2
	v_fma_f32 v3, v120, v4, -v3
	v_add_f32_e32 v2, v2, v3
	s_waitcnt vmcnt(19)
	v_mul_f32_e32 v3, v115, v7
	v_fma_f32 v3, v114, v6, -v3
	v_add_f32_e32 v2, v2, v3
	v_mul_f32_e32 v3, v117, v9
	v_fma_f32 v3, v116, v8, -v3
	v_add_f32_e32 v2, v2, v3
	s_waitcnt vmcnt(18) lgkmcnt(13)
	v_mul_f32_e32 v3, v111, v11
	v_fma_f32 v3, v110, v10, -v3
	v_add_f32_e32 v2, v2, v3
	v_mul_f32_e32 v3, v113, v13
	v_fma_f32 v3, v112, v12, -v3
	v_add_f32_e32 v2, v2, v3
	s_waitcnt vmcnt(17) lgkmcnt(12)
	;; [unrolled: 7-line block ×5, first 2 shown]
	v_mul_f32_e32 v3, v95, v27
	v_fma_f32 v3, v94, v26, -v3
	v_mul_f32_e32 v126, v120, v5
	v_add_f32_e32 v2, v2, v3
	v_mul_f32_e32 v3, v97, v29
	v_mul_f32_e32 v127, v114, v7
	v_fmac_f32_e32 v126, v121, v4
	v_add_f32_e32 v123, 0, v123
	v_fma_f32 v3, v96, v28, -v3
	v_mul_f32_e32 v128, v116, v9
	v_fmac_f32_e32 v127, v115, v6
	v_add_f32_e32 v123, v123, v126
	v_add_f32_e32 v2, v2, v3
	s_waitcnt vmcnt(13) lgkmcnt(8)
	v_mul_f32_e32 v3, v91, v31
	v_mul_f32_e32 v129, v110, v11
	v_fmac_f32_e32 v128, v117, v8
	v_add_f32_e32 v123, v123, v127
	v_fma_f32 v3, v90, v30, -v3
	v_mul_f32_e32 v130, v112, v13
	v_fmac_f32_e32 v129, v111, v10
	v_add_f32_e32 v123, v123, v128
	v_add_f32_e32 v2, v2, v3
	v_mul_f32_e32 v3, v93, v33
	v_mul_f32_e32 v131, v106, v15
	v_fmac_f32_e32 v130, v113, v12
	v_add_f32_e32 v123, v123, v129
	v_fma_f32 v3, v92, v32, -v3
	v_mul_f32_e32 v132, v108, v17
	v_fmac_f32_e32 v131, v107, v14
	v_add_f32_e32 v123, v123, v130
	v_add_f32_e32 v2, v2, v3
	s_waitcnt vmcnt(12) lgkmcnt(7)
	v_mul_f32_e32 v3, v87, v35
	v_mul_f32_e32 v133, v102, v19
	v_fmac_f32_e32 v132, v109, v16
	v_add_f32_e32 v123, v123, v131
	v_fma_f32 v3, v86, v34, -v3
	v_mul_f32_e32 v134, v104, v21
	v_fmac_f32_e32 v133, v103, v18
	v_add_f32_e32 v123, v123, v132
	v_add_f32_e32 v2, v2, v3
	v_mul_f32_e32 v3, v89, v37
	v_mul_f32_e32 v135, v98, v23
	v_fmac_f32_e32 v134, v105, v20
	v_add_f32_e32 v123, v123, v133
	v_fma_f32 v3, v88, v36, -v3
	v_mul_f32_e32 v136, v100, v25
	v_fmac_f32_e32 v135, v99, v22
	v_add_f32_e32 v123, v123, v134
	v_add_f32_e32 v2, v2, v3
	s_waitcnt vmcnt(11) lgkmcnt(6)
	v_mul_f32_e32 v3, v83, v39
	v_mul_f32_e32 v137, v94, v27
	v_fmac_f32_e32 v136, v101, v24
	v_add_f32_e32 v123, v123, v135
	v_fma_f32 v3, v82, v38, -v3
	v_mul_f32_e32 v138, v96, v29
	v_fmac_f32_e32 v137, v95, v26
	v_add_f32_e32 v123, v123, v136
	v_add_f32_e32 v2, v2, v3
	v_mul_f32_e32 v3, v85, v41
	v_mul_f32_e32 v139, v90, v31
	v_fmac_f32_e32 v138, v97, v28
	v_add_f32_e32 v123, v123, v137
	v_fma_f32 v3, v84, v40, -v3
	v_mul_f32_e32 v140, v92, v33
	v_fmac_f32_e32 v139, v91, v30
	v_add_f32_e32 v123, v123, v138
	v_add_f32_e32 v2, v2, v3
	s_waitcnt vmcnt(10) lgkmcnt(5)
	v_mul_f32_e32 v3, v75, v43
	v_mul_f32_e32 v141, v86, v35
	v_fmac_f32_e32 v140, v93, v32
	v_add_f32_e32 v123, v123, v139
	v_fma_f32 v3, v74, v42, -v3
	v_mul_f32_e32 v142, v88, v37
	v_fmac_f32_e32 v141, v87, v34
	v_add_f32_e32 v123, v123, v140
	v_add_f32_e32 v2, v2, v3
	v_mul_f32_e32 v3, v77, v45
	v_mul_f32_e32 v143, v82, v39
	v_fmac_f32_e32 v142, v89, v36
	v_add_f32_e32 v123, v123, v141
	v_fma_f32 v3, v76, v44, -v3
	v_mul_f32_e32 v144, v84, v41
	v_fmac_f32_e32 v143, v83, v38
	v_add_f32_e32 v123, v123, v142
	v_add_f32_e32 v2, v2, v3
	s_waitcnt vmcnt(9) lgkmcnt(4)
	v_mul_f32_e32 v3, v67, v47
	v_mul_f32_e32 v145, v74, v43
	v_fmac_f32_e32 v144, v85, v40
	v_add_f32_e32 v123, v123, v143
	v_fma_f32 v3, v66, v46, -v3
	v_mul_f32_e32 v146, v76, v45
	v_fmac_f32_e32 v145, v75, v42
	v_add_f32_e32 v123, v123, v144
	v_add_f32_e32 v2, v2, v3
	v_mul_f32_e32 v3, v69, v49
	v_mul_f32_e32 v147, v66, v47
	v_fmac_f32_e32 v146, v77, v44
	v_add_f32_e32 v123, v123, v145
	v_fma_f32 v3, v68, v48, -v3
	v_mul_f32_e32 v148, v68, v49
	v_fmac_f32_e32 v147, v67, v46
	v_add_f32_e32 v123, v123, v146
	v_add_f32_e32 v2, v2, v3
	s_waitcnt vmcnt(8) lgkmcnt(3)
	v_mul_f32_e32 v3, v55, v51
	v_mul_f32_e32 v149, v54, v51
	v_fmac_f32_e32 v148, v69, v48
	v_add_f32_e32 v123, v123, v147
	v_fma_f32 v3, v54, v50, -v3
	v_add_f32_e32 v123, v123, v148
	v_fmac_f32_e32 v149, v55, v50
	v_mul_f32_e32 v126, v56, v53
	v_add_f32_e32 v2, v2, v3
	v_mul_f32_e32 v3, v57, v53
	v_add_f32_e32 v123, v123, v149
	v_fmac_f32_e32 v126, v57, v52
	v_fma_f32 v3, v56, v52, -v3
	v_add_f32_e32 v123, v123, v126
	s_waitcnt vmcnt(7) lgkmcnt(2)
	v_mul_f32_e32 v126, v58, v63
	v_add_f32_e32 v2, v2, v3
	v_mul_f32_e32 v3, v59, v63
	v_fmac_f32_e32 v126, v59, v62
	v_fma_f32 v3, v58, v62, -v3
	v_add_f32_e32 v123, v123, v126
	v_mul_f32_e32 v126, v60, v65
	v_add_f32_e32 v2, v2, v3
	v_mul_f32_e32 v3, v61, v65
	v_fmac_f32_e32 v126, v61, v64
	v_fma_f32 v3, v60, v64, -v3
	v_add_f32_e32 v123, v123, v126
	s_waitcnt vmcnt(6) lgkmcnt(1)
	v_mul_f32_e32 v126, v224, v71
	v_add_f32_e32 v2, v2, v3
	v_mul_f32_e32 v3, v225, v71
	v_fmac_f32_e32 v126, v225, v70
	v_fma_f32 v3, v224, v70, -v3
	v_add_f32_e32 v123, v123, v126
	v_mul_f32_e32 v126, v226, v73
	v_add_f32_e32 v2, v2, v3
	v_mul_f32_e32 v3, v227, v73
	v_fmac_f32_e32 v126, v227, v72
	v_fma_f32 v3, v226, v72, -v3
	v_add_f32_e32 v127, v123, v126
	v_add_f32_e32 v126, v2, v3
	s_waitcnt vmcnt(5) lgkmcnt(0)
	v_mul_f32_e32 v2, v229, v79
	v_fma_f32 v128, v228, v78, -v2
	v_mul_f32_e32 v2, v231, v81
	v_fma_f32 v130, v230, v80, -v2
	ds_read_b128 v[2:5], v122 offset:736
	ds_read_b128 v[6:9], v122 offset:752
	;; [unrolled: 1-line block ×4, first 2 shown]
	v_mul_f32_e32 v129, v228, v79
	v_fmac_f32_e32 v129, v229, v78
	v_mul_f32_e32 v131, v230, v81
	s_waitcnt vmcnt(3) lgkmcnt(3)
	v_pk_mul_f32 v[20:21], v[2:3], v[232:233] op_sel:[1,1] op_sel_hi:[0,1]
	v_fmac_f32_e32 v131, v231, v80
	v_pk_add_f32 v[18:19], v[126:127], v[128:129]
	v_pk_fma_f32 v[22:23], v[2:3], v[232:233], v[20:21] neg_lo:[0,0,1] neg_hi:[0,0,1]
	v_pk_fma_f32 v[2:3], v[2:3], v[232:233], v[20:21] op_sel_hi:[1,0,1]
	v_pk_add_f32 v[18:19], v[18:19], v[130:131]
	v_mov_b32_e32 v23, v3
	v_pk_add_f32 v[2:3], v[18:19], v[22:23]
	v_mov_b32_e32 v18, v235
	v_pk_mul_f32 v[18:19], v[4:5], v[18:19] op_sel:[1,0] op_sel_hi:[0,0]
	v_pk_fma_f32 v[20:21], v[4:5], v[234:235], v[18:19] neg_lo:[0,0,1] neg_hi:[0,0,1]
	v_pk_fma_f32 v[4:5], v[4:5], v[234:235], v[18:19] op_sel_hi:[1,0,1]
	s_nop 0
	v_mov_b32_e32 v21, v5
	s_waitcnt vmcnt(2) lgkmcnt(2)
	v_pk_mul_f32 v[4:5], v[6:7], v[236:237] op_sel:[1,1] op_sel_hi:[0,1]
	v_pk_fma_f32 v[18:19], v[6:7], v[236:237], v[4:5] neg_lo:[0,0,1] neg_hi:[0,0,1]
	v_pk_fma_f32 v[4:5], v[6:7], v[236:237], v[4:5] op_sel_hi:[1,0,1]
	v_pk_add_f32 v[2:3], v[2:3], v[20:21]
	v_mov_b32_e32 v4, v239
	v_mov_b32_e32 v19, v5
	v_pk_mul_f32 v[4:5], v[8:9], v[4:5] op_sel:[1,0] op_sel_hi:[0,0]
	v_pk_fma_f32 v[6:7], v[8:9], v[238:239], v[4:5] neg_lo:[0,0,1] neg_hi:[0,0,1]
	v_pk_fma_f32 v[4:5], v[8:9], v[238:239], v[4:5] op_sel_hi:[1,0,1]
	v_pk_add_f32 v[2:3], v[2:3], v[18:19]
	v_mov_b32_e32 v7, v5
	s_waitcnt vmcnt(1) lgkmcnt(1)
	v_pk_mul_f32 v[4:5], v[10:11], v[240:241] op_sel:[1,1] op_sel_hi:[0,1]
	v_pk_add_f32 v[2:3], v[2:3], v[6:7]
	v_pk_fma_f32 v[6:7], v[10:11], v[240:241], v[4:5] neg_lo:[0,0,1] neg_hi:[0,0,1]
	v_pk_fma_f32 v[4:5], v[10:11], v[240:241], v[4:5] op_sel_hi:[1,0,1]
	s_nop 0
	v_mov_b32_e32 v4, v243
	v_mov_b32_e32 v7, v5
	v_pk_mul_f32 v[4:5], v[12:13], v[4:5] op_sel:[1,0] op_sel_hi:[0,0]
	v_pk_add_f32 v[2:3], v[2:3], v[6:7]
	v_pk_fma_f32 v[6:7], v[12:13], v[242:243], v[4:5] neg_lo:[0,0,1] neg_hi:[0,0,1]
	v_pk_fma_f32 v[4:5], v[12:13], v[242:243], v[4:5] op_sel_hi:[1,0,1]
	s_nop 0
	v_mov_b32_e32 v7, v5
	s_waitcnt vmcnt(0) lgkmcnt(0)
	v_pk_mul_f32 v[4:5], v[14:15], v[244:245] op_sel:[1,1] op_sel_hi:[0,1]
	v_pk_add_f32 v[2:3], v[2:3], v[6:7]
	v_pk_fma_f32 v[6:7], v[14:15], v[244:245], v[4:5] neg_lo:[0,0,1] neg_hi:[0,0,1]
	v_pk_fma_f32 v[4:5], v[14:15], v[244:245], v[4:5] op_sel_hi:[1,0,1]
	s_nop 0
	v_mov_b32_e32 v4, v247
	v_mov_b32_e32 v7, v5
	v_pk_mul_f32 v[4:5], v[16:17], v[4:5] op_sel:[1,0] op_sel_hi:[0,0]
	v_pk_add_f32 v[2:3], v[2:3], v[6:7]
	v_pk_fma_f32 v[6:7], v[16:17], v[246:247], v[4:5] neg_lo:[0,0,1] neg_hi:[0,0,1]
	v_pk_fma_f32 v[4:5], v[16:17], v[246:247], v[4:5] op_sel_hi:[1,0,1]
	s_nop 0
	v_mov_b32_e32 v7, v5
	v_pk_add_f32 v[2:3], v[2:3], v[6:7]
	s_nop 0
	v_pk_add_f32 v[2:3], v[124:125], v[2:3] neg_lo:[0,1] neg_hi:[0,1]
	scratch_store_dwordx2 off, v[2:3], off offset:72
	s_and_saveexec_b64 s[0:1], vcc
	s_cbranch_execz .LBB49_297
; %bb.296:
	scratch_load_dwordx2 v[2:3], off, off offset:64
	v_mov_b32_e32 v4, 0
	v_mov_b32_e32 v5, v4
	scratch_store_dwordx2 off, v[4:5], off offset:64
	s_waitcnt vmcnt(1)
	ds_write_b64 v1, v[2:3]
.LBB49_297:
	s_or_b64 exec, exec, s[0:1]
	s_waitcnt lgkmcnt(0)
	; wave barrier
	scratch_load_dwordx4 v[6:9], off, off offset:72
	scratch_load_dwordx4 v[14:17], off, off offset:88
	;; [unrolled: 1-line block ×10, first 2 shown]
	v_mov_b32_e32 v102, 0
	ds_read2_b64 v[2:5], v102 offset0:59 offset1:60
	ds_read2_b64 v[224:227], v102 offset0:89 offset1:90
	scratch_load_dwordx4 v[86:89], off, off offset:232
	scratch_load_dwordx4 v[94:97], off, off offset:248
	scratch_load_dwordx4 v[104:107], off, off offset:264
	scratch_load_dwordx4 v[112:115], off, off offset:280
	scratch_load_dwordx4 v[120:123], off, off offset:296
	scratch_load_dwordx4 v[228:231], off, off offset:312
	scratch_load_dwordx4 v[236:239], off, off offset:328
	v_cmp_lt_u32_e32 vcc, 7, v0
	ds_read2_b64 v[232:235], v102 offset0:91 offset1:92
	s_waitcnt vmcnt(16) lgkmcnt(2)
	v_mul_f32_e32 v10, v2, v7
	v_fmac_f32_e32 v10, v3, v6
	v_mul_f32_e32 v11, v4, v9
	v_add_f32_e32 v10, 0, v10
	v_fmac_f32_e32 v11, v5, v8
	v_add_f32_e32 v18, v10, v11
	ds_read2_b64 v[10:13], v102 offset0:61 offset1:62
	v_mul_f32_e32 v3, v3, v7
	v_fma_f32 v2, v2, v6, -v3
	v_mul_f32_e32 v3, v5, v9
	v_add_f32_e32 v2, 0, v2
	s_waitcnt vmcnt(15) lgkmcnt(0)
	v_mul_f32_e32 v19, v10, v15
	v_fmac_f32_e32 v19, v11, v14
	v_add_f32_e32 v18, v18, v19
	v_mul_f32_e32 v19, v12, v17
	v_fmac_f32_e32 v19, v13, v16
	v_add_f32_e32 v26, v18, v19
	ds_read2_b64 v[18:21], v102 offset0:63 offset1:64
	v_fma_f32 v3, v4, v8, -v3
	v_add_f32_e32 v2, v2, v3
	v_mul_f32_e32 v3, v11, v15
	v_fma_f32 v3, v10, v14, -v3
	s_waitcnt vmcnt(14) lgkmcnt(0)
	v_mul_f32_e32 v27, v18, v23
	v_fmac_f32_e32 v27, v19, v22
	v_add_f32_e32 v26, v26, v27
	v_mul_f32_e32 v27, v20, v25
	v_fmac_f32_e32 v27, v21, v24
	v_add_f32_e32 v34, v26, v27
	ds_read2_b64 v[26:29], v102 offset0:65 offset1:66
	v_add_f32_e32 v2, v2, v3
	v_mul_f32_e32 v3, v13, v17
	v_fma_f32 v3, v12, v16, -v3
	v_add_f32_e32 v2, v2, v3
	s_waitcnt vmcnt(13) lgkmcnt(0)
	v_mul_f32_e32 v35, v26, v31
	v_fmac_f32_e32 v35, v27, v30
	v_add_f32_e32 v34, v34, v35
	v_mul_f32_e32 v35, v28, v33
	v_fmac_f32_e32 v35, v29, v32
	v_add_f32_e32 v42, v34, v35
	ds_read2_b64 v[34:37], v102 offset0:67 offset1:68
	v_mul_f32_e32 v3, v19, v23
	v_fma_f32 v3, v18, v22, -v3
	v_add_f32_e32 v2, v2, v3
	v_mul_f32_e32 v3, v21, v25
	s_waitcnt vmcnt(12) lgkmcnt(0)
	v_mul_f32_e32 v43, v34, v39
	v_fmac_f32_e32 v43, v35, v38
	v_add_f32_e32 v42, v42, v43
	v_mul_f32_e32 v43, v36, v41
	v_fmac_f32_e32 v43, v37, v40
	v_add_f32_e32 v50, v42, v43
	ds_read2_b64 v[42:45], v102 offset0:69 offset1:70
	v_fma_f32 v3, v20, v24, -v3
	v_add_f32_e32 v2, v2, v3
	v_mul_f32_e32 v3, v27, v31
	v_fma_f32 v3, v26, v30, -v3
	s_waitcnt vmcnt(11) lgkmcnt(0)
	v_mul_f32_e32 v51, v42, v47
	v_fmac_f32_e32 v51, v43, v46
	v_add_f32_e32 v50, v50, v51
	v_mul_f32_e32 v51, v44, v49
	v_fmac_f32_e32 v51, v45, v48
	v_add_f32_e32 v58, v50, v51
	ds_read2_b64 v[50:53], v102 offset0:71 offset1:72
	v_add_f32_e32 v2, v2, v3
	v_mul_f32_e32 v3, v29, v33
	v_fma_f32 v3, v28, v32, -v3
	v_add_f32_e32 v2, v2, v3
	s_waitcnt vmcnt(10) lgkmcnt(0)
	v_mul_f32_e32 v59, v50, v55
	v_fmac_f32_e32 v59, v51, v54
	v_add_f32_e32 v58, v58, v59
	v_mul_f32_e32 v59, v52, v57
	v_fmac_f32_e32 v59, v53, v56
	v_add_f32_e32 v66, v58, v59
	ds_read2_b64 v[58:61], v102 offset0:73 offset1:74
	v_mul_f32_e32 v3, v35, v39
	v_fma_f32 v3, v34, v38, -v3
	v_add_f32_e32 v2, v2, v3
	v_mul_f32_e32 v3, v37, v41
	;; [unrolled: 36-line block ×4, first 2 shown]
	s_waitcnt vmcnt(3) lgkmcnt(0)
	v_mul_f32_e32 v116, v108, v113
	v_fmac_f32_e32 v116, v109, v112
	v_add_f32_e32 v103, v103, v116
	v_mul_f32_e32 v116, v110, v115
	v_fmac_f32_e32 v116, v111, v114
	v_add_f32_e32 v103, v103, v116
	ds_read2_b64 v[116:119], v102 offset0:87 offset1:88
	scratch_load_dwordx4 v[240:243], off, off offset:344
	scratch_load_dwordx4 v[244:247], off, off offset:360
	;; [unrolled: 1-line block ×3, first 2 shown]
	scratch_load_dwordx2 v[130:131], off, off offset:392
	v_fma_f32 v3, v68, v72, -v3
	v_add_f32_e32 v2, v2, v3
	v_mul_f32_e32 v3, v75, v79
	v_fma_f32 v3, v74, v78, -v3
	v_add_f32_e32 v2, v2, v3
	v_mul_f32_e32 v3, v77, v81
	;; [unrolled: 3-line block ×10, first 2 shown]
	v_fma_f32 v3, v110, v114, -v3
	s_waitcnt vmcnt(6) lgkmcnt(0)
	v_mul_f32_e32 v124, v116, v121
	v_add_f32_e32 v2, v2, v3
	v_mul_f32_e32 v3, v117, v121
	v_fmac_f32_e32 v124, v117, v120
	v_fma_f32 v3, v116, v120, -v3
	v_add_f32_e32 v103, v103, v124
	v_mul_f32_e32 v124, v118, v123
	v_add_f32_e32 v2, v2, v3
	v_mul_f32_e32 v3, v119, v123
	v_fmac_f32_e32 v124, v119, v122
	v_fma_f32 v3, v118, v122, -v3
	v_add_f32_e32 v103, v103, v124
	s_waitcnt vmcnt(5)
	v_mul_f32_e32 v124, v224, v229
	v_add_f32_e32 v2, v2, v3
	v_mul_f32_e32 v3, v225, v229
	v_fmac_f32_e32 v124, v225, v228
	v_fma_f32 v3, v224, v228, -v3
	v_add_f32_e32 v125, v103, v124
	v_add_f32_e32 v124, v2, v3
	v_mul_f32_e32 v2, v227, v231
	v_mul_f32_e32 v127, v226, v231
	v_fma_f32 v126, v226, v230, -v2
	s_waitcnt vmcnt(4)
	v_mul_f32_e32 v2, v233, v237
	v_mov_b32_e32 v18, v239
	v_fmac_f32_e32 v127, v227, v230
	v_mul_f32_e32 v129, v232, v237
	v_fma_f32 v128, v232, v236, -v2
	ds_read2_b64 v[2:5], v102 offset0:93 offset1:94
	ds_read2_b64 v[6:9], v102 offset0:95 offset1:96
	;; [unrolled: 1-line block ×3, first 2 shown]
	ds_read_b64 v[14:15], v102 offset:792
	v_pk_mul_f32 v[18:19], v[234:235], v[18:19] op_sel:[1,0] op_sel_hi:[0,0]
	v_fmac_f32_e32 v129, v233, v236
	v_pk_add_f32 v[16:17], v[124:125], v[126:127]
	v_pk_fma_f32 v[20:21], v[234:235], v[238:239], v[18:19] neg_lo:[0,0,1] neg_hi:[0,0,1]
	v_pk_fma_f32 v[18:19], v[234:235], v[238:239], v[18:19] op_sel_hi:[1,0,1]
	v_pk_add_f32 v[16:17], v[16:17], v[128:129]
	v_mov_b32_e32 v21, v19
	v_pk_add_f32 v[16:17], v[16:17], v[20:21]
	s_waitcnt vmcnt(3) lgkmcnt(3)
	v_pk_mul_f32 v[18:19], v[2:3], v[240:241] op_sel:[1,1] op_sel_hi:[0,1]
	v_pk_fma_f32 v[20:21], v[2:3], v[240:241], v[18:19] neg_lo:[0,0,1] neg_hi:[0,0,1]
	v_pk_fma_f32 v[2:3], v[2:3], v[240:241], v[18:19] op_sel_hi:[1,0,1]
	s_nop 0
	v_mov_b32_e32 v21, v3
	v_pk_add_f32 v[2:3], v[16:17], v[20:21]
	v_mov_b32_e32 v16, v243
	v_pk_mul_f32 v[16:17], v[4:5], v[16:17] op_sel:[1,0] op_sel_hi:[0,0]
	v_pk_fma_f32 v[18:19], v[4:5], v[242:243], v[16:17] neg_lo:[0,0,1] neg_hi:[0,0,1]
	v_pk_fma_f32 v[4:5], v[4:5], v[242:243], v[16:17] op_sel_hi:[1,0,1]
	s_nop 0
	v_mov_b32_e32 v19, v5
	s_waitcnt vmcnt(2) lgkmcnt(2)
	v_pk_mul_f32 v[4:5], v[6:7], v[244:245] op_sel:[1,1] op_sel_hi:[0,1]
	v_pk_fma_f32 v[16:17], v[6:7], v[244:245], v[4:5] neg_lo:[0,0,1] neg_hi:[0,0,1]
	v_pk_fma_f32 v[4:5], v[6:7], v[244:245], v[4:5] op_sel_hi:[1,0,1]
	v_pk_add_f32 v[2:3], v[2:3], v[18:19]
	v_mov_b32_e32 v4, v247
	v_mov_b32_e32 v17, v5
	v_pk_mul_f32 v[4:5], v[8:9], v[4:5] op_sel:[1,0] op_sel_hi:[0,0]
	v_pk_fma_f32 v[6:7], v[8:9], v[246:247], v[4:5] neg_lo:[0,0,1] neg_hi:[0,0,1]
	v_pk_fma_f32 v[4:5], v[8:9], v[246:247], v[4:5] op_sel_hi:[1,0,1]
	v_pk_add_f32 v[2:3], v[2:3], v[16:17]
	v_mov_b32_e32 v7, v5
	s_waitcnt vmcnt(1) lgkmcnt(1)
	v_pk_mul_f32 v[4:5], v[10:11], v[248:249] op_sel:[1,1] op_sel_hi:[0,1]
	v_pk_add_f32 v[2:3], v[2:3], v[6:7]
	v_pk_fma_f32 v[6:7], v[10:11], v[248:249], v[4:5] neg_lo:[0,0,1] neg_hi:[0,0,1]
	v_pk_fma_f32 v[4:5], v[10:11], v[248:249], v[4:5] op_sel_hi:[1,0,1]
	s_nop 0
	v_mov_b32_e32 v4, v251
	v_mov_b32_e32 v7, v5
	v_pk_mul_f32 v[4:5], v[12:13], v[4:5] op_sel:[1,0] op_sel_hi:[0,0]
	v_pk_add_f32 v[2:3], v[2:3], v[6:7]
	v_pk_fma_f32 v[6:7], v[12:13], v[250:251], v[4:5] neg_lo:[0,0,1] neg_hi:[0,0,1]
	v_pk_fma_f32 v[4:5], v[12:13], v[250:251], v[4:5] op_sel_hi:[1,0,1]
	s_nop 0
	v_mov_b32_e32 v7, v5
	s_waitcnt vmcnt(0) lgkmcnt(0)
	v_pk_mul_f32 v[4:5], v[14:15], v[130:131] op_sel:[1,1] op_sel_hi:[0,1]
	v_pk_add_f32 v[2:3], v[2:3], v[6:7]
	v_pk_fma_f32 v[6:7], v[14:15], v[130:131], v[4:5] neg_lo:[0,0,1] neg_hi:[0,0,1]
	v_pk_fma_f32 v[4:5], v[14:15], v[130:131], v[4:5] op_sel_hi:[1,0,1]
	s_nop 0
	v_mov_b32_e32 v7, v5
	scratch_load_dwordx2 v[4:5], off, off offset:64
	v_pk_add_f32 v[2:3], v[2:3], v[6:7]
	s_waitcnt vmcnt(0)
	v_pk_add_f32 v[2:3], v[4:5], v[2:3] neg_lo:[0,1] neg_hi:[0,1]
	scratch_store_dwordx2 off, v[2:3], off offset:64
	s_and_saveexec_b64 s[0:1], vcc
	s_cbranch_execz .LBB49_299
; %bb.298:
	scratch_load_dwordx2 v[2:3], off, off offset:56
	v_mov_b32_e32 v103, v102
	scratch_store_dwordx2 off, v[102:103], off offset:56
	s_waitcnt vmcnt(1)
	ds_write_b64 v1, v[2:3]
.LBB49_299:
	s_or_b64 exec, exec, s[0:1]
	s_waitcnt lgkmcnt(0)
	; wave barrier
	ds_read_b128 v[14:17], v102 offset:464
	ds_read_b128 v[10:13], v102 offset:480
	;; [unrolled: 1-line block ×4, first 2 shown]
	scratch_load_dwordx4 v[18:21], off, off offset:64
	scratch_load_dwordx4 v[38:41], off, off offset:128
	;; [unrolled: 1-line block ×11, first 2 shown]
	v_cmp_lt_u32_e32 vcc, 6, v0
	scratch_load_dwordx4 v[46:49], off, off offset:144
	scratch_load_dwordx4 v[54:57], off, off offset:160
	;; [unrolled: 1-line block ×3, first 2 shown]
	ds_read_b128 v[224:227], v102 offset:704
	ds_read_b128 v[232:235], v102 offset:720
	s_waitcnt vmcnt(13) lgkmcnt(5)
	v_mul_f32_e32 v22, v14, v19
	v_fmac_f32_e32 v22, v15, v18
	v_mul_f32_e32 v23, v16, v21
	v_add_f32_e32 v22, 0, v22
	v_fmac_f32_e32 v23, v17, v20
	v_add_f32_e32 v26, v22, v23
	scratch_load_dwordx4 v[22:25], off, off offset:80
	v_mul_f32_e32 v15, v15, v19
	v_fma_f32 v14, v14, v18, -v15
	v_mul_f32_e32 v15, v17, v21
	v_add_f32_e32 v14, 0, v14
	v_fma_f32 v15, v16, v20, -v15
	v_add_f32_e32 v14, v14, v15
	s_waitcnt vmcnt(4) lgkmcnt(0)
	v_mul_f32_e32 v127, v232, v237
	v_mul_f32_e32 v129, v234, v239
	v_fmac_f32_e32 v127, v233, v236
	v_fmac_f32_e32 v129, v235, v238
	s_waitcnt vmcnt(0)
	v_mul_f32_e32 v27, v10, v23
	v_fmac_f32_e32 v27, v11, v22
	v_add_f32_e32 v26, v26, v27
	v_mul_f32_e32 v27, v12, v25
	v_fmac_f32_e32 v27, v13, v24
	v_add_f32_e32 v30, v26, v27
	scratch_load_dwordx4 v[26:29], off, off offset:96
	v_mul_f32_e32 v11, v11, v23
	v_fma_f32 v10, v10, v22, -v11
	v_mul_f32_e32 v11, v13, v25
	v_add_f32_e32 v10, v14, v10
	v_fma_f32 v11, v12, v24, -v11
	v_add_f32_e32 v10, v10, v11
	s_waitcnt vmcnt(0)
	v_mul_f32_e32 v31, v6, v27
	v_fmac_f32_e32 v31, v7, v26
	v_add_f32_e32 v30, v30, v31
	v_mul_f32_e32 v31, v8, v29
	v_fmac_f32_e32 v31, v9, v28
	v_add_f32_e32 v34, v30, v31
	scratch_load_dwordx4 v[30:33], off, off offset:112
	v_mul_f32_e32 v7, v7, v27
	v_fma_f32 v6, v6, v26, -v7
	v_mul_f32_e32 v7, v9, v29
	v_add_f32_e32 v6, v10, v6
	v_fma_f32 v7, v8, v28, -v7
	v_add_f32_e32 v6, v6, v7
	s_waitcnt vmcnt(0)
	v_mul_f32_e32 v35, v2, v31
	v_fmac_f32_e32 v35, v3, v30
	v_add_f32_e32 v34, v34, v35
	v_mul_f32_e32 v35, v4, v33
	v_fmac_f32_e32 v35, v5, v32
	v_add_f32_e32 v42, v34, v35
	ds_read_b128 v[34:37], v102 offset:528
	v_mul_f32_e32 v3, v3, v31
	v_fma_f32 v2, v2, v30, -v3
	v_mul_f32_e32 v3, v5, v33
	v_add_f32_e32 v2, v6, v2
	s_waitcnt lgkmcnt(0)
	v_mul_f32_e32 v43, v34, v39
	v_fmac_f32_e32 v43, v35, v38
	v_add_f32_e32 v42, v42, v43
	v_mul_f32_e32 v43, v36, v41
	v_fmac_f32_e32 v43, v37, v40
	v_add_f32_e32 v50, v42, v43
	ds_read_b128 v[42:45], v102 offset:544
	v_fma_f32 v3, v4, v32, -v3
	v_add_f32_e32 v2, v2, v3
	v_mul_f32_e32 v3, v35, v39
	v_fma_f32 v3, v34, v38, -v3
	s_waitcnt lgkmcnt(0)
	v_mul_f32_e32 v51, v42, v47
	v_fmac_f32_e32 v51, v43, v46
	v_add_f32_e32 v50, v50, v51
	v_mul_f32_e32 v51, v44, v49
	v_fmac_f32_e32 v51, v45, v48
	v_add_f32_e32 v58, v50, v51
	ds_read_b128 v[50:53], v102 offset:560
	v_add_f32_e32 v2, v2, v3
	v_mul_f32_e32 v3, v37, v41
	v_fma_f32 v3, v36, v40, -v3
	v_add_f32_e32 v2, v2, v3
	s_waitcnt lgkmcnt(0)
	v_mul_f32_e32 v59, v50, v55
	v_fmac_f32_e32 v59, v51, v54
	v_add_f32_e32 v58, v58, v59
	v_mul_f32_e32 v59, v52, v57
	v_fmac_f32_e32 v59, v53, v56
	v_add_f32_e32 v66, v58, v59
	ds_read_b128 v[58:61], v102 offset:576
	v_mul_f32_e32 v3, v43, v47
	v_fma_f32 v3, v42, v46, -v3
	v_add_f32_e32 v2, v2, v3
	v_mul_f32_e32 v3, v45, v49
	s_waitcnt lgkmcnt(0)
	v_mul_f32_e32 v67, v58, v63
	v_fmac_f32_e32 v67, v59, v62
	v_add_f32_e32 v66, v66, v67
	v_mul_f32_e32 v67, v60, v65
	v_fmac_f32_e32 v67, v61, v64
	v_add_f32_e32 v74, v66, v67
	ds_read_b128 v[66:69], v102 offset:592
	v_fma_f32 v3, v44, v48, -v3
	v_add_f32_e32 v2, v2, v3
	v_mul_f32_e32 v3, v51, v55
	v_fma_f32 v3, v50, v54, -v3
	s_waitcnt lgkmcnt(0)
	v_mul_f32_e32 v75, v66, v71
	v_fmac_f32_e32 v75, v67, v70
	v_add_f32_e32 v74, v74, v75
	v_mul_f32_e32 v75, v68, v73
	v_fmac_f32_e32 v75, v69, v72
	v_add_f32_e32 v82, v74, v75
	ds_read_b128 v[74:77], v102 offset:608
	v_add_f32_e32 v2, v2, v3
	v_mul_f32_e32 v3, v53, v57
	v_fma_f32 v3, v52, v56, -v3
	v_add_f32_e32 v2, v2, v3
	s_waitcnt lgkmcnt(0)
	v_mul_f32_e32 v83, v74, v79
	v_fmac_f32_e32 v83, v75, v78
	v_add_f32_e32 v82, v82, v83
	v_mul_f32_e32 v83, v76, v81
	v_fmac_f32_e32 v83, v77, v80
	v_add_f32_e32 v90, v82, v83
	ds_read_b128 v[82:85], v102 offset:624
	v_mul_f32_e32 v3, v59, v63
	v_fma_f32 v3, v58, v62, -v3
	v_add_f32_e32 v2, v2, v3
	v_mul_f32_e32 v3, v61, v65
	;; [unrolled: 36-line block ×3, first 2 shown]
	s_waitcnt lgkmcnt(0)
	v_mul_f32_e32 v116, v108, v113
	v_fmac_f32_e32 v116, v109, v112
	v_add_f32_e32 v103, v103, v116
	v_mul_f32_e32 v116, v110, v115
	v_fmac_f32_e32 v116, v111, v114
	v_add_f32_e32 v103, v103, v116
	ds_read_b128 v[116:119], v102 offset:688
	scratch_load_dwordx4 v[240:243], off, off offset:336
	scratch_load_dwordx4 v[244:247], off, off offset:352
	;; [unrolled: 1-line block ×4, first 2 shown]
	v_fma_f32 v3, v76, v80, -v3
	v_add_f32_e32 v2, v2, v3
	v_mul_f32_e32 v3, v83, v87
	v_fma_f32 v3, v82, v86, -v3
	v_add_f32_e32 v2, v2, v3
	v_mul_f32_e32 v3, v85, v89
	;; [unrolled: 3-line block ×8, first 2 shown]
	v_fma_f32 v3, v110, v114, -v3
	s_waitcnt lgkmcnt(0)
	v_mul_f32_e32 v124, v116, v121
	v_add_f32_e32 v2, v2, v3
	v_mul_f32_e32 v3, v117, v121
	v_fmac_f32_e32 v124, v117, v120
	v_fma_f32 v3, v116, v120, -v3
	v_add_f32_e32 v103, v103, v124
	v_mul_f32_e32 v124, v118, v123
	v_add_f32_e32 v2, v2, v3
	v_mul_f32_e32 v3, v119, v123
	v_fmac_f32_e32 v124, v119, v122
	v_fma_f32 v3, v118, v122, -v3
	v_add_f32_e32 v103, v103, v124
	;; [unrolled: 6-line block ×4, first 2 shown]
	v_add_f32_e32 v124, v2, v3
	v_mul_f32_e32 v2, v233, v237
	v_fma_f32 v126, v232, v236, -v2
	v_mul_f32_e32 v2, v235, v239
	v_fma_f32 v128, v234, v238, -v2
	ds_read_b128 v[2:5], v102 offset:736
	ds_read_b128 v[6:9], v102 offset:752
	;; [unrolled: 1-line block ×4, first 2 shown]
	v_pk_add_f32 v[18:19], v[124:125], v[126:127]
	s_waitcnt vmcnt(3) lgkmcnt(3)
	v_pk_mul_f32 v[20:21], v[2:3], v[240:241] op_sel:[1,1] op_sel_hi:[0,1]
	v_pk_fma_f32 v[22:23], v[2:3], v[240:241], v[20:21] neg_lo:[0,0,1] neg_hi:[0,0,1]
	v_pk_fma_f32 v[2:3], v[2:3], v[240:241], v[20:21] op_sel_hi:[1,0,1]
	v_pk_add_f32 v[18:19], v[18:19], v[128:129]
	v_mov_b32_e32 v23, v3
	v_pk_add_f32 v[2:3], v[18:19], v[22:23]
	v_mov_b32_e32 v18, v243
	v_pk_mul_f32 v[18:19], v[4:5], v[18:19] op_sel:[1,0] op_sel_hi:[0,0]
	v_pk_fma_f32 v[20:21], v[4:5], v[242:243], v[18:19] neg_lo:[0,0,1] neg_hi:[0,0,1]
	v_pk_fma_f32 v[4:5], v[4:5], v[242:243], v[18:19] op_sel_hi:[1,0,1]
	s_nop 0
	v_mov_b32_e32 v21, v5
	s_waitcnt vmcnt(2) lgkmcnt(2)
	v_pk_mul_f32 v[4:5], v[6:7], v[244:245] op_sel:[1,1] op_sel_hi:[0,1]
	v_pk_fma_f32 v[18:19], v[6:7], v[244:245], v[4:5] neg_lo:[0,0,1] neg_hi:[0,0,1]
	v_pk_fma_f32 v[4:5], v[6:7], v[244:245], v[4:5] op_sel_hi:[1,0,1]
	v_pk_add_f32 v[2:3], v[2:3], v[20:21]
	v_mov_b32_e32 v4, v247
	v_mov_b32_e32 v19, v5
	v_pk_mul_f32 v[4:5], v[8:9], v[4:5] op_sel:[1,0] op_sel_hi:[0,0]
	v_pk_fma_f32 v[6:7], v[8:9], v[246:247], v[4:5] neg_lo:[0,0,1] neg_hi:[0,0,1]
	v_pk_fma_f32 v[4:5], v[8:9], v[246:247], v[4:5] op_sel_hi:[1,0,1]
	v_pk_add_f32 v[2:3], v[2:3], v[18:19]
	v_mov_b32_e32 v7, v5
	s_waitcnt vmcnt(1) lgkmcnt(1)
	v_pk_mul_f32 v[4:5], v[10:11], v[248:249] op_sel:[1,1] op_sel_hi:[0,1]
	v_pk_add_f32 v[2:3], v[2:3], v[6:7]
	v_pk_fma_f32 v[6:7], v[10:11], v[248:249], v[4:5] neg_lo:[0,0,1] neg_hi:[0,0,1]
	v_pk_fma_f32 v[4:5], v[10:11], v[248:249], v[4:5] op_sel_hi:[1,0,1]
	s_nop 0
	v_mov_b32_e32 v4, v251
	v_mov_b32_e32 v7, v5
	v_pk_mul_f32 v[4:5], v[12:13], v[4:5] op_sel:[1,0] op_sel_hi:[0,0]
	v_pk_add_f32 v[2:3], v[2:3], v[6:7]
	v_pk_fma_f32 v[6:7], v[12:13], v[250:251], v[4:5] neg_lo:[0,0,1] neg_hi:[0,0,1]
	v_pk_fma_f32 v[4:5], v[12:13], v[250:251], v[4:5] op_sel_hi:[1,0,1]
	s_nop 0
	v_mov_b32_e32 v7, v5
	s_waitcnt vmcnt(0) lgkmcnt(0)
	v_pk_mul_f32 v[4:5], v[14:15], v[252:253] op_sel:[1,1] op_sel_hi:[0,1]
	v_pk_add_f32 v[2:3], v[2:3], v[6:7]
	v_pk_fma_f32 v[6:7], v[14:15], v[252:253], v[4:5] neg_lo:[0,0,1] neg_hi:[0,0,1]
	v_pk_fma_f32 v[4:5], v[14:15], v[252:253], v[4:5] op_sel_hi:[1,0,1]
	s_nop 0
	v_mov_b32_e32 v4, v255
	v_mov_b32_e32 v7, v5
	v_pk_mul_f32 v[4:5], v[16:17], v[4:5] op_sel:[1,0] op_sel_hi:[0,0]
	v_pk_add_f32 v[2:3], v[2:3], v[6:7]
	v_pk_fma_f32 v[6:7], v[16:17], v[254:255], v[4:5] neg_lo:[0,0,1] neg_hi:[0,0,1]
	v_pk_fma_f32 v[4:5], v[16:17], v[254:255], v[4:5] op_sel_hi:[1,0,1]
	s_nop 0
	v_mov_b32_e32 v7, v5
	scratch_load_dwordx2 v[4:5], off, off offset:56
	v_pk_add_f32 v[2:3], v[2:3], v[6:7]
	s_waitcnt vmcnt(0)
	v_pk_add_f32 v[2:3], v[4:5], v[2:3] neg_lo:[0,1] neg_hi:[0,1]
	scratch_store_dwordx2 off, v[2:3], off offset:56
	s_and_saveexec_b64 s[0:1], vcc
	s_cbranch_execz .LBB49_301
; %bb.300:
	scratch_load_dwordx2 v[2:3], off, off offset:48
	v_mov_b32_e32 v4, 0
	v_mov_b32_e32 v5, v4
	scratch_store_dwordx2 off, v[4:5], off offset:48
	s_waitcnt vmcnt(1)
	ds_write_b64 v1, v[2:3]
.LBB49_301:
	s_or_b64 exec, exec, s[0:1]
	s_waitcnt lgkmcnt(0)
	; wave barrier
	scratch_load_dwordx4 v[6:9], off, off offset:56
	scratch_load_dwordx4 v[14:17], off, off offset:72
	;; [unrolled: 1-line block ×10, first 2 shown]
	v_mov_b32_e32 v102, 0
	ds_read2_b64 v[2:5], v102 offset0:57 offset1:58
	ds_read2_b64 v[224:227], v102 offset0:87 offset1:88
	scratch_load_dwordx4 v[86:89], off, off offset:216
	scratch_load_dwordx4 v[94:97], off, off offset:232
	;; [unrolled: 1-line block ×8, first 2 shown]
	v_cmp_lt_u32_e32 vcc, 5, v0
	ds_read2_b64 v[232:235], v102 offset0:89 offset1:90
	ds_read2_b64 v[240:243], v102 offset0:91 offset1:92
	s_waitcnt vmcnt(17) lgkmcnt(3)
	v_mul_f32_e32 v10, v2, v7
	v_fmac_f32_e32 v10, v3, v6
	v_mul_f32_e32 v11, v4, v9
	v_add_f32_e32 v10, 0, v10
	v_fmac_f32_e32 v11, v5, v8
	v_add_f32_e32 v18, v10, v11
	ds_read2_b64 v[10:13], v102 offset0:59 offset1:60
	v_mul_f32_e32 v3, v3, v7
	v_fma_f32 v2, v2, v6, -v3
	v_mul_f32_e32 v3, v5, v9
	v_add_f32_e32 v2, 0, v2
	s_waitcnt vmcnt(16) lgkmcnt(0)
	v_mul_f32_e32 v19, v10, v15
	v_fmac_f32_e32 v19, v11, v14
	v_add_f32_e32 v18, v18, v19
	v_mul_f32_e32 v19, v12, v17
	v_fmac_f32_e32 v19, v13, v16
	v_add_f32_e32 v26, v18, v19
	ds_read2_b64 v[18:21], v102 offset0:61 offset1:62
	v_fma_f32 v3, v4, v8, -v3
	v_add_f32_e32 v2, v2, v3
	v_mul_f32_e32 v3, v11, v15
	v_fma_f32 v3, v10, v14, -v3
	s_waitcnt vmcnt(15) lgkmcnt(0)
	v_mul_f32_e32 v27, v18, v23
	v_fmac_f32_e32 v27, v19, v22
	v_add_f32_e32 v26, v26, v27
	v_mul_f32_e32 v27, v20, v25
	v_fmac_f32_e32 v27, v21, v24
	v_add_f32_e32 v34, v26, v27
	ds_read2_b64 v[26:29], v102 offset0:63 offset1:64
	v_add_f32_e32 v2, v2, v3
	v_mul_f32_e32 v3, v13, v17
	v_fma_f32 v3, v12, v16, -v3
	v_add_f32_e32 v2, v2, v3
	s_waitcnt vmcnt(14) lgkmcnt(0)
	v_mul_f32_e32 v35, v26, v31
	v_fmac_f32_e32 v35, v27, v30
	v_add_f32_e32 v34, v34, v35
	v_mul_f32_e32 v35, v28, v33
	v_fmac_f32_e32 v35, v29, v32
	v_add_f32_e32 v42, v34, v35
	ds_read2_b64 v[34:37], v102 offset0:65 offset1:66
	v_mul_f32_e32 v3, v19, v23
	v_fma_f32 v3, v18, v22, -v3
	v_add_f32_e32 v2, v2, v3
	v_mul_f32_e32 v3, v21, v25
	s_waitcnt vmcnt(13) lgkmcnt(0)
	v_mul_f32_e32 v43, v34, v39
	v_fmac_f32_e32 v43, v35, v38
	v_add_f32_e32 v42, v42, v43
	v_mul_f32_e32 v43, v36, v41
	v_fmac_f32_e32 v43, v37, v40
	v_add_f32_e32 v50, v42, v43
	ds_read2_b64 v[42:45], v102 offset0:67 offset1:68
	v_fma_f32 v3, v20, v24, -v3
	v_add_f32_e32 v2, v2, v3
	v_mul_f32_e32 v3, v27, v31
	v_fma_f32 v3, v26, v30, -v3
	s_waitcnt vmcnt(12) lgkmcnt(0)
	v_mul_f32_e32 v51, v42, v47
	v_fmac_f32_e32 v51, v43, v46
	v_add_f32_e32 v50, v50, v51
	v_mul_f32_e32 v51, v44, v49
	v_fmac_f32_e32 v51, v45, v48
	v_add_f32_e32 v58, v50, v51
	ds_read2_b64 v[50:53], v102 offset0:69 offset1:70
	v_add_f32_e32 v2, v2, v3
	v_mul_f32_e32 v3, v29, v33
	v_fma_f32 v3, v28, v32, -v3
	v_add_f32_e32 v2, v2, v3
	s_waitcnt vmcnt(11) lgkmcnt(0)
	v_mul_f32_e32 v59, v50, v55
	v_fmac_f32_e32 v59, v51, v54
	v_add_f32_e32 v58, v58, v59
	v_mul_f32_e32 v59, v52, v57
	v_fmac_f32_e32 v59, v53, v56
	v_add_f32_e32 v66, v58, v59
	ds_read2_b64 v[58:61], v102 offset0:71 offset1:72
	v_mul_f32_e32 v3, v35, v39
	v_fma_f32 v3, v34, v38, -v3
	v_add_f32_e32 v2, v2, v3
	v_mul_f32_e32 v3, v37, v41
	;; [unrolled: 36-line block ×4, first 2 shown]
	s_waitcnt vmcnt(4) lgkmcnt(0)
	v_mul_f32_e32 v116, v108, v113
	v_fmac_f32_e32 v116, v109, v112
	v_add_f32_e32 v103, v103, v116
	v_mul_f32_e32 v116, v110, v115
	v_fmac_f32_e32 v116, v111, v114
	v_add_f32_e32 v103, v103, v116
	ds_read2_b64 v[116:119], v102 offset0:85 offset1:86
	v_fma_f32 v3, v68, v72, -v3
	v_add_f32_e32 v2, v2, v3
	v_mul_f32_e32 v3, v75, v79
	v_fma_f32 v3, v74, v78, -v3
	s_waitcnt vmcnt(3) lgkmcnt(0)
	v_mul_f32_e32 v124, v116, v121
	v_fmac_f32_e32 v124, v117, v120
	v_add_f32_e32 v103, v103, v124
	v_mul_f32_e32 v124, v118, v123
	v_fmac_f32_e32 v124, v119, v122
	v_add_f32_e32 v103, v103, v124
	s_waitcnt vmcnt(2)
	v_mul_f32_e32 v124, v224, v229
	v_fmac_f32_e32 v124, v225, v228
	v_add_f32_e32 v103, v103, v124
	v_mul_f32_e32 v124, v226, v231
	v_fmac_f32_e32 v124, v227, v230
	v_add_f32_e32 v103, v103, v124
	s_waitcnt vmcnt(1)
	v_mul_f32_e32 v124, v232, v237
	v_fmac_f32_e32 v124, v233, v236
	v_add_f32_e32 v129, v103, v124
	scratch_load_dwordx4 v[248:251], off, off offset:344
	scratch_load_dwordx4 v[252:255], off, off offset:360
	;; [unrolled: 1-line block ×3, first 2 shown]
	scratch_load_dwordx2 v[134:135], off, off offset:392
	v_add_f32_e32 v2, v2, v3
	v_mul_f32_e32 v3, v77, v81
	v_fma_f32 v3, v76, v80, -v3
	v_add_f32_e32 v2, v2, v3
	v_mul_f32_e32 v3, v83, v87
	v_fma_f32 v3, v82, v86, -v3
	;; [unrolled: 3-line block ×14, first 2 shown]
	v_add_f32_e32 v128, v2, v3
	v_mul_f32_e32 v2, v235, v239
	v_mul_f32_e32 v131, v234, v239
	v_fma_f32 v130, v234, v238, -v2
	s_waitcnt vmcnt(4)
	v_mul_f32_e32 v2, v241, v245
	v_mov_b32_e32 v18, v247
	v_fmac_f32_e32 v131, v235, v238
	v_mul_f32_e32 v133, v240, v245
	v_fma_f32 v132, v240, v244, -v2
	ds_read2_b64 v[2:5], v102 offset0:93 offset1:94
	ds_read2_b64 v[6:9], v102 offset0:95 offset1:96
	;; [unrolled: 1-line block ×3, first 2 shown]
	ds_read_b64 v[14:15], v102 offset:792
	v_pk_mul_f32 v[18:19], v[242:243], v[18:19] op_sel:[1,0] op_sel_hi:[0,0]
	v_fmac_f32_e32 v133, v241, v244
	v_pk_add_f32 v[16:17], v[128:129], v[130:131]
	v_pk_fma_f32 v[20:21], v[242:243], v[246:247], v[18:19] neg_lo:[0,0,1] neg_hi:[0,0,1]
	v_pk_fma_f32 v[18:19], v[242:243], v[246:247], v[18:19] op_sel_hi:[1,0,1]
	v_pk_add_f32 v[16:17], v[16:17], v[132:133]
	v_mov_b32_e32 v21, v19
	v_pk_add_f32 v[16:17], v[16:17], v[20:21]
	s_waitcnt vmcnt(3) lgkmcnt(3)
	v_pk_mul_f32 v[18:19], v[2:3], v[248:249] op_sel:[1,1] op_sel_hi:[0,1]
	v_pk_fma_f32 v[20:21], v[2:3], v[248:249], v[18:19] neg_lo:[0,0,1] neg_hi:[0,0,1]
	v_pk_fma_f32 v[2:3], v[2:3], v[248:249], v[18:19] op_sel_hi:[1,0,1]
	s_nop 0
	v_mov_b32_e32 v21, v3
	v_pk_add_f32 v[2:3], v[16:17], v[20:21]
	v_mov_b32_e32 v16, v251
	v_pk_mul_f32 v[16:17], v[4:5], v[16:17] op_sel:[1,0] op_sel_hi:[0,0]
	v_pk_fma_f32 v[18:19], v[4:5], v[250:251], v[16:17] neg_lo:[0,0,1] neg_hi:[0,0,1]
	v_pk_fma_f32 v[4:5], v[4:5], v[250:251], v[16:17] op_sel_hi:[1,0,1]
	s_nop 0
	v_mov_b32_e32 v19, v5
	s_waitcnt vmcnt(2) lgkmcnt(2)
	v_pk_mul_f32 v[4:5], v[6:7], v[252:253] op_sel:[1,1] op_sel_hi:[0,1]
	v_pk_fma_f32 v[16:17], v[6:7], v[252:253], v[4:5] neg_lo:[0,0,1] neg_hi:[0,0,1]
	v_pk_fma_f32 v[4:5], v[6:7], v[252:253], v[4:5] op_sel_hi:[1,0,1]
	v_pk_add_f32 v[2:3], v[2:3], v[18:19]
	v_mov_b32_e32 v4, v255
	v_mov_b32_e32 v17, v5
	v_pk_mul_f32 v[4:5], v[8:9], v[4:5] op_sel:[1,0] op_sel_hi:[0,0]
	v_pk_fma_f32 v[6:7], v[8:9], v[254:255], v[4:5] neg_lo:[0,0,1] neg_hi:[0,0,1]
	v_pk_fma_f32 v[4:5], v[8:9], v[254:255], v[4:5] op_sel_hi:[1,0,1]
	v_pk_add_f32 v[2:3], v[2:3], v[16:17]
	v_mov_b32_e32 v7, v5
	s_waitcnt vmcnt(1) lgkmcnt(1)
	v_pk_mul_f32 v[4:5], v[10:11], v[124:125] op_sel:[1,1] op_sel_hi:[0,1]
	v_pk_add_f32 v[2:3], v[2:3], v[6:7]
	v_pk_fma_f32 v[6:7], v[10:11], v[124:125], v[4:5] neg_lo:[0,0,1] neg_hi:[0,0,1]
	v_pk_fma_f32 v[4:5], v[10:11], v[124:125], v[4:5] op_sel_hi:[1,0,1]
	s_nop 0
	v_mov_b32_e32 v4, v127
	v_mov_b32_e32 v7, v5
	v_pk_mul_f32 v[4:5], v[12:13], v[4:5] op_sel:[1,0] op_sel_hi:[0,0]
	v_pk_add_f32 v[2:3], v[2:3], v[6:7]
	v_pk_fma_f32 v[6:7], v[12:13], v[126:127], v[4:5] neg_lo:[0,0,1] neg_hi:[0,0,1]
	v_pk_fma_f32 v[4:5], v[12:13], v[126:127], v[4:5] op_sel_hi:[1,0,1]
	s_nop 0
	v_mov_b32_e32 v7, v5
	s_waitcnt vmcnt(0) lgkmcnt(0)
	v_pk_mul_f32 v[4:5], v[14:15], v[134:135] op_sel:[1,1] op_sel_hi:[0,1]
	v_pk_add_f32 v[2:3], v[2:3], v[6:7]
	v_pk_fma_f32 v[6:7], v[14:15], v[134:135], v[4:5] neg_lo:[0,0,1] neg_hi:[0,0,1]
	v_pk_fma_f32 v[4:5], v[14:15], v[134:135], v[4:5] op_sel_hi:[1,0,1]
	s_nop 0
	v_mov_b32_e32 v7, v5
	scratch_load_dwordx2 v[4:5], off, off offset:48
	v_pk_add_f32 v[2:3], v[2:3], v[6:7]
	s_waitcnt vmcnt(0)
	v_pk_add_f32 v[2:3], v[4:5], v[2:3] neg_lo:[0,1] neg_hi:[0,1]
	scratch_store_dwordx2 off, v[2:3], off offset:48
	s_and_saveexec_b64 s[0:1], vcc
	s_cbranch_execz .LBB49_303
; %bb.302:
	scratch_load_dwordx2 v[2:3], off, off offset:40
	v_mov_b32_e32 v103, v102
	scratch_store_dwordx2 off, v[102:103], off offset:40
	s_waitcnt vmcnt(1)
	ds_write_b64 v1, v[2:3]
.LBB49_303:
	s_or_b64 exec, exec, s[0:1]
	s_waitcnt lgkmcnt(0)
	; wave barrier
	ds_read_b128 v[14:17], v102 offset:448
	ds_read_b128 v[10:13], v102 offset:464
	;; [unrolled: 1-line block ×4, first 2 shown]
	scratch_load_dwordx4 v[18:21], off, off offset:48
	scratch_load_dwordx4 v[38:41], off, off offset:112
	;; [unrolled: 1-line block ×12, first 2 shown]
	v_cmp_lt_u32_e32 vcc, 4, v0
	scratch_load_dwordx4 v[46:49], off, off offset:128
	scratch_load_dwordx4 v[54:57], off, off offset:144
	;; [unrolled: 1-line block ×3, first 2 shown]
	ds_read_b128 v[228:231], v102 offset:704
	ds_read_b128 v[236:239], v102 offset:720
	s_waitcnt vmcnt(14) lgkmcnt(5)
	v_mul_f32_e32 v22, v14, v19
	v_fmac_f32_e32 v22, v15, v18
	v_mul_f32_e32 v23, v16, v21
	v_add_f32_e32 v22, 0, v22
	v_fmac_f32_e32 v23, v17, v20
	v_add_f32_e32 v26, v22, v23
	scratch_load_dwordx4 v[22:25], off, off offset:64
	v_mul_f32_e32 v15, v15, v19
	v_fma_f32 v14, v14, v18, -v15
	v_mul_f32_e32 v15, v17, v21
	v_add_f32_e32 v14, 0, v14
	v_fma_f32 v15, v16, v20, -v15
	v_add_f32_e32 v14, v14, v15
	s_waitcnt vmcnt(4) lgkmcnt(0)
	v_mul_f32_e32 v135, v236, v241
	v_mul_f32_e32 v137, v238, v243
	v_fmac_f32_e32 v135, v237, v240
	v_fmac_f32_e32 v137, v239, v242
	s_waitcnt vmcnt(0)
	v_mul_f32_e32 v27, v10, v23
	v_fmac_f32_e32 v27, v11, v22
	v_add_f32_e32 v26, v26, v27
	v_mul_f32_e32 v27, v12, v25
	v_fmac_f32_e32 v27, v13, v24
	v_add_f32_e32 v30, v26, v27
	scratch_load_dwordx4 v[26:29], off, off offset:80
	v_mul_f32_e32 v11, v11, v23
	v_fma_f32 v10, v10, v22, -v11
	v_mul_f32_e32 v11, v13, v25
	v_add_f32_e32 v10, v14, v10
	v_fma_f32 v11, v12, v24, -v11
	v_add_f32_e32 v10, v10, v11
	s_waitcnt vmcnt(0)
	v_mul_f32_e32 v31, v6, v27
	v_fmac_f32_e32 v31, v7, v26
	v_add_f32_e32 v30, v30, v31
	v_mul_f32_e32 v31, v8, v29
	v_fmac_f32_e32 v31, v9, v28
	v_add_f32_e32 v34, v30, v31
	scratch_load_dwordx4 v[30:33], off, off offset:96
	v_mul_f32_e32 v7, v7, v27
	v_fma_f32 v6, v6, v26, -v7
	v_mul_f32_e32 v7, v9, v29
	v_add_f32_e32 v6, v10, v6
	v_fma_f32 v7, v8, v28, -v7
	v_add_f32_e32 v6, v6, v7
	s_waitcnt vmcnt(0)
	v_mul_f32_e32 v35, v2, v31
	v_fmac_f32_e32 v35, v3, v30
	v_add_f32_e32 v34, v34, v35
	v_mul_f32_e32 v35, v4, v33
	v_fmac_f32_e32 v35, v5, v32
	v_add_f32_e32 v42, v34, v35
	ds_read_b128 v[34:37], v102 offset:512
	v_mul_f32_e32 v3, v3, v31
	v_fma_f32 v2, v2, v30, -v3
	v_mul_f32_e32 v3, v5, v33
	v_add_f32_e32 v2, v6, v2
	s_waitcnt lgkmcnt(0)
	v_mul_f32_e32 v43, v34, v39
	v_fmac_f32_e32 v43, v35, v38
	v_add_f32_e32 v42, v42, v43
	v_mul_f32_e32 v43, v36, v41
	v_fmac_f32_e32 v43, v37, v40
	v_add_f32_e32 v50, v42, v43
	ds_read_b128 v[42:45], v102 offset:528
	v_fma_f32 v3, v4, v32, -v3
	v_add_f32_e32 v2, v2, v3
	v_mul_f32_e32 v3, v35, v39
	v_fma_f32 v3, v34, v38, -v3
	s_waitcnt lgkmcnt(0)
	v_mul_f32_e32 v51, v42, v47
	v_fmac_f32_e32 v51, v43, v46
	v_add_f32_e32 v50, v50, v51
	v_mul_f32_e32 v51, v44, v49
	v_fmac_f32_e32 v51, v45, v48
	v_add_f32_e32 v58, v50, v51
	ds_read_b128 v[50:53], v102 offset:544
	v_add_f32_e32 v2, v2, v3
	v_mul_f32_e32 v3, v37, v41
	v_fma_f32 v3, v36, v40, -v3
	v_add_f32_e32 v2, v2, v3
	s_waitcnt lgkmcnt(0)
	v_mul_f32_e32 v59, v50, v55
	v_fmac_f32_e32 v59, v51, v54
	v_add_f32_e32 v58, v58, v59
	v_mul_f32_e32 v59, v52, v57
	v_fmac_f32_e32 v59, v53, v56
	v_add_f32_e32 v66, v58, v59
	ds_read_b128 v[58:61], v102 offset:560
	v_mul_f32_e32 v3, v43, v47
	v_fma_f32 v3, v42, v46, -v3
	v_add_f32_e32 v2, v2, v3
	v_mul_f32_e32 v3, v45, v49
	s_waitcnt lgkmcnt(0)
	v_mul_f32_e32 v67, v58, v63
	v_fmac_f32_e32 v67, v59, v62
	v_add_f32_e32 v66, v66, v67
	v_mul_f32_e32 v67, v60, v65
	v_fmac_f32_e32 v67, v61, v64
	v_add_f32_e32 v74, v66, v67
	ds_read_b128 v[66:69], v102 offset:576
	v_fma_f32 v3, v44, v48, -v3
	v_add_f32_e32 v2, v2, v3
	v_mul_f32_e32 v3, v51, v55
	v_fma_f32 v3, v50, v54, -v3
	s_waitcnt lgkmcnt(0)
	v_mul_f32_e32 v75, v66, v71
	v_fmac_f32_e32 v75, v67, v70
	v_add_f32_e32 v74, v74, v75
	v_mul_f32_e32 v75, v68, v73
	v_fmac_f32_e32 v75, v69, v72
	v_add_f32_e32 v82, v74, v75
	ds_read_b128 v[74:77], v102 offset:592
	v_add_f32_e32 v2, v2, v3
	v_mul_f32_e32 v3, v53, v57
	v_fma_f32 v3, v52, v56, -v3
	v_add_f32_e32 v2, v2, v3
	s_waitcnt lgkmcnt(0)
	v_mul_f32_e32 v83, v74, v79
	v_fmac_f32_e32 v83, v75, v78
	v_add_f32_e32 v82, v82, v83
	v_mul_f32_e32 v83, v76, v81
	v_fmac_f32_e32 v83, v77, v80
	v_add_f32_e32 v90, v82, v83
	ds_read_b128 v[82:85], v102 offset:608
	v_mul_f32_e32 v3, v59, v63
	v_fma_f32 v3, v58, v62, -v3
	v_add_f32_e32 v2, v2, v3
	v_mul_f32_e32 v3, v61, v65
	;; [unrolled: 36-line block ×3, first 2 shown]
	s_waitcnt lgkmcnt(0)
	v_mul_f32_e32 v116, v108, v113
	v_fmac_f32_e32 v116, v109, v112
	v_add_f32_e32 v103, v103, v116
	v_mul_f32_e32 v116, v110, v115
	v_fmac_f32_e32 v116, v111, v114
	v_add_f32_e32 v103, v103, v116
	ds_read_b128 v[116:119], v102 offset:672
	v_fma_f32 v3, v76, v80, -v3
	v_add_f32_e32 v2, v2, v3
	v_mul_f32_e32 v3, v83, v87
	v_fma_f32 v3, v82, v86, -v3
	s_waitcnt lgkmcnt(0)
	v_mul_f32_e32 v124, v116, v121
	v_fmac_f32_e32 v124, v117, v120
	v_add_f32_e32 v103, v103, v124
	v_mul_f32_e32 v124, v118, v123
	v_fmac_f32_e32 v124, v119, v122
	v_add_f32_e32 v103, v103, v124
	ds_read_b128 v[124:127], v102 offset:688
	v_add_f32_e32 v2, v2, v3
	v_mul_f32_e32 v3, v85, v89
	v_fma_f32 v3, v84, v88, -v3
	v_add_f32_e32 v2, v2, v3
	s_waitcnt lgkmcnt(0)
	v_mul_f32_e32 v128, v124, v225
	v_fmac_f32_e32 v128, v125, v224
	v_add_f32_e32 v103, v103, v128
	v_mul_f32_e32 v128, v126, v227
	v_fmac_f32_e32 v128, v127, v226
	v_add_f32_e32 v103, v103, v128
	;; [unrolled: 3-line block ×4, first 2 shown]
	scratch_load_dwordx4 v[244:247], off, off offset:336
	scratch_load_dwordx4 v[248:251], off, off offset:352
	;; [unrolled: 1-line block ×4, first 2 shown]
	v_mul_f32_e32 v3, v91, v95
	v_fma_f32 v3, v90, v94, -v3
	v_add_f32_e32 v2, v2, v3
	v_mul_f32_e32 v3, v93, v97
	v_fma_f32 v3, v92, v96, -v3
	v_add_f32_e32 v2, v2, v3
	;; [unrolled: 3-line block ×12, first 2 shown]
	v_mul_f32_e32 v2, v237, v241
	v_fma_f32 v134, v236, v240, -v2
	v_mul_f32_e32 v2, v239, v243
	v_fma_f32 v136, v238, v242, -v2
	ds_read_b128 v[2:5], v102 offset:736
	ds_read_b128 v[6:9], v102 offset:752
	ds_read_b128 v[10:13], v102 offset:768
	ds_read_b128 v[14:17], v102 offset:784
	v_pk_add_f32 v[18:19], v[132:133], v[134:135]
	s_waitcnt vmcnt(3) lgkmcnt(3)
	v_pk_mul_f32 v[20:21], v[2:3], v[244:245] op_sel:[1,1] op_sel_hi:[0,1]
	v_pk_fma_f32 v[22:23], v[2:3], v[244:245], v[20:21] neg_lo:[0,0,1] neg_hi:[0,0,1]
	v_pk_fma_f32 v[2:3], v[2:3], v[244:245], v[20:21] op_sel_hi:[1,0,1]
	v_pk_add_f32 v[18:19], v[18:19], v[136:137]
	v_mov_b32_e32 v23, v3
	v_pk_add_f32 v[2:3], v[18:19], v[22:23]
	v_mov_b32_e32 v18, v247
	v_pk_mul_f32 v[18:19], v[4:5], v[18:19] op_sel:[1,0] op_sel_hi:[0,0]
	v_pk_fma_f32 v[20:21], v[4:5], v[246:247], v[18:19] neg_lo:[0,0,1] neg_hi:[0,0,1]
	v_pk_fma_f32 v[4:5], v[4:5], v[246:247], v[18:19] op_sel_hi:[1,0,1]
	s_nop 0
	v_mov_b32_e32 v21, v5
	s_waitcnt vmcnt(2) lgkmcnt(2)
	v_pk_mul_f32 v[4:5], v[6:7], v[248:249] op_sel:[1,1] op_sel_hi:[0,1]
	v_pk_fma_f32 v[18:19], v[6:7], v[248:249], v[4:5] neg_lo:[0,0,1] neg_hi:[0,0,1]
	v_pk_fma_f32 v[4:5], v[6:7], v[248:249], v[4:5] op_sel_hi:[1,0,1]
	v_pk_add_f32 v[2:3], v[2:3], v[20:21]
	v_mov_b32_e32 v4, v251
	v_mov_b32_e32 v19, v5
	v_pk_mul_f32 v[4:5], v[8:9], v[4:5] op_sel:[1,0] op_sel_hi:[0,0]
	v_pk_fma_f32 v[6:7], v[8:9], v[250:251], v[4:5] neg_lo:[0,0,1] neg_hi:[0,0,1]
	v_pk_fma_f32 v[4:5], v[8:9], v[250:251], v[4:5] op_sel_hi:[1,0,1]
	v_pk_add_f32 v[2:3], v[2:3], v[18:19]
	v_mov_b32_e32 v7, v5
	s_waitcnt vmcnt(1) lgkmcnt(1)
	v_pk_mul_f32 v[4:5], v[10:11], v[252:253] op_sel:[1,1] op_sel_hi:[0,1]
	v_pk_add_f32 v[2:3], v[2:3], v[6:7]
	v_pk_fma_f32 v[6:7], v[10:11], v[252:253], v[4:5] neg_lo:[0,0,1] neg_hi:[0,0,1]
	v_pk_fma_f32 v[4:5], v[10:11], v[252:253], v[4:5] op_sel_hi:[1,0,1]
	s_nop 0
	v_mov_b32_e32 v4, v255
	v_mov_b32_e32 v7, v5
	v_pk_mul_f32 v[4:5], v[12:13], v[4:5] op_sel:[1,0] op_sel_hi:[0,0]
	v_pk_add_f32 v[2:3], v[2:3], v[6:7]
	v_pk_fma_f32 v[6:7], v[12:13], v[254:255], v[4:5] neg_lo:[0,0,1] neg_hi:[0,0,1]
	v_pk_fma_f32 v[4:5], v[12:13], v[254:255], v[4:5] op_sel_hi:[1,0,1]
	s_nop 0
	v_mov_b32_e32 v7, v5
	s_waitcnt vmcnt(0) lgkmcnt(0)
	v_pk_mul_f32 v[4:5], v[14:15], v[128:129] op_sel:[1,1] op_sel_hi:[0,1]
	v_pk_add_f32 v[2:3], v[2:3], v[6:7]
	v_pk_fma_f32 v[6:7], v[14:15], v[128:129], v[4:5] neg_lo:[0,0,1] neg_hi:[0,0,1]
	v_pk_fma_f32 v[4:5], v[14:15], v[128:129], v[4:5] op_sel_hi:[1,0,1]
	s_nop 0
	v_mov_b32_e32 v4, v131
	v_mov_b32_e32 v7, v5
	v_pk_mul_f32 v[4:5], v[16:17], v[4:5] op_sel:[1,0] op_sel_hi:[0,0]
	v_pk_add_f32 v[2:3], v[2:3], v[6:7]
	v_pk_fma_f32 v[6:7], v[16:17], v[130:131], v[4:5] neg_lo:[0,0,1] neg_hi:[0,0,1]
	v_pk_fma_f32 v[4:5], v[16:17], v[130:131], v[4:5] op_sel_hi:[1,0,1]
	s_nop 0
	v_mov_b32_e32 v7, v5
	scratch_load_dwordx2 v[4:5], off, off offset:40
	v_pk_add_f32 v[2:3], v[2:3], v[6:7]
	s_waitcnt vmcnt(0)
	v_pk_add_f32 v[2:3], v[4:5], v[2:3] neg_lo:[0,1] neg_hi:[0,1]
	scratch_store_dwordx2 off, v[2:3], off offset:40
	s_and_saveexec_b64 s[0:1], vcc
	s_cbranch_execz .LBB49_305
; %bb.304:
	scratch_load_dwordx2 v[2:3], off, off offset:32
	v_mov_b32_e32 v4, 0
	v_mov_b32_e32 v5, v4
	scratch_store_dwordx2 off, v[4:5], off offset:32
	s_waitcnt vmcnt(1)
	ds_write_b64 v1, v[2:3]
.LBB49_305:
	s_or_b64 exec, exec, s[0:1]
	s_waitcnt lgkmcnt(0)
	; wave barrier
	scratch_load_dwordx4 v[6:9], off, off offset:40
	scratch_load_dwordx4 v[14:17], off, off offset:56
	;; [unrolled: 1-line block ×10, first 2 shown]
	v_mov_b32_e32 v110, 0
	ds_read2_b64 v[2:5], v110 offset0:55 offset1:56
	ds_read2_b64 v[224:227], v110 offset0:87 offset1:88
	scratch_load_dwordx4 v[86:89], off, off offset:200
	scratch_load_dwordx4 v[94:97], off, off offset:216
	;; [unrolled: 1-line block ×9, first 2 shown]
	v_cmp_lt_u32_e32 vcc, 3, v0
	ds_read2_b64 v[232:235], v110 offset0:89 offset1:90
	ds_read2_b64 v[240:243], v110 offset0:91 offset1:92
	s_waitcnt vmcnt(18) lgkmcnt(3)
	v_mul_f32_e32 v10, v2, v7
	v_fmac_f32_e32 v10, v3, v6
	v_mul_f32_e32 v11, v4, v9
	v_add_f32_e32 v10, 0, v10
	v_fmac_f32_e32 v11, v5, v8
	v_add_f32_e32 v18, v10, v11
	ds_read2_b64 v[10:13], v110 offset0:57 offset1:58
	v_mul_f32_e32 v3, v3, v7
	v_fma_f32 v2, v2, v6, -v3
	v_mul_f32_e32 v3, v5, v9
	v_add_f32_e32 v2, 0, v2
	s_waitcnt vmcnt(17) lgkmcnt(0)
	v_mul_f32_e32 v19, v10, v15
	v_fmac_f32_e32 v19, v11, v14
	v_add_f32_e32 v18, v18, v19
	v_mul_f32_e32 v19, v12, v17
	v_fmac_f32_e32 v19, v13, v16
	v_add_f32_e32 v26, v18, v19
	ds_read2_b64 v[18:21], v110 offset0:59 offset1:60
	v_fma_f32 v3, v4, v8, -v3
	v_add_f32_e32 v2, v2, v3
	v_mul_f32_e32 v3, v11, v15
	v_fma_f32 v3, v10, v14, -v3
	s_waitcnt vmcnt(16) lgkmcnt(0)
	v_mul_f32_e32 v27, v18, v23
	v_fmac_f32_e32 v27, v19, v22
	v_add_f32_e32 v26, v26, v27
	v_mul_f32_e32 v27, v20, v25
	v_fmac_f32_e32 v27, v21, v24
	v_add_f32_e32 v34, v26, v27
	ds_read2_b64 v[26:29], v110 offset0:61 offset1:62
	v_add_f32_e32 v2, v2, v3
	v_mul_f32_e32 v3, v13, v17
	v_fma_f32 v3, v12, v16, -v3
	v_add_f32_e32 v2, v2, v3
	s_waitcnt vmcnt(15) lgkmcnt(0)
	v_mul_f32_e32 v35, v26, v31
	v_fmac_f32_e32 v35, v27, v30
	v_add_f32_e32 v34, v34, v35
	v_mul_f32_e32 v35, v28, v33
	v_fmac_f32_e32 v35, v29, v32
	v_add_f32_e32 v42, v34, v35
	ds_read2_b64 v[34:37], v110 offset0:63 offset1:64
	v_mul_f32_e32 v3, v19, v23
	v_fma_f32 v3, v18, v22, -v3
	v_add_f32_e32 v2, v2, v3
	v_mul_f32_e32 v3, v21, v25
	s_waitcnt vmcnt(14) lgkmcnt(0)
	v_mul_f32_e32 v43, v34, v39
	v_fmac_f32_e32 v43, v35, v38
	v_add_f32_e32 v42, v42, v43
	v_mul_f32_e32 v43, v36, v41
	v_fmac_f32_e32 v43, v37, v40
	v_add_f32_e32 v50, v42, v43
	ds_read2_b64 v[42:45], v110 offset0:65 offset1:66
	v_fma_f32 v3, v20, v24, -v3
	v_add_f32_e32 v2, v2, v3
	v_mul_f32_e32 v3, v27, v31
	v_fma_f32 v3, v26, v30, -v3
	s_waitcnt vmcnt(13) lgkmcnt(0)
	v_mul_f32_e32 v51, v42, v47
	v_fmac_f32_e32 v51, v43, v46
	v_add_f32_e32 v50, v50, v51
	v_mul_f32_e32 v51, v44, v49
	v_fmac_f32_e32 v51, v45, v48
	v_add_f32_e32 v58, v50, v51
	ds_read2_b64 v[50:53], v110 offset0:67 offset1:68
	v_add_f32_e32 v2, v2, v3
	v_mul_f32_e32 v3, v29, v33
	v_fma_f32 v3, v28, v32, -v3
	v_add_f32_e32 v2, v2, v3
	s_waitcnt vmcnt(12) lgkmcnt(0)
	v_mul_f32_e32 v59, v50, v55
	v_fmac_f32_e32 v59, v51, v54
	v_add_f32_e32 v58, v58, v59
	v_mul_f32_e32 v59, v52, v57
	v_fmac_f32_e32 v59, v53, v56
	v_add_f32_e32 v66, v58, v59
	ds_read2_b64 v[58:61], v110 offset0:69 offset1:70
	v_mul_f32_e32 v3, v35, v39
	v_fma_f32 v3, v34, v38, -v3
	v_add_f32_e32 v2, v2, v3
	v_mul_f32_e32 v3, v37, v41
	s_waitcnt vmcnt(11) lgkmcnt(0)
	v_mul_f32_e32 v67, v58, v63
	v_fmac_f32_e32 v67, v59, v62
	v_add_f32_e32 v66, v66, v67
	v_mul_f32_e32 v67, v60, v65
	v_fmac_f32_e32 v67, v61, v64
	v_add_f32_e32 v74, v66, v67
	ds_read2_b64 v[66:69], v110 offset0:71 offset1:72
	v_fma_f32 v3, v36, v40, -v3
	v_add_f32_e32 v2, v2, v3
	v_mul_f32_e32 v3, v43, v47
	v_fma_f32 v3, v42, v46, -v3
	s_waitcnt vmcnt(10) lgkmcnt(0)
	v_mul_f32_e32 v75, v66, v71
	v_fmac_f32_e32 v75, v67, v70
	v_add_f32_e32 v74, v74, v75
	v_mul_f32_e32 v75, v68, v73
	v_fmac_f32_e32 v75, v69, v72
	v_add_f32_e32 v82, v74, v75
	ds_read2_b64 v[74:77], v110 offset0:73 offset1:74
	v_add_f32_e32 v2, v2, v3
	v_mul_f32_e32 v3, v45, v49
	v_fma_f32 v3, v44, v48, -v3
	v_add_f32_e32 v2, v2, v3
	s_waitcnt vmcnt(9) lgkmcnt(0)
	v_mul_f32_e32 v83, v74, v79
	v_fmac_f32_e32 v83, v75, v78
	v_add_f32_e32 v82, v82, v83
	v_mul_f32_e32 v83, v76, v81
	v_fmac_f32_e32 v83, v77, v80
	v_add_f32_e32 v90, v82, v83
	ds_read2_b64 v[82:85], v110 offset0:75 offset1:76
	v_mul_f32_e32 v3, v51, v55
	v_fma_f32 v3, v50, v54, -v3
	v_add_f32_e32 v2, v2, v3
	v_mul_f32_e32 v3, v53, v57
	s_waitcnt vmcnt(8) lgkmcnt(0)
	v_mul_f32_e32 v91, v82, v87
	v_fmac_f32_e32 v91, v83, v86
	v_add_f32_e32 v90, v90, v91
	v_mul_f32_e32 v91, v84, v89
	v_fmac_f32_e32 v91, v85, v88
	v_add_f32_e32 v98, v90, v91
	ds_read2_b64 v[90:93], v110 offset0:77 offset1:78
	v_fma_f32 v3, v52, v56, -v3
	v_add_f32_e32 v2, v2, v3
	v_mul_f32_e32 v3, v59, v63
	v_fma_f32 v3, v58, v62, -v3
	s_waitcnt vmcnt(7) lgkmcnt(0)
	v_mul_f32_e32 v99, v90, v95
	v_fmac_f32_e32 v99, v91, v94
	v_add_f32_e32 v98, v98, v99
	v_mul_f32_e32 v99, v92, v97
	v_fmac_f32_e32 v99, v93, v96
	v_add_f32_e32 v106, v98, v99
	ds_read2_b64 v[98:101], v110 offset0:79 offset1:80
	v_add_f32_e32 v2, v2, v3
	v_mul_f32_e32 v3, v61, v65
	v_fma_f32 v3, v60, v64, -v3
	v_add_f32_e32 v2, v2, v3
	s_waitcnt vmcnt(6) lgkmcnt(0)
	v_mul_f32_e32 v107, v98, v103
	v_fmac_f32_e32 v107, v99, v102
	v_add_f32_e32 v106, v106, v107
	v_mul_f32_e32 v107, v100, v105
	v_fmac_f32_e32 v107, v101, v104
	v_add_f32_e32 v111, v106, v107
	ds_read2_b64 v[106:109], v110 offset0:81 offset1:82
	v_mul_f32_e32 v3, v67, v71
	v_fma_f32 v3, v66, v70, -v3
	v_add_f32_e32 v2, v2, v3
	v_mul_f32_e32 v3, v69, v73
	s_waitcnt vmcnt(5) lgkmcnt(0)
	v_mul_f32_e32 v116, v106, v113
	v_fmac_f32_e32 v116, v107, v112
	v_add_f32_e32 v111, v111, v116
	v_mul_f32_e32 v116, v108, v115
	v_fmac_f32_e32 v116, v109, v114
	v_add_f32_e32 v111, v111, v116
	ds_read2_b64 v[116:119], v110 offset0:83 offset1:84
	v_fma_f32 v3, v68, v72, -v3
	v_add_f32_e32 v2, v2, v3
	v_mul_f32_e32 v3, v75, v79
	v_fma_f32 v3, v74, v78, -v3
	s_waitcnt vmcnt(4) lgkmcnt(0)
	v_mul_f32_e32 v124, v116, v121
	v_fmac_f32_e32 v124, v117, v120
	v_add_f32_e32 v111, v111, v124
	v_mul_f32_e32 v124, v118, v123
	v_fmac_f32_e32 v124, v119, v122
	v_add_f32_e32 v111, v111, v124
	ds_read2_b64 v[124:127], v110 offset0:85 offset1:86
	v_add_f32_e32 v2, v2, v3
	v_mul_f32_e32 v3, v77, v81
	v_fma_f32 v3, v76, v80, -v3
	v_add_f32_e32 v2, v2, v3
	s_waitcnt vmcnt(3) lgkmcnt(0)
	v_mul_f32_e32 v132, v124, v129
	v_fmac_f32_e32 v132, v125, v128
	v_add_f32_e32 v111, v111, v132
	v_mul_f32_e32 v132, v126, v131
	v_fmac_f32_e32 v132, v127, v130
	v_add_f32_e32 v111, v111, v132
	s_waitcnt vmcnt(2)
	v_mul_f32_e32 v132, v224, v229
	v_fmac_f32_e32 v132, v225, v228
	v_add_f32_e32 v111, v111, v132
	v_mul_f32_e32 v132, v226, v231
	v_fmac_f32_e32 v132, v227, v230
	v_add_f32_e32 v111, v111, v132
	s_waitcnt vmcnt(1)
	v_mul_f32_e32 v132, v232, v237
	v_fmac_f32_e32 v132, v233, v236
	v_add_f32_e32 v137, v111, v132
	scratch_load_dwordx4 v[248:251], off, off offset:344
	scratch_load_dwordx4 v[252:255], off, off offset:360
	;; [unrolled: 1-line block ×3, first 2 shown]
	scratch_load_dwordx2 v[142:143], off, off offset:392
	v_mul_f32_e32 v3, v83, v87
	v_fma_f32 v3, v82, v86, -v3
	v_add_f32_e32 v2, v2, v3
	v_mul_f32_e32 v3, v85, v89
	v_fma_f32 v3, v84, v88, -v3
	v_add_f32_e32 v2, v2, v3
	;; [unrolled: 3-line block ×15, first 2 shown]
	v_mul_f32_e32 v2, v235, v239
	v_mul_f32_e32 v139, v234, v239
	v_fma_f32 v138, v234, v238, -v2
	s_waitcnt vmcnt(4)
	v_mul_f32_e32 v2, v241, v245
	v_mov_b32_e32 v18, v247
	v_fmac_f32_e32 v139, v235, v238
	v_mul_f32_e32 v141, v240, v245
	v_fma_f32 v140, v240, v244, -v2
	ds_read2_b64 v[2:5], v110 offset0:93 offset1:94
	ds_read2_b64 v[6:9], v110 offset0:95 offset1:96
	;; [unrolled: 1-line block ×3, first 2 shown]
	ds_read_b64 v[14:15], v110 offset:792
	v_pk_mul_f32 v[18:19], v[242:243], v[18:19] op_sel:[1,0] op_sel_hi:[0,0]
	v_fmac_f32_e32 v141, v241, v244
	v_pk_add_f32 v[16:17], v[136:137], v[138:139]
	v_pk_fma_f32 v[20:21], v[242:243], v[246:247], v[18:19] neg_lo:[0,0,1] neg_hi:[0,0,1]
	v_pk_fma_f32 v[18:19], v[242:243], v[246:247], v[18:19] op_sel_hi:[1,0,1]
	v_pk_add_f32 v[16:17], v[16:17], v[140:141]
	v_mov_b32_e32 v21, v19
	v_pk_add_f32 v[16:17], v[16:17], v[20:21]
	s_waitcnt vmcnt(3) lgkmcnt(3)
	v_pk_mul_f32 v[18:19], v[2:3], v[248:249] op_sel:[1,1] op_sel_hi:[0,1]
	v_pk_fma_f32 v[20:21], v[2:3], v[248:249], v[18:19] neg_lo:[0,0,1] neg_hi:[0,0,1]
	v_pk_fma_f32 v[2:3], v[2:3], v[248:249], v[18:19] op_sel_hi:[1,0,1]
	s_nop 0
	v_mov_b32_e32 v21, v3
	v_pk_add_f32 v[2:3], v[16:17], v[20:21]
	v_mov_b32_e32 v16, v251
	v_pk_mul_f32 v[16:17], v[4:5], v[16:17] op_sel:[1,0] op_sel_hi:[0,0]
	v_pk_fma_f32 v[18:19], v[4:5], v[250:251], v[16:17] neg_lo:[0,0,1] neg_hi:[0,0,1]
	v_pk_fma_f32 v[4:5], v[4:5], v[250:251], v[16:17] op_sel_hi:[1,0,1]
	s_nop 0
	v_mov_b32_e32 v19, v5
	s_waitcnt vmcnt(2) lgkmcnt(2)
	v_pk_mul_f32 v[4:5], v[6:7], v[252:253] op_sel:[1,1] op_sel_hi:[0,1]
	v_pk_fma_f32 v[16:17], v[6:7], v[252:253], v[4:5] neg_lo:[0,0,1] neg_hi:[0,0,1]
	v_pk_fma_f32 v[4:5], v[6:7], v[252:253], v[4:5] op_sel_hi:[1,0,1]
	v_pk_add_f32 v[2:3], v[2:3], v[18:19]
	v_mov_b32_e32 v4, v255
	v_mov_b32_e32 v17, v5
	v_pk_mul_f32 v[4:5], v[8:9], v[4:5] op_sel:[1,0] op_sel_hi:[0,0]
	v_pk_fma_f32 v[6:7], v[8:9], v[254:255], v[4:5] neg_lo:[0,0,1] neg_hi:[0,0,1]
	v_pk_fma_f32 v[4:5], v[8:9], v[254:255], v[4:5] op_sel_hi:[1,0,1]
	v_pk_add_f32 v[2:3], v[2:3], v[16:17]
	v_mov_b32_e32 v7, v5
	s_waitcnt vmcnt(1) lgkmcnt(1)
	v_pk_mul_f32 v[4:5], v[10:11], v[132:133] op_sel:[1,1] op_sel_hi:[0,1]
	v_pk_add_f32 v[2:3], v[2:3], v[6:7]
	v_pk_fma_f32 v[6:7], v[10:11], v[132:133], v[4:5] neg_lo:[0,0,1] neg_hi:[0,0,1]
	v_pk_fma_f32 v[4:5], v[10:11], v[132:133], v[4:5] op_sel_hi:[1,0,1]
	s_nop 0
	v_mov_b32_e32 v4, v135
	v_mov_b32_e32 v7, v5
	v_pk_mul_f32 v[4:5], v[12:13], v[4:5] op_sel:[1,0] op_sel_hi:[0,0]
	v_pk_add_f32 v[2:3], v[2:3], v[6:7]
	v_pk_fma_f32 v[6:7], v[12:13], v[134:135], v[4:5] neg_lo:[0,0,1] neg_hi:[0,0,1]
	v_pk_fma_f32 v[4:5], v[12:13], v[134:135], v[4:5] op_sel_hi:[1,0,1]
	s_nop 0
	v_mov_b32_e32 v7, v5
	s_waitcnt vmcnt(0) lgkmcnt(0)
	v_pk_mul_f32 v[4:5], v[14:15], v[142:143] op_sel:[1,1] op_sel_hi:[0,1]
	v_pk_add_f32 v[2:3], v[2:3], v[6:7]
	v_pk_fma_f32 v[6:7], v[14:15], v[142:143], v[4:5] neg_lo:[0,0,1] neg_hi:[0,0,1]
	v_pk_fma_f32 v[4:5], v[14:15], v[142:143], v[4:5] op_sel_hi:[1,0,1]
	s_nop 0
	v_mov_b32_e32 v7, v5
	scratch_load_dwordx2 v[4:5], off, off offset:32
	v_pk_add_f32 v[2:3], v[2:3], v[6:7]
	s_waitcnt vmcnt(0)
	v_pk_add_f32 v[2:3], v[4:5], v[2:3] neg_lo:[0,1] neg_hi:[0,1]
	scratch_store_dwordx2 off, v[2:3], off offset:32
	s_and_saveexec_b64 s[0:1], vcc
	s_cbranch_execz .LBB49_307
; %bb.306:
	scratch_load_dwordx2 v[2:3], off, off offset:24
	v_mov_b32_e32 v111, v110
	scratch_store_dwordx2 off, v[110:111], off offset:24
	s_waitcnt vmcnt(1)
	ds_write_b64 v1, v[2:3]
.LBB49_307:
	s_or_b64 exec, exec, s[0:1]
	s_waitcnt lgkmcnt(0)
	; wave barrier
	ds_read_b128 v[14:17], v110 offset:432
	ds_read_b128 v[10:13], v110 offset:448
	ds_read_b128 v[6:9], v110 offset:464
	ds_read_b128 v[2:5], v110 offset:480
	scratch_load_dwordx4 v[18:21], off, off offset:32
	scratch_load_dwordx4 v[38:41], off, off offset:96
	;; [unrolled: 1-line block ×13, first 2 shown]
	v_cmp_lt_u32_e32 vcc, 2, v0
	scratch_load_dwordx4 v[46:49], off, off offset:112
	scratch_load_dwordx4 v[54:57], off, off offset:128
	;; [unrolled: 1-line block ×3, first 2 shown]
	ds_read_b128 v[228:231], v110 offset:704
	ds_read_b128 v[236:239], v110 offset:720
	s_waitcnt vmcnt(15) lgkmcnt(5)
	v_mul_f32_e32 v22, v14, v19
	v_fmac_f32_e32 v22, v15, v18
	v_mul_f32_e32 v23, v16, v21
	v_add_f32_e32 v22, 0, v22
	v_fmac_f32_e32 v23, v17, v20
	v_add_f32_e32 v26, v22, v23
	scratch_load_dwordx4 v[22:25], off, off offset:48
	v_mul_f32_e32 v15, v15, v19
	v_fma_f32 v14, v14, v18, -v15
	v_mul_f32_e32 v15, v17, v21
	v_add_f32_e32 v14, 0, v14
	v_fma_f32 v15, v16, v20, -v15
	v_add_f32_e32 v14, v14, v15
	s_waitcnt vmcnt(4) lgkmcnt(0)
	v_mul_f32_e32 v143, v236, v241
	v_mul_f32_e32 v145, v238, v243
	v_fmac_f32_e32 v143, v237, v240
	v_fmac_f32_e32 v145, v239, v242
	s_waitcnt vmcnt(0)
	v_mul_f32_e32 v27, v10, v23
	v_fmac_f32_e32 v27, v11, v22
	v_add_f32_e32 v26, v26, v27
	v_mul_f32_e32 v27, v12, v25
	v_fmac_f32_e32 v27, v13, v24
	v_add_f32_e32 v30, v26, v27
	scratch_load_dwordx4 v[26:29], off, off offset:64
	v_mul_f32_e32 v11, v11, v23
	v_fma_f32 v10, v10, v22, -v11
	v_mul_f32_e32 v11, v13, v25
	v_add_f32_e32 v10, v14, v10
	v_fma_f32 v11, v12, v24, -v11
	v_add_f32_e32 v10, v10, v11
	s_waitcnt vmcnt(0)
	v_mul_f32_e32 v31, v6, v27
	v_fmac_f32_e32 v31, v7, v26
	v_add_f32_e32 v30, v30, v31
	v_mul_f32_e32 v31, v8, v29
	v_fmac_f32_e32 v31, v9, v28
	v_add_f32_e32 v34, v30, v31
	scratch_load_dwordx4 v[30:33], off, off offset:80
	v_mul_f32_e32 v7, v7, v27
	v_fma_f32 v6, v6, v26, -v7
	v_mul_f32_e32 v7, v9, v29
	v_add_f32_e32 v6, v10, v6
	v_fma_f32 v7, v8, v28, -v7
	v_add_f32_e32 v6, v6, v7
	s_waitcnt vmcnt(0)
	v_mul_f32_e32 v35, v2, v31
	v_fmac_f32_e32 v35, v3, v30
	v_add_f32_e32 v34, v34, v35
	v_mul_f32_e32 v35, v4, v33
	v_fmac_f32_e32 v35, v5, v32
	v_add_f32_e32 v42, v34, v35
	ds_read_b128 v[34:37], v110 offset:496
	v_mul_f32_e32 v3, v3, v31
	v_fma_f32 v2, v2, v30, -v3
	v_mul_f32_e32 v3, v5, v33
	v_add_f32_e32 v2, v6, v2
	s_waitcnt lgkmcnt(0)
	v_mul_f32_e32 v43, v34, v39
	v_fmac_f32_e32 v43, v35, v38
	v_add_f32_e32 v42, v42, v43
	v_mul_f32_e32 v43, v36, v41
	v_fmac_f32_e32 v43, v37, v40
	v_add_f32_e32 v50, v42, v43
	ds_read_b128 v[42:45], v110 offset:512
	v_fma_f32 v3, v4, v32, -v3
	v_add_f32_e32 v2, v2, v3
	v_mul_f32_e32 v3, v35, v39
	v_fma_f32 v3, v34, v38, -v3
	s_waitcnt lgkmcnt(0)
	v_mul_f32_e32 v51, v42, v47
	v_fmac_f32_e32 v51, v43, v46
	v_add_f32_e32 v50, v50, v51
	v_mul_f32_e32 v51, v44, v49
	v_fmac_f32_e32 v51, v45, v48
	v_add_f32_e32 v58, v50, v51
	ds_read_b128 v[50:53], v110 offset:528
	v_add_f32_e32 v2, v2, v3
	v_mul_f32_e32 v3, v37, v41
	v_fma_f32 v3, v36, v40, -v3
	v_add_f32_e32 v2, v2, v3
	s_waitcnt lgkmcnt(0)
	v_mul_f32_e32 v59, v50, v55
	v_fmac_f32_e32 v59, v51, v54
	v_add_f32_e32 v58, v58, v59
	v_mul_f32_e32 v59, v52, v57
	v_fmac_f32_e32 v59, v53, v56
	v_add_f32_e32 v66, v58, v59
	ds_read_b128 v[58:61], v110 offset:544
	v_mul_f32_e32 v3, v43, v47
	v_fma_f32 v3, v42, v46, -v3
	v_add_f32_e32 v2, v2, v3
	v_mul_f32_e32 v3, v45, v49
	s_waitcnt lgkmcnt(0)
	v_mul_f32_e32 v67, v58, v63
	v_fmac_f32_e32 v67, v59, v62
	v_add_f32_e32 v66, v66, v67
	v_mul_f32_e32 v67, v60, v65
	v_fmac_f32_e32 v67, v61, v64
	v_add_f32_e32 v74, v66, v67
	ds_read_b128 v[66:69], v110 offset:560
	v_fma_f32 v3, v44, v48, -v3
	v_add_f32_e32 v2, v2, v3
	v_mul_f32_e32 v3, v51, v55
	v_fma_f32 v3, v50, v54, -v3
	s_waitcnt lgkmcnt(0)
	v_mul_f32_e32 v75, v66, v71
	v_fmac_f32_e32 v75, v67, v70
	v_add_f32_e32 v74, v74, v75
	v_mul_f32_e32 v75, v68, v73
	v_fmac_f32_e32 v75, v69, v72
	v_add_f32_e32 v82, v74, v75
	ds_read_b128 v[74:77], v110 offset:576
	v_add_f32_e32 v2, v2, v3
	v_mul_f32_e32 v3, v53, v57
	v_fma_f32 v3, v52, v56, -v3
	v_add_f32_e32 v2, v2, v3
	s_waitcnt lgkmcnt(0)
	v_mul_f32_e32 v83, v74, v79
	v_fmac_f32_e32 v83, v75, v78
	v_add_f32_e32 v82, v82, v83
	v_mul_f32_e32 v83, v76, v81
	v_fmac_f32_e32 v83, v77, v80
	v_add_f32_e32 v90, v82, v83
	ds_read_b128 v[82:85], v110 offset:592
	v_mul_f32_e32 v3, v59, v63
	v_fma_f32 v3, v58, v62, -v3
	v_add_f32_e32 v2, v2, v3
	v_mul_f32_e32 v3, v61, v65
	;; [unrolled: 36-line block ×4, first 2 shown]
	s_waitcnt lgkmcnt(0)
	v_mul_f32_e32 v136, v132, v225
	v_fmac_f32_e32 v136, v133, v224
	v_add_f32_e32 v111, v111, v136
	v_mul_f32_e32 v136, v134, v227
	v_fmac_f32_e32 v136, v135, v226
	v_add_f32_e32 v111, v111, v136
	v_mul_f32_e32 v136, v228, v233
	v_fmac_f32_e32 v136, v229, v232
	v_add_f32_e32 v111, v111, v136
	v_mul_f32_e32 v136, v230, v235
	v_fmac_f32_e32 v136, v231, v234
	v_add_f32_e32 v141, v111, v136
	scratch_load_dwordx4 v[244:247], off, off offset:336
	scratch_load_dwordx4 v[248:251], off, off offset:352
	;; [unrolled: 1-line block ×4, first 2 shown]
	v_fma_f32 v3, v92, v96, -v3
	v_add_f32_e32 v2, v2, v3
	v_mul_f32_e32 v3, v99, v103
	v_fma_f32 v3, v98, v102, -v3
	v_add_f32_e32 v2, v2, v3
	v_mul_f32_e32 v3, v101, v105
	;; [unrolled: 3-line block ×13, first 2 shown]
	v_fma_f32 v142, v236, v240, -v2
	v_mul_f32_e32 v2, v239, v243
	v_fma_f32 v144, v238, v242, -v2
	ds_read_b128 v[2:5], v110 offset:736
	ds_read_b128 v[6:9], v110 offset:752
	ds_read_b128 v[10:13], v110 offset:768
	ds_read_b128 v[14:17], v110 offset:784
	v_pk_add_f32 v[18:19], v[140:141], v[142:143]
	s_waitcnt vmcnt(3) lgkmcnt(3)
	v_pk_mul_f32 v[20:21], v[2:3], v[244:245] op_sel:[1,1] op_sel_hi:[0,1]
	v_pk_fma_f32 v[22:23], v[2:3], v[244:245], v[20:21] neg_lo:[0,0,1] neg_hi:[0,0,1]
	v_pk_fma_f32 v[2:3], v[2:3], v[244:245], v[20:21] op_sel_hi:[1,0,1]
	v_pk_add_f32 v[18:19], v[18:19], v[144:145]
	v_mov_b32_e32 v23, v3
	v_pk_add_f32 v[2:3], v[18:19], v[22:23]
	v_mov_b32_e32 v18, v247
	v_pk_mul_f32 v[18:19], v[4:5], v[18:19] op_sel:[1,0] op_sel_hi:[0,0]
	v_pk_fma_f32 v[20:21], v[4:5], v[246:247], v[18:19] neg_lo:[0,0,1] neg_hi:[0,0,1]
	v_pk_fma_f32 v[4:5], v[4:5], v[246:247], v[18:19] op_sel_hi:[1,0,1]
	s_nop 0
	v_mov_b32_e32 v21, v5
	s_waitcnt vmcnt(2) lgkmcnt(2)
	v_pk_mul_f32 v[4:5], v[6:7], v[248:249] op_sel:[1,1] op_sel_hi:[0,1]
	v_pk_fma_f32 v[18:19], v[6:7], v[248:249], v[4:5] neg_lo:[0,0,1] neg_hi:[0,0,1]
	v_pk_fma_f32 v[4:5], v[6:7], v[248:249], v[4:5] op_sel_hi:[1,0,1]
	v_pk_add_f32 v[2:3], v[2:3], v[20:21]
	v_mov_b32_e32 v4, v251
	v_mov_b32_e32 v19, v5
	v_pk_mul_f32 v[4:5], v[8:9], v[4:5] op_sel:[1,0] op_sel_hi:[0,0]
	v_pk_fma_f32 v[6:7], v[8:9], v[250:251], v[4:5] neg_lo:[0,0,1] neg_hi:[0,0,1]
	v_pk_fma_f32 v[4:5], v[8:9], v[250:251], v[4:5] op_sel_hi:[1,0,1]
	v_pk_add_f32 v[2:3], v[2:3], v[18:19]
	v_mov_b32_e32 v7, v5
	s_waitcnt vmcnt(1) lgkmcnt(1)
	v_pk_mul_f32 v[4:5], v[10:11], v[252:253] op_sel:[1,1] op_sel_hi:[0,1]
	v_pk_add_f32 v[2:3], v[2:3], v[6:7]
	v_pk_fma_f32 v[6:7], v[10:11], v[252:253], v[4:5] neg_lo:[0,0,1] neg_hi:[0,0,1]
	v_pk_fma_f32 v[4:5], v[10:11], v[252:253], v[4:5] op_sel_hi:[1,0,1]
	s_nop 0
	v_mov_b32_e32 v4, v255
	v_mov_b32_e32 v7, v5
	v_pk_mul_f32 v[4:5], v[12:13], v[4:5] op_sel:[1,0] op_sel_hi:[0,0]
	v_pk_add_f32 v[2:3], v[2:3], v[6:7]
	v_pk_fma_f32 v[6:7], v[12:13], v[254:255], v[4:5] neg_lo:[0,0,1] neg_hi:[0,0,1]
	v_pk_fma_f32 v[4:5], v[12:13], v[254:255], v[4:5] op_sel_hi:[1,0,1]
	s_nop 0
	v_mov_b32_e32 v7, v5
	s_waitcnt vmcnt(0) lgkmcnt(0)
	v_pk_mul_f32 v[4:5], v[14:15], v[136:137] op_sel:[1,1] op_sel_hi:[0,1]
	v_pk_add_f32 v[2:3], v[2:3], v[6:7]
	v_pk_fma_f32 v[6:7], v[14:15], v[136:137], v[4:5] neg_lo:[0,0,1] neg_hi:[0,0,1]
	v_pk_fma_f32 v[4:5], v[14:15], v[136:137], v[4:5] op_sel_hi:[1,0,1]
	s_nop 0
	v_mov_b32_e32 v4, v139
	v_mov_b32_e32 v7, v5
	v_pk_mul_f32 v[4:5], v[16:17], v[4:5] op_sel:[1,0] op_sel_hi:[0,0]
	v_pk_add_f32 v[2:3], v[2:3], v[6:7]
	v_pk_fma_f32 v[6:7], v[16:17], v[138:139], v[4:5] neg_lo:[0,0,1] neg_hi:[0,0,1]
	v_pk_fma_f32 v[4:5], v[16:17], v[138:139], v[4:5] op_sel_hi:[1,0,1]
	s_nop 0
	v_mov_b32_e32 v7, v5
	scratch_load_dwordx2 v[4:5], off, off offset:24
	v_pk_add_f32 v[2:3], v[2:3], v[6:7]
	s_waitcnt vmcnt(0)
	v_pk_add_f32 v[2:3], v[4:5], v[2:3] neg_lo:[0,1] neg_hi:[0,1]
	scratch_store_dwordx2 off, v[2:3], off offset:24
	s_and_saveexec_b64 s[0:1], vcc
	s_cbranch_execz .LBB49_309
; %bb.308:
	scratch_load_dwordx2 v[2:3], off, off offset:16
	v_mov_b32_e32 v4, 0
	v_mov_b32_e32 v5, v4
	scratch_store_dwordx2 off, v[4:5], off offset:16
	s_waitcnt vmcnt(1)
	ds_write_b64 v1, v[2:3]
.LBB49_309:
	s_or_b64 exec, exec, s[0:1]
	s_waitcnt lgkmcnt(0)
	; wave barrier
	scratch_load_dwordx4 v[6:9], off, off offset:24
	scratch_load_dwordx4 v[14:17], off, off offset:40
	;; [unrolled: 1-line block ×10, first 2 shown]
	v_mov_b32_e32 v118, 0
	ds_read2_b64 v[2:5], v118 offset0:53 offset1:54
	ds_read2_b64 v[224:227], v118 offset0:87 offset1:88
	scratch_load_dwordx4 v[86:89], off, off offset:184
	scratch_load_dwordx4 v[94:97], off, off offset:200
	;; [unrolled: 1-line block ×10, first 2 shown]
	v_cmp_lt_u32_e32 vcc, 1, v0
	ds_read2_b64 v[232:235], v118 offset0:89 offset1:90
	ds_read2_b64 v[240:243], v118 offset0:91 offset1:92
	s_waitcnt vmcnt(19) lgkmcnt(3)
	v_mul_f32_e32 v10, v2, v7
	v_fmac_f32_e32 v10, v3, v6
	v_mul_f32_e32 v11, v4, v9
	v_add_f32_e32 v10, 0, v10
	v_fmac_f32_e32 v11, v5, v8
	v_add_f32_e32 v18, v10, v11
	ds_read2_b64 v[10:13], v118 offset0:55 offset1:56
	v_mul_f32_e32 v3, v3, v7
	v_fma_f32 v2, v2, v6, -v3
	v_mul_f32_e32 v3, v5, v9
	v_add_f32_e32 v2, 0, v2
	s_waitcnt vmcnt(18) lgkmcnt(0)
	v_mul_f32_e32 v19, v10, v15
	v_fmac_f32_e32 v19, v11, v14
	v_add_f32_e32 v18, v18, v19
	v_mul_f32_e32 v19, v12, v17
	v_fmac_f32_e32 v19, v13, v16
	v_add_f32_e32 v26, v18, v19
	ds_read2_b64 v[18:21], v118 offset0:57 offset1:58
	v_fma_f32 v3, v4, v8, -v3
	v_add_f32_e32 v2, v2, v3
	v_mul_f32_e32 v3, v11, v15
	v_fma_f32 v3, v10, v14, -v3
	s_waitcnt vmcnt(17) lgkmcnt(0)
	v_mul_f32_e32 v27, v18, v23
	v_fmac_f32_e32 v27, v19, v22
	v_add_f32_e32 v26, v26, v27
	v_mul_f32_e32 v27, v20, v25
	v_fmac_f32_e32 v27, v21, v24
	v_add_f32_e32 v34, v26, v27
	ds_read2_b64 v[26:29], v118 offset0:59 offset1:60
	v_add_f32_e32 v2, v2, v3
	v_mul_f32_e32 v3, v13, v17
	v_fma_f32 v3, v12, v16, -v3
	v_add_f32_e32 v2, v2, v3
	s_waitcnt vmcnt(16) lgkmcnt(0)
	v_mul_f32_e32 v35, v26, v31
	v_fmac_f32_e32 v35, v27, v30
	v_add_f32_e32 v34, v34, v35
	v_mul_f32_e32 v35, v28, v33
	v_fmac_f32_e32 v35, v29, v32
	v_add_f32_e32 v42, v34, v35
	ds_read2_b64 v[34:37], v118 offset0:61 offset1:62
	v_mul_f32_e32 v3, v19, v23
	v_fma_f32 v3, v18, v22, -v3
	v_add_f32_e32 v2, v2, v3
	v_mul_f32_e32 v3, v21, v25
	s_waitcnt vmcnt(15) lgkmcnt(0)
	v_mul_f32_e32 v43, v34, v39
	v_fmac_f32_e32 v43, v35, v38
	v_add_f32_e32 v42, v42, v43
	v_mul_f32_e32 v43, v36, v41
	v_fmac_f32_e32 v43, v37, v40
	v_add_f32_e32 v50, v42, v43
	ds_read2_b64 v[42:45], v118 offset0:63 offset1:64
	v_fma_f32 v3, v20, v24, -v3
	v_add_f32_e32 v2, v2, v3
	v_mul_f32_e32 v3, v27, v31
	v_fma_f32 v3, v26, v30, -v3
	s_waitcnt vmcnt(14) lgkmcnt(0)
	v_mul_f32_e32 v51, v42, v47
	v_fmac_f32_e32 v51, v43, v46
	v_add_f32_e32 v50, v50, v51
	v_mul_f32_e32 v51, v44, v49
	v_fmac_f32_e32 v51, v45, v48
	v_add_f32_e32 v58, v50, v51
	ds_read2_b64 v[50:53], v118 offset0:65 offset1:66
	v_add_f32_e32 v2, v2, v3
	v_mul_f32_e32 v3, v29, v33
	v_fma_f32 v3, v28, v32, -v3
	v_add_f32_e32 v2, v2, v3
	s_waitcnt vmcnt(13) lgkmcnt(0)
	v_mul_f32_e32 v59, v50, v55
	v_fmac_f32_e32 v59, v51, v54
	v_add_f32_e32 v58, v58, v59
	v_mul_f32_e32 v59, v52, v57
	v_fmac_f32_e32 v59, v53, v56
	v_add_f32_e32 v66, v58, v59
	ds_read2_b64 v[58:61], v118 offset0:67 offset1:68
	v_mul_f32_e32 v3, v35, v39
	v_fma_f32 v3, v34, v38, -v3
	v_add_f32_e32 v2, v2, v3
	v_mul_f32_e32 v3, v37, v41
	;; [unrolled: 36-line block ×5, first 2 shown]
	s_waitcnt vmcnt(3) lgkmcnt(0)
	v_mul_f32_e32 v140, v132, v137
	v_fmac_f32_e32 v140, v133, v136
	v_add_f32_e32 v119, v119, v140
	v_mul_f32_e32 v140, v134, v139
	v_fmac_f32_e32 v140, v135, v138
	v_add_f32_e32 v119, v119, v140
	s_waitcnt vmcnt(2)
	v_mul_f32_e32 v140, v224, v229
	v_fmac_f32_e32 v140, v225, v228
	v_add_f32_e32 v119, v119, v140
	v_mul_f32_e32 v140, v226, v231
	v_fmac_f32_e32 v140, v227, v230
	v_add_f32_e32 v119, v119, v140
	s_waitcnt vmcnt(1)
	v_mul_f32_e32 v140, v232, v237
	v_fmac_f32_e32 v140, v233, v236
	v_add_f32_e32 v145, v119, v140
	scratch_load_dwordx4 v[248:251], off, off offset:344
	scratch_load_dwordx4 v[252:255], off, off offset:360
	;; [unrolled: 1-line block ×3, first 2 shown]
	scratch_load_dwordx2 v[150:151], off, off offset:392
	v_fma_f32 v3, v84, v88, -v3
	v_add_f32_e32 v2, v2, v3
	v_mul_f32_e32 v3, v91, v95
	v_fma_f32 v3, v90, v94, -v3
	v_add_f32_e32 v2, v2, v3
	v_mul_f32_e32 v3, v93, v97
	;; [unrolled: 3-line block ×16, first 2 shown]
	v_mul_f32_e32 v147, v234, v239
	v_fma_f32 v146, v234, v238, -v2
	s_waitcnt vmcnt(4)
	v_mul_f32_e32 v2, v241, v245
	v_mov_b32_e32 v18, v247
	v_fmac_f32_e32 v147, v235, v238
	v_mul_f32_e32 v149, v240, v245
	v_fma_f32 v148, v240, v244, -v2
	ds_read2_b64 v[2:5], v118 offset0:93 offset1:94
	ds_read2_b64 v[6:9], v118 offset0:95 offset1:96
	;; [unrolled: 1-line block ×3, first 2 shown]
	ds_read_b64 v[14:15], v118 offset:792
	v_pk_mul_f32 v[18:19], v[242:243], v[18:19] op_sel:[1,0] op_sel_hi:[0,0]
	v_fmac_f32_e32 v149, v241, v244
	v_pk_add_f32 v[16:17], v[144:145], v[146:147]
	v_pk_fma_f32 v[20:21], v[242:243], v[246:247], v[18:19] neg_lo:[0,0,1] neg_hi:[0,0,1]
	v_pk_fma_f32 v[18:19], v[242:243], v[246:247], v[18:19] op_sel_hi:[1,0,1]
	v_pk_add_f32 v[16:17], v[16:17], v[148:149]
	v_mov_b32_e32 v21, v19
	v_pk_add_f32 v[16:17], v[16:17], v[20:21]
	s_waitcnt vmcnt(3) lgkmcnt(3)
	v_pk_mul_f32 v[18:19], v[2:3], v[248:249] op_sel:[1,1] op_sel_hi:[0,1]
	v_pk_fma_f32 v[20:21], v[2:3], v[248:249], v[18:19] neg_lo:[0,0,1] neg_hi:[0,0,1]
	v_pk_fma_f32 v[2:3], v[2:3], v[248:249], v[18:19] op_sel_hi:[1,0,1]
	s_nop 0
	v_mov_b32_e32 v21, v3
	v_pk_add_f32 v[2:3], v[16:17], v[20:21]
	v_mov_b32_e32 v16, v251
	v_pk_mul_f32 v[16:17], v[4:5], v[16:17] op_sel:[1,0] op_sel_hi:[0,0]
	v_pk_fma_f32 v[18:19], v[4:5], v[250:251], v[16:17] neg_lo:[0,0,1] neg_hi:[0,0,1]
	v_pk_fma_f32 v[4:5], v[4:5], v[250:251], v[16:17] op_sel_hi:[1,0,1]
	s_nop 0
	v_mov_b32_e32 v19, v5
	s_waitcnt vmcnt(2) lgkmcnt(2)
	v_pk_mul_f32 v[4:5], v[6:7], v[252:253] op_sel:[1,1] op_sel_hi:[0,1]
	v_pk_fma_f32 v[16:17], v[6:7], v[252:253], v[4:5] neg_lo:[0,0,1] neg_hi:[0,0,1]
	v_pk_fma_f32 v[4:5], v[6:7], v[252:253], v[4:5] op_sel_hi:[1,0,1]
	v_pk_add_f32 v[2:3], v[2:3], v[18:19]
	v_mov_b32_e32 v4, v255
	v_mov_b32_e32 v17, v5
	v_pk_mul_f32 v[4:5], v[8:9], v[4:5] op_sel:[1,0] op_sel_hi:[0,0]
	v_pk_fma_f32 v[6:7], v[8:9], v[254:255], v[4:5] neg_lo:[0,0,1] neg_hi:[0,0,1]
	v_pk_fma_f32 v[4:5], v[8:9], v[254:255], v[4:5] op_sel_hi:[1,0,1]
	v_pk_add_f32 v[2:3], v[2:3], v[16:17]
	v_mov_b32_e32 v7, v5
	s_waitcnt vmcnt(1) lgkmcnt(1)
	v_pk_mul_f32 v[4:5], v[10:11], v[140:141] op_sel:[1,1] op_sel_hi:[0,1]
	v_pk_add_f32 v[2:3], v[2:3], v[6:7]
	v_pk_fma_f32 v[6:7], v[10:11], v[140:141], v[4:5] neg_lo:[0,0,1] neg_hi:[0,0,1]
	v_pk_fma_f32 v[4:5], v[10:11], v[140:141], v[4:5] op_sel_hi:[1,0,1]
	s_nop 0
	v_mov_b32_e32 v4, v143
	v_mov_b32_e32 v7, v5
	v_pk_mul_f32 v[4:5], v[12:13], v[4:5] op_sel:[1,0] op_sel_hi:[0,0]
	v_pk_add_f32 v[2:3], v[2:3], v[6:7]
	v_pk_fma_f32 v[6:7], v[12:13], v[142:143], v[4:5] neg_lo:[0,0,1] neg_hi:[0,0,1]
	v_pk_fma_f32 v[4:5], v[12:13], v[142:143], v[4:5] op_sel_hi:[1,0,1]
	s_nop 0
	v_mov_b32_e32 v7, v5
	s_waitcnt vmcnt(0) lgkmcnt(0)
	v_pk_mul_f32 v[4:5], v[14:15], v[150:151] op_sel:[1,1] op_sel_hi:[0,1]
	v_pk_add_f32 v[2:3], v[2:3], v[6:7]
	v_pk_fma_f32 v[6:7], v[14:15], v[150:151], v[4:5] neg_lo:[0,0,1] neg_hi:[0,0,1]
	v_pk_fma_f32 v[4:5], v[14:15], v[150:151], v[4:5] op_sel_hi:[1,0,1]
	s_nop 0
	v_mov_b32_e32 v7, v5
	scratch_load_dwordx2 v[4:5], off, off offset:16
	v_pk_add_f32 v[2:3], v[2:3], v[6:7]
	s_waitcnt vmcnt(0)
	v_pk_add_f32 v[2:3], v[4:5], v[2:3] neg_lo:[0,1] neg_hi:[0,1]
	scratch_store_dwordx2 off, v[2:3], off offset:16
	s_and_saveexec_b64 s[0:1], vcc
	s_cbranch_execz .LBB49_311
; %bb.310:
	scratch_load_dwordx2 v[2:3], off, off offset:8
	v_mov_b32_e32 v119, v118
	scratch_store_dwordx2 off, v[118:119], off offset:8
	s_waitcnt vmcnt(1)
	ds_write_b64 v1, v[2:3]
.LBB49_311:
	s_or_b64 exec, exec, s[0:1]
	s_waitcnt lgkmcnt(0)
	; wave barrier
	ds_read_b128 v[14:17], v118 offset:416
	ds_read_b128 v[10:13], v118 offset:432
	;; [unrolled: 1-line block ×4, first 2 shown]
	scratch_load_dwordx4 v[18:21], off, off offset:16
	scratch_load_dwordx4 v[38:41], off, off offset:80
	;; [unrolled: 1-line block ×14, first 2 shown]
	v_cmp_ne_u32_e32 vcc, 0, v0
	scratch_load_dwordx4 v[46:49], off, off offset:96
	scratch_load_dwordx4 v[54:57], off, off offset:112
	;; [unrolled: 1-line block ×3, first 2 shown]
	ds_read_b128 v[228:231], v118 offset:704
	ds_read_b128 v[236:239], v118 offset:720
	s_waitcnt vmcnt(16) lgkmcnt(5)
	v_mul_f32_e32 v22, v14, v19
	v_fmac_f32_e32 v22, v15, v18
	v_mul_f32_e32 v23, v16, v21
	v_add_f32_e32 v22, 0, v22
	v_fmac_f32_e32 v23, v17, v20
	v_add_f32_e32 v26, v22, v23
	scratch_load_dwordx4 v[22:25], off, off offset:32
	v_mul_f32_e32 v15, v15, v19
	v_fma_f32 v14, v14, v18, -v15
	v_mul_f32_e32 v15, v17, v21
	v_add_f32_e32 v14, 0, v14
	v_fma_f32 v15, v16, v20, -v15
	v_add_f32_e32 v14, v14, v15
	s_waitcnt vmcnt(4) lgkmcnt(0)
	v_mul_f32_e32 v151, v236, v241
	v_mul_f32_e32 v153, v238, v243
	v_fmac_f32_e32 v151, v237, v240
	v_fmac_f32_e32 v153, v239, v242
	s_waitcnt vmcnt(0)
	v_mul_f32_e32 v27, v10, v23
	v_fmac_f32_e32 v27, v11, v22
	v_add_f32_e32 v26, v26, v27
	v_mul_f32_e32 v27, v12, v25
	v_fmac_f32_e32 v27, v13, v24
	v_add_f32_e32 v30, v26, v27
	scratch_load_dwordx4 v[26:29], off, off offset:48
	v_mul_f32_e32 v11, v11, v23
	v_fma_f32 v10, v10, v22, -v11
	v_mul_f32_e32 v11, v13, v25
	v_add_f32_e32 v10, v14, v10
	v_fma_f32 v11, v12, v24, -v11
	v_add_f32_e32 v10, v10, v11
	s_waitcnt vmcnt(0)
	v_mul_f32_e32 v31, v6, v27
	v_fmac_f32_e32 v31, v7, v26
	v_add_f32_e32 v30, v30, v31
	v_mul_f32_e32 v31, v8, v29
	v_fmac_f32_e32 v31, v9, v28
	v_add_f32_e32 v34, v30, v31
	scratch_load_dwordx4 v[30:33], off, off offset:64
	v_mul_f32_e32 v7, v7, v27
	v_fma_f32 v6, v6, v26, -v7
	v_mul_f32_e32 v7, v9, v29
	v_add_f32_e32 v6, v10, v6
	v_fma_f32 v7, v8, v28, -v7
	v_add_f32_e32 v6, v6, v7
	s_waitcnt vmcnt(0)
	v_mul_f32_e32 v35, v2, v31
	v_fmac_f32_e32 v35, v3, v30
	v_add_f32_e32 v34, v34, v35
	v_mul_f32_e32 v35, v4, v33
	v_fmac_f32_e32 v35, v5, v32
	v_add_f32_e32 v42, v34, v35
	ds_read_b128 v[34:37], v118 offset:480
	v_mul_f32_e32 v3, v3, v31
	v_fma_f32 v2, v2, v30, -v3
	v_mul_f32_e32 v3, v5, v33
	v_add_f32_e32 v2, v6, v2
	s_waitcnt lgkmcnt(0)
	v_mul_f32_e32 v43, v34, v39
	v_fmac_f32_e32 v43, v35, v38
	v_add_f32_e32 v42, v42, v43
	v_mul_f32_e32 v43, v36, v41
	v_fmac_f32_e32 v43, v37, v40
	v_add_f32_e32 v50, v42, v43
	ds_read_b128 v[42:45], v118 offset:496
	v_fma_f32 v3, v4, v32, -v3
	v_add_f32_e32 v2, v2, v3
	v_mul_f32_e32 v3, v35, v39
	v_fma_f32 v3, v34, v38, -v3
	s_waitcnt lgkmcnt(0)
	v_mul_f32_e32 v51, v42, v47
	v_fmac_f32_e32 v51, v43, v46
	v_add_f32_e32 v50, v50, v51
	v_mul_f32_e32 v51, v44, v49
	v_fmac_f32_e32 v51, v45, v48
	v_add_f32_e32 v58, v50, v51
	ds_read_b128 v[50:53], v118 offset:512
	v_add_f32_e32 v2, v2, v3
	v_mul_f32_e32 v3, v37, v41
	v_fma_f32 v3, v36, v40, -v3
	v_add_f32_e32 v2, v2, v3
	s_waitcnt lgkmcnt(0)
	v_mul_f32_e32 v59, v50, v55
	v_fmac_f32_e32 v59, v51, v54
	v_add_f32_e32 v58, v58, v59
	v_mul_f32_e32 v59, v52, v57
	v_fmac_f32_e32 v59, v53, v56
	v_add_f32_e32 v66, v58, v59
	ds_read_b128 v[58:61], v118 offset:528
	v_mul_f32_e32 v3, v43, v47
	v_fma_f32 v3, v42, v46, -v3
	v_add_f32_e32 v2, v2, v3
	v_mul_f32_e32 v3, v45, v49
	s_waitcnt lgkmcnt(0)
	v_mul_f32_e32 v67, v58, v63
	v_fmac_f32_e32 v67, v59, v62
	v_add_f32_e32 v66, v66, v67
	v_mul_f32_e32 v67, v60, v65
	v_fmac_f32_e32 v67, v61, v64
	v_add_f32_e32 v74, v66, v67
	ds_read_b128 v[66:69], v118 offset:544
	v_fma_f32 v3, v44, v48, -v3
	v_add_f32_e32 v2, v2, v3
	v_mul_f32_e32 v3, v51, v55
	v_fma_f32 v3, v50, v54, -v3
	s_waitcnt lgkmcnt(0)
	v_mul_f32_e32 v75, v66, v71
	v_fmac_f32_e32 v75, v67, v70
	v_add_f32_e32 v74, v74, v75
	v_mul_f32_e32 v75, v68, v73
	v_fmac_f32_e32 v75, v69, v72
	v_add_f32_e32 v82, v74, v75
	ds_read_b128 v[74:77], v118 offset:560
	v_add_f32_e32 v2, v2, v3
	v_mul_f32_e32 v3, v53, v57
	v_fma_f32 v3, v52, v56, -v3
	v_add_f32_e32 v2, v2, v3
	s_waitcnt lgkmcnt(0)
	v_mul_f32_e32 v83, v74, v79
	v_fmac_f32_e32 v83, v75, v78
	v_add_f32_e32 v82, v82, v83
	v_mul_f32_e32 v83, v76, v81
	v_fmac_f32_e32 v83, v77, v80
	v_add_f32_e32 v90, v82, v83
	ds_read_b128 v[82:85], v118 offset:576
	v_mul_f32_e32 v3, v59, v63
	v_fma_f32 v3, v58, v62, -v3
	v_add_f32_e32 v2, v2, v3
	v_mul_f32_e32 v3, v61, v65
	;; [unrolled: 36-line block ×4, first 2 shown]
	s_waitcnt lgkmcnt(0)
	v_mul_f32_e32 v140, v132, v137
	v_fmac_f32_e32 v140, v133, v136
	v_add_f32_e32 v119, v119, v140
	v_mul_f32_e32 v140, v134, v139
	v_fmac_f32_e32 v140, v135, v138
	v_add_f32_e32 v119, v119, v140
	ds_read_b128 v[140:143], v118 offset:688
	v_fma_f32 v3, v92, v96, -v3
	v_add_f32_e32 v2, v2, v3
	v_mul_f32_e32 v3, v99, v103
	v_fma_f32 v3, v98, v102, -v3
	s_waitcnt lgkmcnt(0)
	v_mul_f32_e32 v144, v140, v225
	v_fmac_f32_e32 v144, v141, v224
	v_add_f32_e32 v119, v119, v144
	v_mul_f32_e32 v144, v142, v227
	v_fmac_f32_e32 v144, v143, v226
	v_add_f32_e32 v119, v119, v144
	;; [unrolled: 3-line block ×4, first 2 shown]
	scratch_load_dwordx4 v[244:247], off, off offset:336
	scratch_load_dwordx4 v[248:251], off, off offset:352
	;; [unrolled: 1-line block ×4, first 2 shown]
	v_add_f32_e32 v2, v2, v3
	v_mul_f32_e32 v3, v101, v105
	v_fma_f32 v3, v100, v104, -v3
	v_add_f32_e32 v2, v2, v3
	v_mul_f32_e32 v3, v107, v111
	v_fma_f32 v3, v106, v110, -v3
	;; [unrolled: 3-line block ×14, first 2 shown]
	v_mul_f32_e32 v2, v239, v243
	v_fma_f32 v152, v238, v242, -v2
	ds_read_b128 v[2:5], v118 offset:736
	ds_read_b128 v[6:9], v118 offset:752
	;; [unrolled: 1-line block ×4, first 2 shown]
	v_pk_add_f32 v[18:19], v[148:149], v[150:151]
	s_waitcnt vmcnt(3) lgkmcnt(3)
	v_pk_mul_f32 v[20:21], v[2:3], v[244:245] op_sel:[1,1] op_sel_hi:[0,1]
	v_pk_fma_f32 v[22:23], v[2:3], v[244:245], v[20:21] neg_lo:[0,0,1] neg_hi:[0,0,1]
	v_pk_fma_f32 v[2:3], v[2:3], v[244:245], v[20:21] op_sel_hi:[1,0,1]
	v_pk_add_f32 v[18:19], v[18:19], v[152:153]
	v_mov_b32_e32 v23, v3
	v_pk_add_f32 v[2:3], v[18:19], v[22:23]
	v_mov_b32_e32 v18, v247
	v_pk_mul_f32 v[18:19], v[4:5], v[18:19] op_sel:[1,0] op_sel_hi:[0,0]
	v_pk_fma_f32 v[20:21], v[4:5], v[246:247], v[18:19] neg_lo:[0,0,1] neg_hi:[0,0,1]
	v_pk_fma_f32 v[4:5], v[4:5], v[246:247], v[18:19] op_sel_hi:[1,0,1]
	s_nop 0
	v_mov_b32_e32 v21, v5
	s_waitcnt vmcnt(2) lgkmcnt(2)
	v_pk_mul_f32 v[4:5], v[6:7], v[248:249] op_sel:[1,1] op_sel_hi:[0,1]
	v_pk_fma_f32 v[18:19], v[6:7], v[248:249], v[4:5] neg_lo:[0,0,1] neg_hi:[0,0,1]
	v_pk_fma_f32 v[4:5], v[6:7], v[248:249], v[4:5] op_sel_hi:[1,0,1]
	v_pk_add_f32 v[2:3], v[2:3], v[20:21]
	v_mov_b32_e32 v4, v251
	v_mov_b32_e32 v19, v5
	v_pk_mul_f32 v[4:5], v[8:9], v[4:5] op_sel:[1,0] op_sel_hi:[0,0]
	v_pk_fma_f32 v[6:7], v[8:9], v[250:251], v[4:5] neg_lo:[0,0,1] neg_hi:[0,0,1]
	v_pk_fma_f32 v[4:5], v[8:9], v[250:251], v[4:5] op_sel_hi:[1,0,1]
	v_pk_add_f32 v[2:3], v[2:3], v[18:19]
	v_mov_b32_e32 v7, v5
	s_waitcnt vmcnt(1) lgkmcnt(1)
	v_pk_mul_f32 v[4:5], v[10:11], v[252:253] op_sel:[1,1] op_sel_hi:[0,1]
	v_pk_add_f32 v[2:3], v[2:3], v[6:7]
	v_pk_fma_f32 v[6:7], v[10:11], v[252:253], v[4:5] neg_lo:[0,0,1] neg_hi:[0,0,1]
	v_pk_fma_f32 v[4:5], v[10:11], v[252:253], v[4:5] op_sel_hi:[1,0,1]
	s_nop 0
	v_mov_b32_e32 v4, v255
	v_mov_b32_e32 v7, v5
	v_pk_mul_f32 v[4:5], v[12:13], v[4:5] op_sel:[1,0] op_sel_hi:[0,0]
	v_pk_add_f32 v[2:3], v[2:3], v[6:7]
	v_pk_fma_f32 v[6:7], v[12:13], v[254:255], v[4:5] neg_lo:[0,0,1] neg_hi:[0,0,1]
	v_pk_fma_f32 v[4:5], v[12:13], v[254:255], v[4:5] op_sel_hi:[1,0,1]
	s_nop 0
	v_mov_b32_e32 v7, v5
	s_waitcnt vmcnt(0) lgkmcnt(0)
	v_pk_mul_f32 v[4:5], v[14:15], v[144:145] op_sel:[1,1] op_sel_hi:[0,1]
	v_pk_add_f32 v[2:3], v[2:3], v[6:7]
	v_pk_fma_f32 v[6:7], v[14:15], v[144:145], v[4:5] neg_lo:[0,0,1] neg_hi:[0,0,1]
	v_pk_fma_f32 v[4:5], v[14:15], v[144:145], v[4:5] op_sel_hi:[1,0,1]
	s_nop 0
	v_mov_b32_e32 v4, v147
	v_mov_b32_e32 v7, v5
	v_pk_mul_f32 v[4:5], v[16:17], v[4:5] op_sel:[1,0] op_sel_hi:[0,0]
	v_pk_add_f32 v[2:3], v[2:3], v[6:7]
	v_pk_fma_f32 v[6:7], v[16:17], v[146:147], v[4:5] neg_lo:[0,0,1] neg_hi:[0,0,1]
	v_pk_fma_f32 v[4:5], v[16:17], v[146:147], v[4:5] op_sel_hi:[1,0,1]
	s_nop 0
	v_mov_b32_e32 v7, v5
	scratch_load_dwordx2 v[4:5], off, off offset:8
	v_pk_add_f32 v[2:3], v[2:3], v[6:7]
	s_waitcnt vmcnt(0)
	v_pk_add_f32 v[2:3], v[4:5], v[2:3] neg_lo:[0,1] neg_hi:[0,1]
	scratch_store_dwordx2 off, v[2:3], off offset:8
	s_and_saveexec_b64 s[0:1], vcc
	s_cbranch_execz .LBB49_313
; %bb.312:
	scratch_load_dwordx2 v[2:3], off, off
	v_mov_b32_e32 v4, 0
	v_mov_b32_e32 v5, v4
	scratch_store_dwordx2 off, v[4:5], off
	s_waitcnt vmcnt(1)
	ds_write_b64 v1, v[2:3]
.LBB49_313:
	s_or_b64 exec, exec, s[0:1]
	s_waitcnt lgkmcnt(0)
	; wave barrier
	scratch_load_dwordx4 v[4:7], off, off offset:8
	scratch_load_dwordx4 v[12:15], off, off offset:24
	scratch_load_dwordx4 v[20:23], off, off offset:40
	scratch_load_dwordx4 v[28:31], off, off offset:56
	scratch_load_dwordx4 v[36:39], off, off offset:72
	scratch_load_dwordx4 v[44:47], off, off offset:88
	scratch_load_dwordx4 v[52:55], off, off offset:104
	scratch_load_dwordx4 v[60:63], off, off offset:120
	scratch_load_dwordx4 v[68:71], off, off offset:136
	scratch_load_dwordx4 v[76:79], off, off offset:152
	v_mov_b32_e32 v224, 0
	ds_read2_b64 v[0:3], v224 offset0:51 offset1:52
	ds_read2_b64 v[230:233], v224 offset0:89 offset1:90
	scratch_load_dwordx4 v[84:87], off, off offset:168
	scratch_load_dwordx4 v[92:95], off, off offset:184
	;; [unrolled: 1-line block ×11, first 2 shown]
	s_and_b64 vcc, exec, s[18:19]
	ds_read2_b64 v[238:241], v224 offset0:91 offset1:92
	s_waitcnt vmcnt(20) lgkmcnt(2)
	v_mul_f32_e32 v8, v0, v5
	v_fmac_f32_e32 v8, v1, v4
	v_mul_f32_e32 v9, v2, v7
	v_add_f32_e32 v8, 0, v8
	v_fmac_f32_e32 v9, v3, v6
	v_add_f32_e32 v16, v8, v9
	ds_read2_b64 v[8:11], v224 offset0:53 offset1:54
	v_mul_f32_e32 v1, v1, v5
	v_fma_f32 v0, v0, v4, -v1
	v_mul_f32_e32 v1, v3, v7
	v_add_f32_e32 v0, 0, v0
	s_waitcnt vmcnt(19) lgkmcnt(0)
	v_mul_f32_e32 v17, v8, v13
	v_fmac_f32_e32 v17, v9, v12
	v_add_f32_e32 v16, v16, v17
	v_mul_f32_e32 v17, v10, v15
	v_fmac_f32_e32 v17, v11, v14
	v_add_f32_e32 v24, v16, v17
	ds_read2_b64 v[16:19], v224 offset0:55 offset1:56
	v_fma_f32 v1, v2, v6, -v1
	v_add_f32_e32 v0, v0, v1
	v_mul_f32_e32 v1, v9, v13
	v_fma_f32 v1, v8, v12, -v1
	s_waitcnt vmcnt(18) lgkmcnt(0)
	v_mul_f32_e32 v25, v16, v21
	v_fmac_f32_e32 v25, v17, v20
	v_add_f32_e32 v24, v24, v25
	v_mul_f32_e32 v25, v18, v23
	v_fmac_f32_e32 v25, v19, v22
	v_add_f32_e32 v32, v24, v25
	ds_read2_b64 v[24:27], v224 offset0:57 offset1:58
	v_add_f32_e32 v0, v0, v1
	v_mul_f32_e32 v1, v11, v15
	v_fma_f32 v1, v10, v14, -v1
	v_add_f32_e32 v0, v0, v1
	s_waitcnt vmcnt(17) lgkmcnt(0)
	v_mul_f32_e32 v33, v24, v29
	v_fmac_f32_e32 v33, v25, v28
	v_add_f32_e32 v32, v32, v33
	v_mul_f32_e32 v33, v26, v31
	v_fmac_f32_e32 v33, v27, v30
	v_add_f32_e32 v40, v32, v33
	ds_read2_b64 v[32:35], v224 offset0:59 offset1:60
	v_mul_f32_e32 v1, v17, v21
	v_fma_f32 v1, v16, v20, -v1
	v_add_f32_e32 v0, v0, v1
	v_mul_f32_e32 v1, v19, v23
	s_waitcnt vmcnt(16) lgkmcnt(0)
	v_mul_f32_e32 v41, v32, v37
	v_fmac_f32_e32 v41, v33, v36
	v_add_f32_e32 v40, v40, v41
	v_mul_f32_e32 v41, v34, v39
	v_fmac_f32_e32 v41, v35, v38
	v_add_f32_e32 v48, v40, v41
	ds_read2_b64 v[40:43], v224 offset0:61 offset1:62
	v_fma_f32 v1, v18, v22, -v1
	v_add_f32_e32 v0, v0, v1
	v_mul_f32_e32 v1, v25, v29
	v_fma_f32 v1, v24, v28, -v1
	s_waitcnt vmcnt(15) lgkmcnt(0)
	v_mul_f32_e32 v49, v40, v45
	v_fmac_f32_e32 v49, v41, v44
	v_add_f32_e32 v48, v48, v49
	v_mul_f32_e32 v49, v42, v47
	v_fmac_f32_e32 v49, v43, v46
	v_add_f32_e32 v56, v48, v49
	ds_read2_b64 v[48:51], v224 offset0:63 offset1:64
	v_add_f32_e32 v0, v0, v1
	v_mul_f32_e32 v1, v27, v31
	v_fma_f32 v1, v26, v30, -v1
	v_add_f32_e32 v0, v0, v1
	s_waitcnt vmcnt(14) lgkmcnt(0)
	v_mul_f32_e32 v57, v48, v53
	v_fmac_f32_e32 v57, v49, v52
	v_add_f32_e32 v56, v56, v57
	v_mul_f32_e32 v57, v50, v55
	v_fmac_f32_e32 v57, v51, v54
	v_add_f32_e32 v64, v56, v57
	ds_read2_b64 v[56:59], v224 offset0:65 offset1:66
	v_mul_f32_e32 v1, v33, v37
	v_fma_f32 v1, v32, v36, -v1
	v_add_f32_e32 v0, v0, v1
	v_mul_f32_e32 v1, v35, v39
	;; [unrolled: 36-line block ×5, first 2 shown]
	s_waitcnt vmcnt(4) lgkmcnt(0)
	v_mul_f32_e32 v137, v128, v133
	v_fmac_f32_e32 v137, v129, v132
	v_add_f32_e32 v136, v136, v137
	v_mul_f32_e32 v137, v130, v135
	v_fmac_f32_e32 v137, v131, v134
	v_add_f32_e32 v144, v136, v137
	ds_read2_b64 v[136:139], v224 offset0:85 offset1:86
	v_fma_f32 v1, v82, v86, -v1
	v_add_f32_e32 v0, v0, v1
	v_mul_f32_e32 v1, v89, v93
	v_fma_f32 v1, v88, v92, -v1
	s_waitcnt vmcnt(3) lgkmcnt(0)
	v_mul_f32_e32 v145, v136, v141
	v_fmac_f32_e32 v145, v137, v140
	v_add_f32_e32 v144, v144, v145
	v_mul_f32_e32 v145, v138, v143
	v_fmac_f32_e32 v145, v139, v142
	v_add_f32_e32 v148, v144, v145
	ds_read2_b64 v[144:147], v224 offset0:87 offset1:88
	v_add_f32_e32 v0, v0, v1
	v_mul_f32_e32 v1, v91, v95
	v_fma_f32 v1, v90, v94, -v1
	v_add_f32_e32 v0, v0, v1
	s_waitcnt vmcnt(2) lgkmcnt(0)
	v_mul_f32_e32 v149, v144, v227
	v_fmac_f32_e32 v149, v145, v226
	v_add_f32_e32 v148, v148, v149
	v_mul_f32_e32 v149, v146, v229
	v_fmac_f32_e32 v149, v147, v228
	v_add_f32_e32 v148, v148, v149
	s_waitcnt vmcnt(1)
	v_mul_f32_e32 v149, v230, v235
	v_fmac_f32_e32 v149, v231, v234
	v_add_f32_e32 v153, v148, v149
	scratch_load_dwordx4 v[246:249], off, off offset:344
	scratch_load_dwordx4 v[250:253], off, off offset:360
	scratch_load_dwordx4 v[148:151], off, off offset:376
	scratch_load_dwordx2 v[156:157], off, off offset:392
	v_mul_f32_e32 v1, v97, v101
	v_fma_f32 v1, v96, v100, -v1
	v_add_f32_e32 v0, v0, v1
	v_mul_f32_e32 v1, v99, v103
	v_fma_f32 v1, v98, v102, -v1
	v_add_f32_e32 v0, v0, v1
	v_mul_f32_e32 v1, v105, v109
	v_fma_f32 v1, v104, v108, -v1
	v_add_f32_e32 v0, v0, v1
	v_mul_f32_e32 v1, v107, v111
	v_fma_f32 v1, v106, v110, -v1
	v_add_f32_e32 v0, v0, v1
	v_mul_f32_e32 v1, v113, v117
	v_fma_f32 v1, v112, v116, -v1
	v_add_f32_e32 v0, v0, v1
	v_mul_f32_e32 v1, v115, v119
	v_fma_f32 v1, v114, v118, -v1
	v_add_f32_e32 v0, v0, v1
	v_mul_f32_e32 v1, v121, v125
	v_fma_f32 v1, v120, v124, -v1
	v_add_f32_e32 v0, v0, v1
	v_mul_f32_e32 v1, v123, v127
	v_fma_f32 v1, v122, v126, -v1
	v_add_f32_e32 v0, v0, v1
	v_mul_f32_e32 v1, v129, v133
	v_fma_f32 v1, v128, v132, -v1
	v_add_f32_e32 v0, v0, v1
	v_mul_f32_e32 v1, v131, v135
	v_fma_f32 v1, v130, v134, -v1
	v_add_f32_e32 v0, v0, v1
	v_mul_f32_e32 v1, v137, v141
	v_fma_f32 v1, v136, v140, -v1
	v_add_f32_e32 v0, v0, v1
	v_mul_f32_e32 v1, v139, v143
	v_fma_f32 v1, v138, v142, -v1
	v_add_f32_e32 v0, v0, v1
	v_mul_f32_e32 v1, v145, v227
	v_fma_f32 v1, v144, v226, -v1
	v_add_f32_e32 v0, v0, v1
	v_mul_f32_e32 v1, v147, v229
	v_fma_f32 v1, v146, v228, -v1
	v_add_f32_e32 v0, v0, v1
	v_mul_f32_e32 v1, v231, v235
	v_fma_f32 v1, v230, v234, -v1
	v_add_f32_e32 v152, v0, v1
	v_mul_f32_e32 v0, v233, v237
	v_mul_f32_e32 v255, v232, v237
	v_fma_f32 v254, v232, v236, -v0
	s_waitcnt vmcnt(4)
	v_mul_f32_e32 v0, v239, v243
	v_mov_b32_e32 v16, v245
	v_fmac_f32_e32 v255, v233, v236
	v_mul_f32_e32 v155, v238, v243
	v_fma_f32 v154, v238, v242, -v0
	ds_read2_b64 v[0:3], v224 offset0:93 offset1:94
	ds_read2_b64 v[4:7], v224 offset0:95 offset1:96
	;; [unrolled: 1-line block ×3, first 2 shown]
	ds_read_b64 v[12:13], v224 offset:792
	v_pk_mul_f32 v[16:17], v[240:241], v[16:17] op_sel:[1,0] op_sel_hi:[0,0]
	v_fmac_f32_e32 v155, v239, v242
	v_pk_add_f32 v[14:15], v[152:153], v[254:255]
	v_pk_fma_f32 v[18:19], v[240:241], v[244:245], v[16:17] neg_lo:[0,0,1] neg_hi:[0,0,1]
	v_pk_fma_f32 v[16:17], v[240:241], v[244:245], v[16:17] op_sel_hi:[1,0,1]
	v_pk_add_f32 v[14:15], v[14:15], v[154:155]
	v_mov_b32_e32 v19, v17
	v_pk_add_f32 v[14:15], v[14:15], v[18:19]
	s_waitcnt vmcnt(3) lgkmcnt(3)
	v_pk_mul_f32 v[16:17], v[0:1], v[246:247] op_sel:[1,1] op_sel_hi:[0,1]
	v_pk_fma_f32 v[18:19], v[0:1], v[246:247], v[16:17] neg_lo:[0,0,1] neg_hi:[0,0,1]
	v_pk_fma_f32 v[0:1], v[0:1], v[246:247], v[16:17] op_sel_hi:[1,0,1]
	s_nop 0
	v_mov_b32_e32 v19, v1
	v_pk_add_f32 v[0:1], v[14:15], v[18:19]
	v_mov_b32_e32 v14, v249
	v_pk_mul_f32 v[14:15], v[2:3], v[14:15] op_sel:[1,0] op_sel_hi:[0,0]
	v_pk_fma_f32 v[16:17], v[2:3], v[248:249], v[14:15] neg_lo:[0,0,1] neg_hi:[0,0,1]
	v_pk_fma_f32 v[2:3], v[2:3], v[248:249], v[14:15] op_sel_hi:[1,0,1]
	s_nop 0
	v_mov_b32_e32 v17, v3
	s_waitcnt vmcnt(2) lgkmcnt(2)
	v_pk_mul_f32 v[2:3], v[4:5], v[250:251] op_sel:[1,1] op_sel_hi:[0,1]
	v_pk_fma_f32 v[14:15], v[4:5], v[250:251], v[2:3] neg_lo:[0,0,1] neg_hi:[0,0,1]
	v_pk_fma_f32 v[2:3], v[4:5], v[250:251], v[2:3] op_sel_hi:[1,0,1]
	v_pk_add_f32 v[0:1], v[0:1], v[16:17]
	v_mov_b32_e32 v2, v253
	v_mov_b32_e32 v15, v3
	v_pk_mul_f32 v[2:3], v[6:7], v[2:3] op_sel:[1,0] op_sel_hi:[0,0]
	v_pk_fma_f32 v[4:5], v[6:7], v[252:253], v[2:3] neg_lo:[0,0,1] neg_hi:[0,0,1]
	v_pk_fma_f32 v[2:3], v[6:7], v[252:253], v[2:3] op_sel_hi:[1,0,1]
	v_pk_add_f32 v[0:1], v[0:1], v[14:15]
	v_mov_b32_e32 v5, v3
	s_waitcnt vmcnt(1) lgkmcnt(1)
	v_pk_mul_f32 v[2:3], v[8:9], v[148:149] op_sel:[1,1] op_sel_hi:[0,1]
	v_pk_add_f32 v[0:1], v[0:1], v[4:5]
	v_pk_fma_f32 v[4:5], v[8:9], v[148:149], v[2:3] neg_lo:[0,0,1] neg_hi:[0,0,1]
	v_pk_fma_f32 v[2:3], v[8:9], v[148:149], v[2:3] op_sel_hi:[1,0,1]
	s_nop 0
	v_mov_b32_e32 v2, v151
	v_mov_b32_e32 v5, v3
	v_pk_mul_f32 v[2:3], v[10:11], v[2:3] op_sel:[1,0] op_sel_hi:[0,0]
	v_pk_add_f32 v[0:1], v[0:1], v[4:5]
	v_pk_fma_f32 v[4:5], v[10:11], v[150:151], v[2:3] neg_lo:[0,0,1] neg_hi:[0,0,1]
	v_pk_fma_f32 v[2:3], v[10:11], v[150:151], v[2:3] op_sel_hi:[1,0,1]
	s_nop 0
	v_mov_b32_e32 v5, v3
	s_waitcnt vmcnt(0) lgkmcnt(0)
	v_pk_mul_f32 v[2:3], v[12:13], v[156:157] op_sel:[1,1] op_sel_hi:[0,1]
	v_pk_add_f32 v[0:1], v[0:1], v[4:5]
	v_pk_fma_f32 v[4:5], v[12:13], v[156:157], v[2:3] neg_lo:[0,0,1] neg_hi:[0,0,1]
	v_pk_fma_f32 v[2:3], v[12:13], v[156:157], v[2:3] op_sel_hi:[1,0,1]
	s_nop 0
	v_mov_b32_e32 v5, v3
	scratch_load_dwordx2 v[2:3], off, off
	v_pk_add_f32 v[0:1], v[0:1], v[4:5]
	s_waitcnt vmcnt(0)
	v_pk_add_f32 v[0:1], v[2:3], v[0:1] neg_lo:[0,1] neg_hi:[0,1]
	scratch_store_dwordx2 off, v[0:1], off
	s_cbranch_vccz .LBB49_412
; %bb.314:
	global_load_dword v0, v224, s[16:17] offset:192
	s_waitcnt vmcnt(0)
	v_readfirstlane_b32 s0, v0
	s_add_i32 s0, s0, -1
	s_cmp_lg_u32 s0, 48
	s_cbranch_scc0 .LBB49_316
; %bb.315:
	s_lshl_b32 s0, s0, 3
	s_nop 0
	scratch_load_dwordx2 v[0:1], off, s0
	scratch_load_dwordx2 v[2:3], off, off offset:384
	s_waitcnt vmcnt(1)
	scratch_store_dwordx2 off, v[0:1], off offset:384
	s_waitcnt vmcnt(1)
	scratch_store_dwordx2 off, v[2:3], s0
.LBB49_316:
	v_mov_b32_e32 v0, 0
	global_load_dword v1, v0, s[16:17] offset:188
	s_waitcnt vmcnt(0)
	v_readfirstlane_b32 s0, v1
	s_add_i32 s0, s0, -1
	s_cmp_eq_u32 s0, 47
	s_cbranch_scc1 .LBB49_318
; %bb.317:
	s_lshl_b32 s0, s0, 3
	s_nop 0
	scratch_load_dwordx2 v[2:3], off, s0
	scratch_load_dwordx2 v[4:5], off, off offset:376
	s_waitcnt vmcnt(1)
	scratch_store_dwordx2 off, v[2:3], off offset:376
	s_waitcnt vmcnt(1)
	scratch_store_dwordx2 off, v[4:5], s0
.LBB49_318:
	global_load_dword v0, v0, s[16:17] offset:184
	s_waitcnt vmcnt(0)
	v_readfirstlane_b32 s0, v0
	s_add_i32 s0, s0, -1
	s_cmp_eq_u32 s0, 46
	s_cbranch_scc1 .LBB49_320
; %bb.319:
	s_lshl_b32 s0, s0, 3
	s_nop 0
	scratch_load_dwordx2 v[0:1], off, s0
	scratch_load_dwordx2 v[2:3], off, off offset:368
	s_waitcnt vmcnt(1)
	scratch_store_dwordx2 off, v[0:1], off offset:368
	s_waitcnt vmcnt(1)
	scratch_store_dwordx2 off, v[2:3], s0
.LBB49_320:
	v_mov_b32_e32 v0, 0
	global_load_dword v1, v0, s[16:17] offset:180
	s_waitcnt vmcnt(0)
	v_readfirstlane_b32 s0, v1
	s_add_i32 s0, s0, -1
	s_cmp_eq_u32 s0, 45
	s_cbranch_scc1 .LBB49_322
; %bb.321:
	s_lshl_b32 s0, s0, 3
	s_nop 0
	scratch_load_dwordx2 v[2:3], off, s0
	scratch_load_dwordx2 v[4:5], off, off offset:360
	s_waitcnt vmcnt(1)
	scratch_store_dwordx2 off, v[2:3], off offset:360
	s_waitcnt vmcnt(1)
	scratch_store_dwordx2 off, v[4:5], s0
.LBB49_322:
	global_load_dword v0, v0, s[16:17] offset:176
	s_waitcnt vmcnt(0)
	v_readfirstlane_b32 s0, v0
	s_add_i32 s0, s0, -1
	s_cmp_eq_u32 s0, 44
	s_cbranch_scc1 .LBB49_324
; %bb.323:
	s_lshl_b32 s0, s0, 3
	s_nop 0
	scratch_load_dwordx2 v[0:1], off, s0
	scratch_load_dwordx2 v[2:3], off, off offset:352
	s_waitcnt vmcnt(1)
	scratch_store_dwordx2 off, v[0:1], off offset:352
	s_waitcnt vmcnt(1)
	scratch_store_dwordx2 off, v[2:3], s0
.LBB49_324:
	;; [unrolled: 33-line block ×23, first 2 shown]
	v_mov_b32_e32 v0, 0
	global_load_dword v1, v0, s[16:17] offset:4
	s_waitcnt vmcnt(0)
	v_readfirstlane_b32 s0, v1
	s_add_i32 s0, s0, -1
	s_cmp_eq_u32 s0, 1
	s_cbranch_scc1 .LBB49_410
; %bb.409:
	s_lshl_b32 s0, s0, 3
	s_nop 0
	scratch_load_dwordx2 v[2:3], off, s0
	scratch_load_dwordx2 v[4:5], off, off offset:8
	s_waitcnt vmcnt(1)
	scratch_store_dwordx2 off, v[2:3], off offset:8
	s_waitcnt vmcnt(1)
	scratch_store_dwordx2 off, v[4:5], s0
.LBB49_410:
	global_load_dword v2, v0, s[16:17]
	s_nop 0
	scratch_load_dwordx2 v[0:1], off, off
	s_waitcnt vmcnt(1)
	v_readfirstlane_b32 s0, v2
	s_add_i32 s0, s0, -1
	s_cmp_eq_u32 s0, 0
	s_cbranch_scc1 .LBB49_412
; %bb.411:
	s_lshl_b32 s0, s0, 3
	s_nop 0
	scratch_load_dwordx2 v[2:3], off, s0
	s_waitcnt vmcnt(0)
	scratch_store_dwordx2 off, v[2:3], off
	scratch_store_dwordx2 off, v[0:1], s0
	scratch_load_dwordx2 v[0:1], off, off
.LBB49_412:
	s_nop 0
	scratch_load_dwordx4 v[4:7], off, off offset:8
	scratch_load_dwordx4 v[8:11], off, off offset:24
	;; [unrolled: 1-line block ×24, first 2 shown]
	scratch_load_dwordx2 v[2:3], off, off offset:392
	v_accvgpr_read_b32 v101, a1
	v_accvgpr_read_b32 v100, a0
	s_waitcnt vmcnt(25)
	global_store_dwordx2 v[100:101], v[0:1], off
	v_accvgpr_read_b32 v0, a2
	v_accvgpr_read_b32 v1, a3
	s_waitcnt vmcnt(25)
	global_store_dwordx2 v[0:1], v[4:5], off
	v_accvgpr_read_b32 v0, a4
	v_accvgpr_read_b32 v1, a5
	global_store_dwordx2 v[0:1], v[6:7], off
	v_accvgpr_read_b32 v0, a6
	v_accvgpr_read_b32 v1, a7
	s_waitcnt vmcnt(26)
	global_store_dwordx2 v[0:1], v[8:9], off
	v_accvgpr_read_b32 v0, a8
	v_accvgpr_read_b32 v1, a9
	;; [unrolled: 7-line block ×8, first 2 shown]
	global_store_dwordx2 v[0:1], v[34:35], off
	s_waitcnt vmcnt(33)
	global_store_dwordx2 v[158:159], v[36:37], off
	global_store_dwordx2 v[160:161], v[38:39], off
	s_waitcnt vmcnt(34)
	global_store_dwordx2 v[162:163], v[40:41], off
	;; [unrolled: 3-line block ×17, first 2 shown]
	s_endpgm
	.section	.rodata,"a",@progbits
	.p2align	6, 0x0
	.amdhsa_kernel _ZN9rocsolver6v33100L18getri_kernel_smallILi50E19rocblas_complex_numIfEPS3_EEvT1_iilPiilS6_bb
		.amdhsa_group_segment_fixed_size 804
		.amdhsa_private_segment_fixed_size 416
		.amdhsa_kernarg_size 60
		.amdhsa_user_sgpr_count 2
		.amdhsa_user_sgpr_dispatch_ptr 0
		.amdhsa_user_sgpr_queue_ptr 0
		.amdhsa_user_sgpr_kernarg_segment_ptr 1
		.amdhsa_user_sgpr_dispatch_id 0
		.amdhsa_user_sgpr_kernarg_preload_length 0
		.amdhsa_user_sgpr_kernarg_preload_offset 0
		.amdhsa_user_sgpr_private_segment_size 0
		.amdhsa_uses_dynamic_stack 0
		.amdhsa_enable_private_segment 1
		.amdhsa_system_sgpr_workgroup_id_x 1
		.amdhsa_system_sgpr_workgroup_id_y 0
		.amdhsa_system_sgpr_workgroup_id_z 0
		.amdhsa_system_sgpr_workgroup_info 0
		.amdhsa_system_vgpr_workitem_id 0
		.amdhsa_next_free_vgpr 290
		.amdhsa_next_free_sgpr 20
		.amdhsa_accum_offset 256
		.amdhsa_reserve_vcc 1
		.amdhsa_float_round_mode_32 0
		.amdhsa_float_round_mode_16_64 0
		.amdhsa_float_denorm_mode_32 3
		.amdhsa_float_denorm_mode_16_64 3
		.amdhsa_dx10_clamp 1
		.amdhsa_ieee_mode 1
		.amdhsa_fp16_overflow 0
		.amdhsa_tg_split 0
		.amdhsa_exception_fp_ieee_invalid_op 0
		.amdhsa_exception_fp_denorm_src 0
		.amdhsa_exception_fp_ieee_div_zero 0
		.amdhsa_exception_fp_ieee_overflow 0
		.amdhsa_exception_fp_ieee_underflow 0
		.amdhsa_exception_fp_ieee_inexact 0
		.amdhsa_exception_int_div_zero 0
	.end_amdhsa_kernel
	.section	.text._ZN9rocsolver6v33100L18getri_kernel_smallILi50E19rocblas_complex_numIfEPS3_EEvT1_iilPiilS6_bb,"axG",@progbits,_ZN9rocsolver6v33100L18getri_kernel_smallILi50E19rocblas_complex_numIfEPS3_EEvT1_iilPiilS6_bb,comdat
.Lfunc_end49:
	.size	_ZN9rocsolver6v33100L18getri_kernel_smallILi50E19rocblas_complex_numIfEPS3_EEvT1_iilPiilS6_bb, .Lfunc_end49-_ZN9rocsolver6v33100L18getri_kernel_smallILi50E19rocblas_complex_numIfEPS3_EEvT1_iilPiilS6_bb
                                        ; -- End function
	.set _ZN9rocsolver6v33100L18getri_kernel_smallILi50E19rocblas_complex_numIfEPS3_EEvT1_iilPiilS6_bb.num_vgpr, 256
	.set _ZN9rocsolver6v33100L18getri_kernel_smallILi50E19rocblas_complex_numIfEPS3_EEvT1_iilPiilS6_bb.num_agpr, 34
	.set _ZN9rocsolver6v33100L18getri_kernel_smallILi50E19rocblas_complex_numIfEPS3_EEvT1_iilPiilS6_bb.numbered_sgpr, 20
	.set _ZN9rocsolver6v33100L18getri_kernel_smallILi50E19rocblas_complex_numIfEPS3_EEvT1_iilPiilS6_bb.num_named_barrier, 0
	.set _ZN9rocsolver6v33100L18getri_kernel_smallILi50E19rocblas_complex_numIfEPS3_EEvT1_iilPiilS6_bb.private_seg_size, 416
	.set _ZN9rocsolver6v33100L18getri_kernel_smallILi50E19rocblas_complex_numIfEPS3_EEvT1_iilPiilS6_bb.uses_vcc, 1
	.set _ZN9rocsolver6v33100L18getri_kernel_smallILi50E19rocblas_complex_numIfEPS3_EEvT1_iilPiilS6_bb.uses_flat_scratch, 0
	.set _ZN9rocsolver6v33100L18getri_kernel_smallILi50E19rocblas_complex_numIfEPS3_EEvT1_iilPiilS6_bb.has_dyn_sized_stack, 0
	.set _ZN9rocsolver6v33100L18getri_kernel_smallILi50E19rocblas_complex_numIfEPS3_EEvT1_iilPiilS6_bb.has_recursion, 0
	.set _ZN9rocsolver6v33100L18getri_kernel_smallILi50E19rocblas_complex_numIfEPS3_EEvT1_iilPiilS6_bb.has_indirect_call, 0
	.section	.AMDGPU.csdata,"",@progbits
; Kernel info:
; codeLenInByte = 73324
; TotalNumSgprs: 26
; NumVgprs: 256
; NumAgprs: 34
; TotalNumVgprs: 290
; ScratchSize: 416
; MemoryBound: 0
; FloatMode: 240
; IeeeMode: 1
; LDSByteSize: 804 bytes/workgroup (compile time only)
; SGPRBlocks: 3
; VGPRBlocks: 36
; NumSGPRsForWavesPerEU: 26
; NumVGPRsForWavesPerEU: 290
; AccumOffset: 256
; Occupancy: 1
; WaveLimiterHint : 1
; COMPUTE_PGM_RSRC2:SCRATCH_EN: 1
; COMPUTE_PGM_RSRC2:USER_SGPR: 2
; COMPUTE_PGM_RSRC2:TRAP_HANDLER: 0
; COMPUTE_PGM_RSRC2:TGID_X_EN: 1
; COMPUTE_PGM_RSRC2:TGID_Y_EN: 0
; COMPUTE_PGM_RSRC2:TGID_Z_EN: 0
; COMPUTE_PGM_RSRC2:TIDIG_COMP_CNT: 0
; COMPUTE_PGM_RSRC3_GFX90A:ACCUM_OFFSET: 63
; COMPUTE_PGM_RSRC3_GFX90A:TG_SPLIT: 0
	.section	.text._ZN9rocsolver6v33100L18getri_kernel_smallILi51E19rocblas_complex_numIfEPS3_EEvT1_iilPiilS6_bb,"axG",@progbits,_ZN9rocsolver6v33100L18getri_kernel_smallILi51E19rocblas_complex_numIfEPS3_EEvT1_iilPiilS6_bb,comdat
	.globl	_ZN9rocsolver6v33100L18getri_kernel_smallILi51E19rocblas_complex_numIfEPS3_EEvT1_iilPiilS6_bb ; -- Begin function _ZN9rocsolver6v33100L18getri_kernel_smallILi51E19rocblas_complex_numIfEPS3_EEvT1_iilPiilS6_bb
	.p2align	8
	.type	_ZN9rocsolver6v33100L18getri_kernel_smallILi51E19rocblas_complex_numIfEPS3_EEvT1_iilPiilS6_bb,@function
_ZN9rocsolver6v33100L18getri_kernel_smallILi51E19rocblas_complex_numIfEPS3_EEvT1_iilPiilS6_bb: ; @_ZN9rocsolver6v33100L18getri_kernel_smallILi51E19rocblas_complex_numIfEPS3_EEvT1_iilPiilS6_bb
; %bb.0:
	v_cmp_gt_u32_e32 vcc, 51, v0
	s_and_saveexec_b64 s[4:5], vcc
	s_cbranch_execz .LBB50_218
; %bb.1:
	s_load_dword s8, s[0:1], 0x38
	s_load_dwordx4 s[12:15], s[0:1], 0x10
	s_load_dwordx4 s[4:7], s[0:1], 0x28
                                        ; implicit-def: $sgpr16_sgpr17
	s_waitcnt lgkmcnt(0)
	s_bitcmp1_b32 s8, 8
	s_cselect_b64 s[18:19], -1, 0
	s_ashr_i32 s3, s2, 31
	s_bfe_u32 s8, s8, 0x10008
	s_cmp_eq_u32 s8, 0
	s_cbranch_scc1 .LBB50_3
; %bb.2:
	s_load_dword s8, s[0:1], 0x20
	s_mul_i32 s9, s4, s3
	s_mul_hi_u32 s10, s4, s2
	s_mul_i32 s5, s5, s2
	s_add_i32 s10, s10, s9
	s_add_i32 s5, s10, s5
	s_mul_i32 s4, s4, s2
	s_waitcnt lgkmcnt(0)
	s_ashr_i32 s9, s8, 31
	s_lshl_b64 s[4:5], s[4:5], 2
	s_add_u32 s10, s14, s4
	s_addc_u32 s11, s15, s5
	s_lshl_b64 s[4:5], s[8:9], 2
	s_add_u32 s16, s10, s4
	s_addc_u32 s17, s11, s5
.LBB50_3:
	s_load_dwordx4 s[8:11], s[0:1], 0x0
	s_load_dword s4, s[0:1], 0x38
	s_mul_i32 s5, s12, s3
	s_mul_hi_u32 s14, s12, s2
	s_add_i32 s5, s14, s5
	s_waitcnt lgkmcnt(0)
	s_ashr_i32 s1, s10, 31
	s_mov_b32 s0, s10
	s_mul_i32 s10, s13, s2
	s_add_i32 s13, s5, s10
	s_mul_i32 s12, s12, s2
	s_lshl_b64 s[12:13], s[12:13], 3
	s_add_u32 s5, s8, s12
	s_addc_u32 s8, s9, s13
	s_lshl_b64 s[0:1], s[0:1], 3
	s_add_u32 s0, s5, s0
	s_addc_u32 s1, s8, s1
	v_lshlrev_b32_e32 v2, 3, v0
	v_mov_b32_e32 v3, 0
	v_lshl_add_u64 v[6:7], s[0:1], 0, v[2:3]
	s_ashr_i32 s9, s11, 31
	s_mov_b32 s8, s11
	v_accvgpr_write_b32 a0, v6
	s_add_i32 s5, s11, s11
	v_accvgpr_write_b32 a1, v7
	v_lshl_add_u64 v[8:9], s[8:9], 3, v[6:7]
	v_add_u32_e32 v6, s5, v0
	v_ashrrev_i32_e32 v7, 31, v6
	v_lshl_add_u64 v[10:11], v[6:7], 3, s[0:1]
	v_add_u32_e32 v6, s11, v6
	v_add_u32_e32 v14, s11, v6
	v_ashrrev_i32_e32 v7, 31, v6
	v_ashrrev_i32_e32 v15, 31, v14
	v_lshl_add_u64 v[12:13], v[6:7], 3, s[0:1]
	v_lshl_add_u64 v[16:17], v[14:15], 3, s[0:1]
	v_add_u32_e32 v14, s11, v14
	v_accvgpr_write_b32 a2, v8
	v_accvgpr_write_b32 a4, v10
	;; [unrolled: 1-line block ×4, first 2 shown]
	v_ashrrev_i32_e32 v15, 31, v14
	global_load_dwordx2 v[4:5], v2, s[0:1]
	global_load_dwordx2 v[6:7], v[8:9], off
	v_accvgpr_write_b32 a3, v9
	v_accvgpr_write_b32 a5, v11
	global_load_dwordx2 v[8:9], v[10:11], off
	v_accvgpr_write_b32 a7, v13
	global_load_dwordx2 v[10:11], v[12:13], off
	;; [unrolled: 2-line block ×3, first 2 shown]
	v_lshl_add_u64 v[16:17], v[14:15], 3, s[0:1]
	v_add_u32_e32 v14, s11, v14
	v_ashrrev_i32_e32 v15, 31, v14
	v_lshl_add_u64 v[18:19], v[14:15], 3, s[0:1]
	v_add_u32_e32 v14, s11, v14
	v_add_u32_e32 v22, s11, v14
	v_ashrrev_i32_e32 v23, 31, v22
	v_lshl_add_u64 v[24:25], v[22:23], 3, s[0:1]
	v_add_u32_e32 v22, s11, v22
	v_ashrrev_i32_e32 v23, 31, v22
	v_ashrrev_i32_e32 v15, 31, v14
	v_lshl_add_u64 v[26:27], v[22:23], 3, s[0:1]
	v_add_u32_e32 v22, s11, v22
	v_lshl_add_u64 v[20:21], v[14:15], 3, s[0:1]
	v_ashrrev_i32_e32 v23, 31, v22
	v_accvgpr_write_b32 a10, v16
	v_accvgpr_write_b32 a12, v18
	;; [unrolled: 1-line block ×4, first 2 shown]
	v_lshl_add_u64 v[28:29], v[22:23], 3, s[0:1]
	v_add_u32_e32 v22, s11, v22
	v_accvgpr_write_b32 a11, v17
	global_load_dwordx2 v[14:15], v[16:17], off
	v_accvgpr_write_b32 a13, v19
	global_load_dwordx2 v[16:17], v[18:19], off
	;; [unrolled: 2-line block ×4, first 2 shown]
	v_add_u32_e32 v24, s11, v22
	v_ashrrev_i32_e32 v23, 31, v22
	v_ashrrev_i32_e32 v25, 31, v24
	v_lshl_add_u64 v[30:31], v[22:23], 3, s[0:1]
	v_lshl_add_u64 v[32:33], v[24:25], 3, s[0:1]
	v_add_u32_e32 v24, s11, v24
	v_accvgpr_write_b32 a18, v26
	v_accvgpr_write_b32 a20, v28
	;; [unrolled: 1-line block ×4, first 2 shown]
	v_ashrrev_i32_e32 v25, 31, v24
	v_accvgpr_write_b32 a19, v27
	global_load_dwordx2 v[22:23], v[26:27], off
	v_accvgpr_write_b32 a21, v29
	global_load_dwordx2 v[26:27], v[28:29], off
	;; [unrolled: 2-line block ×4, first 2 shown]
	v_lshl_add_u64 v[32:33], v[24:25], 3, s[0:1]
	v_add_u32_e32 v24, s11, v24
	v_ashrrev_i32_e32 v25, 31, v24
	v_lshl_add_u64 v[34:35], v[24:25], 3, s[0:1]
	v_add_u32_e32 v24, s11, v24
	v_ashrrev_i32_e32 v25, 31, v24
	;; [unrolled: 3-line block ×36, first 2 shown]
	v_lshl_add_u64 v[230:231], v[24:25], 3, s[0:1]
	v_add_u32_e32 v24, s11, v24
	v_accvgpr_write_b32 a26, v32
	v_accvgpr_write_b32 a28, v34
	;; [unrolled: 1-line block ×6, first 2 shown]
	v_ashrrev_i32_e32 v25, 31, v24
	v_accvgpr_write_b32 a27, v33
	global_load_dwordx2 v[32:33], v[32:33], off
	v_accvgpr_write_b32 a29, v35
	global_load_dwordx2 v[34:35], v[34:35], off
	;; [unrolled: 2-line block ×6, first 2 shown]
	s_nop 0
	global_load_dwordx2 v[44:45], v[170:171], off
	global_load_dwordx2 v[46:47], v[172:173], off
	;; [unrolled: 1-line block ×30, first 2 shown]
	v_lshl_add_u64 v[232:233], v[24:25], 3, s[0:1]
	global_load_dwordx2 v[104:105], v[230:231], off
	global_load_dwordx2 v[24:25], v[232:233], off
	s_bitcmp0_b32 s4, 0
	s_mov_b64 s[4:5], -1
	s_waitcnt vmcnt(49)
	scratch_store_dwordx4 off, v[4:7], off
	s_waitcnt vmcnt(48)
	scratch_store_dwordx4 off, v[8:11], off offset:16
	s_waitcnt vmcnt(47)
	scratch_store_dwordx4 off, v[12:15], off offset:32
	;; [unrolled: 2-line block ×24, first 2 shown]
	s_waitcnt vmcnt(25)
	scratch_store_dwordx2 off, v[24:25], off offset:400
	s_cbranch_scc1 .LBB50_216
; %bb.4:
	v_cmp_eq_u32_e64 s[0:1], 0, v0
	s_and_saveexec_b64 s[4:5], s[0:1]
; %bb.5:
	v_mov_b32_e32 v1, 0
	ds_write_b32 v1, v1 offset:408
; %bb.6:
	s_or_b64 exec, exec, s[4:5]
	s_waitcnt lgkmcnt(0)
	; wave barrier
	scratch_load_dwordx2 v[4:5], v2, off
	s_waitcnt vmcnt(0)
	v_cmp_eq_f32_e32 vcc, 0, v4
	v_cmp_eq_f32_e64 s[4:5], 0, v5
	s_and_b64 s[4:5], vcc, s[4:5]
	s_and_saveexec_b64 s[8:9], s[4:5]
	s_cbranch_execz .LBB50_10
; %bb.7:
	v_mov_b32_e32 v1, 0
	ds_read_b32 v4, v1 offset:408
	v_add_u32_e32 v3, 1, v0
	s_waitcnt lgkmcnt(0)
	v_readfirstlane_b32 s4, v4
	s_cmp_eq_u32 s4, 0
	s_cselect_b64 s[10:11], -1, 0
	v_cmp_gt_i32_e32 vcc, s4, v3
	s_or_b64 s[10:11], s[10:11], vcc
	s_and_b64 exec, exec, s[10:11]
	s_cbranch_execz .LBB50_10
; %bb.8:
	s_mov_b64 s[10:11], 0
	v_mov_b32_e32 v4, s4
.LBB50_9:                               ; =>This Inner Loop Header: Depth=1
	ds_cmpst_rtn_b32 v4, v1, v4, v3 offset:408
	s_waitcnt lgkmcnt(0)
	v_cmp_ne_u32_e32 vcc, 0, v4
	v_cmp_le_i32_e64 s[4:5], v4, v3
	s_and_b64 s[4:5], vcc, s[4:5]
	s_and_b64 s[4:5], exec, s[4:5]
	s_or_b64 s[10:11], s[4:5], s[10:11]
	s_andn2_b64 exec, exec, s[10:11]
	s_cbranch_execnz .LBB50_9
.LBB50_10:
	s_or_b64 exec, exec, s[8:9]
	v_mov_b32_e32 v3, 0
	; wave barrier
	ds_read_b32 v1, v3 offset:408
	s_and_saveexec_b64 s[4:5], s[0:1]
	s_cbranch_execz .LBB50_12
; %bb.11:
	s_lshl_b64 s[8:9], s[2:3], 2
	s_add_u32 s8, s6, s8
	s_addc_u32 s9, s7, s9
	s_waitcnt lgkmcnt(0)
	global_store_dword v3, v1, s[8:9]
.LBB50_12:
	s_or_b64 exec, exec, s[4:5]
	s_waitcnt lgkmcnt(0)
	v_cmp_ne_u32_e32 vcc, 0, v1
	s_mov_b64 s[4:5], 0
	s_cbranch_vccnz .LBB50_216
; %bb.13:
	v_mov_b32_e32 v3, v2
	scratch_load_dwordx2 v[4:5], v3, off
                                        ; implicit-def: $vgpr7
                                        ; implicit-def: $vgpr8
	s_waitcnt vmcnt(0)
	v_cmp_ngt_f32_e64 s[4:5], |v4|, |v5|
	s_and_saveexec_b64 s[8:9], s[4:5]
	s_xor_b64 s[4:5], exec, s[8:9]
	s_cbranch_execz .LBB50_15
; %bb.14:
	v_div_scale_f32 v1, s[8:9], v5, v5, v4
	v_rcp_f32_e32 v6, v1
	v_div_scale_f32 v7, vcc, v4, v5, v4
	v_fma_f32 v8, -v1, v6, 1.0
	v_fmac_f32_e32 v6, v8, v6
	v_mul_f32_e32 v8, v7, v6
	v_fma_f32 v9, -v1, v8, v7
	v_fmac_f32_e32 v8, v9, v6
	v_fma_f32 v1, -v1, v8, v7
	v_div_fmas_f32 v1, v1, v6, v8
	v_div_fixup_f32 v1, v1, v5, v4
	v_fmac_f32_e32 v5, v4, v1
	v_div_scale_f32 v4, s[8:9], v5, v5, -1.0
	v_rcp_f32_e32 v6, v4
	s_nop 0
	v_fma_f32 v7, -v4, v6, 1.0
	v_fmac_f32_e32 v6, v7, v6
	v_div_scale_f32 v7, vcc, -1.0, v5, -1.0
	v_mul_f32_e32 v8, v7, v6
	v_fma_f32 v9, -v4, v8, v7
	v_fmac_f32_e32 v8, v9, v6
	v_fma_f32 v4, -v4, v8, v7
	v_div_fmas_f32 v4, v4, v6, v8
	v_div_fixup_f32 v7, v4, v5, -1.0
	v_mul_f32_e32 v8, v1, v7
	v_xor_b32_e32 v6, 0x80000000, v8
                                        ; implicit-def: $vgpr4_vgpr5
.LBB50_15:
	s_andn2_saveexec_b64 s[4:5], s[4:5]
	s_cbranch_execz .LBB50_17
; %bb.16:
	v_div_scale_f32 v1, s[8:9], v4, v4, v5
	v_rcp_f32_e32 v6, v1
	v_div_scale_f32 v7, vcc, v5, v4, v5
	v_fma_f32 v8, -v1, v6, 1.0
	v_fmac_f32_e32 v6, v8, v6
	v_mul_f32_e32 v8, v7, v6
	v_fma_f32 v9, -v1, v8, v7
	v_fmac_f32_e32 v8, v9, v6
	v_fma_f32 v1, -v1, v8, v7
	v_div_fmas_f32 v1, v1, v6, v8
	v_div_fixup_f32 v1, v1, v4, v5
	v_fmac_f32_e32 v4, v5, v1
	v_div_scale_f32 v5, s[8:9], v4, v4, 1.0
	v_rcp_f32_e32 v6, v5
	s_nop 0
	v_fma_f32 v7, -v5, v6, 1.0
	v_fmac_f32_e32 v6, v7, v6
	v_div_scale_f32 v7, vcc, 1.0, v4, 1.0
	v_mul_f32_e32 v8, v7, v6
	v_fma_f32 v9, -v5, v8, v7
	v_fmac_f32_e32 v8, v9, v6
	v_fma_f32 v5, -v5, v8, v7
	v_div_fmas_f32 v5, v5, v6, v8
	v_div_fixup_f32 v6, v5, v4, 1.0
	v_xor_b32_e32 v8, 0x80000000, v6
	v_mul_f32_e64 v7, v1, -v6
.LBB50_17:
	s_or_b64 exec, exec, s[4:5]
	scratch_store_dwordx2 v3, v[6:7], off
	scratch_load_dwordx2 v[4:5], off, off offset:8
	v_xor_b32_e32 v9, 0x80000000, v7
	v_add_u32_e32 v1, 0x1a0, v2
	s_waitcnt vmcnt(0)
	ds_write2_b64 v2, v[8:9], v[4:5] offset1:52
	s_waitcnt lgkmcnt(0)
	; wave barrier
	s_and_saveexec_b64 s[4:5], s[0:1]
	s_cbranch_execz .LBB50_19
; %bb.18:
	scratch_load_dwordx2 v[4:5], v3, off
	ds_read_b64 v[6:7], v1
	v_mov_b32_e32 v8, 0
	ds_read_b64 v[8:9], v8 offset:8
	s_waitcnt vmcnt(0) lgkmcnt(1)
	v_pk_mul_f32 v[10:11], v[6:7], v[4:5] op_sel:[1,1] op_sel_hi:[0,1]
	v_pk_fma_f32 v[12:13], v[6:7], v[4:5], v[10:11] neg_lo:[0,0,1] neg_hi:[0,0,1]
	v_pk_fma_f32 v[4:5], v[6:7], v[4:5], v[10:11] op_sel_hi:[1,0,1]
	s_nop 0
	v_mov_b32_e32 v13, v5
	v_pk_add_f32 v[4:5], v[12:13], 0 op_sel_hi:[1,0]
	s_waitcnt lgkmcnt(0)
	v_pk_mul_f32 v[6:7], v[4:5], v[8:9] op_sel:[1,1] op_sel_hi:[0,1]
	v_pk_fma_f32 v[10:11], v[4:5], v[8:9], v[6:7] neg_lo:[0,0,1] neg_hi:[0,0,1]
	v_pk_fma_f32 v[4:5], v[4:5], v[8:9], v[6:7] op_sel_hi:[1,0,1]
	s_nop 0
	v_mov_b32_e32 v11, v5
	scratch_store_dwordx2 off, v[10:11], off offset:8
.LBB50_19:
	s_or_b64 exec, exec, s[4:5]
	; wave barrier
	scratch_load_dwordx2 v[4:5], off, off offset:16
	v_cmp_gt_u32_e32 vcc, 2, v0
	s_waitcnt vmcnt(0)
	ds_write_b64 v1, v[4:5]
	s_waitcnt lgkmcnt(0)
	; wave barrier
	s_and_saveexec_b64 s[4:5], vcc
	s_cbranch_execz .LBB50_23
; %bb.20:
	scratch_load_dwordx2 v[4:5], v3, off
	ds_read_b64 v[6:7], v1
	s_waitcnt vmcnt(0) lgkmcnt(0)
	v_pk_mul_f32 v[8:9], v[6:7], v[4:5] op_sel:[1,1] op_sel_hi:[0,1]
	v_pk_fma_f32 v[10:11], v[6:7], v[4:5], v[8:9] neg_lo:[0,0,1] neg_hi:[0,0,1]
	v_pk_fma_f32 v[4:5], v[6:7], v[4:5], v[8:9] op_sel_hi:[1,0,1]
	s_nop 0
	v_mov_b32_e32 v11, v5
	v_pk_add_f32 v[4:5], v[10:11], 0 op_sel_hi:[1,0]
	s_and_saveexec_b64 s[8:9], s[0:1]
	s_cbranch_execz .LBB50_22
; %bb.21:
	scratch_load_dwordx2 v[6:7], off, off offset:8
	v_mov_b32_e32 v3, 0
	ds_read_b64 v[8:9], v3 offset:424
	s_waitcnt vmcnt(0) lgkmcnt(0)
	v_pk_mul_f32 v[10:11], v[8:9], v[6:7] op_sel:[1,1] op_sel_hi:[0,1]
	v_pk_fma_f32 v[12:13], v[8:9], v[6:7], v[10:11] neg_lo:[0,0,1] neg_hi:[0,0,1]
	v_pk_fma_f32 v[6:7], v[8:9], v[6:7], v[10:11] op_sel_hi:[1,0,1]
	s_nop 0
	v_mov_b32_e32 v13, v7
	v_pk_add_f32 v[4:5], v[4:5], v[12:13]
.LBB50_22:
	s_or_b64 exec, exec, s[8:9]
	v_mov_b32_e32 v3, 0
	ds_read_b64 v[6:7], v3 offset:16
	s_waitcnt lgkmcnt(0)
	v_pk_mul_f32 v[8:9], v[4:5], v[6:7] op_sel:[1,1] op_sel_hi:[0,1]
	v_pk_fma_f32 v[10:11], v[4:5], v[6:7], v[8:9] neg_lo:[0,0,1] neg_hi:[0,0,1]
	v_pk_fma_f32 v[4:5], v[4:5], v[6:7], v[8:9] op_sel_hi:[1,0,1]
	s_nop 0
	v_mov_b32_e32 v11, v5
	scratch_store_dwordx2 off, v[10:11], off offset:16
.LBB50_23:
	s_or_b64 exec, exec, s[4:5]
	; wave barrier
	scratch_load_dwordx2 v[4:5], off, off offset:24
	v_cmp_gt_u32_e32 vcc, 3, v0
	v_add_u32_e32 v6, -1, v0
	s_waitcnt vmcnt(0)
	ds_write_b64 v1, v[4:5]
	s_waitcnt lgkmcnt(0)
	; wave barrier
	s_and_saveexec_b64 s[0:1], vcc
	s_cbranch_execz .LBB50_27
; %bb.24:
	v_mov_b32_e32 v4, 0
	v_add_u32_e32 v3, -1, v0
	v_add_u32_e32 v7, 0x1a0, v2
	v_mov_b32_e32 v8, v2
	s_mov_b64 s[4:5], 0
	v_mov_b32_e32 v5, v4
.LBB50_25:                              ; =>This Inner Loop Header: Depth=1
	scratch_load_dwordx2 v[10:11], v8, off
	ds_read_b64 v[12:13], v7
	v_add_u32_e32 v3, 1, v3
	v_cmp_lt_u32_e32 vcc, 1, v3
	v_add_u32_e32 v7, 8, v7
	v_add_u32_e32 v8, 8, v8
	s_or_b64 s[4:5], vcc, s[4:5]
	s_waitcnt vmcnt(0) lgkmcnt(0)
	v_pk_mul_f32 v[14:15], v[12:13], v[10:11] op_sel:[1,1] op_sel_hi:[0,1]
	v_pk_fma_f32 v[16:17], v[12:13], v[10:11], v[14:15] neg_lo:[0,0,1] neg_hi:[0,0,1]
	v_pk_fma_f32 v[10:11], v[12:13], v[10:11], v[14:15] op_sel_hi:[1,0,1]
	s_nop 0
	v_mov_b32_e32 v17, v11
	v_pk_add_f32 v[4:5], v[4:5], v[16:17]
	s_andn2_b64 exec, exec, s[4:5]
	s_cbranch_execnz .LBB50_25
; %bb.26:
	s_or_b64 exec, exec, s[4:5]
	v_mov_b32_e32 v3, 0
	ds_read_b64 v[8:9], v3 offset:24
	s_waitcnt lgkmcnt(0)
	v_pk_mul_f32 v[10:11], v[4:5], v[8:9] op_sel:[1,1] op_sel_hi:[0,1]
	v_pk_fma_f32 v[12:13], v[4:5], v[8:9], v[10:11] neg_lo:[0,0,1] neg_hi:[0,0,1]
	v_pk_fma_f32 v[4:5], v[4:5], v[8:9], v[10:11] op_sel_hi:[1,0,1]
	s_nop 0
	v_mov_b32_e32 v13, v5
	scratch_store_dwordx2 off, v[12:13], off offset:24
.LBB50_27:
	s_or_b64 exec, exec, s[0:1]
	; wave barrier
	scratch_load_dwordx2 v[4:5], off, off offset:32
	v_cmp_gt_u32_e32 vcc, 4, v0
	s_waitcnt vmcnt(0)
	ds_write_b64 v1, v[4:5]
	s_waitcnt lgkmcnt(0)
	; wave barrier
	s_and_saveexec_b64 s[0:1], vcc
	s_cbranch_execz .LBB50_31
; %bb.28:
	v_mov_b32_e32 v4, 0
	v_add_u32_e32 v3, -1, v0
	v_add_u32_e32 v7, 0x1a0, v2
	v_mov_b32_e32 v8, v2
	s_mov_b64 s[4:5], 0
	v_mov_b32_e32 v5, v4
.LBB50_29:                              ; =>This Inner Loop Header: Depth=1
	scratch_load_dwordx2 v[10:11], v8, off
	ds_read_b64 v[12:13], v7
	v_add_u32_e32 v3, 1, v3
	v_cmp_lt_u32_e32 vcc, 2, v3
	v_add_u32_e32 v7, 8, v7
	v_add_u32_e32 v8, 8, v8
	s_or_b64 s[4:5], vcc, s[4:5]
	s_waitcnt vmcnt(0) lgkmcnt(0)
	v_pk_mul_f32 v[14:15], v[12:13], v[10:11] op_sel:[1,1] op_sel_hi:[0,1]
	v_pk_fma_f32 v[16:17], v[12:13], v[10:11], v[14:15] neg_lo:[0,0,1] neg_hi:[0,0,1]
	v_pk_fma_f32 v[10:11], v[12:13], v[10:11], v[14:15] op_sel_hi:[1,0,1]
	s_nop 0
	v_mov_b32_e32 v17, v11
	v_pk_add_f32 v[4:5], v[4:5], v[16:17]
	s_andn2_b64 exec, exec, s[4:5]
	s_cbranch_execnz .LBB50_29
; %bb.30:
	s_or_b64 exec, exec, s[4:5]
	v_mov_b32_e32 v3, 0
	ds_read_b64 v[8:9], v3 offset:32
	s_waitcnt lgkmcnt(0)
	v_pk_mul_f32 v[10:11], v[4:5], v[8:9] op_sel:[1,1] op_sel_hi:[0,1]
	v_pk_fma_f32 v[12:13], v[4:5], v[8:9], v[10:11] neg_lo:[0,0,1] neg_hi:[0,0,1]
	v_pk_fma_f32 v[4:5], v[4:5], v[8:9], v[10:11] op_sel_hi:[1,0,1]
	s_nop 0
	v_mov_b32_e32 v13, v5
	scratch_store_dwordx2 off, v[12:13], off offset:32
.LBB50_31:
	s_or_b64 exec, exec, s[0:1]
	; wave barrier
	scratch_load_dwordx2 v[4:5], off, off offset:40
	v_cmp_gt_u32_e32 vcc, 5, v0
	s_waitcnt vmcnt(0)
	ds_write_b64 v1, v[4:5]
	s_waitcnt lgkmcnt(0)
	; wave barrier
	s_and_saveexec_b64 s[0:1], vcc
	s_cbranch_execz .LBB50_35
; %bb.32:
	v_mov_b32_e32 v4, 0
	v_add_u32_e32 v3, -1, v0
	v_add_u32_e32 v7, 0x1a0, v2
	v_mov_b32_e32 v8, v2
	s_mov_b64 s[4:5], 0
	v_mov_b32_e32 v5, v4
.LBB50_33:                              ; =>This Inner Loop Header: Depth=1
	scratch_load_dwordx2 v[10:11], v8, off
	ds_read_b64 v[12:13], v7
	v_add_u32_e32 v3, 1, v3
	v_cmp_lt_u32_e32 vcc, 3, v3
	v_add_u32_e32 v7, 8, v7
	v_add_u32_e32 v8, 8, v8
	s_or_b64 s[4:5], vcc, s[4:5]
	s_waitcnt vmcnt(0) lgkmcnt(0)
	v_pk_mul_f32 v[14:15], v[12:13], v[10:11] op_sel:[1,1] op_sel_hi:[0,1]
	v_pk_fma_f32 v[16:17], v[12:13], v[10:11], v[14:15] neg_lo:[0,0,1] neg_hi:[0,0,1]
	v_pk_fma_f32 v[10:11], v[12:13], v[10:11], v[14:15] op_sel_hi:[1,0,1]
	s_nop 0
	v_mov_b32_e32 v17, v11
	v_pk_add_f32 v[4:5], v[4:5], v[16:17]
	s_andn2_b64 exec, exec, s[4:5]
	s_cbranch_execnz .LBB50_33
; %bb.34:
	s_or_b64 exec, exec, s[4:5]
	v_mov_b32_e32 v3, 0
	ds_read_b64 v[8:9], v3 offset:40
	s_waitcnt lgkmcnt(0)
	v_pk_mul_f32 v[10:11], v[4:5], v[8:9] op_sel:[1,1] op_sel_hi:[0,1]
	v_pk_fma_f32 v[12:13], v[4:5], v[8:9], v[10:11] neg_lo:[0,0,1] neg_hi:[0,0,1]
	v_pk_fma_f32 v[4:5], v[4:5], v[8:9], v[10:11] op_sel_hi:[1,0,1]
	s_nop 0
	v_mov_b32_e32 v13, v5
	scratch_store_dwordx2 off, v[12:13], off offset:40
.LBB50_35:
	s_or_b64 exec, exec, s[0:1]
	; wave barrier
	scratch_load_dwordx2 v[4:5], off, off offset:48
	v_cmp_gt_u32_e32 vcc, 6, v0
	s_waitcnt vmcnt(0)
	ds_write_b64 v1, v[4:5]
	s_waitcnt lgkmcnt(0)
	; wave barrier
	s_and_saveexec_b64 s[0:1], vcc
	s_cbranch_execz .LBB50_39
; %bb.36:
	v_mov_b32_e32 v4, 0
	v_add_u32_e32 v3, -1, v0
	v_add_u32_e32 v7, 0x1a0, v2
	v_mov_b32_e32 v8, v2
	s_mov_b64 s[4:5], 0
	v_mov_b32_e32 v5, v4
.LBB50_37:                              ; =>This Inner Loop Header: Depth=1
	scratch_load_dwordx2 v[10:11], v8, off
	ds_read_b64 v[12:13], v7
	v_add_u32_e32 v3, 1, v3
	v_cmp_lt_u32_e32 vcc, 4, v3
	v_add_u32_e32 v7, 8, v7
	v_add_u32_e32 v8, 8, v8
	s_or_b64 s[4:5], vcc, s[4:5]
	s_waitcnt vmcnt(0) lgkmcnt(0)
	v_pk_mul_f32 v[14:15], v[12:13], v[10:11] op_sel:[1,1] op_sel_hi:[0,1]
	v_pk_fma_f32 v[16:17], v[12:13], v[10:11], v[14:15] neg_lo:[0,0,1] neg_hi:[0,0,1]
	v_pk_fma_f32 v[10:11], v[12:13], v[10:11], v[14:15] op_sel_hi:[1,0,1]
	s_nop 0
	v_mov_b32_e32 v17, v11
	v_pk_add_f32 v[4:5], v[4:5], v[16:17]
	s_andn2_b64 exec, exec, s[4:5]
	s_cbranch_execnz .LBB50_37
; %bb.38:
	s_or_b64 exec, exec, s[4:5]
	v_mov_b32_e32 v3, 0
	ds_read_b64 v[8:9], v3 offset:48
	s_waitcnt lgkmcnt(0)
	v_pk_mul_f32 v[10:11], v[4:5], v[8:9] op_sel:[1,1] op_sel_hi:[0,1]
	v_pk_fma_f32 v[12:13], v[4:5], v[8:9], v[10:11] neg_lo:[0,0,1] neg_hi:[0,0,1]
	v_pk_fma_f32 v[4:5], v[4:5], v[8:9], v[10:11] op_sel_hi:[1,0,1]
	s_nop 0
	v_mov_b32_e32 v13, v5
	scratch_store_dwordx2 off, v[12:13], off offset:48
.LBB50_39:
	s_or_b64 exec, exec, s[0:1]
	; wave barrier
	scratch_load_dwordx2 v[4:5], off, off offset:56
	v_cmp_gt_u32_e32 vcc, 7, v0
	s_waitcnt vmcnt(0)
	ds_write_b64 v1, v[4:5]
	s_waitcnt lgkmcnt(0)
	; wave barrier
	s_and_saveexec_b64 s[0:1], vcc
	s_cbranch_execz .LBB50_43
; %bb.40:
	v_mov_b32_e32 v4, 0
	v_add_u32_e32 v3, -1, v0
	v_add_u32_e32 v7, 0x1a0, v2
	v_mov_b32_e32 v8, v2
	s_mov_b64 s[4:5], 0
	v_mov_b32_e32 v5, v4
.LBB50_41:                              ; =>This Inner Loop Header: Depth=1
	scratch_load_dwordx2 v[10:11], v8, off
	ds_read_b64 v[12:13], v7
	v_add_u32_e32 v3, 1, v3
	v_cmp_lt_u32_e32 vcc, 5, v3
	v_add_u32_e32 v7, 8, v7
	v_add_u32_e32 v8, 8, v8
	s_or_b64 s[4:5], vcc, s[4:5]
	s_waitcnt vmcnt(0) lgkmcnt(0)
	v_pk_mul_f32 v[14:15], v[12:13], v[10:11] op_sel:[1,1] op_sel_hi:[0,1]
	v_pk_fma_f32 v[16:17], v[12:13], v[10:11], v[14:15] neg_lo:[0,0,1] neg_hi:[0,0,1]
	v_pk_fma_f32 v[10:11], v[12:13], v[10:11], v[14:15] op_sel_hi:[1,0,1]
	s_nop 0
	v_mov_b32_e32 v17, v11
	v_pk_add_f32 v[4:5], v[4:5], v[16:17]
	s_andn2_b64 exec, exec, s[4:5]
	s_cbranch_execnz .LBB50_41
; %bb.42:
	s_or_b64 exec, exec, s[4:5]
	v_mov_b32_e32 v3, 0
	ds_read_b64 v[8:9], v3 offset:56
	s_waitcnt lgkmcnt(0)
	v_pk_mul_f32 v[10:11], v[4:5], v[8:9] op_sel:[1,1] op_sel_hi:[0,1]
	v_pk_fma_f32 v[12:13], v[4:5], v[8:9], v[10:11] neg_lo:[0,0,1] neg_hi:[0,0,1]
	v_pk_fma_f32 v[4:5], v[4:5], v[8:9], v[10:11] op_sel_hi:[1,0,1]
	s_nop 0
	v_mov_b32_e32 v13, v5
	scratch_store_dwordx2 off, v[12:13], off offset:56
.LBB50_43:
	s_or_b64 exec, exec, s[0:1]
	; wave barrier
	scratch_load_dwordx2 v[4:5], off, off offset:64
	v_cmp_gt_u32_e32 vcc, 8, v0
	s_waitcnt vmcnt(0)
	ds_write_b64 v1, v[4:5]
	s_waitcnt lgkmcnt(0)
	; wave barrier
	s_and_saveexec_b64 s[0:1], vcc
	s_cbranch_execz .LBB50_47
; %bb.44:
	v_mov_b32_e32 v4, 0
	v_add_u32_e32 v3, -1, v0
	v_add_u32_e32 v7, 0x1a0, v2
	v_mov_b32_e32 v8, v2
	s_mov_b64 s[4:5], 0
	v_mov_b32_e32 v5, v4
.LBB50_45:                              ; =>This Inner Loop Header: Depth=1
	scratch_load_dwordx2 v[10:11], v8, off
	ds_read_b64 v[12:13], v7
	v_add_u32_e32 v3, 1, v3
	v_cmp_lt_u32_e32 vcc, 6, v3
	v_add_u32_e32 v7, 8, v7
	v_add_u32_e32 v8, 8, v8
	s_or_b64 s[4:5], vcc, s[4:5]
	s_waitcnt vmcnt(0) lgkmcnt(0)
	v_pk_mul_f32 v[14:15], v[12:13], v[10:11] op_sel:[1,1] op_sel_hi:[0,1]
	v_pk_fma_f32 v[16:17], v[12:13], v[10:11], v[14:15] neg_lo:[0,0,1] neg_hi:[0,0,1]
	v_pk_fma_f32 v[10:11], v[12:13], v[10:11], v[14:15] op_sel_hi:[1,0,1]
	s_nop 0
	v_mov_b32_e32 v17, v11
	v_pk_add_f32 v[4:5], v[4:5], v[16:17]
	s_andn2_b64 exec, exec, s[4:5]
	s_cbranch_execnz .LBB50_45
; %bb.46:
	s_or_b64 exec, exec, s[4:5]
	v_mov_b32_e32 v3, 0
	ds_read_b64 v[8:9], v3 offset:64
	s_waitcnt lgkmcnt(0)
	v_pk_mul_f32 v[10:11], v[4:5], v[8:9] op_sel:[1,1] op_sel_hi:[0,1]
	v_pk_fma_f32 v[12:13], v[4:5], v[8:9], v[10:11] neg_lo:[0,0,1] neg_hi:[0,0,1]
	v_pk_fma_f32 v[4:5], v[4:5], v[8:9], v[10:11] op_sel_hi:[1,0,1]
	s_nop 0
	v_mov_b32_e32 v13, v5
	scratch_store_dwordx2 off, v[12:13], off offset:64
.LBB50_47:
	s_or_b64 exec, exec, s[0:1]
	; wave barrier
	scratch_load_dwordx2 v[4:5], off, off offset:72
	v_cmp_gt_u32_e32 vcc, 9, v0
	s_waitcnt vmcnt(0)
	ds_write_b64 v1, v[4:5]
	s_waitcnt lgkmcnt(0)
	; wave barrier
	s_and_saveexec_b64 s[0:1], vcc
	s_cbranch_execz .LBB50_51
; %bb.48:
	v_mov_b32_e32 v4, 0
	v_add_u32_e32 v3, -1, v0
	v_add_u32_e32 v7, 0x1a0, v2
	v_mov_b32_e32 v8, v2
	s_mov_b64 s[4:5], 0
	v_mov_b32_e32 v5, v4
.LBB50_49:                              ; =>This Inner Loop Header: Depth=1
	scratch_load_dwordx2 v[10:11], v8, off
	ds_read_b64 v[12:13], v7
	v_add_u32_e32 v3, 1, v3
	v_cmp_lt_u32_e32 vcc, 7, v3
	v_add_u32_e32 v7, 8, v7
	v_add_u32_e32 v8, 8, v8
	s_or_b64 s[4:5], vcc, s[4:5]
	s_waitcnt vmcnt(0) lgkmcnt(0)
	v_pk_mul_f32 v[14:15], v[12:13], v[10:11] op_sel:[1,1] op_sel_hi:[0,1]
	v_pk_fma_f32 v[16:17], v[12:13], v[10:11], v[14:15] neg_lo:[0,0,1] neg_hi:[0,0,1]
	v_pk_fma_f32 v[10:11], v[12:13], v[10:11], v[14:15] op_sel_hi:[1,0,1]
	s_nop 0
	v_mov_b32_e32 v17, v11
	v_pk_add_f32 v[4:5], v[4:5], v[16:17]
	s_andn2_b64 exec, exec, s[4:5]
	s_cbranch_execnz .LBB50_49
; %bb.50:
	s_or_b64 exec, exec, s[4:5]
	v_mov_b32_e32 v3, 0
	ds_read_b64 v[8:9], v3 offset:72
	s_waitcnt lgkmcnt(0)
	v_pk_mul_f32 v[10:11], v[4:5], v[8:9] op_sel:[1,1] op_sel_hi:[0,1]
	v_pk_fma_f32 v[12:13], v[4:5], v[8:9], v[10:11] neg_lo:[0,0,1] neg_hi:[0,0,1]
	v_pk_fma_f32 v[4:5], v[4:5], v[8:9], v[10:11] op_sel_hi:[1,0,1]
	s_nop 0
	v_mov_b32_e32 v13, v5
	scratch_store_dwordx2 off, v[12:13], off offset:72
.LBB50_51:
	s_or_b64 exec, exec, s[0:1]
	; wave barrier
	scratch_load_dwordx2 v[4:5], off, off offset:80
	v_cmp_gt_u32_e32 vcc, 10, v0
	s_waitcnt vmcnt(0)
	ds_write_b64 v1, v[4:5]
	s_waitcnt lgkmcnt(0)
	; wave barrier
	s_and_saveexec_b64 s[0:1], vcc
	s_cbranch_execz .LBB50_55
; %bb.52:
	v_mov_b32_e32 v4, 0
	v_add_u32_e32 v3, -1, v0
	v_add_u32_e32 v7, 0x1a0, v2
	v_mov_b32_e32 v8, v2
	s_mov_b64 s[4:5], 0
	v_mov_b32_e32 v5, v4
.LBB50_53:                              ; =>This Inner Loop Header: Depth=1
	scratch_load_dwordx2 v[10:11], v8, off
	ds_read_b64 v[12:13], v7
	v_add_u32_e32 v3, 1, v3
	v_cmp_lt_u32_e32 vcc, 8, v3
	v_add_u32_e32 v7, 8, v7
	v_add_u32_e32 v8, 8, v8
	s_or_b64 s[4:5], vcc, s[4:5]
	s_waitcnt vmcnt(0) lgkmcnt(0)
	v_pk_mul_f32 v[14:15], v[12:13], v[10:11] op_sel:[1,1] op_sel_hi:[0,1]
	v_pk_fma_f32 v[16:17], v[12:13], v[10:11], v[14:15] neg_lo:[0,0,1] neg_hi:[0,0,1]
	v_pk_fma_f32 v[10:11], v[12:13], v[10:11], v[14:15] op_sel_hi:[1,0,1]
	s_nop 0
	v_mov_b32_e32 v17, v11
	v_pk_add_f32 v[4:5], v[4:5], v[16:17]
	s_andn2_b64 exec, exec, s[4:5]
	s_cbranch_execnz .LBB50_53
; %bb.54:
	s_or_b64 exec, exec, s[4:5]
	v_mov_b32_e32 v3, 0
	ds_read_b64 v[8:9], v3 offset:80
	s_waitcnt lgkmcnt(0)
	v_pk_mul_f32 v[10:11], v[4:5], v[8:9] op_sel:[1,1] op_sel_hi:[0,1]
	v_pk_fma_f32 v[12:13], v[4:5], v[8:9], v[10:11] neg_lo:[0,0,1] neg_hi:[0,0,1]
	v_pk_fma_f32 v[4:5], v[4:5], v[8:9], v[10:11] op_sel_hi:[1,0,1]
	s_nop 0
	v_mov_b32_e32 v13, v5
	scratch_store_dwordx2 off, v[12:13], off offset:80
.LBB50_55:
	s_or_b64 exec, exec, s[0:1]
	; wave barrier
	scratch_load_dwordx2 v[4:5], off, off offset:88
	v_cmp_gt_u32_e32 vcc, 11, v0
	s_waitcnt vmcnt(0)
	ds_write_b64 v1, v[4:5]
	s_waitcnt lgkmcnt(0)
	; wave barrier
	s_and_saveexec_b64 s[0:1], vcc
	s_cbranch_execz .LBB50_59
; %bb.56:
	v_mov_b32_e32 v4, 0
	v_add_u32_e32 v3, -1, v0
	v_add_u32_e32 v7, 0x1a0, v2
	v_mov_b32_e32 v8, v2
	s_mov_b64 s[4:5], 0
	v_mov_b32_e32 v5, v4
.LBB50_57:                              ; =>This Inner Loop Header: Depth=1
	scratch_load_dwordx2 v[10:11], v8, off
	ds_read_b64 v[12:13], v7
	v_add_u32_e32 v3, 1, v3
	v_cmp_lt_u32_e32 vcc, 9, v3
	v_add_u32_e32 v7, 8, v7
	v_add_u32_e32 v8, 8, v8
	s_or_b64 s[4:5], vcc, s[4:5]
	s_waitcnt vmcnt(0) lgkmcnt(0)
	v_pk_mul_f32 v[14:15], v[12:13], v[10:11] op_sel:[1,1] op_sel_hi:[0,1]
	v_pk_fma_f32 v[16:17], v[12:13], v[10:11], v[14:15] neg_lo:[0,0,1] neg_hi:[0,0,1]
	v_pk_fma_f32 v[10:11], v[12:13], v[10:11], v[14:15] op_sel_hi:[1,0,1]
	s_nop 0
	v_mov_b32_e32 v17, v11
	v_pk_add_f32 v[4:5], v[4:5], v[16:17]
	s_andn2_b64 exec, exec, s[4:5]
	s_cbranch_execnz .LBB50_57
; %bb.58:
	s_or_b64 exec, exec, s[4:5]
	v_mov_b32_e32 v3, 0
	ds_read_b64 v[8:9], v3 offset:88
	s_waitcnt lgkmcnt(0)
	v_pk_mul_f32 v[10:11], v[4:5], v[8:9] op_sel:[1,1] op_sel_hi:[0,1]
	v_pk_fma_f32 v[12:13], v[4:5], v[8:9], v[10:11] neg_lo:[0,0,1] neg_hi:[0,0,1]
	v_pk_fma_f32 v[4:5], v[4:5], v[8:9], v[10:11] op_sel_hi:[1,0,1]
	s_nop 0
	v_mov_b32_e32 v13, v5
	scratch_store_dwordx2 off, v[12:13], off offset:88
.LBB50_59:
	s_or_b64 exec, exec, s[0:1]
	; wave barrier
	scratch_load_dwordx2 v[4:5], off, off offset:96
	v_cmp_gt_u32_e32 vcc, 12, v0
	s_waitcnt vmcnt(0)
	ds_write_b64 v1, v[4:5]
	s_waitcnt lgkmcnt(0)
	; wave barrier
	s_and_saveexec_b64 s[0:1], vcc
	s_cbranch_execz .LBB50_63
; %bb.60:
	v_mov_b32_e32 v4, 0
	v_add_u32_e32 v3, -1, v0
	v_add_u32_e32 v7, 0x1a0, v2
	v_mov_b32_e32 v8, v2
	s_mov_b64 s[4:5], 0
	v_mov_b32_e32 v5, v4
.LBB50_61:                              ; =>This Inner Loop Header: Depth=1
	scratch_load_dwordx2 v[10:11], v8, off
	ds_read_b64 v[12:13], v7
	v_add_u32_e32 v3, 1, v3
	v_cmp_lt_u32_e32 vcc, 10, v3
	v_add_u32_e32 v7, 8, v7
	v_add_u32_e32 v8, 8, v8
	s_or_b64 s[4:5], vcc, s[4:5]
	s_waitcnt vmcnt(0) lgkmcnt(0)
	v_pk_mul_f32 v[14:15], v[12:13], v[10:11] op_sel:[1,1] op_sel_hi:[0,1]
	v_pk_fma_f32 v[16:17], v[12:13], v[10:11], v[14:15] neg_lo:[0,0,1] neg_hi:[0,0,1]
	v_pk_fma_f32 v[10:11], v[12:13], v[10:11], v[14:15] op_sel_hi:[1,0,1]
	s_nop 0
	v_mov_b32_e32 v17, v11
	v_pk_add_f32 v[4:5], v[4:5], v[16:17]
	s_andn2_b64 exec, exec, s[4:5]
	s_cbranch_execnz .LBB50_61
; %bb.62:
	s_or_b64 exec, exec, s[4:5]
	v_mov_b32_e32 v3, 0
	ds_read_b64 v[8:9], v3 offset:96
	s_waitcnt lgkmcnt(0)
	v_pk_mul_f32 v[10:11], v[4:5], v[8:9] op_sel:[1,1] op_sel_hi:[0,1]
	v_pk_fma_f32 v[12:13], v[4:5], v[8:9], v[10:11] neg_lo:[0,0,1] neg_hi:[0,0,1]
	v_pk_fma_f32 v[4:5], v[4:5], v[8:9], v[10:11] op_sel_hi:[1,0,1]
	s_nop 0
	v_mov_b32_e32 v13, v5
	scratch_store_dwordx2 off, v[12:13], off offset:96
.LBB50_63:
	s_or_b64 exec, exec, s[0:1]
	; wave barrier
	scratch_load_dwordx2 v[4:5], off, off offset:104
	v_cmp_gt_u32_e32 vcc, 13, v0
	s_waitcnt vmcnt(0)
	ds_write_b64 v1, v[4:5]
	s_waitcnt lgkmcnt(0)
	; wave barrier
	s_and_saveexec_b64 s[0:1], vcc
	s_cbranch_execz .LBB50_67
; %bb.64:
	v_mov_b32_e32 v4, 0
	v_add_u32_e32 v3, -1, v0
	v_add_u32_e32 v7, 0x1a0, v2
	v_mov_b32_e32 v8, v2
	s_mov_b64 s[4:5], 0
	v_mov_b32_e32 v5, v4
.LBB50_65:                              ; =>This Inner Loop Header: Depth=1
	scratch_load_dwordx2 v[10:11], v8, off
	ds_read_b64 v[12:13], v7
	v_add_u32_e32 v3, 1, v3
	v_cmp_lt_u32_e32 vcc, 11, v3
	v_add_u32_e32 v7, 8, v7
	v_add_u32_e32 v8, 8, v8
	s_or_b64 s[4:5], vcc, s[4:5]
	s_waitcnt vmcnt(0) lgkmcnt(0)
	v_pk_mul_f32 v[14:15], v[12:13], v[10:11] op_sel:[1,1] op_sel_hi:[0,1]
	v_pk_fma_f32 v[16:17], v[12:13], v[10:11], v[14:15] neg_lo:[0,0,1] neg_hi:[0,0,1]
	v_pk_fma_f32 v[10:11], v[12:13], v[10:11], v[14:15] op_sel_hi:[1,0,1]
	s_nop 0
	v_mov_b32_e32 v17, v11
	v_pk_add_f32 v[4:5], v[4:5], v[16:17]
	s_andn2_b64 exec, exec, s[4:5]
	s_cbranch_execnz .LBB50_65
; %bb.66:
	s_or_b64 exec, exec, s[4:5]
	v_mov_b32_e32 v3, 0
	ds_read_b64 v[8:9], v3 offset:104
	s_waitcnt lgkmcnt(0)
	v_pk_mul_f32 v[10:11], v[4:5], v[8:9] op_sel:[1,1] op_sel_hi:[0,1]
	v_pk_fma_f32 v[12:13], v[4:5], v[8:9], v[10:11] neg_lo:[0,0,1] neg_hi:[0,0,1]
	v_pk_fma_f32 v[4:5], v[4:5], v[8:9], v[10:11] op_sel_hi:[1,0,1]
	s_nop 0
	v_mov_b32_e32 v13, v5
	scratch_store_dwordx2 off, v[12:13], off offset:104
.LBB50_67:
	s_or_b64 exec, exec, s[0:1]
	; wave barrier
	scratch_load_dwordx2 v[4:5], off, off offset:112
	v_cmp_gt_u32_e32 vcc, 14, v0
	s_waitcnt vmcnt(0)
	ds_write_b64 v1, v[4:5]
	s_waitcnt lgkmcnt(0)
	; wave barrier
	s_and_saveexec_b64 s[0:1], vcc
	s_cbranch_execz .LBB50_71
; %bb.68:
	v_mov_b32_e32 v4, 0
	v_add_u32_e32 v3, -1, v0
	v_add_u32_e32 v7, 0x1a0, v2
	v_mov_b32_e32 v8, v2
	s_mov_b64 s[4:5], 0
	v_mov_b32_e32 v5, v4
.LBB50_69:                              ; =>This Inner Loop Header: Depth=1
	scratch_load_dwordx2 v[10:11], v8, off
	ds_read_b64 v[12:13], v7
	v_add_u32_e32 v3, 1, v3
	v_cmp_lt_u32_e32 vcc, 12, v3
	v_add_u32_e32 v7, 8, v7
	v_add_u32_e32 v8, 8, v8
	s_or_b64 s[4:5], vcc, s[4:5]
	s_waitcnt vmcnt(0) lgkmcnt(0)
	v_pk_mul_f32 v[14:15], v[12:13], v[10:11] op_sel:[1,1] op_sel_hi:[0,1]
	v_pk_fma_f32 v[16:17], v[12:13], v[10:11], v[14:15] neg_lo:[0,0,1] neg_hi:[0,0,1]
	v_pk_fma_f32 v[10:11], v[12:13], v[10:11], v[14:15] op_sel_hi:[1,0,1]
	s_nop 0
	v_mov_b32_e32 v17, v11
	v_pk_add_f32 v[4:5], v[4:5], v[16:17]
	s_andn2_b64 exec, exec, s[4:5]
	s_cbranch_execnz .LBB50_69
; %bb.70:
	s_or_b64 exec, exec, s[4:5]
	v_mov_b32_e32 v3, 0
	ds_read_b64 v[8:9], v3 offset:112
	s_waitcnt lgkmcnt(0)
	v_pk_mul_f32 v[10:11], v[4:5], v[8:9] op_sel:[1,1] op_sel_hi:[0,1]
	v_pk_fma_f32 v[12:13], v[4:5], v[8:9], v[10:11] neg_lo:[0,0,1] neg_hi:[0,0,1]
	v_pk_fma_f32 v[4:5], v[4:5], v[8:9], v[10:11] op_sel_hi:[1,0,1]
	s_nop 0
	v_mov_b32_e32 v13, v5
	scratch_store_dwordx2 off, v[12:13], off offset:112
.LBB50_71:
	s_or_b64 exec, exec, s[0:1]
	; wave barrier
	scratch_load_dwordx2 v[4:5], off, off offset:120
	v_cmp_gt_u32_e32 vcc, 15, v0
	s_waitcnt vmcnt(0)
	ds_write_b64 v1, v[4:5]
	s_waitcnt lgkmcnt(0)
	; wave barrier
	s_and_saveexec_b64 s[0:1], vcc
	s_cbranch_execz .LBB50_75
; %bb.72:
	v_mov_b32_e32 v4, 0
	v_add_u32_e32 v3, -1, v0
	v_add_u32_e32 v7, 0x1a0, v2
	v_mov_b32_e32 v8, v2
	s_mov_b64 s[4:5], 0
	v_mov_b32_e32 v5, v4
.LBB50_73:                              ; =>This Inner Loop Header: Depth=1
	scratch_load_dwordx2 v[10:11], v8, off
	ds_read_b64 v[12:13], v7
	v_add_u32_e32 v3, 1, v3
	v_cmp_lt_u32_e32 vcc, 13, v3
	v_add_u32_e32 v7, 8, v7
	v_add_u32_e32 v8, 8, v8
	s_or_b64 s[4:5], vcc, s[4:5]
	s_waitcnt vmcnt(0) lgkmcnt(0)
	v_pk_mul_f32 v[14:15], v[12:13], v[10:11] op_sel:[1,1] op_sel_hi:[0,1]
	v_pk_fma_f32 v[16:17], v[12:13], v[10:11], v[14:15] neg_lo:[0,0,1] neg_hi:[0,0,1]
	v_pk_fma_f32 v[10:11], v[12:13], v[10:11], v[14:15] op_sel_hi:[1,0,1]
	s_nop 0
	v_mov_b32_e32 v17, v11
	v_pk_add_f32 v[4:5], v[4:5], v[16:17]
	s_andn2_b64 exec, exec, s[4:5]
	s_cbranch_execnz .LBB50_73
; %bb.74:
	s_or_b64 exec, exec, s[4:5]
	v_mov_b32_e32 v3, 0
	ds_read_b64 v[8:9], v3 offset:120
	s_waitcnt lgkmcnt(0)
	v_pk_mul_f32 v[10:11], v[4:5], v[8:9] op_sel:[1,1] op_sel_hi:[0,1]
	v_pk_fma_f32 v[12:13], v[4:5], v[8:9], v[10:11] neg_lo:[0,0,1] neg_hi:[0,0,1]
	v_pk_fma_f32 v[4:5], v[4:5], v[8:9], v[10:11] op_sel_hi:[1,0,1]
	s_nop 0
	v_mov_b32_e32 v13, v5
	scratch_store_dwordx2 off, v[12:13], off offset:120
.LBB50_75:
	s_or_b64 exec, exec, s[0:1]
	; wave barrier
	scratch_load_dwordx2 v[4:5], off, off offset:128
	v_cmp_gt_u32_e32 vcc, 16, v0
	s_waitcnt vmcnt(0)
	ds_write_b64 v1, v[4:5]
	s_waitcnt lgkmcnt(0)
	; wave barrier
	s_and_saveexec_b64 s[0:1], vcc
	s_cbranch_execz .LBB50_79
; %bb.76:
	v_mov_b32_e32 v4, 0
	v_add_u32_e32 v3, -1, v0
	v_add_u32_e32 v7, 0x1a0, v2
	v_mov_b32_e32 v8, v2
	s_mov_b64 s[4:5], 0
	v_mov_b32_e32 v5, v4
.LBB50_77:                              ; =>This Inner Loop Header: Depth=1
	scratch_load_dwordx2 v[10:11], v8, off
	ds_read_b64 v[12:13], v7
	v_add_u32_e32 v3, 1, v3
	v_cmp_lt_u32_e32 vcc, 14, v3
	v_add_u32_e32 v7, 8, v7
	v_add_u32_e32 v8, 8, v8
	s_or_b64 s[4:5], vcc, s[4:5]
	s_waitcnt vmcnt(0) lgkmcnt(0)
	v_pk_mul_f32 v[14:15], v[12:13], v[10:11] op_sel:[1,1] op_sel_hi:[0,1]
	v_pk_fma_f32 v[16:17], v[12:13], v[10:11], v[14:15] neg_lo:[0,0,1] neg_hi:[0,0,1]
	v_pk_fma_f32 v[10:11], v[12:13], v[10:11], v[14:15] op_sel_hi:[1,0,1]
	s_nop 0
	v_mov_b32_e32 v17, v11
	v_pk_add_f32 v[4:5], v[4:5], v[16:17]
	s_andn2_b64 exec, exec, s[4:5]
	s_cbranch_execnz .LBB50_77
; %bb.78:
	s_or_b64 exec, exec, s[4:5]
	v_mov_b32_e32 v3, 0
	ds_read_b64 v[8:9], v3 offset:128
	s_waitcnt lgkmcnt(0)
	v_pk_mul_f32 v[10:11], v[4:5], v[8:9] op_sel:[1,1] op_sel_hi:[0,1]
	v_pk_fma_f32 v[12:13], v[4:5], v[8:9], v[10:11] neg_lo:[0,0,1] neg_hi:[0,0,1]
	v_pk_fma_f32 v[4:5], v[4:5], v[8:9], v[10:11] op_sel_hi:[1,0,1]
	s_nop 0
	v_mov_b32_e32 v13, v5
	scratch_store_dwordx2 off, v[12:13], off offset:128
.LBB50_79:
	s_or_b64 exec, exec, s[0:1]
	; wave barrier
	scratch_load_dwordx2 v[4:5], off, off offset:136
	v_cmp_gt_u32_e32 vcc, 17, v0
	s_waitcnt vmcnt(0)
	ds_write_b64 v1, v[4:5]
	s_waitcnt lgkmcnt(0)
	; wave barrier
	s_and_saveexec_b64 s[0:1], vcc
	s_cbranch_execz .LBB50_83
; %bb.80:
	v_mov_b32_e32 v4, 0
	v_add_u32_e32 v3, -1, v0
	v_add_u32_e32 v7, 0x1a0, v2
	v_mov_b32_e32 v8, v2
	s_mov_b64 s[4:5], 0
	v_mov_b32_e32 v5, v4
.LBB50_81:                              ; =>This Inner Loop Header: Depth=1
	scratch_load_dwordx2 v[10:11], v8, off
	ds_read_b64 v[12:13], v7
	v_add_u32_e32 v3, 1, v3
	v_cmp_lt_u32_e32 vcc, 15, v3
	v_add_u32_e32 v7, 8, v7
	v_add_u32_e32 v8, 8, v8
	s_or_b64 s[4:5], vcc, s[4:5]
	s_waitcnt vmcnt(0) lgkmcnt(0)
	v_pk_mul_f32 v[14:15], v[12:13], v[10:11] op_sel:[1,1] op_sel_hi:[0,1]
	v_pk_fma_f32 v[16:17], v[12:13], v[10:11], v[14:15] neg_lo:[0,0,1] neg_hi:[0,0,1]
	v_pk_fma_f32 v[10:11], v[12:13], v[10:11], v[14:15] op_sel_hi:[1,0,1]
	s_nop 0
	v_mov_b32_e32 v17, v11
	v_pk_add_f32 v[4:5], v[4:5], v[16:17]
	s_andn2_b64 exec, exec, s[4:5]
	s_cbranch_execnz .LBB50_81
; %bb.82:
	s_or_b64 exec, exec, s[4:5]
	v_mov_b32_e32 v3, 0
	ds_read_b64 v[8:9], v3 offset:136
	s_waitcnt lgkmcnt(0)
	v_pk_mul_f32 v[10:11], v[4:5], v[8:9] op_sel:[1,1] op_sel_hi:[0,1]
	v_pk_fma_f32 v[12:13], v[4:5], v[8:9], v[10:11] neg_lo:[0,0,1] neg_hi:[0,0,1]
	v_pk_fma_f32 v[4:5], v[4:5], v[8:9], v[10:11] op_sel_hi:[1,0,1]
	s_nop 0
	v_mov_b32_e32 v13, v5
	scratch_store_dwordx2 off, v[12:13], off offset:136
.LBB50_83:
	s_or_b64 exec, exec, s[0:1]
	; wave barrier
	scratch_load_dwordx2 v[4:5], off, off offset:144
	v_cmp_gt_u32_e32 vcc, 18, v0
	s_waitcnt vmcnt(0)
	ds_write_b64 v1, v[4:5]
	s_waitcnt lgkmcnt(0)
	; wave barrier
	s_and_saveexec_b64 s[0:1], vcc
	s_cbranch_execz .LBB50_87
; %bb.84:
	v_mov_b32_e32 v4, 0
	v_add_u32_e32 v3, -1, v0
	v_add_u32_e32 v7, 0x1a0, v2
	v_mov_b32_e32 v8, v2
	s_mov_b64 s[4:5], 0
	v_mov_b32_e32 v5, v4
.LBB50_85:                              ; =>This Inner Loop Header: Depth=1
	scratch_load_dwordx2 v[10:11], v8, off
	ds_read_b64 v[12:13], v7
	v_add_u32_e32 v3, 1, v3
	v_cmp_lt_u32_e32 vcc, 16, v3
	v_add_u32_e32 v7, 8, v7
	v_add_u32_e32 v8, 8, v8
	s_or_b64 s[4:5], vcc, s[4:5]
	s_waitcnt vmcnt(0) lgkmcnt(0)
	v_pk_mul_f32 v[14:15], v[12:13], v[10:11] op_sel:[1,1] op_sel_hi:[0,1]
	v_pk_fma_f32 v[16:17], v[12:13], v[10:11], v[14:15] neg_lo:[0,0,1] neg_hi:[0,0,1]
	v_pk_fma_f32 v[10:11], v[12:13], v[10:11], v[14:15] op_sel_hi:[1,0,1]
	s_nop 0
	v_mov_b32_e32 v17, v11
	v_pk_add_f32 v[4:5], v[4:5], v[16:17]
	s_andn2_b64 exec, exec, s[4:5]
	s_cbranch_execnz .LBB50_85
; %bb.86:
	s_or_b64 exec, exec, s[4:5]
	v_mov_b32_e32 v3, 0
	ds_read_b64 v[8:9], v3 offset:144
	s_waitcnt lgkmcnt(0)
	v_pk_mul_f32 v[10:11], v[4:5], v[8:9] op_sel:[1,1] op_sel_hi:[0,1]
	v_pk_fma_f32 v[12:13], v[4:5], v[8:9], v[10:11] neg_lo:[0,0,1] neg_hi:[0,0,1]
	v_pk_fma_f32 v[4:5], v[4:5], v[8:9], v[10:11] op_sel_hi:[1,0,1]
	s_nop 0
	v_mov_b32_e32 v13, v5
	scratch_store_dwordx2 off, v[12:13], off offset:144
.LBB50_87:
	s_or_b64 exec, exec, s[0:1]
	; wave barrier
	scratch_load_dwordx2 v[4:5], off, off offset:152
	v_cmp_gt_u32_e32 vcc, 19, v0
	s_waitcnt vmcnt(0)
	ds_write_b64 v1, v[4:5]
	s_waitcnt lgkmcnt(0)
	; wave barrier
	s_and_saveexec_b64 s[0:1], vcc
	s_cbranch_execz .LBB50_91
; %bb.88:
	v_mov_b32_e32 v4, 0
	v_add_u32_e32 v3, -1, v0
	v_add_u32_e32 v7, 0x1a0, v2
	v_mov_b32_e32 v8, v2
	s_mov_b64 s[4:5], 0
	v_mov_b32_e32 v5, v4
.LBB50_89:                              ; =>This Inner Loop Header: Depth=1
	scratch_load_dwordx2 v[10:11], v8, off
	ds_read_b64 v[12:13], v7
	v_add_u32_e32 v3, 1, v3
	v_cmp_lt_u32_e32 vcc, 17, v3
	v_add_u32_e32 v7, 8, v7
	v_add_u32_e32 v8, 8, v8
	s_or_b64 s[4:5], vcc, s[4:5]
	s_waitcnt vmcnt(0) lgkmcnt(0)
	v_pk_mul_f32 v[14:15], v[12:13], v[10:11] op_sel:[1,1] op_sel_hi:[0,1]
	v_pk_fma_f32 v[16:17], v[12:13], v[10:11], v[14:15] neg_lo:[0,0,1] neg_hi:[0,0,1]
	v_pk_fma_f32 v[10:11], v[12:13], v[10:11], v[14:15] op_sel_hi:[1,0,1]
	s_nop 0
	v_mov_b32_e32 v17, v11
	v_pk_add_f32 v[4:5], v[4:5], v[16:17]
	s_andn2_b64 exec, exec, s[4:5]
	s_cbranch_execnz .LBB50_89
; %bb.90:
	s_or_b64 exec, exec, s[4:5]
	v_mov_b32_e32 v3, 0
	ds_read_b64 v[8:9], v3 offset:152
	s_waitcnt lgkmcnt(0)
	v_pk_mul_f32 v[10:11], v[4:5], v[8:9] op_sel:[1,1] op_sel_hi:[0,1]
	v_pk_fma_f32 v[12:13], v[4:5], v[8:9], v[10:11] neg_lo:[0,0,1] neg_hi:[0,0,1]
	v_pk_fma_f32 v[4:5], v[4:5], v[8:9], v[10:11] op_sel_hi:[1,0,1]
	s_nop 0
	v_mov_b32_e32 v13, v5
	scratch_store_dwordx2 off, v[12:13], off offset:152
.LBB50_91:
	s_or_b64 exec, exec, s[0:1]
	; wave barrier
	scratch_load_dwordx2 v[4:5], off, off offset:160
	v_cmp_gt_u32_e32 vcc, 20, v0
	s_waitcnt vmcnt(0)
	ds_write_b64 v1, v[4:5]
	s_waitcnt lgkmcnt(0)
	; wave barrier
	s_and_saveexec_b64 s[0:1], vcc
	s_cbranch_execz .LBB50_95
; %bb.92:
	v_mov_b32_e32 v4, 0
	v_add_u32_e32 v3, -1, v0
	v_add_u32_e32 v7, 0x1a0, v2
	v_mov_b32_e32 v8, v2
	s_mov_b64 s[4:5], 0
	v_mov_b32_e32 v5, v4
.LBB50_93:                              ; =>This Inner Loop Header: Depth=1
	scratch_load_dwordx2 v[10:11], v8, off
	ds_read_b64 v[12:13], v7
	v_add_u32_e32 v3, 1, v3
	v_cmp_lt_u32_e32 vcc, 18, v3
	v_add_u32_e32 v7, 8, v7
	v_add_u32_e32 v8, 8, v8
	s_or_b64 s[4:5], vcc, s[4:5]
	s_waitcnt vmcnt(0) lgkmcnt(0)
	v_pk_mul_f32 v[14:15], v[12:13], v[10:11] op_sel:[1,1] op_sel_hi:[0,1]
	v_pk_fma_f32 v[16:17], v[12:13], v[10:11], v[14:15] neg_lo:[0,0,1] neg_hi:[0,0,1]
	v_pk_fma_f32 v[10:11], v[12:13], v[10:11], v[14:15] op_sel_hi:[1,0,1]
	s_nop 0
	v_mov_b32_e32 v17, v11
	v_pk_add_f32 v[4:5], v[4:5], v[16:17]
	s_andn2_b64 exec, exec, s[4:5]
	s_cbranch_execnz .LBB50_93
; %bb.94:
	s_or_b64 exec, exec, s[4:5]
	v_mov_b32_e32 v3, 0
	ds_read_b64 v[8:9], v3 offset:160
	s_waitcnt lgkmcnt(0)
	v_pk_mul_f32 v[10:11], v[4:5], v[8:9] op_sel:[1,1] op_sel_hi:[0,1]
	v_pk_fma_f32 v[12:13], v[4:5], v[8:9], v[10:11] neg_lo:[0,0,1] neg_hi:[0,0,1]
	v_pk_fma_f32 v[4:5], v[4:5], v[8:9], v[10:11] op_sel_hi:[1,0,1]
	s_nop 0
	v_mov_b32_e32 v13, v5
	scratch_store_dwordx2 off, v[12:13], off offset:160
.LBB50_95:
	s_or_b64 exec, exec, s[0:1]
	; wave barrier
	scratch_load_dwordx2 v[4:5], off, off offset:168
	v_cmp_gt_u32_e32 vcc, 21, v0
	s_waitcnt vmcnt(0)
	ds_write_b64 v1, v[4:5]
	s_waitcnt lgkmcnt(0)
	; wave barrier
	s_and_saveexec_b64 s[0:1], vcc
	s_cbranch_execz .LBB50_99
; %bb.96:
	v_mov_b32_e32 v4, 0
	v_add_u32_e32 v3, -1, v0
	v_add_u32_e32 v7, 0x1a0, v2
	v_mov_b32_e32 v8, v2
	s_mov_b64 s[4:5], 0
	v_mov_b32_e32 v5, v4
.LBB50_97:                              ; =>This Inner Loop Header: Depth=1
	scratch_load_dwordx2 v[10:11], v8, off
	ds_read_b64 v[12:13], v7
	v_add_u32_e32 v3, 1, v3
	v_cmp_lt_u32_e32 vcc, 19, v3
	v_add_u32_e32 v7, 8, v7
	v_add_u32_e32 v8, 8, v8
	s_or_b64 s[4:5], vcc, s[4:5]
	s_waitcnt vmcnt(0) lgkmcnt(0)
	v_pk_mul_f32 v[14:15], v[12:13], v[10:11] op_sel:[1,1] op_sel_hi:[0,1]
	v_pk_fma_f32 v[16:17], v[12:13], v[10:11], v[14:15] neg_lo:[0,0,1] neg_hi:[0,0,1]
	v_pk_fma_f32 v[10:11], v[12:13], v[10:11], v[14:15] op_sel_hi:[1,0,1]
	s_nop 0
	v_mov_b32_e32 v17, v11
	v_pk_add_f32 v[4:5], v[4:5], v[16:17]
	s_andn2_b64 exec, exec, s[4:5]
	s_cbranch_execnz .LBB50_97
; %bb.98:
	s_or_b64 exec, exec, s[4:5]
	v_mov_b32_e32 v3, 0
	ds_read_b64 v[8:9], v3 offset:168
	s_waitcnt lgkmcnt(0)
	v_pk_mul_f32 v[10:11], v[4:5], v[8:9] op_sel:[1,1] op_sel_hi:[0,1]
	v_pk_fma_f32 v[12:13], v[4:5], v[8:9], v[10:11] neg_lo:[0,0,1] neg_hi:[0,0,1]
	v_pk_fma_f32 v[4:5], v[4:5], v[8:9], v[10:11] op_sel_hi:[1,0,1]
	s_nop 0
	v_mov_b32_e32 v13, v5
	scratch_store_dwordx2 off, v[12:13], off offset:168
.LBB50_99:
	s_or_b64 exec, exec, s[0:1]
	; wave barrier
	scratch_load_dwordx2 v[4:5], off, off offset:176
	v_cmp_gt_u32_e32 vcc, 22, v0
	s_waitcnt vmcnt(0)
	ds_write_b64 v1, v[4:5]
	s_waitcnt lgkmcnt(0)
	; wave barrier
	s_and_saveexec_b64 s[0:1], vcc
	s_cbranch_execz .LBB50_103
; %bb.100:
	v_mov_b32_e32 v4, 0
	v_add_u32_e32 v3, -1, v0
	v_add_u32_e32 v7, 0x1a0, v2
	v_mov_b32_e32 v8, v2
	s_mov_b64 s[4:5], 0
	v_mov_b32_e32 v5, v4
.LBB50_101:                             ; =>This Inner Loop Header: Depth=1
	scratch_load_dwordx2 v[10:11], v8, off
	ds_read_b64 v[12:13], v7
	v_add_u32_e32 v3, 1, v3
	v_cmp_lt_u32_e32 vcc, 20, v3
	v_add_u32_e32 v7, 8, v7
	v_add_u32_e32 v8, 8, v8
	s_or_b64 s[4:5], vcc, s[4:5]
	s_waitcnt vmcnt(0) lgkmcnt(0)
	v_pk_mul_f32 v[14:15], v[12:13], v[10:11] op_sel:[1,1] op_sel_hi:[0,1]
	v_pk_fma_f32 v[16:17], v[12:13], v[10:11], v[14:15] neg_lo:[0,0,1] neg_hi:[0,0,1]
	v_pk_fma_f32 v[10:11], v[12:13], v[10:11], v[14:15] op_sel_hi:[1,0,1]
	s_nop 0
	v_mov_b32_e32 v17, v11
	v_pk_add_f32 v[4:5], v[4:5], v[16:17]
	s_andn2_b64 exec, exec, s[4:5]
	s_cbranch_execnz .LBB50_101
; %bb.102:
	s_or_b64 exec, exec, s[4:5]
	v_mov_b32_e32 v3, 0
	ds_read_b64 v[8:9], v3 offset:176
	s_waitcnt lgkmcnt(0)
	v_pk_mul_f32 v[10:11], v[4:5], v[8:9] op_sel:[1,1] op_sel_hi:[0,1]
	v_pk_fma_f32 v[12:13], v[4:5], v[8:9], v[10:11] neg_lo:[0,0,1] neg_hi:[0,0,1]
	v_pk_fma_f32 v[4:5], v[4:5], v[8:9], v[10:11] op_sel_hi:[1,0,1]
	s_nop 0
	v_mov_b32_e32 v13, v5
	scratch_store_dwordx2 off, v[12:13], off offset:176
.LBB50_103:
	s_or_b64 exec, exec, s[0:1]
	; wave barrier
	scratch_load_dwordx2 v[4:5], off, off offset:184
	v_cmp_gt_u32_e32 vcc, 23, v0
	s_waitcnt vmcnt(0)
	ds_write_b64 v1, v[4:5]
	s_waitcnt lgkmcnt(0)
	; wave barrier
	s_and_saveexec_b64 s[0:1], vcc
	s_cbranch_execz .LBB50_107
; %bb.104:
	v_mov_b32_e32 v4, 0
	v_add_u32_e32 v3, -1, v0
	v_add_u32_e32 v7, 0x1a0, v2
	v_mov_b32_e32 v8, v2
	s_mov_b64 s[4:5], 0
	v_mov_b32_e32 v5, v4
.LBB50_105:                             ; =>This Inner Loop Header: Depth=1
	scratch_load_dwordx2 v[10:11], v8, off
	ds_read_b64 v[12:13], v7
	v_add_u32_e32 v3, 1, v3
	v_cmp_lt_u32_e32 vcc, 21, v3
	v_add_u32_e32 v7, 8, v7
	v_add_u32_e32 v8, 8, v8
	s_or_b64 s[4:5], vcc, s[4:5]
	s_waitcnt vmcnt(0) lgkmcnt(0)
	v_pk_mul_f32 v[14:15], v[12:13], v[10:11] op_sel:[1,1] op_sel_hi:[0,1]
	v_pk_fma_f32 v[16:17], v[12:13], v[10:11], v[14:15] neg_lo:[0,0,1] neg_hi:[0,0,1]
	v_pk_fma_f32 v[10:11], v[12:13], v[10:11], v[14:15] op_sel_hi:[1,0,1]
	s_nop 0
	v_mov_b32_e32 v17, v11
	v_pk_add_f32 v[4:5], v[4:5], v[16:17]
	s_andn2_b64 exec, exec, s[4:5]
	s_cbranch_execnz .LBB50_105
; %bb.106:
	s_or_b64 exec, exec, s[4:5]
	v_mov_b32_e32 v3, 0
	ds_read_b64 v[8:9], v3 offset:184
	s_waitcnt lgkmcnt(0)
	v_pk_mul_f32 v[10:11], v[4:5], v[8:9] op_sel:[1,1] op_sel_hi:[0,1]
	v_pk_fma_f32 v[12:13], v[4:5], v[8:9], v[10:11] neg_lo:[0,0,1] neg_hi:[0,0,1]
	v_pk_fma_f32 v[4:5], v[4:5], v[8:9], v[10:11] op_sel_hi:[1,0,1]
	s_nop 0
	v_mov_b32_e32 v13, v5
	scratch_store_dwordx2 off, v[12:13], off offset:184
.LBB50_107:
	s_or_b64 exec, exec, s[0:1]
	; wave barrier
	scratch_load_dwordx2 v[4:5], off, off offset:192
	v_cmp_gt_u32_e32 vcc, 24, v0
	;; [unrolled: 46-line block ×27, first 2 shown]
	s_waitcnt vmcnt(0)
	ds_write_b64 v1, v[4:5]
	s_waitcnt lgkmcnt(0)
	; wave barrier
	s_and_saveexec_b64 s[0:1], vcc
	s_cbranch_execz .LBB50_211
; %bb.208:
	v_mov_b32_e32 v4, 0
	v_add_u32_e32 v3, -1, v0
	v_add_u32_e32 v7, 0x1a0, v2
	v_mov_b32_e32 v8, v2
	s_mov_b64 s[4:5], 0
	v_mov_b32_e32 v5, v4
.LBB50_209:                             ; =>This Inner Loop Header: Depth=1
	scratch_load_dwordx2 v[10:11], v8, off
	ds_read_b64 v[12:13], v7
	v_add_u32_e32 v3, 1, v3
	v_cmp_lt_u32_e32 vcc, 47, v3
	v_add_u32_e32 v7, 8, v7
	v_add_u32_e32 v8, 8, v8
	s_or_b64 s[4:5], vcc, s[4:5]
	s_waitcnt vmcnt(0) lgkmcnt(0)
	v_pk_mul_f32 v[14:15], v[12:13], v[10:11] op_sel:[1,1] op_sel_hi:[0,1]
	v_pk_fma_f32 v[16:17], v[12:13], v[10:11], v[14:15] neg_lo:[0,0,1] neg_hi:[0,0,1]
	v_pk_fma_f32 v[10:11], v[12:13], v[10:11], v[14:15] op_sel_hi:[1,0,1]
	s_nop 0
	v_mov_b32_e32 v17, v11
	v_pk_add_f32 v[4:5], v[4:5], v[16:17]
	s_andn2_b64 exec, exec, s[4:5]
	s_cbranch_execnz .LBB50_209
; %bb.210:
	s_or_b64 exec, exec, s[4:5]
	v_mov_b32_e32 v3, 0
	ds_read_b64 v[8:9], v3 offset:392
	s_waitcnt lgkmcnt(0)
	v_pk_mul_f32 v[10:11], v[4:5], v[8:9] op_sel:[1,1] op_sel_hi:[0,1]
	v_pk_fma_f32 v[12:13], v[4:5], v[8:9], v[10:11] neg_lo:[0,0,1] neg_hi:[0,0,1]
	v_pk_fma_f32 v[4:5], v[4:5], v[8:9], v[10:11] op_sel_hi:[1,0,1]
	s_nop 0
	v_mov_b32_e32 v13, v5
	scratch_store_dwordx2 off, v[12:13], off offset:392
.LBB50_211:
	s_or_b64 exec, exec, s[0:1]
	; wave barrier
	scratch_load_dwordx2 v[4:5], off, off offset:400
	v_cmp_ne_u32_e32 vcc, 50, v0
	s_waitcnt vmcnt(0)
	ds_write_b64 v1, v[4:5]
	s_waitcnt lgkmcnt(0)
	; wave barrier
	s_and_saveexec_b64 s[0:1], vcc
	s_cbranch_execz .LBB50_215
; %bb.212:
	v_add_u32_e32 v1, 0x1a0, v2
	v_mov_b32_e32 v4, v2
	v_mov_b32_e32 v2, 0
	s_mov_b64 s[4:5], 0
	v_mov_b32_e32 v3, v2
.LBB50_213:                             ; =>This Inner Loop Header: Depth=1
	scratch_load_dwordx2 v[8:9], v4, off
	ds_read_b64 v[10:11], v1
	v_add_u32_e32 v6, 1, v6
	v_cmp_lt_u32_e32 vcc, 48, v6
	v_add_u32_e32 v1, 8, v1
	v_add_u32_e32 v4, 8, v4
	s_or_b64 s[4:5], vcc, s[4:5]
	s_waitcnt vmcnt(0) lgkmcnt(0)
	v_pk_mul_f32 v[12:13], v[10:11], v[8:9] op_sel:[1,1] op_sel_hi:[0,1]
	v_pk_fma_f32 v[14:15], v[10:11], v[8:9], v[12:13] neg_lo:[0,0,1] neg_hi:[0,0,1]
	v_pk_fma_f32 v[8:9], v[10:11], v[8:9], v[12:13] op_sel_hi:[1,0,1]
	s_nop 0
	v_mov_b32_e32 v15, v9
	v_pk_add_f32 v[2:3], v[2:3], v[14:15]
	s_andn2_b64 exec, exec, s[4:5]
	s_cbranch_execnz .LBB50_213
; %bb.214:
	s_or_b64 exec, exec, s[4:5]
	v_mov_b32_e32 v1, 0
	ds_read_b64 v[4:5], v1 offset:400
	s_waitcnt lgkmcnt(0)
	v_pk_mul_f32 v[6:7], v[2:3], v[4:5] op_sel:[1,1] op_sel_hi:[0,1]
	v_pk_fma_f32 v[8:9], v[2:3], v[4:5], v[6:7] neg_lo:[0,0,1] neg_hi:[0,0,1]
	v_pk_fma_f32 v[2:3], v[2:3], v[4:5], v[6:7] op_sel_hi:[1,0,1]
	s_nop 0
	v_mov_b32_e32 v9, v3
	scratch_store_dwordx2 off, v[8:9], off offset:400
.LBB50_215:
	s_or_b64 exec, exec, s[0:1]
	s_mov_b64 s[4:5], -1
	; wave barrier
.LBB50_216:
	s_and_b64 vcc, exec, s[4:5]
	s_cbranch_vccz .LBB50_218
; %bb.217:
	s_lshl_b64 s[0:1], s[2:3], 2
	s_add_u32 s0, s6, s0
	s_addc_u32 s1, s7, s1
	v_mov_b32_e32 v1, 0
	global_load_dword v1, v1, s[0:1]
	s_waitcnt vmcnt(0)
	v_cmp_ne_u32_e32 vcc, 0, v1
	s_cbranch_vccz .LBB50_219
.LBB50_218:
	s_endpgm
.LBB50_219:
	v_mov_b32_e32 v1, 0x1a0
	v_lshl_add_u32 v1, v0, 3, v1
	v_cmp_eq_u32_e32 vcc, 50, v0
	s_and_saveexec_b64 s[0:1], vcc
	s_cbranch_execz .LBB50_221
; %bb.220:
	scratch_load_dwordx2 v[2:3], off, off offset:392
	v_mov_b32_e32 v4, 0
	v_mov_b32_e32 v5, v4
	scratch_store_dwordx2 off, v[4:5], off offset:392
	s_waitcnt vmcnt(1)
	ds_write_b64 v1, v[2:3]
.LBB50_221:
	s_or_b64 exec, exec, s[0:1]
	s_waitcnt lgkmcnt(0)
	; wave barrier
	scratch_load_dwordx2 v[4:5], off, off offset:400
	scratch_load_dwordx2 v[6:7], off, off offset:392
	v_mov_b32_e32 v2, 0
	ds_read_b64 v[8:9], v2 offset:816
	v_cmp_lt_u32_e32 vcc, 48, v0
	s_waitcnt vmcnt(1) lgkmcnt(0)
	v_pk_mul_f32 v[10:11], v[8:9], v[4:5] op_sel:[1,1] op_sel_hi:[0,1]
	v_pk_fma_f32 v[12:13], v[8:9], v[4:5], v[10:11] neg_lo:[0,0,1] neg_hi:[0,0,1]
	v_pk_fma_f32 v[4:5], v[8:9], v[4:5], v[10:11] op_sel_hi:[1,0,1]
	s_nop 0
	v_mov_b32_e32 v13, v5
	v_pk_add_f32 v[4:5], v[12:13], 0 op_sel_hi:[1,0]
	s_waitcnt vmcnt(0)
	v_pk_add_f32 v[4:5], v[6:7], v[4:5] neg_lo:[0,1] neg_hi:[0,1]
	scratch_store_dwordx2 off, v[4:5], off offset:392
	s_and_saveexec_b64 s[0:1], vcc
	s_cbranch_execz .LBB50_223
; %bb.222:
	scratch_load_dwordx2 v[4:5], off, off offset:384
	v_mov_b32_e32 v3, v2
	scratch_store_dwordx2 off, v[2:3], off offset:384
	s_waitcnt vmcnt(1)
	ds_write_b64 v1, v[4:5]
.LBB50_223:
	s_or_b64 exec, exec, s[0:1]
	s_waitcnt lgkmcnt(0)
	; wave barrier
	scratch_load_dwordx4 v[4:7], off, off offset:392
	scratch_load_dwordx2 v[12:13], off, off offset:384
	ds_read2_b64 v[8:11], v2 offset0:101 offset1:102
	v_cmp_lt_u32_e32 vcc, 47, v0
	s_waitcnt vmcnt(1) lgkmcnt(0)
	v_pk_mul_f32 v[2:3], v[8:9], v[4:5] op_sel:[1,1] op_sel_hi:[0,1]
	v_mov_b32_e32 v14, v7
	v_pk_fma_f32 v[16:17], v[8:9], v[4:5], v[2:3] neg_lo:[0,0,1] neg_hi:[0,0,1]
	v_pk_fma_f32 v[2:3], v[8:9], v[4:5], v[2:3] op_sel_hi:[1,0,1]
	v_pk_mul_f32 v[4:5], v[10:11], v[14:15] op_sel:[1,0] op_sel_hi:[0,0]
	v_mov_b32_e32 v17, v3
	v_pk_fma_f32 v[2:3], v[10:11], v[6:7], v[4:5] neg_lo:[0,0,1] neg_hi:[0,0,1]
	v_pk_fma_f32 v[4:5], v[10:11], v[6:7], v[4:5] op_sel_hi:[1,0,1]
	v_pk_add_f32 v[6:7], v[16:17], 0 op_sel_hi:[1,0]
	v_mov_b32_e32 v3, v5
	v_pk_add_f32 v[2:3], v[6:7], v[2:3]
	s_waitcnt vmcnt(0)
	v_pk_add_f32 v[2:3], v[12:13], v[2:3] neg_lo:[0,1] neg_hi:[0,1]
	scratch_store_dwordx2 off, v[2:3], off offset:384
	s_and_saveexec_b64 s[0:1], vcc
	s_cbranch_execz .LBB50_225
; %bb.224:
	scratch_load_dwordx2 v[2:3], off, off offset:376
	v_mov_b32_e32 v4, 0
	v_mov_b32_e32 v5, v4
	scratch_store_dwordx2 off, v[4:5], off offset:376
	s_waitcnt vmcnt(1)
	ds_write_b64 v1, v[2:3]
.LBB50_225:
	s_or_b64 exec, exec, s[0:1]
	s_waitcnt lgkmcnt(0)
	; wave barrier
	scratch_load_dwordx4 v[4:7], off, off offset:384
	scratch_load_dwordx2 v[12:13], off, off offset:400
	scratch_load_dwordx2 v[14:15], off, off offset:376
	v_mov_b32_e32 v2, 0
	ds_read_b128 v[8:11], v2 offset:800
	ds_read_b64 v[16:17], v2 offset:816
	v_cmp_lt_u32_e32 vcc, 46, v0
	s_waitcnt vmcnt(2) lgkmcnt(1)
	v_pk_mul_f32 v[18:19], v[8:9], v[4:5] op_sel:[1,1] op_sel_hi:[0,1]
	v_mov_b32_e32 v20, v7
	v_pk_fma_f32 v[24:25], v[8:9], v[4:5], v[18:19] neg_lo:[0,0,1] neg_hi:[0,0,1]
	v_pk_fma_f32 v[4:5], v[8:9], v[4:5], v[18:19] op_sel_hi:[1,0,1]
	v_pk_mul_f32 v[8:9], v[10:11], v[20:21] op_sel:[1,0] op_sel_hi:[0,0]
	s_waitcnt vmcnt(1) lgkmcnt(0)
	v_pk_mul_f32 v[22:23], v[16:17], v[12:13] op_sel:[1,1] op_sel_hi:[0,1]
	v_mov_b32_e32 v25, v5
	v_pk_fma_f32 v[4:5], v[10:11], v[6:7], v[8:9] neg_lo:[0,0,1] neg_hi:[0,0,1]
	v_pk_fma_f32 v[6:7], v[10:11], v[6:7], v[8:9] op_sel_hi:[1,0,1]
	v_pk_fma_f32 v[18:19], v[16:17], v[12:13], v[22:23] neg_lo:[0,0,1] neg_hi:[0,0,1]
	v_pk_fma_f32 v[12:13], v[16:17], v[12:13], v[22:23] op_sel_hi:[1,0,1]
	v_pk_add_f32 v[8:9], v[24:25], 0 op_sel_hi:[1,0]
	v_mov_b32_e32 v5, v7
	v_mov_b32_e32 v19, v13
	v_pk_add_f32 v[4:5], v[8:9], v[4:5]
	s_nop 0
	v_pk_add_f32 v[4:5], v[4:5], v[18:19]
	s_waitcnt vmcnt(0)
	v_pk_add_f32 v[4:5], v[14:15], v[4:5] neg_lo:[0,1] neg_hi:[0,1]
	scratch_store_dwordx2 off, v[4:5], off offset:376
	s_and_saveexec_b64 s[0:1], vcc
	s_cbranch_execz .LBB50_227
; %bb.226:
	scratch_load_dwordx2 v[4:5], off, off offset:368
	v_mov_b32_e32 v3, v2
	scratch_store_dwordx2 off, v[2:3], off offset:368
	s_waitcnt vmcnt(1)
	ds_write_b64 v1, v[4:5]
.LBB50_227:
	s_or_b64 exec, exec, s[0:1]
	s_waitcnt lgkmcnt(0)
	; wave barrier
	scratch_load_dwordx4 v[4:7], off, off offset:376
	scratch_load_dwordx4 v[8:11], off, off offset:392
	ds_read2_b64 v[12:15], v2 offset0:99 offset1:100
	ds_read2_b64 v[16:19], v2 offset0:101 offset1:102
	v_cmp_lt_u32_e32 vcc, 45, v0
	s_waitcnt vmcnt(1) lgkmcnt(1)
	v_pk_mul_f32 v[2:3], v[12:13], v[4:5] op_sel:[1,1] op_sel_hi:[0,1]
	v_pk_fma_f32 v[20:21], v[12:13], v[4:5], v[2:3] neg_lo:[0,0,1] neg_hi:[0,0,1]
	v_pk_fma_f32 v[2:3], v[12:13], v[4:5], v[2:3] op_sel_hi:[1,0,1]
	v_mov_b32_e32 v4, v7
	v_pk_mul_f32 v[4:5], v[14:15], v[4:5] op_sel:[1,0] op_sel_hi:[0,0]
	v_pk_fma_f32 v[12:13], v[14:15], v[6:7], v[4:5] neg_lo:[0,0,1] neg_hi:[0,0,1]
	v_pk_fma_f32 v[4:5], v[14:15], v[6:7], v[4:5] op_sel_hi:[1,0,1]
	v_mov_b32_e32 v21, v3
	v_mov_b32_e32 v13, v5
	s_waitcnt vmcnt(0) lgkmcnt(0)
	v_pk_mul_f32 v[4:5], v[16:17], v[8:9] op_sel:[1,1] op_sel_hi:[0,1]
	v_pk_fma_f32 v[6:7], v[16:17], v[8:9], v[4:5] neg_lo:[0,0,1] neg_hi:[0,0,1]
	v_pk_fma_f32 v[4:5], v[16:17], v[8:9], v[4:5] op_sel_hi:[1,0,1]
	v_pk_add_f32 v[2:3], v[20:21], 0 op_sel_hi:[1,0]
	v_mov_b32_e32 v4, v11
	v_pk_add_f32 v[2:3], v[2:3], v[12:13]
	v_mov_b32_e32 v7, v5
	v_pk_mul_f32 v[4:5], v[18:19], v[4:5] op_sel:[1,0] op_sel_hi:[0,0]
	v_pk_add_f32 v[2:3], v[2:3], v[6:7]
	v_pk_fma_f32 v[6:7], v[18:19], v[10:11], v[4:5] neg_lo:[0,0,1] neg_hi:[0,0,1]
	v_pk_fma_f32 v[4:5], v[18:19], v[10:11], v[4:5] op_sel_hi:[1,0,1]
	s_nop 0
	v_mov_b32_e32 v7, v5
	scratch_load_dwordx2 v[4:5], off, off offset:368
	v_pk_add_f32 v[2:3], v[2:3], v[6:7]
	s_waitcnt vmcnt(0)
	v_pk_add_f32 v[2:3], v[4:5], v[2:3] neg_lo:[0,1] neg_hi:[0,1]
	scratch_store_dwordx2 off, v[2:3], off offset:368
	s_and_saveexec_b64 s[0:1], vcc
	s_cbranch_execz .LBB50_229
; %bb.228:
	scratch_load_dwordx2 v[2:3], off, off offset:360
	v_mov_b32_e32 v4, 0
	v_mov_b32_e32 v5, v4
	scratch_store_dwordx2 off, v[4:5], off offset:360
	s_waitcnt vmcnt(1)
	ds_write_b64 v1, v[2:3]
.LBB50_229:
	s_or_b64 exec, exec, s[0:1]
	s_waitcnt lgkmcnt(0)
	; wave barrier
	scratch_load_dwordx4 v[4:7], off, off offset:368
	scratch_load_dwordx4 v[8:11], off, off offset:384
	scratch_load_dwordx2 v[20:21], off, off offset:400
	scratch_load_dwordx2 v[22:23], off, off offset:360
	v_mov_b32_e32 v2, 0
	ds_read_b128 v[12:15], v2 offset:784
	ds_read_b128 v[16:19], v2 offset:800
	ds_read_b64 v[24:25], v2 offset:816
	v_cmp_lt_u32_e32 vcc, 44, v0
	s_waitcnt vmcnt(3) lgkmcnt(2)
	v_pk_mul_f32 v[26:27], v[12:13], v[4:5] op_sel:[1,1] op_sel_hi:[0,1]
	v_mov_b32_e32 v28, v7
	v_pk_fma_f32 v[36:37], v[12:13], v[4:5], v[26:27] neg_lo:[0,0,1] neg_hi:[0,0,1]
	v_pk_fma_f32 v[4:5], v[12:13], v[4:5], v[26:27] op_sel_hi:[1,0,1]
	v_pk_mul_f32 v[12:13], v[14:15], v[28:29] op_sel:[1,0] op_sel_hi:[0,0]
	s_waitcnt vmcnt(2) lgkmcnt(1)
	v_pk_mul_f32 v[30:31], v[16:17], v[8:9] op_sel:[1,1] op_sel_hi:[0,1]
	v_mov_b32_e32 v32, v11
	v_mov_b32_e32 v37, v5
	v_pk_fma_f32 v[4:5], v[14:15], v[6:7], v[12:13] neg_lo:[0,0,1] neg_hi:[0,0,1]
	v_pk_fma_f32 v[6:7], v[14:15], v[6:7], v[12:13] op_sel_hi:[1,0,1]
	v_pk_fma_f32 v[26:27], v[16:17], v[8:9], v[30:31] neg_lo:[0,0,1] neg_hi:[0,0,1]
	v_pk_fma_f32 v[8:9], v[16:17], v[8:9], v[30:31] op_sel_hi:[1,0,1]
	v_pk_mul_f32 v[16:17], v[18:19], v[32:33] op_sel:[1,0] op_sel_hi:[0,0]
	v_pk_add_f32 v[12:13], v[36:37], 0 op_sel_hi:[1,0]
	v_mov_b32_e32 v5, v7
	s_waitcnt vmcnt(1) lgkmcnt(0)
	v_pk_mul_f32 v[34:35], v[24:25], v[20:21] op_sel:[1,1] op_sel_hi:[0,1]
	v_mov_b32_e32 v27, v9
	v_pk_fma_f32 v[8:9], v[18:19], v[10:11], v[16:17] neg_lo:[0,0,1] neg_hi:[0,0,1]
	v_pk_fma_f32 v[10:11], v[18:19], v[10:11], v[16:17] op_sel_hi:[1,0,1]
	v_pk_add_f32 v[4:5], v[12:13], v[4:5]
	v_pk_fma_f32 v[28:29], v[24:25], v[20:21], v[34:35] neg_lo:[0,0,1] neg_hi:[0,0,1]
	v_pk_fma_f32 v[20:21], v[24:25], v[20:21], v[34:35] op_sel_hi:[1,0,1]
	v_mov_b32_e32 v9, v11
	v_pk_add_f32 v[4:5], v[4:5], v[26:27]
	v_mov_b32_e32 v29, v21
	v_pk_add_f32 v[4:5], v[4:5], v[8:9]
	s_nop 0
	v_pk_add_f32 v[4:5], v[4:5], v[28:29]
	s_waitcnt vmcnt(0)
	v_pk_add_f32 v[4:5], v[22:23], v[4:5] neg_lo:[0,1] neg_hi:[0,1]
	scratch_store_dwordx2 off, v[4:5], off offset:360
	s_and_saveexec_b64 s[0:1], vcc
	s_cbranch_execz .LBB50_231
; %bb.230:
	scratch_load_dwordx2 v[4:5], off, off offset:352
	v_mov_b32_e32 v3, v2
	scratch_store_dwordx2 off, v[2:3], off offset:352
	s_waitcnt vmcnt(1)
	ds_write_b64 v1, v[4:5]
.LBB50_231:
	s_or_b64 exec, exec, s[0:1]
	s_waitcnt lgkmcnt(0)
	; wave barrier
	scratch_load_dwordx4 v[4:7], off, off offset:360
	scratch_load_dwordx4 v[8:11], off, off offset:376
	;; [unrolled: 1-line block ×3, first 2 shown]
	scratch_load_dwordx2 v[28:29], off, off offset:352
	ds_read2_b64 v[16:19], v2 offset0:97 offset1:98
	ds_read2_b64 v[20:23], v2 offset0:99 offset1:100
	;; [unrolled: 1-line block ×3, first 2 shown]
	v_cmp_lt_u32_e32 vcc, 43, v0
	s_waitcnt vmcnt(3) lgkmcnt(2)
	v_pk_mul_f32 v[2:3], v[16:17], v[4:5] op_sel:[1,1] op_sel_hi:[0,1]
	v_mov_b32_e32 v30, v7
	s_waitcnt vmcnt(2) lgkmcnt(1)
	v_pk_mul_f32 v[32:33], v[20:21], v[8:9] op_sel:[1,1] op_sel_hi:[0,1]
	v_mov_b32_e32 v34, v11
	;; [unrolled: 3-line block ×3, first 2 shown]
	v_pk_fma_f32 v[40:41], v[16:17], v[4:5], v[2:3] neg_lo:[0,0,1] neg_hi:[0,0,1]
	v_pk_fma_f32 v[2:3], v[16:17], v[4:5], v[2:3] op_sel_hi:[1,0,1]
	v_pk_mul_f32 v[4:5], v[18:19], v[30:31] op_sel:[1,0] op_sel_hi:[0,0]
	v_pk_fma_f32 v[16:17], v[20:21], v[8:9], v[32:33] neg_lo:[0,0,1] neg_hi:[0,0,1]
	v_pk_fma_f32 v[8:9], v[20:21], v[8:9], v[32:33] op_sel_hi:[1,0,1]
	v_pk_mul_f32 v[20:21], v[22:23], v[34:35] op_sel:[1,0] op_sel_hi:[0,0]
	;; [unrolled: 3-line block ×3, first 2 shown]
	v_mov_b32_e32 v41, v3
	v_pk_fma_f32 v[2:3], v[18:19], v[6:7], v[4:5] neg_lo:[0,0,1] neg_hi:[0,0,1]
	v_pk_fma_f32 v[4:5], v[18:19], v[6:7], v[4:5] op_sel_hi:[1,0,1]
	v_mov_b32_e32 v17, v9
	v_pk_fma_f32 v[6:7], v[22:23], v[10:11], v[20:21] neg_lo:[0,0,1] neg_hi:[0,0,1]
	v_pk_fma_f32 v[8:9], v[22:23], v[10:11], v[20:21] op_sel_hi:[1,0,1]
	;; [unrolled: 3-line block ×3, first 2 shown]
	v_pk_add_f32 v[14:15], v[40:41], 0 op_sel_hi:[1,0]
	v_mov_b32_e32 v3, v5
	v_pk_add_f32 v[2:3], v[14:15], v[2:3]
	v_mov_b32_e32 v7, v9
	v_pk_add_f32 v[2:3], v[2:3], v[16:17]
	;; [unrolled: 2-line block ×3, first 2 shown]
	s_nop 0
	v_pk_add_f32 v[2:3], v[2:3], v[30:31]
	s_nop 0
	v_pk_add_f32 v[2:3], v[2:3], v[10:11]
	s_waitcnt vmcnt(0)
	v_pk_add_f32 v[2:3], v[28:29], v[2:3] neg_lo:[0,1] neg_hi:[0,1]
	scratch_store_dwordx2 off, v[2:3], off offset:352
	s_and_saveexec_b64 s[0:1], vcc
	s_cbranch_execz .LBB50_233
; %bb.232:
	scratch_load_dwordx2 v[2:3], off, off offset:344
	v_mov_b32_e32 v4, 0
	v_mov_b32_e32 v5, v4
	scratch_store_dwordx2 off, v[4:5], off offset:344
	s_waitcnt vmcnt(1)
	ds_write_b64 v1, v[2:3]
.LBB50_233:
	s_or_b64 exec, exec, s[0:1]
	s_waitcnt lgkmcnt(0)
	; wave barrier
	scratch_load_dwordx4 v[4:7], off, off offset:352
	scratch_load_dwordx4 v[8:11], off, off offset:368
	scratch_load_dwordx4 v[12:15], off, off offset:384
	scratch_load_dwordx2 v[28:29], off, off offset:400
	scratch_load_dwordx2 v[30:31], off, off offset:344
	v_mov_b32_e32 v2, 0
	ds_read_b128 v[16:19], v2 offset:768
	ds_read_b128 v[20:23], v2 offset:784
	;; [unrolled: 1-line block ×3, first 2 shown]
	ds_read_b64 v[32:33], v2 offset:816
	v_cmp_lt_u32_e32 vcc, 42, v0
	s_waitcnt vmcnt(4) lgkmcnt(3)
	v_pk_mul_f32 v[34:35], v[16:17], v[4:5] op_sel:[1,1] op_sel_hi:[0,1]
	v_mov_b32_e32 v36, v7
	v_pk_fma_f32 v[48:49], v[16:17], v[4:5], v[34:35] neg_lo:[0,0,1] neg_hi:[0,0,1]
	v_pk_fma_f32 v[4:5], v[16:17], v[4:5], v[34:35] op_sel_hi:[1,0,1]
	v_pk_mul_f32 v[16:17], v[18:19], v[36:37] op_sel:[1,0] op_sel_hi:[0,0]
	s_waitcnt vmcnt(3) lgkmcnt(2)
	v_pk_mul_f32 v[38:39], v[20:21], v[8:9] op_sel:[1,1] op_sel_hi:[0,1]
	v_mov_b32_e32 v40, v11
	v_mov_b32_e32 v49, v5
	v_pk_fma_f32 v[4:5], v[18:19], v[6:7], v[16:17] neg_lo:[0,0,1] neg_hi:[0,0,1]
	v_pk_fma_f32 v[6:7], v[18:19], v[6:7], v[16:17] op_sel_hi:[1,0,1]
	v_pk_fma_f32 v[34:35], v[20:21], v[8:9], v[38:39] neg_lo:[0,0,1] neg_hi:[0,0,1]
	v_pk_fma_f32 v[8:9], v[20:21], v[8:9], v[38:39] op_sel_hi:[1,0,1]
	v_pk_mul_f32 v[20:21], v[22:23], v[40:41] op_sel:[1,0] op_sel_hi:[0,0]
	v_pk_add_f32 v[16:17], v[48:49], 0 op_sel_hi:[1,0]
	v_mov_b32_e32 v5, v7
	s_waitcnt vmcnt(2) lgkmcnt(1)
	v_pk_mul_f32 v[42:43], v[24:25], v[12:13] op_sel:[1,1] op_sel_hi:[0,1]
	v_mov_b32_e32 v44, v15
	v_mov_b32_e32 v35, v9
	v_pk_fma_f32 v[8:9], v[22:23], v[10:11], v[20:21] neg_lo:[0,0,1] neg_hi:[0,0,1]
	v_pk_fma_f32 v[10:11], v[22:23], v[10:11], v[20:21] op_sel_hi:[1,0,1]
	v_pk_add_f32 v[4:5], v[16:17], v[4:5]
	v_pk_fma_f32 v[36:37], v[24:25], v[12:13], v[42:43] neg_lo:[0,0,1] neg_hi:[0,0,1]
	v_pk_fma_f32 v[12:13], v[24:25], v[12:13], v[42:43] op_sel_hi:[1,0,1]
	v_pk_mul_f32 v[24:25], v[26:27], v[44:45] op_sel:[1,0] op_sel_hi:[0,0]
	v_mov_b32_e32 v9, v11
	v_pk_add_f32 v[4:5], v[4:5], v[34:35]
	s_waitcnt vmcnt(1) lgkmcnt(0)
	v_pk_mul_f32 v[46:47], v[32:33], v[28:29] op_sel:[1,1] op_sel_hi:[0,1]
	v_mov_b32_e32 v37, v13
	v_pk_fma_f32 v[12:13], v[26:27], v[14:15], v[24:25] neg_lo:[0,0,1] neg_hi:[0,0,1]
	v_pk_fma_f32 v[14:15], v[26:27], v[14:15], v[24:25] op_sel_hi:[1,0,1]
	v_pk_add_f32 v[4:5], v[4:5], v[8:9]
	v_pk_fma_f32 v[38:39], v[32:33], v[28:29], v[46:47] neg_lo:[0,0,1] neg_hi:[0,0,1]
	v_pk_fma_f32 v[28:29], v[32:33], v[28:29], v[46:47] op_sel_hi:[1,0,1]
	v_mov_b32_e32 v13, v15
	v_pk_add_f32 v[4:5], v[4:5], v[36:37]
	v_mov_b32_e32 v39, v29
	v_pk_add_f32 v[4:5], v[4:5], v[12:13]
	s_nop 0
	v_pk_add_f32 v[4:5], v[4:5], v[38:39]
	s_waitcnt vmcnt(0)
	v_pk_add_f32 v[4:5], v[30:31], v[4:5] neg_lo:[0,1] neg_hi:[0,1]
	scratch_store_dwordx2 off, v[4:5], off offset:344
	s_and_saveexec_b64 s[0:1], vcc
	s_cbranch_execz .LBB50_235
; %bb.234:
	scratch_load_dwordx2 v[4:5], off, off offset:336
	v_mov_b32_e32 v3, v2
	scratch_store_dwordx2 off, v[2:3], off offset:336
	s_waitcnt vmcnt(1)
	ds_write_b64 v1, v[4:5]
.LBB50_235:
	s_or_b64 exec, exec, s[0:1]
	s_waitcnt lgkmcnt(0)
	; wave barrier
	scratch_load_dwordx4 v[4:7], off, off offset:344
	scratch_load_dwordx4 v[8:11], off, off offset:360
	;; [unrolled: 1-line block ×4, first 2 shown]
	scratch_load_dwordx2 v[36:37], off, off offset:336
	ds_read2_b64 v[20:23], v2 offset0:95 offset1:96
	ds_read2_b64 v[24:27], v2 offset0:97 offset1:98
	;; [unrolled: 1-line block ×4, first 2 shown]
	v_cmp_lt_u32_e32 vcc, 41, v0
	s_waitcnt vmcnt(4) lgkmcnt(3)
	v_pk_mul_f32 v[2:3], v[20:21], v[4:5] op_sel:[1,1] op_sel_hi:[0,1]
	v_mov_b32_e32 v38, v7
	s_waitcnt vmcnt(3) lgkmcnt(2)
	v_pk_mul_f32 v[40:41], v[24:25], v[8:9] op_sel:[1,1] op_sel_hi:[0,1]
	v_mov_b32_e32 v42, v11
	s_waitcnt vmcnt(2) lgkmcnt(1)
	v_pk_mul_f32 v[44:45], v[28:29], v[12:13] op_sel:[1,1] op_sel_hi:[0,1]
	v_mov_b32_e32 v46, v15
	s_waitcnt vmcnt(1) lgkmcnt(0)
	v_pk_mul_f32 v[48:49], v[32:33], v[16:17] op_sel:[1,1] op_sel_hi:[0,1]
	v_mov_b32_e32 v50, v19
	v_pk_fma_f32 v[52:53], v[20:21], v[4:5], v[2:3] neg_lo:[0,0,1] neg_hi:[0,0,1]
	v_pk_fma_f32 v[2:3], v[20:21], v[4:5], v[2:3] op_sel_hi:[1,0,1]
	v_pk_mul_f32 v[4:5], v[22:23], v[38:39] op_sel:[1,0] op_sel_hi:[0,0]
	v_pk_fma_f32 v[20:21], v[24:25], v[8:9], v[40:41] neg_lo:[0,0,1] neg_hi:[0,0,1]
	v_pk_fma_f32 v[8:9], v[24:25], v[8:9], v[40:41] op_sel_hi:[1,0,1]
	v_pk_mul_f32 v[24:25], v[26:27], v[42:43] op_sel:[1,0] op_sel_hi:[0,0]
	;; [unrolled: 3-line block ×4, first 2 shown]
	v_mov_b32_e32 v53, v3
	v_pk_fma_f32 v[2:3], v[22:23], v[6:7], v[4:5] neg_lo:[0,0,1] neg_hi:[0,0,1]
	v_pk_fma_f32 v[4:5], v[22:23], v[6:7], v[4:5] op_sel_hi:[1,0,1]
	v_mov_b32_e32 v21, v9
	v_pk_fma_f32 v[6:7], v[26:27], v[10:11], v[24:25] neg_lo:[0,0,1] neg_hi:[0,0,1]
	v_pk_fma_f32 v[8:9], v[26:27], v[10:11], v[24:25] op_sel_hi:[1,0,1]
	v_mov_b32_e32 v39, v13
	v_pk_fma_f32 v[10:11], v[30:31], v[14:15], v[28:29] neg_lo:[0,0,1] neg_hi:[0,0,1]
	v_pk_fma_f32 v[12:13], v[30:31], v[14:15], v[28:29] op_sel_hi:[1,0,1]
	v_mov_b32_e32 v41, v17
	v_pk_fma_f32 v[14:15], v[34:35], v[18:19], v[32:33] neg_lo:[0,0,1] neg_hi:[0,0,1]
	v_pk_fma_f32 v[16:17], v[34:35], v[18:19], v[32:33] op_sel_hi:[1,0,1]
	v_pk_add_f32 v[18:19], v[52:53], 0 op_sel_hi:[1,0]
	v_mov_b32_e32 v3, v5
	v_pk_add_f32 v[2:3], v[18:19], v[2:3]
	v_mov_b32_e32 v7, v9
	v_pk_add_f32 v[2:3], v[2:3], v[20:21]
	;; [unrolled: 2-line block ×4, first 2 shown]
	s_nop 0
	v_pk_add_f32 v[2:3], v[2:3], v[10:11]
	s_nop 0
	v_pk_add_f32 v[2:3], v[2:3], v[40:41]
	;; [unrolled: 2-line block ×3, first 2 shown]
	s_waitcnt vmcnt(0)
	v_pk_add_f32 v[2:3], v[36:37], v[2:3] neg_lo:[0,1] neg_hi:[0,1]
	scratch_store_dwordx2 off, v[2:3], off offset:336
	s_and_saveexec_b64 s[0:1], vcc
	s_cbranch_execz .LBB50_237
; %bb.236:
	scratch_load_dwordx2 v[2:3], off, off offset:328
	v_mov_b32_e32 v4, 0
	v_mov_b32_e32 v5, v4
	scratch_store_dwordx2 off, v[4:5], off offset:328
	s_waitcnt vmcnt(1)
	ds_write_b64 v1, v[2:3]
.LBB50_237:
	s_or_b64 exec, exec, s[0:1]
	s_waitcnt lgkmcnt(0)
	; wave barrier
	scratch_load_dwordx4 v[4:7], off, off offset:336
	scratch_load_dwordx4 v[8:11], off, off offset:352
	;; [unrolled: 1-line block ×4, first 2 shown]
	scratch_load_dwordx2 v[36:37], off, off offset:400
	scratch_load_dwordx2 v[38:39], off, off offset:328
	v_mov_b32_e32 v2, 0
	ds_read_b128 v[20:23], v2 offset:752
	ds_read_b128 v[24:27], v2 offset:768
	;; [unrolled: 1-line block ×4, first 2 shown]
	ds_read_b64 v[40:41], v2 offset:816
	v_cmp_lt_u32_e32 vcc, 40, v0
	s_waitcnt vmcnt(5) lgkmcnt(4)
	v_mul_f32_e32 v43, v20, v5
	v_mul_f32_e32 v3, v21, v5
	v_mov_b32_e32 v44, v7
	s_waitcnt vmcnt(4) lgkmcnt(3)
	v_pk_mul_f32 v[46:47], v[24:25], v[8:9] op_sel:[1,1] op_sel_hi:[0,1]
	v_mov_b32_e32 v48, v11
	s_waitcnt vmcnt(1) lgkmcnt(0)
	v_pk_mul_f32 v[58:59], v[40:41], v[36:37] op_sel:[1,1] op_sel_hi:[0,1]
	v_fmac_f32_e32 v43, v21, v4
	v_fma_f32 v42, v20, v4, -v3
	v_pk_mul_f32 v[4:5], v[22:23], v[44:45] op_sel:[1,0] op_sel_hi:[0,0]
	v_pk_fma_f32 v[20:21], v[24:25], v[8:9], v[46:47] neg_lo:[0,0,1] neg_hi:[0,0,1]
	v_pk_fma_f32 v[8:9], v[24:25], v[8:9], v[46:47] op_sel_hi:[1,0,1]
	v_pk_mul_f32 v[24:25], v[26:27], v[48:49] op_sel:[1,0] op_sel_hi:[0,0]
	v_pk_fma_f32 v[48:49], v[40:41], v[36:37], v[58:59] neg_lo:[0,0,1] neg_hi:[0,0,1]
	v_pk_fma_f32 v[36:37], v[40:41], v[36:37], v[58:59] op_sel_hi:[1,0,1]
	v_pk_add_f32 v[40:41], v[42:43], 0 op_sel_hi:[1,0]
	v_pk_fma_f32 v[42:43], v[22:23], v[6:7], v[4:5] neg_lo:[0,0,1] neg_hi:[0,0,1]
	v_pk_fma_f32 v[4:5], v[22:23], v[6:7], v[4:5] op_sel_hi:[1,0,1]
	v_pk_mul_f32 v[50:51], v[28:29], v[12:13] op_sel:[1,1] op_sel_hi:[0,1]
	v_mov_b32_e32 v43, v5
	v_mov_b32_e32 v52, v15
	;; [unrolled: 1-line block ×3, first 2 shown]
	v_pk_fma_f32 v[6:7], v[26:27], v[10:11], v[24:25] neg_lo:[0,0,1] neg_hi:[0,0,1]
	v_pk_fma_f32 v[8:9], v[26:27], v[10:11], v[24:25] op_sel_hi:[1,0,1]
	v_pk_add_f32 v[4:5], v[40:41], v[42:43]
	v_pk_fma_f32 v[44:45], v[28:29], v[12:13], v[50:51] neg_lo:[0,0,1] neg_hi:[0,0,1]
	v_pk_fma_f32 v[12:13], v[28:29], v[12:13], v[50:51] op_sel_hi:[1,0,1]
	v_pk_mul_f32 v[28:29], v[30:31], v[52:53] op_sel:[1,0] op_sel_hi:[0,0]
	v_mov_b32_e32 v7, v9
	v_pk_add_f32 v[4:5], v[4:5], v[20:21]
	v_pk_mul_f32 v[54:55], v[32:33], v[16:17] op_sel:[1,1] op_sel_hi:[0,1]
	v_mov_b32_e32 v56, v19
	v_mov_b32_e32 v45, v13
	v_pk_fma_f32 v[10:11], v[30:31], v[14:15], v[28:29] neg_lo:[0,0,1] neg_hi:[0,0,1]
	v_pk_fma_f32 v[12:13], v[30:31], v[14:15], v[28:29] op_sel_hi:[1,0,1]
	v_pk_add_f32 v[4:5], v[4:5], v[6:7]
	v_pk_fma_f32 v[46:47], v[32:33], v[16:17], v[54:55] neg_lo:[0,0,1] neg_hi:[0,0,1]
	v_pk_fma_f32 v[16:17], v[32:33], v[16:17], v[54:55] op_sel_hi:[1,0,1]
	v_pk_mul_f32 v[32:33], v[34:35], v[56:57] op_sel:[1,0] op_sel_hi:[0,0]
	v_mov_b32_e32 v11, v13
	v_pk_add_f32 v[4:5], v[4:5], v[44:45]
	v_mov_b32_e32 v47, v17
	v_pk_fma_f32 v[14:15], v[34:35], v[18:19], v[32:33] neg_lo:[0,0,1] neg_hi:[0,0,1]
	v_pk_fma_f32 v[16:17], v[34:35], v[18:19], v[32:33] op_sel_hi:[1,0,1]
	v_pk_add_f32 v[4:5], v[4:5], v[10:11]
	v_mov_b32_e32 v15, v17
	v_pk_add_f32 v[4:5], v[4:5], v[46:47]
	v_mov_b32_e32 v49, v37
	v_pk_add_f32 v[4:5], v[4:5], v[14:15]
	s_nop 0
	v_pk_add_f32 v[4:5], v[4:5], v[48:49]
	s_waitcnt vmcnt(0)
	v_pk_add_f32 v[4:5], v[38:39], v[4:5] neg_lo:[0,1] neg_hi:[0,1]
	scratch_store_dwordx2 off, v[4:5], off offset:328
	s_and_saveexec_b64 s[0:1], vcc
	s_cbranch_execz .LBB50_239
; %bb.238:
	scratch_load_dwordx2 v[4:5], off, off offset:320
	v_mov_b32_e32 v3, v2
	scratch_store_dwordx2 off, v[2:3], off offset:320
	s_waitcnt vmcnt(1)
	ds_write_b64 v1, v[4:5]
.LBB50_239:
	s_or_b64 exec, exec, s[0:1]
	s_waitcnt lgkmcnt(0)
	; wave barrier
	scratch_load_dwordx4 v[4:7], off, off offset:328
	scratch_load_dwordx4 v[8:11], off, off offset:344
	;; [unrolled: 1-line block ×5, first 2 shown]
	scratch_load_dwordx2 v[44:45], off, off offset:320
	ds_read2_b64 v[24:27], v2 offset0:93 offset1:94
	ds_read2_b64 v[28:31], v2 offset0:95 offset1:96
	;; [unrolled: 1-line block ×5, first 2 shown]
	v_cmp_lt_u32_e32 vcc, 39, v0
	s_waitcnt vmcnt(5) lgkmcnt(4)
	v_mul_f32_e32 v3, v24, v5
	v_mul_f32_e32 v2, v25, v5
	;; [unrolled: 1-line block ×4, first 2 shown]
	s_waitcnt vmcnt(4) lgkmcnt(3)
	v_pk_mul_f32 v[48:49], v[28:29], v[8:9] op_sel:[1,1] op_sel_hi:[0,1]
	v_mov_b32_e32 v50, v11
	v_fmac_f32_e32 v3, v25, v4
	v_fma_f32 v2, v24, v4, -v2
	v_fmac_f32_e32 v47, v27, v6
	v_fma_f32 v46, v26, v6, -v5
	v_pk_fma_f32 v[4:5], v[28:29], v[8:9], v[48:49] neg_lo:[0,0,1] neg_hi:[0,0,1]
	v_pk_fma_f32 v[6:7], v[28:29], v[8:9], v[48:49] op_sel_hi:[1,0,1]
	v_pk_mul_f32 v[8:9], v[30:31], v[50:51] op_sel:[1,0] op_sel_hi:[0,0]
	v_pk_add_f32 v[2:3], v[2:3], 0 op_sel_hi:[1,0]
	s_waitcnt vmcnt(3) lgkmcnt(2)
	v_pk_mul_f32 v[52:53], v[32:33], v[12:13] op_sel:[1,1] op_sel_hi:[0,1]
	v_mov_b32_e32 v54, v15
	v_mov_b32_e32 v5, v7
	v_pk_fma_f32 v[6:7], v[30:31], v[10:11], v[8:9] neg_lo:[0,0,1] neg_hi:[0,0,1]
	v_pk_fma_f32 v[8:9], v[30:31], v[10:11], v[8:9] op_sel_hi:[1,0,1]
	v_pk_add_f32 v[2:3], v[2:3], v[46:47]
	v_pk_fma_f32 v[24:25], v[32:33], v[12:13], v[52:53] neg_lo:[0,0,1] neg_hi:[0,0,1]
	v_pk_fma_f32 v[12:13], v[32:33], v[12:13], v[52:53] op_sel_hi:[1,0,1]
	v_pk_mul_f32 v[26:27], v[34:35], v[54:55] op_sel:[1,0] op_sel_hi:[0,0]
	v_mov_b32_e32 v7, v9
	v_pk_add_f32 v[2:3], v[2:3], v[4:5]
	s_waitcnt vmcnt(2) lgkmcnt(1)
	v_pk_mul_f32 v[56:57], v[36:37], v[16:17] op_sel:[1,1] op_sel_hi:[0,1]
	v_mov_b32_e32 v58, v19
	v_mov_b32_e32 v25, v13
	v_pk_fma_f32 v[10:11], v[34:35], v[14:15], v[26:27] neg_lo:[0,0,1] neg_hi:[0,0,1]
	v_pk_fma_f32 v[12:13], v[34:35], v[14:15], v[26:27] op_sel_hi:[1,0,1]
	v_pk_add_f32 v[2:3], v[2:3], v[6:7]
	v_pk_fma_f32 v[28:29], v[36:37], v[16:17], v[56:57] neg_lo:[0,0,1] neg_hi:[0,0,1]
	v_pk_fma_f32 v[16:17], v[36:37], v[16:17], v[56:57] op_sel_hi:[1,0,1]
	v_pk_mul_f32 v[32:33], v[38:39], v[58:59] op_sel:[1,0] op_sel_hi:[0,0]
	v_mov_b32_e32 v11, v13
	v_pk_add_f32 v[2:3], v[2:3], v[24:25]
	s_waitcnt vmcnt(1) lgkmcnt(0)
	v_pk_mul_f32 v[60:61], v[40:41], v[20:21] op_sel:[1,1] op_sel_hi:[0,1]
	v_mov_b32_e32 v62, v23
	v_mov_b32_e32 v29, v17
	v_pk_fma_f32 v[14:15], v[38:39], v[18:19], v[32:33] neg_lo:[0,0,1] neg_hi:[0,0,1]
	v_pk_fma_f32 v[16:17], v[38:39], v[18:19], v[32:33] op_sel_hi:[1,0,1]
	v_pk_add_f32 v[2:3], v[2:3], v[10:11]
	v_pk_fma_f32 v[36:37], v[40:41], v[20:21], v[60:61] neg_lo:[0,0,1] neg_hi:[0,0,1]
	v_pk_fma_f32 v[20:21], v[40:41], v[20:21], v[60:61] op_sel_hi:[1,0,1]
	v_pk_mul_f32 v[40:41], v[42:43], v[62:63] op_sel:[1,0] op_sel_hi:[0,0]
	v_mov_b32_e32 v15, v17
	v_pk_add_f32 v[2:3], v[2:3], v[28:29]
	v_mov_b32_e32 v37, v21
	v_pk_fma_f32 v[18:19], v[42:43], v[22:23], v[40:41] neg_lo:[0,0,1] neg_hi:[0,0,1]
	v_pk_fma_f32 v[20:21], v[42:43], v[22:23], v[40:41] op_sel_hi:[1,0,1]
	v_pk_add_f32 v[2:3], v[2:3], v[14:15]
	v_mov_b32_e32 v19, v21
	v_pk_add_f32 v[2:3], v[2:3], v[36:37]
	s_nop 0
	v_pk_add_f32 v[2:3], v[2:3], v[18:19]
	s_waitcnt vmcnt(0)
	v_pk_add_f32 v[2:3], v[44:45], v[2:3] neg_lo:[0,1] neg_hi:[0,1]
	scratch_store_dwordx2 off, v[2:3], off offset:320
	s_and_saveexec_b64 s[0:1], vcc
	s_cbranch_execz .LBB50_241
; %bb.240:
	scratch_load_dwordx2 v[2:3], off, off offset:312
	v_mov_b32_e32 v4, 0
	v_mov_b32_e32 v5, v4
	scratch_store_dwordx2 off, v[4:5], off offset:312
	s_waitcnt vmcnt(1)
	ds_write_b64 v1, v[2:3]
.LBB50_241:
	s_or_b64 exec, exec, s[0:1]
	s_waitcnt lgkmcnt(0)
	; wave barrier
	scratch_load_dwordx4 v[4:7], off, off offset:320
	scratch_load_dwordx4 v[8:11], off, off offset:336
	;; [unrolled: 1-line block ×5, first 2 shown]
	scratch_load_dwordx2 v[44:45], off, off offset:400
	scratch_load_dwordx2 v[46:47], off, off offset:312
	v_mov_b32_e32 v2, 0
	ds_read_b128 v[24:27], v2 offset:736
	ds_read_b128 v[28:31], v2 offset:752
	;; [unrolled: 1-line block ×5, first 2 shown]
	ds_read_b64 v[48:49], v2 offset:816
	v_cmp_lt_u32_e32 vcc, 38, v0
	s_waitcnt vmcnt(6) lgkmcnt(5)
	v_mul_f32_e32 v3, v24, v5
	v_mul_f32_e32 v5, v25, v5
	;; [unrolled: 1-line block ×3, first 2 shown]
	s_waitcnt vmcnt(5) lgkmcnt(4)
	v_mul_f32_e32 v53, v28, v9
	v_mul_f32_e32 v7, v27, v7
	;; [unrolled: 1-line block ×3, first 2 shown]
	v_mov_b32_e32 v54, v11
	s_waitcnt vmcnt(3) lgkmcnt(2)
	v_pk_mul_f32 v[60:61], v[36:37], v[16:17] op_sel:[1,1] op_sel_hi:[0,1]
	s_waitcnt vmcnt(2) lgkmcnt(1)
	v_pk_mul_f32 v[64:65], v[40:41], v[20:21] op_sel:[1,1] op_sel_hi:[0,1]
	;; [unrolled: 2-line block ×3, first 2 shown]
	v_fmac_f32_e32 v3, v25, v4
	v_fma_f32 v55, v24, v4, -v5
	v_fmac_f32_e32 v51, v27, v6
	v_fmac_f32_e32 v53, v29, v8
	v_fma_f32 v50, v26, v6, -v7
	v_fma_f32 v52, v28, v8, -v9
	v_pk_mul_f32 v[4:5], v[30:31], v[54:55] op_sel:[1,0] op_sel_hi:[0,0]
	v_pk_fma_f32 v[24:25], v[36:37], v[16:17], v[60:61] neg_lo:[0,0,1] neg_hi:[0,0,1]
	v_pk_fma_f32 v[16:17], v[36:37], v[16:17], v[60:61] op_sel_hi:[1,0,1]
	v_pk_fma_f32 v[28:29], v[40:41], v[20:21], v[64:65] neg_lo:[0,0,1] neg_hi:[0,0,1]
	v_pk_fma_f32 v[20:21], v[40:41], v[20:21], v[64:65] op_sel_hi:[1,0,1]
	v_pk_fma_f32 v[36:37], v[48:49], v[44:45], v[68:69] neg_lo:[0,0,1] neg_hi:[0,0,1]
	v_pk_fma_f32 v[40:41], v[48:49], v[44:45], v[68:69] op_sel_hi:[1,0,1]
	v_add_f32_e32 v45, 0, v3
	v_add_f32_e32 v44, 0, v55
	v_pk_mul_f32 v[56:57], v[32:33], v[12:13] op_sel:[1,1] op_sel_hi:[0,1]
	v_mov_b32_e32 v58, v15
	v_pk_fma_f32 v[48:49], v[30:31], v[10:11], v[4:5] neg_lo:[0,0,1] neg_hi:[0,0,1]
	v_pk_fma_f32 v[4:5], v[30:31], v[10:11], v[4:5] op_sel_hi:[1,0,1]
	v_mov_b32_e32 v29, v21
	v_pk_add_f32 v[20:21], v[44:45], v[50:51]
	v_pk_fma_f32 v[6:7], v[32:33], v[12:13], v[56:57] neg_lo:[0,0,1] neg_hi:[0,0,1]
	v_pk_fma_f32 v[8:9], v[32:33], v[12:13], v[56:57] op_sel_hi:[1,0,1]
	v_pk_mul_f32 v[12:13], v[34:35], v[58:59] op_sel:[1,0] op_sel_hi:[0,0]
	v_mov_b32_e32 v49, v5
	v_pk_add_f32 v[4:5], v[20:21], v[52:53]
	v_mov_b32_e32 v62, v19
	v_mov_b32_e32 v7, v9
	v_pk_fma_f32 v[8:9], v[34:35], v[14:15], v[12:13] neg_lo:[0,0,1] neg_hi:[0,0,1]
	v_pk_fma_f32 v[10:11], v[34:35], v[14:15], v[12:13] op_sel_hi:[1,0,1]
	v_pk_add_f32 v[4:5], v[4:5], v[48:49]
	v_pk_mul_f32 v[26:27], v[38:39], v[62:63] op_sel:[1,0] op_sel_hi:[0,0]
	v_mov_b32_e32 v9, v11
	v_pk_add_f32 v[4:5], v[4:5], v[6:7]
	v_mov_b32_e32 v66, v23
	v_mov_b32_e32 v25, v17
	v_pk_fma_f32 v[12:13], v[38:39], v[18:19], v[26:27] neg_lo:[0,0,1] neg_hi:[0,0,1]
	v_pk_fma_f32 v[14:15], v[38:39], v[18:19], v[26:27] op_sel_hi:[1,0,1]
	v_pk_add_f32 v[4:5], v[4:5], v[8:9]
	v_pk_mul_f32 v[32:33], v[42:43], v[66:67] op_sel:[1,0] op_sel_hi:[0,0]
	v_mov_b32_e32 v13, v15
	v_pk_add_f32 v[4:5], v[4:5], v[24:25]
	v_pk_fma_f32 v[16:17], v[42:43], v[22:23], v[32:33] neg_lo:[0,0,1] neg_hi:[0,0,1]
	v_pk_fma_f32 v[18:19], v[42:43], v[22:23], v[32:33] op_sel_hi:[1,0,1]
	v_pk_add_f32 v[4:5], v[4:5], v[12:13]
	v_mov_b32_e32 v17, v19
	v_pk_add_f32 v[4:5], v[4:5], v[28:29]
	v_mov_b32_e32 v37, v41
	v_pk_add_f32 v[4:5], v[4:5], v[16:17]
	s_nop 0
	v_pk_add_f32 v[4:5], v[4:5], v[36:37]
	s_waitcnt vmcnt(0)
	v_pk_add_f32 v[4:5], v[46:47], v[4:5] neg_lo:[0,1] neg_hi:[0,1]
	scratch_store_dwordx2 off, v[4:5], off offset:312
	s_and_saveexec_b64 s[0:1], vcc
	s_cbranch_execz .LBB50_243
; %bb.242:
	scratch_load_dwordx2 v[4:5], off, off offset:304
	v_mov_b32_e32 v3, v2
	scratch_store_dwordx2 off, v[2:3], off offset:304
	s_waitcnt vmcnt(1)
	ds_write_b64 v1, v[4:5]
.LBB50_243:
	s_or_b64 exec, exec, s[0:1]
	s_waitcnt lgkmcnt(0)
	; wave barrier
	scratch_load_dwordx4 v[8:11], off, off offset:312
	scratch_load_dwordx4 v[16:19], off, off offset:328
	ds_read2_b64 v[4:7], v2 offset0:91 offset1:92
	v_cmp_lt_u32_e32 vcc, 37, v0
	s_waitcnt vmcnt(1) lgkmcnt(0)
	v_mul_f32_e32 v3, v4, v9
	v_fmac_f32_e32 v3, v5, v8
	v_mul_f32_e32 v12, v6, v11
	v_add_f32_e32 v3, 0, v3
	v_fmac_f32_e32 v12, v7, v10
	v_add_f32_e32 v37, v3, v12
	ds_read2_b64 v[12:15], v2 offset0:93 offset1:94
	scratch_load_dwordx4 v[20:23], off, off offset:344
	scratch_load_dwordx4 v[24:27], off, off offset:360
	;; [unrolled: 1-line block ×4, first 2 shown]
	v_mul_f32_e32 v3, v5, v9
	v_fma_f32 v3, v4, v8, -v3
	v_mul_f32_e32 v4, v7, v11
	v_add_f32_e32 v3, 0, v3
	v_fma_f32 v4, v6, v10, -v4
	v_add_f32_e32 v36, v3, v4
	s_waitcnt vmcnt(4) lgkmcnt(0)
	v_mul_f32_e32 v3, v13, v17
	v_mul_f32_e32 v39, v12, v17
	;; [unrolled: 1-line block ×3, first 2 shown]
	v_fma_f32 v38, v12, v16, -v3
	v_mul_f32_e32 v3, v15, v19
	v_fmac_f32_e32 v39, v13, v16
	v_fmac_f32_e32 v41, v15, v18
	v_fma_f32 v40, v14, v18, -v3
	ds_read2_b64 v[4:7], v2 offset0:95 offset1:96
	ds_read2_b64 v[8:11], v2 offset0:97 offset1:98
	;; [unrolled: 1-line block ×4, first 2 shown]
	v_pk_add_f32 v[2:3], v[36:37], v[38:39]
	s_waitcnt vmcnt(3) lgkmcnt(3)
	v_pk_mul_f32 v[36:37], v[4:5], v[20:21] op_sel:[1,1] op_sel_hi:[0,1]
	v_pk_fma_f32 v[38:39], v[4:5], v[20:21], v[36:37] neg_lo:[0,0,1] neg_hi:[0,0,1]
	v_pk_fma_f32 v[4:5], v[4:5], v[20:21], v[36:37] op_sel_hi:[1,0,1]
	v_pk_add_f32 v[2:3], v[2:3], v[40:41]
	v_mov_b32_e32 v4, v23
	v_mov_b32_e32 v39, v5
	v_pk_mul_f32 v[4:5], v[6:7], v[4:5] op_sel:[1,0] op_sel_hi:[0,0]
	v_pk_fma_f32 v[20:21], v[6:7], v[22:23], v[4:5] neg_lo:[0,0,1] neg_hi:[0,0,1]
	v_pk_fma_f32 v[4:5], v[6:7], v[22:23], v[4:5] op_sel_hi:[1,0,1]
	v_pk_add_f32 v[2:3], v[2:3], v[38:39]
	v_mov_b32_e32 v21, v5
	s_waitcnt vmcnt(2) lgkmcnt(2)
	v_pk_mul_f32 v[4:5], v[8:9], v[24:25] op_sel:[1,1] op_sel_hi:[0,1]
	v_pk_fma_f32 v[6:7], v[8:9], v[24:25], v[4:5] neg_lo:[0,0,1] neg_hi:[0,0,1]
	v_pk_fma_f32 v[4:5], v[8:9], v[24:25], v[4:5] op_sel_hi:[1,0,1]
	v_pk_add_f32 v[2:3], v[2:3], v[20:21]
	v_mov_b32_e32 v4, v27
	v_mov_b32_e32 v7, v5
	v_pk_mul_f32 v[4:5], v[10:11], v[4:5] op_sel:[1,0] op_sel_hi:[0,0]
	v_pk_add_f32 v[2:3], v[2:3], v[6:7]
	v_pk_fma_f32 v[6:7], v[10:11], v[26:27], v[4:5] neg_lo:[0,0,1] neg_hi:[0,0,1]
	v_pk_fma_f32 v[4:5], v[10:11], v[26:27], v[4:5] op_sel_hi:[1,0,1]
	s_nop 0
	v_mov_b32_e32 v7, v5
	s_waitcnt vmcnt(1) lgkmcnt(1)
	v_pk_mul_f32 v[4:5], v[12:13], v[28:29] op_sel:[1,1] op_sel_hi:[0,1]
	v_pk_add_f32 v[2:3], v[2:3], v[6:7]
	v_pk_fma_f32 v[6:7], v[12:13], v[28:29], v[4:5] neg_lo:[0,0,1] neg_hi:[0,0,1]
	v_pk_fma_f32 v[4:5], v[12:13], v[28:29], v[4:5] op_sel_hi:[1,0,1]
	s_nop 0
	v_mov_b32_e32 v4, v31
	v_mov_b32_e32 v7, v5
	v_pk_mul_f32 v[4:5], v[14:15], v[4:5] op_sel:[1,0] op_sel_hi:[0,0]
	v_pk_add_f32 v[2:3], v[2:3], v[6:7]
	v_pk_fma_f32 v[6:7], v[14:15], v[30:31], v[4:5] neg_lo:[0,0,1] neg_hi:[0,0,1]
	v_pk_fma_f32 v[4:5], v[14:15], v[30:31], v[4:5] op_sel_hi:[1,0,1]
	s_nop 0
	v_mov_b32_e32 v7, v5
	s_waitcnt vmcnt(0) lgkmcnt(0)
	v_pk_mul_f32 v[4:5], v[16:17], v[32:33] op_sel:[1,1] op_sel_hi:[0,1]
	v_pk_add_f32 v[2:3], v[2:3], v[6:7]
	v_pk_fma_f32 v[6:7], v[16:17], v[32:33], v[4:5] neg_lo:[0,0,1] neg_hi:[0,0,1]
	v_pk_fma_f32 v[4:5], v[16:17], v[32:33], v[4:5] op_sel_hi:[1,0,1]
	s_nop 0
	v_mov_b32_e32 v4, v35
	v_mov_b32_e32 v7, v5
	v_pk_mul_f32 v[4:5], v[18:19], v[4:5] op_sel:[1,0] op_sel_hi:[0,0]
	v_pk_add_f32 v[2:3], v[2:3], v[6:7]
	v_pk_fma_f32 v[6:7], v[18:19], v[34:35], v[4:5] neg_lo:[0,0,1] neg_hi:[0,0,1]
	v_pk_fma_f32 v[4:5], v[18:19], v[34:35], v[4:5] op_sel_hi:[1,0,1]
	s_nop 0
	v_mov_b32_e32 v7, v5
	scratch_load_dwordx2 v[4:5], off, off offset:304
	v_pk_add_f32 v[2:3], v[2:3], v[6:7]
	s_waitcnt vmcnt(0)
	v_pk_add_f32 v[2:3], v[4:5], v[2:3] neg_lo:[0,1] neg_hi:[0,1]
	scratch_store_dwordx2 off, v[2:3], off offset:304
	s_and_saveexec_b64 s[0:1], vcc
	s_cbranch_execz .LBB50_245
; %bb.244:
	scratch_load_dwordx2 v[2:3], off, off offset:296
	v_mov_b32_e32 v4, 0
	v_mov_b32_e32 v5, v4
	scratch_store_dwordx2 off, v[4:5], off offset:296
	s_waitcnt vmcnt(1)
	ds_write_b64 v1, v[2:3]
.LBB50_245:
	s_or_b64 exec, exec, s[0:1]
	v_mov_b32_e32 v2, 0
	s_waitcnt lgkmcnt(0)
	; wave barrier
	ds_read_b128 v[4:7], v2 offset:720
	ds_read_b128 v[8:11], v2 offset:736
	;; [unrolled: 1-line block ×4, first 2 shown]
	scratch_load_dwordx4 v[20:23], off, off offset:304
	v_cmp_lt_u32_e32 vcc, 36, v0
	s_waitcnt vmcnt(0) lgkmcnt(3)
	v_mul_f32_e32 v3, v4, v21
	v_fmac_f32_e32 v3, v5, v20
	v_mul_f32_e32 v24, v6, v23
	v_add_f32_e32 v3, 0, v3
	v_fmac_f32_e32 v24, v7, v22
	v_add_f32_e32 v3, v3, v24
	scratch_load_dwordx4 v[24:27], off, off offset:320
	s_waitcnt vmcnt(0) lgkmcnt(2)
	v_mul_f32_e32 v28, v8, v25
	v_fmac_f32_e32 v28, v9, v24
	v_add_f32_e32 v45, v3, v28
	scratch_load_dwordx4 v[28:31], off, off offset:336
	scratch_load_dwordx4 v[32:35], off, off offset:352
	;; [unrolled: 1-line block ×4, first 2 shown]
	scratch_load_dwordx2 v[50:51], off, off offset:400
	v_mul_f32_e32 v3, v5, v21
	v_fma_f32 v3, v4, v20, -v3
	v_mul_f32_e32 v4, v7, v23
	v_add_f32_e32 v3, 0, v3
	v_fma_f32 v4, v6, v22, -v4
	v_add_f32_e32 v3, v3, v4
	v_mul_f32_e32 v4, v9, v25
	v_fma_f32 v4, v8, v24, -v4
	v_mul_f32_e32 v47, v10, v27
	v_add_f32_e32 v44, v3, v4
	v_mul_f32_e32 v3, v11, v27
	v_fmac_f32_e32 v47, v11, v26
	v_fma_f32 v46, v10, v26, -v3
	v_pk_add_f32 v[20:21], v[44:45], v[46:47]
	s_waitcnt vmcnt(4)
	v_mov_b32_e32 v22, v31
	s_waitcnt lgkmcnt(1)
	v_mul_f32_e32 v49, v12, v29
	v_mul_f32_e32 v3, v13, v29
	v_pk_mul_f32 v[22:23], v[14:15], v[22:23] op_sel:[1,0] op_sel_hi:[0,0]
	v_fmac_f32_e32 v49, v13, v28
	v_fma_f32 v48, v12, v28, -v3
	v_pk_fma_f32 v[24:25], v[14:15], v[30:31], v[22:23] neg_lo:[0,0,1] neg_hi:[0,0,1]
	v_pk_fma_f32 v[14:15], v[14:15], v[30:31], v[22:23] op_sel_hi:[1,0,1]
	v_pk_add_f32 v[20:21], v[20:21], v[48:49]
	v_mov_b32_e32 v25, v15
	v_pk_add_f32 v[14:15], v[20:21], v[24:25]
	s_waitcnt vmcnt(3) lgkmcnt(0)
	v_pk_mul_f32 v[20:21], v[16:17], v[32:33] op_sel:[1,1] op_sel_hi:[0,1]
	v_pk_fma_f32 v[22:23], v[16:17], v[32:33], v[20:21] neg_lo:[0,0,1] neg_hi:[0,0,1]
	v_pk_fma_f32 v[16:17], v[16:17], v[32:33], v[20:21] op_sel_hi:[1,0,1]
	ds_read_b128 v[4:7], v2 offset:784
	ds_read_b128 v[8:11], v2 offset:800
	ds_read_b64 v[12:13], v2 offset:816
	v_mov_b32_e32 v16, v35
	v_mov_b32_e32 v23, v17
	v_pk_mul_f32 v[16:17], v[18:19], v[16:17] op_sel:[1,0] op_sel_hi:[0,0]
	v_pk_fma_f32 v[20:21], v[18:19], v[34:35], v[16:17] neg_lo:[0,0,1] neg_hi:[0,0,1]
	v_pk_fma_f32 v[16:17], v[18:19], v[34:35], v[16:17] op_sel_hi:[1,0,1]
	v_pk_add_f32 v[14:15], v[14:15], v[22:23]
	v_mov_b32_e32 v21, v17
	s_waitcnt vmcnt(2) lgkmcnt(2)
	v_pk_mul_f32 v[16:17], v[4:5], v[36:37] op_sel:[1,1] op_sel_hi:[0,1]
	v_pk_fma_f32 v[18:19], v[4:5], v[36:37], v[16:17] neg_lo:[0,0,1] neg_hi:[0,0,1]
	v_pk_fma_f32 v[4:5], v[4:5], v[36:37], v[16:17] op_sel_hi:[1,0,1]
	v_pk_add_f32 v[14:15], v[14:15], v[20:21]
	v_mov_b32_e32 v19, v5
	v_pk_add_f32 v[4:5], v[14:15], v[18:19]
	v_mov_b32_e32 v14, v39
	v_pk_mul_f32 v[14:15], v[6:7], v[14:15] op_sel:[1,0] op_sel_hi:[0,0]
	v_pk_fma_f32 v[16:17], v[6:7], v[38:39], v[14:15] neg_lo:[0,0,1] neg_hi:[0,0,1]
	v_pk_fma_f32 v[6:7], v[6:7], v[38:39], v[14:15] op_sel_hi:[1,0,1]
	s_nop 0
	v_mov_b32_e32 v17, v7
	s_waitcnt vmcnt(1) lgkmcnt(1)
	v_pk_mul_f32 v[6:7], v[8:9], v[40:41] op_sel:[1,1] op_sel_hi:[0,1]
	v_pk_fma_f32 v[14:15], v[8:9], v[40:41], v[6:7] neg_lo:[0,0,1] neg_hi:[0,0,1]
	v_pk_fma_f32 v[6:7], v[8:9], v[40:41], v[6:7] op_sel_hi:[1,0,1]
	v_pk_add_f32 v[4:5], v[4:5], v[16:17]
	v_mov_b32_e32 v6, v43
	v_mov_b32_e32 v15, v7
	v_pk_mul_f32 v[6:7], v[10:11], v[6:7] op_sel:[1,0] op_sel_hi:[0,0]
	v_pk_fma_f32 v[8:9], v[10:11], v[42:43], v[6:7] neg_lo:[0,0,1] neg_hi:[0,0,1]
	v_pk_fma_f32 v[6:7], v[10:11], v[42:43], v[6:7] op_sel_hi:[1,0,1]
	v_pk_add_f32 v[4:5], v[4:5], v[14:15]
	v_mov_b32_e32 v9, v7
	s_waitcnt vmcnt(0) lgkmcnt(0)
	v_pk_mul_f32 v[6:7], v[12:13], v[50:51] op_sel:[1,1] op_sel_hi:[0,1]
	v_pk_add_f32 v[4:5], v[4:5], v[8:9]
	v_pk_fma_f32 v[8:9], v[12:13], v[50:51], v[6:7] neg_lo:[0,0,1] neg_hi:[0,0,1]
	v_pk_fma_f32 v[6:7], v[12:13], v[50:51], v[6:7] op_sel_hi:[1,0,1]
	s_nop 0
	v_mov_b32_e32 v9, v7
	scratch_load_dwordx2 v[6:7], off, off offset:296
	v_pk_add_f32 v[4:5], v[4:5], v[8:9]
	s_waitcnt vmcnt(0)
	v_pk_add_f32 v[4:5], v[6:7], v[4:5] neg_lo:[0,1] neg_hi:[0,1]
	scratch_store_dwordx2 off, v[4:5], off offset:296
	s_and_saveexec_b64 s[0:1], vcc
	s_cbranch_execz .LBB50_247
; %bb.246:
	scratch_load_dwordx2 v[4:5], off, off offset:288
	v_mov_b32_e32 v3, v2
	scratch_store_dwordx2 off, v[2:3], off offset:288
	s_waitcnt vmcnt(1)
	ds_write_b64 v1, v[4:5]
.LBB50_247:
	s_or_b64 exec, exec, s[0:1]
	s_waitcnt lgkmcnt(0)
	; wave barrier
	scratch_load_dwordx4 v[8:11], off, off offset:296
	scratch_load_dwordx4 v[16:19], off, off offset:312
	ds_read2_b64 v[4:7], v2 offset0:89 offset1:90
	scratch_load_dwordx4 v[24:27], off, off offset:328
	v_cmp_lt_u32_e32 vcc, 35, v0
	s_waitcnt vmcnt(2) lgkmcnt(0)
	v_mul_f32_e32 v3, v4, v9
	v_fmac_f32_e32 v3, v5, v8
	v_mul_f32_e32 v12, v6, v11
	v_add_f32_e32 v3, 0, v3
	v_fmac_f32_e32 v12, v7, v10
	v_add_f32_e32 v3, v3, v12
	ds_read2_b64 v[12:15], v2 offset0:91 offset1:92
	s_waitcnt vmcnt(1) lgkmcnt(0)
	v_mul_f32_e32 v20, v12, v17
	v_fmac_f32_e32 v20, v13, v16
	v_add_f32_e32 v3, v3, v20
	v_mul_f32_e32 v20, v14, v19
	v_fmac_f32_e32 v20, v15, v18
	v_add_f32_e32 v45, v3, v20
	ds_read2_b64 v[20:23], v2 offset0:93 offset1:94
	scratch_load_dwordx4 v[28:31], off, off offset:344
	scratch_load_dwordx4 v[32:35], off, off offset:360
	;; [unrolled: 1-line block ×4, first 2 shown]
	v_mul_f32_e32 v3, v5, v9
	v_fma_f32 v3, v4, v8, -v3
	v_mul_f32_e32 v4, v7, v11
	v_add_f32_e32 v3, 0, v3
	v_fma_f32 v4, v6, v10, -v4
	v_add_f32_e32 v3, v3, v4
	v_mul_f32_e32 v4, v13, v17
	v_fma_f32 v4, v12, v16, -v4
	v_add_f32_e32 v3, v3, v4
	v_mul_f32_e32 v4, v15, v19
	v_fma_f32 v4, v14, v18, -v4
	v_add_f32_e32 v44, v3, v4
	ds_read2_b64 v[4:7], v2 offset0:95 offset1:96
	ds_read2_b64 v[8:11], v2 offset0:97 offset1:98
	;; [unrolled: 1-line block ×4, first 2 shown]
	s_waitcnt vmcnt(4) lgkmcnt(4)
	v_mul_f32_e32 v47, v20, v25
	v_mul_f32_e32 v3, v21, v25
	v_fmac_f32_e32 v47, v21, v24
	v_mul_f32_e32 v49, v22, v27
	v_fma_f32 v46, v20, v24, -v3
	v_mul_f32_e32 v3, v23, v27
	v_fmac_f32_e32 v49, v23, v26
	v_fma_f32 v48, v22, v26, -v3
	v_pk_add_f32 v[2:3], v[44:45], v[46:47]
	s_waitcnt vmcnt(3) lgkmcnt(3)
	v_pk_mul_f32 v[20:21], v[4:5], v[28:29] op_sel:[1,1] op_sel_hi:[0,1]
	v_pk_fma_f32 v[22:23], v[4:5], v[28:29], v[20:21] neg_lo:[0,0,1] neg_hi:[0,0,1]
	v_pk_fma_f32 v[4:5], v[4:5], v[28:29], v[20:21] op_sel_hi:[1,0,1]
	v_pk_add_f32 v[2:3], v[2:3], v[48:49]
	v_mov_b32_e32 v4, v31
	v_mov_b32_e32 v23, v5
	v_pk_mul_f32 v[4:5], v[6:7], v[4:5] op_sel:[1,0] op_sel_hi:[0,0]
	v_pk_fma_f32 v[20:21], v[6:7], v[30:31], v[4:5] neg_lo:[0,0,1] neg_hi:[0,0,1]
	v_pk_fma_f32 v[4:5], v[6:7], v[30:31], v[4:5] op_sel_hi:[1,0,1]
	v_pk_add_f32 v[2:3], v[2:3], v[22:23]
	v_mov_b32_e32 v21, v5
	s_waitcnt vmcnt(2) lgkmcnt(2)
	v_pk_mul_f32 v[4:5], v[8:9], v[32:33] op_sel:[1,1] op_sel_hi:[0,1]
	v_pk_fma_f32 v[6:7], v[8:9], v[32:33], v[4:5] neg_lo:[0,0,1] neg_hi:[0,0,1]
	v_pk_fma_f32 v[4:5], v[8:9], v[32:33], v[4:5] op_sel_hi:[1,0,1]
	v_pk_add_f32 v[2:3], v[2:3], v[20:21]
	v_mov_b32_e32 v4, v35
	v_mov_b32_e32 v7, v5
	v_pk_mul_f32 v[4:5], v[10:11], v[4:5] op_sel:[1,0] op_sel_hi:[0,0]
	v_pk_add_f32 v[2:3], v[2:3], v[6:7]
	v_pk_fma_f32 v[6:7], v[10:11], v[34:35], v[4:5] neg_lo:[0,0,1] neg_hi:[0,0,1]
	v_pk_fma_f32 v[4:5], v[10:11], v[34:35], v[4:5] op_sel_hi:[1,0,1]
	s_nop 0
	v_mov_b32_e32 v7, v5
	s_waitcnt vmcnt(1) lgkmcnt(1)
	v_pk_mul_f32 v[4:5], v[12:13], v[36:37] op_sel:[1,1] op_sel_hi:[0,1]
	v_pk_add_f32 v[2:3], v[2:3], v[6:7]
	v_pk_fma_f32 v[6:7], v[12:13], v[36:37], v[4:5] neg_lo:[0,0,1] neg_hi:[0,0,1]
	v_pk_fma_f32 v[4:5], v[12:13], v[36:37], v[4:5] op_sel_hi:[1,0,1]
	s_nop 0
	v_mov_b32_e32 v4, v39
	v_mov_b32_e32 v7, v5
	v_pk_mul_f32 v[4:5], v[14:15], v[4:5] op_sel:[1,0] op_sel_hi:[0,0]
	v_pk_add_f32 v[2:3], v[2:3], v[6:7]
	v_pk_fma_f32 v[6:7], v[14:15], v[38:39], v[4:5] neg_lo:[0,0,1] neg_hi:[0,0,1]
	v_pk_fma_f32 v[4:5], v[14:15], v[38:39], v[4:5] op_sel_hi:[1,0,1]
	s_nop 0
	v_mov_b32_e32 v7, v5
	s_waitcnt vmcnt(0) lgkmcnt(0)
	v_pk_mul_f32 v[4:5], v[16:17], v[40:41] op_sel:[1,1] op_sel_hi:[0,1]
	v_pk_add_f32 v[2:3], v[2:3], v[6:7]
	v_pk_fma_f32 v[6:7], v[16:17], v[40:41], v[4:5] neg_lo:[0,0,1] neg_hi:[0,0,1]
	v_pk_fma_f32 v[4:5], v[16:17], v[40:41], v[4:5] op_sel_hi:[1,0,1]
	s_nop 0
	v_mov_b32_e32 v4, v43
	v_mov_b32_e32 v7, v5
	v_pk_mul_f32 v[4:5], v[18:19], v[4:5] op_sel:[1,0] op_sel_hi:[0,0]
	v_pk_add_f32 v[2:3], v[2:3], v[6:7]
	v_pk_fma_f32 v[6:7], v[18:19], v[42:43], v[4:5] neg_lo:[0,0,1] neg_hi:[0,0,1]
	v_pk_fma_f32 v[4:5], v[18:19], v[42:43], v[4:5] op_sel_hi:[1,0,1]
	s_nop 0
	v_mov_b32_e32 v7, v5
	scratch_load_dwordx2 v[4:5], off, off offset:288
	v_pk_add_f32 v[2:3], v[2:3], v[6:7]
	s_waitcnt vmcnt(0)
	v_pk_add_f32 v[2:3], v[4:5], v[2:3] neg_lo:[0,1] neg_hi:[0,1]
	scratch_store_dwordx2 off, v[2:3], off offset:288
	s_and_saveexec_b64 s[0:1], vcc
	s_cbranch_execz .LBB50_249
; %bb.248:
	scratch_load_dwordx2 v[2:3], off, off offset:280
	v_mov_b32_e32 v4, 0
	v_mov_b32_e32 v5, v4
	scratch_store_dwordx2 off, v[4:5], off offset:280
	s_waitcnt vmcnt(1)
	ds_write_b64 v1, v[2:3]
.LBB50_249:
	s_or_b64 exec, exec, s[0:1]
	v_mov_b32_e32 v2, 0
	s_waitcnt lgkmcnt(0)
	; wave barrier
	ds_read_b128 v[4:7], v2 offset:704
	ds_read_b128 v[8:11], v2 offset:720
	;; [unrolled: 1-line block ×4, first 2 shown]
	scratch_load_dwordx4 v[20:23], off, off offset:288
	v_cmp_lt_u32_e32 vcc, 34, v0
	s_waitcnt vmcnt(0) lgkmcnt(3)
	v_mul_f32_e32 v3, v4, v21
	v_fmac_f32_e32 v3, v5, v20
	v_mul_f32_e32 v24, v6, v23
	v_add_f32_e32 v3, 0, v3
	v_fmac_f32_e32 v24, v7, v22
	v_add_f32_e32 v3, v3, v24
	scratch_load_dwordx4 v[24:27], off, off offset:304
	s_waitcnt vmcnt(0) lgkmcnt(2)
	v_mul_f32_e32 v28, v8, v25
	v_fmac_f32_e32 v28, v9, v24
	v_add_f32_e32 v3, v3, v28
	v_mul_f32_e32 v28, v10, v27
	v_fmac_f32_e32 v28, v11, v26
	v_add_f32_e32 v3, v3, v28
	scratch_load_dwordx4 v[28:31], off, off offset:320
	s_waitcnt vmcnt(0) lgkmcnt(1)
	v_mul_f32_e32 v32, v12, v29
	v_fmac_f32_e32 v32, v13, v28
	v_add_f32_e32 v49, v3, v32
	scratch_load_dwordx4 v[32:35], off, off offset:336
	scratch_load_dwordx4 v[36:39], off, off offset:352
	;; [unrolled: 1-line block ×4, first 2 shown]
	scratch_load_dwordx2 v[54:55], off, off offset:400
	v_mul_f32_e32 v3, v5, v21
	v_fma_f32 v3, v4, v20, -v3
	v_mul_f32_e32 v4, v7, v23
	v_add_f32_e32 v3, 0, v3
	v_fma_f32 v4, v6, v22, -v4
	v_add_f32_e32 v3, v3, v4
	v_mul_f32_e32 v4, v9, v25
	v_fma_f32 v4, v8, v24, -v4
	v_add_f32_e32 v3, v3, v4
	v_mul_f32_e32 v4, v11, v27
	v_fma_f32 v4, v10, v26, -v4
	v_add_f32_e32 v3, v3, v4
	v_mul_f32_e32 v4, v13, v29
	v_fma_f32 v4, v12, v28, -v4
	v_mul_f32_e32 v51, v14, v31
	v_add_f32_e32 v48, v3, v4
	v_mul_f32_e32 v3, v15, v31
	v_fmac_f32_e32 v51, v15, v30
	v_fma_f32 v50, v14, v30, -v3
	v_pk_add_f32 v[20:21], v[48:49], v[50:51]
	s_waitcnt vmcnt(4)
	v_mov_b32_e32 v22, v35
	s_waitcnt lgkmcnt(0)
	v_mul_f32_e32 v53, v16, v33
	v_mul_f32_e32 v3, v17, v33
	v_pk_mul_f32 v[22:23], v[18:19], v[22:23] op_sel:[1,0] op_sel_hi:[0,0]
	v_fmac_f32_e32 v53, v17, v32
	v_fma_f32 v52, v16, v32, -v3
	ds_read_b128 v[4:7], v2 offset:768
	ds_read_b128 v[8:11], v2 offset:784
	;; [unrolled: 1-line block ×3, first 2 shown]
	ds_read_b64 v[16:17], v2 offset:816
	v_pk_fma_f32 v[24:25], v[18:19], v[34:35], v[22:23] neg_lo:[0,0,1] neg_hi:[0,0,1]
	v_pk_fma_f32 v[18:19], v[18:19], v[34:35], v[22:23] op_sel_hi:[1,0,1]
	v_pk_add_f32 v[20:21], v[20:21], v[52:53]
	v_mov_b32_e32 v25, v19
	v_pk_add_f32 v[18:19], v[20:21], v[24:25]
	s_waitcnt vmcnt(3) lgkmcnt(3)
	v_pk_mul_f32 v[20:21], v[4:5], v[36:37] op_sel:[1,1] op_sel_hi:[0,1]
	v_pk_fma_f32 v[22:23], v[4:5], v[36:37], v[20:21] neg_lo:[0,0,1] neg_hi:[0,0,1]
	v_pk_fma_f32 v[4:5], v[4:5], v[36:37], v[20:21] op_sel_hi:[1,0,1]
	s_nop 0
	v_mov_b32_e32 v23, v5
	v_pk_add_f32 v[4:5], v[18:19], v[22:23]
	v_mov_b32_e32 v18, v39
	v_pk_mul_f32 v[18:19], v[6:7], v[18:19] op_sel:[1,0] op_sel_hi:[0,0]
	v_pk_fma_f32 v[20:21], v[6:7], v[38:39], v[18:19] neg_lo:[0,0,1] neg_hi:[0,0,1]
	v_pk_fma_f32 v[6:7], v[6:7], v[38:39], v[18:19] op_sel_hi:[1,0,1]
	s_nop 0
	v_mov_b32_e32 v21, v7
	s_waitcnt vmcnt(2) lgkmcnt(2)
	v_pk_mul_f32 v[6:7], v[8:9], v[40:41] op_sel:[1,1] op_sel_hi:[0,1]
	v_pk_fma_f32 v[18:19], v[8:9], v[40:41], v[6:7] neg_lo:[0,0,1] neg_hi:[0,0,1]
	v_pk_fma_f32 v[6:7], v[8:9], v[40:41], v[6:7] op_sel_hi:[1,0,1]
	v_pk_add_f32 v[4:5], v[4:5], v[20:21]
	v_mov_b32_e32 v6, v43
	v_mov_b32_e32 v19, v7
	v_pk_mul_f32 v[6:7], v[10:11], v[6:7] op_sel:[1,0] op_sel_hi:[0,0]
	v_pk_fma_f32 v[8:9], v[10:11], v[42:43], v[6:7] neg_lo:[0,0,1] neg_hi:[0,0,1]
	v_pk_fma_f32 v[6:7], v[10:11], v[42:43], v[6:7] op_sel_hi:[1,0,1]
	v_pk_add_f32 v[4:5], v[4:5], v[18:19]
	v_mov_b32_e32 v9, v7
	s_waitcnt vmcnt(1) lgkmcnt(1)
	v_pk_mul_f32 v[6:7], v[12:13], v[44:45] op_sel:[1,1] op_sel_hi:[0,1]
	v_pk_add_f32 v[4:5], v[4:5], v[8:9]
	v_pk_fma_f32 v[8:9], v[12:13], v[44:45], v[6:7] neg_lo:[0,0,1] neg_hi:[0,0,1]
	v_pk_fma_f32 v[6:7], v[12:13], v[44:45], v[6:7] op_sel_hi:[1,0,1]
	s_nop 0
	v_mov_b32_e32 v6, v47
	v_mov_b32_e32 v9, v7
	v_pk_mul_f32 v[6:7], v[14:15], v[6:7] op_sel:[1,0] op_sel_hi:[0,0]
	v_pk_add_f32 v[4:5], v[4:5], v[8:9]
	v_pk_fma_f32 v[8:9], v[14:15], v[46:47], v[6:7] neg_lo:[0,0,1] neg_hi:[0,0,1]
	v_pk_fma_f32 v[6:7], v[14:15], v[46:47], v[6:7] op_sel_hi:[1,0,1]
	s_nop 0
	v_mov_b32_e32 v9, v7
	s_waitcnt vmcnt(0) lgkmcnt(0)
	v_pk_mul_f32 v[6:7], v[16:17], v[54:55] op_sel:[1,1] op_sel_hi:[0,1]
	v_pk_add_f32 v[4:5], v[4:5], v[8:9]
	v_pk_fma_f32 v[8:9], v[16:17], v[54:55], v[6:7] neg_lo:[0,0,1] neg_hi:[0,0,1]
	v_pk_fma_f32 v[6:7], v[16:17], v[54:55], v[6:7] op_sel_hi:[1,0,1]
	s_nop 0
	v_mov_b32_e32 v9, v7
	scratch_load_dwordx2 v[6:7], off, off offset:280
	v_pk_add_f32 v[4:5], v[4:5], v[8:9]
	s_waitcnt vmcnt(0)
	v_pk_add_f32 v[4:5], v[6:7], v[4:5] neg_lo:[0,1] neg_hi:[0,1]
	scratch_store_dwordx2 off, v[4:5], off offset:280
	s_and_saveexec_b64 s[0:1], vcc
	s_cbranch_execz .LBB50_251
; %bb.250:
	scratch_load_dwordx2 v[4:5], off, off offset:272
	v_mov_b32_e32 v3, v2
	scratch_store_dwordx2 off, v[2:3], off offset:272
	s_waitcnt vmcnt(1)
	ds_write_b64 v1, v[4:5]
.LBB50_251:
	s_or_b64 exec, exec, s[0:1]
	s_waitcnt lgkmcnt(0)
	; wave barrier
	scratch_load_dwordx4 v[8:11], off, off offset:280
	scratch_load_dwordx4 v[16:19], off, off offset:296
	scratch_load_dwordx4 v[24:27], off, off offset:312
	scratch_load_dwordx4 v[32:35], off, off offset:328
	ds_read2_b64 v[4:7], v2 offset0:87 offset1:88
	v_cmp_lt_u32_e32 vcc, 33, v0
	s_waitcnt vmcnt(3) lgkmcnt(0)
	v_mul_f32_e32 v3, v4, v9
	v_fmac_f32_e32 v3, v5, v8
	v_mul_f32_e32 v12, v6, v11
	v_add_f32_e32 v3, 0, v3
	v_fmac_f32_e32 v12, v7, v10
	v_add_f32_e32 v3, v3, v12
	ds_read2_b64 v[12:15], v2 offset0:89 offset1:90
	s_waitcnt vmcnt(2) lgkmcnt(0)
	v_mul_f32_e32 v20, v12, v17
	v_fmac_f32_e32 v20, v13, v16
	v_add_f32_e32 v3, v3, v20
	v_mul_f32_e32 v20, v14, v19
	v_fmac_f32_e32 v20, v15, v18
	v_add_f32_e32 v3, v3, v20
	ds_read2_b64 v[20:23], v2 offset0:91 offset1:92
	s_waitcnt vmcnt(1) lgkmcnt(0)
	v_mul_f32_e32 v28, v20, v25
	v_fmac_f32_e32 v28, v21, v24
	v_add_f32_e32 v3, v3, v28
	v_mul_f32_e32 v28, v22, v27
	v_fmac_f32_e32 v28, v23, v26
	v_add_f32_e32 v53, v3, v28
	ds_read2_b64 v[28:31], v2 offset0:93 offset1:94
	scratch_load_dwordx4 v[36:39], off, off offset:344
	scratch_load_dwordx4 v[40:43], off, off offset:360
	scratch_load_dwordx4 v[44:47], off, off offset:376
	scratch_load_dwordx4 v[48:51], off, off offset:392
	v_mul_f32_e32 v3, v5, v9
	v_fma_f32 v3, v4, v8, -v3
	v_mul_f32_e32 v4, v7, v11
	v_add_f32_e32 v3, 0, v3
	v_fma_f32 v4, v6, v10, -v4
	v_add_f32_e32 v3, v3, v4
	v_mul_f32_e32 v4, v13, v17
	v_fma_f32 v4, v12, v16, -v4
	v_add_f32_e32 v3, v3, v4
	v_mul_f32_e32 v4, v15, v19
	;; [unrolled: 3-line block ×4, first 2 shown]
	v_fma_f32 v4, v22, v26, -v4
	v_add_f32_e32 v52, v3, v4
	ds_read2_b64 v[4:7], v2 offset0:95 offset1:96
	ds_read2_b64 v[8:11], v2 offset0:97 offset1:98
	;; [unrolled: 1-line block ×4, first 2 shown]
	s_waitcnt vmcnt(4) lgkmcnt(4)
	v_mul_f32_e32 v55, v28, v33
	v_mul_f32_e32 v3, v29, v33
	v_fmac_f32_e32 v55, v29, v32
	v_mul_f32_e32 v57, v30, v35
	v_fma_f32 v54, v28, v32, -v3
	v_mul_f32_e32 v3, v31, v35
	v_fmac_f32_e32 v57, v31, v34
	v_fma_f32 v56, v30, v34, -v3
	v_pk_add_f32 v[2:3], v[52:53], v[54:55]
	s_waitcnt vmcnt(3) lgkmcnt(3)
	v_pk_mul_f32 v[20:21], v[4:5], v[36:37] op_sel:[1,1] op_sel_hi:[0,1]
	v_pk_fma_f32 v[22:23], v[4:5], v[36:37], v[20:21] neg_lo:[0,0,1] neg_hi:[0,0,1]
	v_pk_fma_f32 v[4:5], v[4:5], v[36:37], v[20:21] op_sel_hi:[1,0,1]
	v_pk_add_f32 v[2:3], v[2:3], v[56:57]
	v_mov_b32_e32 v4, v39
	v_mov_b32_e32 v23, v5
	v_pk_mul_f32 v[4:5], v[6:7], v[4:5] op_sel:[1,0] op_sel_hi:[0,0]
	v_pk_fma_f32 v[20:21], v[6:7], v[38:39], v[4:5] neg_lo:[0,0,1] neg_hi:[0,0,1]
	v_pk_fma_f32 v[4:5], v[6:7], v[38:39], v[4:5] op_sel_hi:[1,0,1]
	v_pk_add_f32 v[2:3], v[2:3], v[22:23]
	v_mov_b32_e32 v21, v5
	s_waitcnt vmcnt(2) lgkmcnt(2)
	v_pk_mul_f32 v[4:5], v[8:9], v[40:41] op_sel:[1,1] op_sel_hi:[0,1]
	v_pk_fma_f32 v[6:7], v[8:9], v[40:41], v[4:5] neg_lo:[0,0,1] neg_hi:[0,0,1]
	v_pk_fma_f32 v[4:5], v[8:9], v[40:41], v[4:5] op_sel_hi:[1,0,1]
	v_pk_add_f32 v[2:3], v[2:3], v[20:21]
	v_mov_b32_e32 v4, v43
	v_mov_b32_e32 v7, v5
	v_pk_mul_f32 v[4:5], v[10:11], v[4:5] op_sel:[1,0] op_sel_hi:[0,0]
	v_pk_add_f32 v[2:3], v[2:3], v[6:7]
	v_pk_fma_f32 v[6:7], v[10:11], v[42:43], v[4:5] neg_lo:[0,0,1] neg_hi:[0,0,1]
	v_pk_fma_f32 v[4:5], v[10:11], v[42:43], v[4:5] op_sel_hi:[1,0,1]
	s_nop 0
	v_mov_b32_e32 v7, v5
	s_waitcnt vmcnt(1) lgkmcnt(1)
	v_pk_mul_f32 v[4:5], v[12:13], v[44:45] op_sel:[1,1] op_sel_hi:[0,1]
	v_pk_add_f32 v[2:3], v[2:3], v[6:7]
	v_pk_fma_f32 v[6:7], v[12:13], v[44:45], v[4:5] neg_lo:[0,0,1] neg_hi:[0,0,1]
	v_pk_fma_f32 v[4:5], v[12:13], v[44:45], v[4:5] op_sel_hi:[1,0,1]
	s_nop 0
	v_mov_b32_e32 v4, v47
	v_mov_b32_e32 v7, v5
	v_pk_mul_f32 v[4:5], v[14:15], v[4:5] op_sel:[1,0] op_sel_hi:[0,0]
	v_pk_add_f32 v[2:3], v[2:3], v[6:7]
	v_pk_fma_f32 v[6:7], v[14:15], v[46:47], v[4:5] neg_lo:[0,0,1] neg_hi:[0,0,1]
	v_pk_fma_f32 v[4:5], v[14:15], v[46:47], v[4:5] op_sel_hi:[1,0,1]
	s_nop 0
	v_mov_b32_e32 v7, v5
	s_waitcnt vmcnt(0) lgkmcnt(0)
	v_pk_mul_f32 v[4:5], v[16:17], v[48:49] op_sel:[1,1] op_sel_hi:[0,1]
	v_pk_add_f32 v[2:3], v[2:3], v[6:7]
	v_pk_fma_f32 v[6:7], v[16:17], v[48:49], v[4:5] neg_lo:[0,0,1] neg_hi:[0,0,1]
	v_pk_fma_f32 v[4:5], v[16:17], v[48:49], v[4:5] op_sel_hi:[1,0,1]
	s_nop 0
	v_mov_b32_e32 v4, v51
	v_mov_b32_e32 v7, v5
	v_pk_mul_f32 v[4:5], v[18:19], v[4:5] op_sel:[1,0] op_sel_hi:[0,0]
	v_pk_add_f32 v[2:3], v[2:3], v[6:7]
	v_pk_fma_f32 v[6:7], v[18:19], v[50:51], v[4:5] neg_lo:[0,0,1] neg_hi:[0,0,1]
	v_pk_fma_f32 v[4:5], v[18:19], v[50:51], v[4:5] op_sel_hi:[1,0,1]
	s_nop 0
	v_mov_b32_e32 v7, v5
	scratch_load_dwordx2 v[4:5], off, off offset:272
	v_pk_add_f32 v[2:3], v[2:3], v[6:7]
	s_waitcnt vmcnt(0)
	v_pk_add_f32 v[2:3], v[4:5], v[2:3] neg_lo:[0,1] neg_hi:[0,1]
	scratch_store_dwordx2 off, v[2:3], off offset:272
	s_and_saveexec_b64 s[0:1], vcc
	s_cbranch_execz .LBB50_253
; %bb.252:
	scratch_load_dwordx2 v[2:3], off, off offset:264
	v_mov_b32_e32 v4, 0
	v_mov_b32_e32 v5, v4
	scratch_store_dwordx2 off, v[4:5], off offset:264
	s_waitcnt vmcnt(1)
	ds_write_b64 v1, v[2:3]
.LBB50_253:
	s_or_b64 exec, exec, s[0:1]
	v_mov_b32_e32 v2, 0
	s_waitcnt lgkmcnt(0)
	; wave barrier
	ds_read_b128 v[4:7], v2 offset:688
	ds_read_b128 v[8:11], v2 offset:704
	ds_read_b128 v[12:15], v2 offset:720
	ds_read_b128 v[16:19], v2 offset:736
	scratch_load_dwordx4 v[20:23], off, off offset:272
	scratch_load_dwordx4 v[40:43], off, off offset:336
	v_cmp_lt_u32_e32 vcc, 32, v0
	s_waitcnt vmcnt(1) lgkmcnt(3)
	v_mul_f32_e32 v3, v4, v21
	v_fmac_f32_e32 v3, v5, v20
	v_mul_f32_e32 v24, v6, v23
	v_add_f32_e32 v3, 0, v3
	v_fmac_f32_e32 v24, v7, v22
	v_add_f32_e32 v3, v3, v24
	scratch_load_dwordx4 v[24:27], off, off offset:288
	s_waitcnt vmcnt(0) lgkmcnt(2)
	v_mul_f32_e32 v28, v8, v25
	v_fmac_f32_e32 v28, v9, v24
	v_add_f32_e32 v3, v3, v28
	v_mul_f32_e32 v28, v10, v27
	v_fmac_f32_e32 v28, v11, v26
	v_add_f32_e32 v3, v3, v28
	scratch_load_dwordx4 v[28:31], off, off offset:304
	s_waitcnt vmcnt(0) lgkmcnt(1)
	v_mul_f32_e32 v32, v12, v29
	v_fmac_f32_e32 v32, v13, v28
	v_add_f32_e32 v3, v3, v32
	v_mul_f32_e32 v32, v14, v31
	v_fmac_f32_e32 v32, v15, v30
	v_add_f32_e32 v3, v3, v32
	scratch_load_dwordx4 v[32:35], off, off offset:320
	s_waitcnt vmcnt(0) lgkmcnt(0)
	v_mul_f32_e32 v36, v16, v33
	v_fmac_f32_e32 v36, v17, v32
	v_add_f32_e32 v57, v3, v36
	ds_read_b128 v[36:39], v2 offset:752
	scratch_load_dwordx4 v[44:47], off, off offset:352
	scratch_load_dwordx4 v[48:51], off, off offset:368
	;; [unrolled: 1-line block ×3, first 2 shown]
	scratch_load_dwordx2 v[62:63], off, off offset:400
	v_mul_f32_e32 v3, v5, v21
	v_fma_f32 v3, v4, v20, -v3
	v_mul_f32_e32 v4, v7, v23
	v_add_f32_e32 v3, 0, v3
	v_fma_f32 v4, v6, v22, -v4
	v_add_f32_e32 v3, v3, v4
	v_mul_f32_e32 v4, v9, v25
	v_fma_f32 v4, v8, v24, -v4
	v_add_f32_e32 v3, v3, v4
	v_mul_f32_e32 v4, v11, v27
	;; [unrolled: 3-line block ×5, first 2 shown]
	v_fma_f32 v4, v16, v32, -v4
	v_mul_f32_e32 v59, v18, v35
	v_add_f32_e32 v56, v3, v4
	v_mul_f32_e32 v3, v19, v35
	v_mov_b32_e32 v20, v43
	v_fmac_f32_e32 v59, v19, v34
	s_waitcnt lgkmcnt(0)
	v_mul_f32_e32 v61, v36, v41
	v_fma_f32 v58, v18, v34, -v3
	v_mul_f32_e32 v3, v37, v41
	ds_read_b128 v[4:7], v2 offset:768
	ds_read_b128 v[8:11], v2 offset:784
	;; [unrolled: 1-line block ×3, first 2 shown]
	ds_read_b64 v[16:17], v2 offset:816
	v_pk_mul_f32 v[20:21], v[38:39], v[20:21] op_sel:[1,0] op_sel_hi:[0,0]
	v_fmac_f32_e32 v61, v37, v40
	v_fma_f32 v60, v36, v40, -v3
	v_pk_add_f32 v[18:19], v[56:57], v[58:59]
	v_pk_fma_f32 v[22:23], v[38:39], v[42:43], v[20:21] neg_lo:[0,0,1] neg_hi:[0,0,1]
	v_pk_fma_f32 v[20:21], v[38:39], v[42:43], v[20:21] op_sel_hi:[1,0,1]
	v_pk_add_f32 v[18:19], v[18:19], v[60:61]
	v_mov_b32_e32 v23, v21
	v_pk_add_f32 v[18:19], v[18:19], v[22:23]
	s_waitcnt vmcnt(3) lgkmcnt(3)
	v_pk_mul_f32 v[20:21], v[4:5], v[44:45] op_sel:[1,1] op_sel_hi:[0,1]
	v_pk_fma_f32 v[22:23], v[4:5], v[44:45], v[20:21] neg_lo:[0,0,1] neg_hi:[0,0,1]
	v_pk_fma_f32 v[4:5], v[4:5], v[44:45], v[20:21] op_sel_hi:[1,0,1]
	s_nop 0
	v_mov_b32_e32 v23, v5
	v_pk_add_f32 v[4:5], v[18:19], v[22:23]
	v_mov_b32_e32 v18, v47
	v_pk_mul_f32 v[18:19], v[6:7], v[18:19] op_sel:[1,0] op_sel_hi:[0,0]
	v_pk_fma_f32 v[20:21], v[6:7], v[46:47], v[18:19] neg_lo:[0,0,1] neg_hi:[0,0,1]
	v_pk_fma_f32 v[6:7], v[6:7], v[46:47], v[18:19] op_sel_hi:[1,0,1]
	s_nop 0
	v_mov_b32_e32 v21, v7
	s_waitcnt vmcnt(2) lgkmcnt(2)
	v_pk_mul_f32 v[6:7], v[8:9], v[48:49] op_sel:[1,1] op_sel_hi:[0,1]
	v_pk_fma_f32 v[18:19], v[8:9], v[48:49], v[6:7] neg_lo:[0,0,1] neg_hi:[0,0,1]
	v_pk_fma_f32 v[6:7], v[8:9], v[48:49], v[6:7] op_sel_hi:[1,0,1]
	v_pk_add_f32 v[4:5], v[4:5], v[20:21]
	v_mov_b32_e32 v6, v51
	v_mov_b32_e32 v19, v7
	v_pk_mul_f32 v[6:7], v[10:11], v[6:7] op_sel:[1,0] op_sel_hi:[0,0]
	v_pk_fma_f32 v[8:9], v[10:11], v[50:51], v[6:7] neg_lo:[0,0,1] neg_hi:[0,0,1]
	v_pk_fma_f32 v[6:7], v[10:11], v[50:51], v[6:7] op_sel_hi:[1,0,1]
	v_pk_add_f32 v[4:5], v[4:5], v[18:19]
	v_mov_b32_e32 v9, v7
	s_waitcnt vmcnt(1) lgkmcnt(1)
	v_pk_mul_f32 v[6:7], v[12:13], v[52:53] op_sel:[1,1] op_sel_hi:[0,1]
	v_pk_add_f32 v[4:5], v[4:5], v[8:9]
	v_pk_fma_f32 v[8:9], v[12:13], v[52:53], v[6:7] neg_lo:[0,0,1] neg_hi:[0,0,1]
	v_pk_fma_f32 v[6:7], v[12:13], v[52:53], v[6:7] op_sel_hi:[1,0,1]
	s_nop 0
	v_mov_b32_e32 v6, v55
	v_mov_b32_e32 v9, v7
	v_pk_mul_f32 v[6:7], v[14:15], v[6:7] op_sel:[1,0] op_sel_hi:[0,0]
	v_pk_add_f32 v[4:5], v[4:5], v[8:9]
	v_pk_fma_f32 v[8:9], v[14:15], v[54:55], v[6:7] neg_lo:[0,0,1] neg_hi:[0,0,1]
	v_pk_fma_f32 v[6:7], v[14:15], v[54:55], v[6:7] op_sel_hi:[1,0,1]
	s_nop 0
	v_mov_b32_e32 v9, v7
	s_waitcnt vmcnt(0) lgkmcnt(0)
	v_pk_mul_f32 v[6:7], v[16:17], v[62:63] op_sel:[1,1] op_sel_hi:[0,1]
	v_pk_add_f32 v[4:5], v[4:5], v[8:9]
	v_pk_fma_f32 v[8:9], v[16:17], v[62:63], v[6:7] neg_lo:[0,0,1] neg_hi:[0,0,1]
	v_pk_fma_f32 v[6:7], v[16:17], v[62:63], v[6:7] op_sel_hi:[1,0,1]
	s_nop 0
	v_mov_b32_e32 v9, v7
	scratch_load_dwordx2 v[6:7], off, off offset:264
	v_pk_add_f32 v[4:5], v[4:5], v[8:9]
	s_waitcnt vmcnt(0)
	v_pk_add_f32 v[4:5], v[6:7], v[4:5] neg_lo:[0,1] neg_hi:[0,1]
	scratch_store_dwordx2 off, v[4:5], off offset:264
	s_and_saveexec_b64 s[0:1], vcc
	s_cbranch_execz .LBB50_255
; %bb.254:
	scratch_load_dwordx2 v[4:5], off, off offset:256
	v_mov_b32_e32 v3, v2
	scratch_store_dwordx2 off, v[2:3], off offset:256
	s_waitcnt vmcnt(1)
	ds_write_b64 v1, v[4:5]
.LBB50_255:
	s_or_b64 exec, exec, s[0:1]
	s_waitcnt lgkmcnt(0)
	; wave barrier
	scratch_load_dwordx4 v[8:11], off, off offset:264
	scratch_load_dwordx4 v[16:19], off, off offset:280
	;; [unrolled: 1-line block ×4, first 2 shown]
	ds_read2_b64 v[4:7], v2 offset0:85 offset1:86
	scratch_load_dwordx4 v[40:43], off, off offset:328
	v_cmp_lt_u32_e32 vcc, 31, v0
	s_waitcnt vmcnt(4) lgkmcnt(0)
	v_mul_f32_e32 v3, v4, v9
	v_fmac_f32_e32 v3, v5, v8
	v_mul_f32_e32 v12, v6, v11
	v_add_f32_e32 v3, 0, v3
	v_fmac_f32_e32 v12, v7, v10
	v_add_f32_e32 v3, v3, v12
	ds_read2_b64 v[12:15], v2 offset0:87 offset1:88
	s_waitcnt vmcnt(3) lgkmcnt(0)
	v_mul_f32_e32 v20, v12, v17
	v_fmac_f32_e32 v20, v13, v16
	v_add_f32_e32 v3, v3, v20
	v_mul_f32_e32 v20, v14, v19
	v_fmac_f32_e32 v20, v15, v18
	v_add_f32_e32 v3, v3, v20
	ds_read2_b64 v[20:23], v2 offset0:89 offset1:90
	s_waitcnt vmcnt(2) lgkmcnt(0)
	v_mul_f32_e32 v28, v20, v25
	v_fmac_f32_e32 v28, v21, v24
	v_add_f32_e32 v3, v3, v28
	v_mul_f32_e32 v28, v22, v27
	;; [unrolled: 8-line block ×3, first 2 shown]
	v_fmac_f32_e32 v36, v31, v34
	v_add_f32_e32 v61, v3, v36
	ds_read2_b64 v[36:39], v2 offset0:93 offset1:94
	scratch_load_dwordx4 v[44:47], off, off offset:344
	scratch_load_dwordx4 v[48:51], off, off offset:360
	;; [unrolled: 1-line block ×4, first 2 shown]
	v_mul_f32_e32 v3, v5, v9
	v_fma_f32 v3, v4, v8, -v3
	v_mul_f32_e32 v4, v7, v11
	v_add_f32_e32 v3, 0, v3
	v_fma_f32 v4, v6, v10, -v4
	v_add_f32_e32 v3, v3, v4
	v_mul_f32_e32 v4, v13, v17
	v_fma_f32 v4, v12, v16, -v4
	v_add_f32_e32 v3, v3, v4
	v_mul_f32_e32 v4, v15, v19
	;; [unrolled: 3-line block ×6, first 2 shown]
	v_fma_f32 v4, v30, v34, -v4
	v_add_f32_e32 v60, v3, v4
	ds_read2_b64 v[4:7], v2 offset0:95 offset1:96
	ds_read2_b64 v[8:11], v2 offset0:97 offset1:98
	;; [unrolled: 1-line block ×4, first 2 shown]
	s_waitcnt vmcnt(4) lgkmcnt(4)
	v_mul_f32_e32 v63, v36, v41
	v_mul_f32_e32 v3, v37, v41
	v_fmac_f32_e32 v63, v37, v40
	v_mul_f32_e32 v65, v38, v43
	v_fma_f32 v62, v36, v40, -v3
	v_mul_f32_e32 v3, v39, v43
	v_fmac_f32_e32 v65, v39, v42
	v_fma_f32 v64, v38, v42, -v3
	v_pk_add_f32 v[2:3], v[60:61], v[62:63]
	s_waitcnt vmcnt(3) lgkmcnt(3)
	v_pk_mul_f32 v[20:21], v[4:5], v[44:45] op_sel:[1,1] op_sel_hi:[0,1]
	v_pk_fma_f32 v[22:23], v[4:5], v[44:45], v[20:21] neg_lo:[0,0,1] neg_hi:[0,0,1]
	v_pk_fma_f32 v[4:5], v[4:5], v[44:45], v[20:21] op_sel_hi:[1,0,1]
	v_pk_add_f32 v[2:3], v[2:3], v[64:65]
	v_mov_b32_e32 v4, v47
	v_mov_b32_e32 v23, v5
	v_pk_mul_f32 v[4:5], v[6:7], v[4:5] op_sel:[1,0] op_sel_hi:[0,0]
	v_pk_fma_f32 v[20:21], v[6:7], v[46:47], v[4:5] neg_lo:[0,0,1] neg_hi:[0,0,1]
	v_pk_fma_f32 v[4:5], v[6:7], v[46:47], v[4:5] op_sel_hi:[1,0,1]
	v_pk_add_f32 v[2:3], v[2:3], v[22:23]
	v_mov_b32_e32 v21, v5
	s_waitcnt vmcnt(2) lgkmcnt(2)
	v_pk_mul_f32 v[4:5], v[8:9], v[48:49] op_sel:[1,1] op_sel_hi:[0,1]
	v_pk_fma_f32 v[6:7], v[8:9], v[48:49], v[4:5] neg_lo:[0,0,1] neg_hi:[0,0,1]
	v_pk_fma_f32 v[4:5], v[8:9], v[48:49], v[4:5] op_sel_hi:[1,0,1]
	v_pk_add_f32 v[2:3], v[2:3], v[20:21]
	v_mov_b32_e32 v4, v51
	v_mov_b32_e32 v7, v5
	v_pk_mul_f32 v[4:5], v[10:11], v[4:5] op_sel:[1,0] op_sel_hi:[0,0]
	v_pk_add_f32 v[2:3], v[2:3], v[6:7]
	v_pk_fma_f32 v[6:7], v[10:11], v[50:51], v[4:5] neg_lo:[0,0,1] neg_hi:[0,0,1]
	v_pk_fma_f32 v[4:5], v[10:11], v[50:51], v[4:5] op_sel_hi:[1,0,1]
	s_nop 0
	v_mov_b32_e32 v7, v5
	s_waitcnt vmcnt(1) lgkmcnt(1)
	v_pk_mul_f32 v[4:5], v[12:13], v[52:53] op_sel:[1,1] op_sel_hi:[0,1]
	v_pk_add_f32 v[2:3], v[2:3], v[6:7]
	v_pk_fma_f32 v[6:7], v[12:13], v[52:53], v[4:5] neg_lo:[0,0,1] neg_hi:[0,0,1]
	v_pk_fma_f32 v[4:5], v[12:13], v[52:53], v[4:5] op_sel_hi:[1,0,1]
	s_nop 0
	v_mov_b32_e32 v4, v55
	v_mov_b32_e32 v7, v5
	v_pk_mul_f32 v[4:5], v[14:15], v[4:5] op_sel:[1,0] op_sel_hi:[0,0]
	v_pk_add_f32 v[2:3], v[2:3], v[6:7]
	v_pk_fma_f32 v[6:7], v[14:15], v[54:55], v[4:5] neg_lo:[0,0,1] neg_hi:[0,0,1]
	v_pk_fma_f32 v[4:5], v[14:15], v[54:55], v[4:5] op_sel_hi:[1,0,1]
	s_nop 0
	v_mov_b32_e32 v7, v5
	s_waitcnt vmcnt(0) lgkmcnt(0)
	v_pk_mul_f32 v[4:5], v[16:17], v[56:57] op_sel:[1,1] op_sel_hi:[0,1]
	v_pk_add_f32 v[2:3], v[2:3], v[6:7]
	v_pk_fma_f32 v[6:7], v[16:17], v[56:57], v[4:5] neg_lo:[0,0,1] neg_hi:[0,0,1]
	v_pk_fma_f32 v[4:5], v[16:17], v[56:57], v[4:5] op_sel_hi:[1,0,1]
	s_nop 0
	v_mov_b32_e32 v4, v59
	v_mov_b32_e32 v7, v5
	v_pk_mul_f32 v[4:5], v[18:19], v[4:5] op_sel:[1,0] op_sel_hi:[0,0]
	v_pk_add_f32 v[2:3], v[2:3], v[6:7]
	v_pk_fma_f32 v[6:7], v[18:19], v[58:59], v[4:5] neg_lo:[0,0,1] neg_hi:[0,0,1]
	v_pk_fma_f32 v[4:5], v[18:19], v[58:59], v[4:5] op_sel_hi:[1,0,1]
	s_nop 0
	v_mov_b32_e32 v7, v5
	scratch_load_dwordx2 v[4:5], off, off offset:256
	v_pk_add_f32 v[2:3], v[2:3], v[6:7]
	s_waitcnt vmcnt(0)
	v_pk_add_f32 v[2:3], v[4:5], v[2:3] neg_lo:[0,1] neg_hi:[0,1]
	scratch_store_dwordx2 off, v[2:3], off offset:256
	s_and_saveexec_b64 s[0:1], vcc
	s_cbranch_execz .LBB50_257
; %bb.256:
	scratch_load_dwordx2 v[2:3], off, off offset:248
	v_mov_b32_e32 v4, 0
	v_mov_b32_e32 v5, v4
	scratch_store_dwordx2 off, v[4:5], off offset:248
	s_waitcnt vmcnt(1)
	ds_write_b64 v1, v[2:3]
.LBB50_257:
	s_or_b64 exec, exec, s[0:1]
	s_waitcnt lgkmcnt(0)
	; wave barrier
	scratch_load_dwordx4 v[4:7], off, off offset:256
	scratch_load_dwordx4 v[8:11], off, off offset:272
	;; [unrolled: 1-line block ×9, first 2 shown]
	scratch_load_dwordx2 v[76:77], off, off offset:400
	scratch_load_dwordx2 v[78:79], off, off offset:248
	v_mov_b32_e32 v2, 0
	ds_read_b128 v[40:43], v2 offset:672
	ds_read_b128 v[44:47], v2 offset:688
	;; [unrolled: 1-line block ×9, first 2 shown]
	ds_read_b64 v[80:81], v2 offset:816
	v_cmp_lt_u32_e32 vcc, 30, v0
	s_waitcnt vmcnt(10) lgkmcnt(9)
	v_mul_f32_e32 v87, v42, v7
	v_mul_f32_e32 v3, v40, v5
	;; [unrolled: 1-line block ×3, first 2 shown]
	v_fmac_f32_e32 v87, v43, v6
	s_waitcnt vmcnt(9) lgkmcnt(8)
	v_mul_f32_e32 v88, v44, v9
	s_waitcnt vmcnt(5)
	v_mov_b32_e32 v86, v27
	v_mul_f32_e32 v89, v46, v11
	s_waitcnt lgkmcnt(7)
	v_mul_f32_e32 v91, v50, v15
	v_mul_f32_e32 v7, v43, v7
	;; [unrolled: 1-line block ×5, first 2 shown]
	v_fmac_f32_e32 v3, v41, v4
	v_fma_f32 v40, v40, v4, -v5
	s_waitcnt lgkmcnt(4)
	v_pk_mul_f32 v[4:5], v[62:63], v[86:87] op_sel:[1,0] op_sel_hi:[0,0]
	v_fmac_f32_e32 v88, v45, v8
	v_fma_f32 v41, v42, v6, -v7
	v_fma_f32 v8, v44, v8, -v9
	;; [unrolled: 1-line block ×4, first 2 shown]
	v_add_f32_e32 v3, 0, v3
	v_add_f32_e32 v15, 0, v40
	v_pk_fma_f32 v[6:7], v[62:63], v[26:27], v[4:5] neg_lo:[0,0,1] neg_hi:[0,0,1]
	v_pk_fma_f32 v[4:5], v[62:63], v[26:27], v[4:5] op_sel_hi:[1,0,1]
	v_add_f32_e32 v3, v3, v87
	v_add_f32_e32 v4, v15, v41
	v_mul_f32_e32 v90, v48, v13
	v_mul_f32_e32 v13, v49, v13
	v_fmac_f32_e32 v89, v47, v10
	v_add_f32_e32 v3, v3, v88
	v_add_f32_e32 v4, v4, v8
	v_fmac_f32_e32 v90, v49, v12
	v_fma_f32 v10, v48, v12, -v13
	v_add_f32_e32 v3, v3, v89
	v_add_f32_e32 v4, v4, v9
	v_mul_f32_e32 v92, v52, v17
	v_mul_f32_e32 v17, v53, v17
	v_fmac_f32_e32 v91, v51, v14
	v_add_f32_e32 v3, v3, v90
	v_add_f32_e32 v4, v4, v10
	v_mul_f32_e32 v93, v54, v19
	v_mul_f32_e32 v19, v55, v19
	v_fmac_f32_e32 v92, v53, v16
	v_fma_f32 v12, v52, v16, -v17
	v_add_f32_e32 v3, v3, v91
	v_add_f32_e32 v4, v4, v11
	v_mul_f32_e32 v94, v56, v21
	v_mul_f32_e32 v21, v57, v21
	v_fmac_f32_e32 v93, v55, v18
	v_fma_f32 v13, v54, v18, -v19
	;; [unrolled: 6-line block ×4, first 2 shown]
	v_mov_b32_e32 v7, v5
	v_add_f32_e32 v5, v3, v94
	v_add_f32_e32 v4, v4, v14
	v_fmac_f32_e32 v85, v61, v24
	v_fma_f32 v84, v60, v24, -v25
	v_pk_add_f32 v[4:5], v[4:5], v[82:83]
	s_nop 0
	v_pk_add_f32 v[4:5], v[4:5], v[84:85]
	s_nop 0
	v_pk_add_f32 v[4:5], v[4:5], v[6:7]
	s_waitcnt vmcnt(4) lgkmcnt(3)
	v_pk_mul_f32 v[6:7], v[64:65], v[28:29] op_sel:[1,1] op_sel_hi:[0,1]
	v_pk_fma_f32 v[8:9], v[64:65], v[28:29], v[6:7] neg_lo:[0,0,1] neg_hi:[0,0,1]
	v_pk_fma_f32 v[6:7], v[64:65], v[28:29], v[6:7] op_sel_hi:[1,0,1]
	s_nop 0
	v_mov_b32_e32 v6, v31
	v_mov_b32_e32 v9, v7
	v_pk_mul_f32 v[6:7], v[66:67], v[6:7] op_sel:[1,0] op_sel_hi:[0,0]
	v_pk_add_f32 v[4:5], v[4:5], v[8:9]
	v_pk_fma_f32 v[8:9], v[66:67], v[30:31], v[6:7] neg_lo:[0,0,1] neg_hi:[0,0,1]
	v_pk_fma_f32 v[6:7], v[66:67], v[30:31], v[6:7] op_sel_hi:[1,0,1]
	s_nop 0
	v_mov_b32_e32 v9, v7
	s_waitcnt vmcnt(3) lgkmcnt(2)
	v_pk_mul_f32 v[6:7], v[68:69], v[32:33] op_sel:[1,1] op_sel_hi:[0,1]
	v_pk_add_f32 v[4:5], v[4:5], v[8:9]
	v_pk_fma_f32 v[8:9], v[68:69], v[32:33], v[6:7] neg_lo:[0,0,1] neg_hi:[0,0,1]
	v_pk_fma_f32 v[6:7], v[68:69], v[32:33], v[6:7] op_sel_hi:[1,0,1]
	s_nop 0
	v_mov_b32_e32 v6, v35
	v_mov_b32_e32 v9, v7
	v_pk_mul_f32 v[6:7], v[70:71], v[6:7] op_sel:[1,0] op_sel_hi:[0,0]
	v_pk_add_f32 v[4:5], v[4:5], v[8:9]
	v_pk_fma_f32 v[8:9], v[70:71], v[34:35], v[6:7] neg_lo:[0,0,1] neg_hi:[0,0,1]
	v_pk_fma_f32 v[6:7], v[70:71], v[34:35], v[6:7] op_sel_hi:[1,0,1]
	s_nop 0
	v_mov_b32_e32 v9, v7
	s_waitcnt vmcnt(2) lgkmcnt(1)
	v_pk_mul_f32 v[6:7], v[72:73], v[36:37] op_sel:[1,1] op_sel_hi:[0,1]
	v_pk_add_f32 v[4:5], v[4:5], v[8:9]
	;; [unrolled: 14-line block ×3, first 2 shown]
	v_pk_fma_f32 v[8:9], v[80:81], v[76:77], v[6:7] neg_lo:[0,0,1] neg_hi:[0,0,1]
	v_pk_fma_f32 v[6:7], v[80:81], v[76:77], v[6:7] op_sel_hi:[1,0,1]
	s_nop 0
	v_mov_b32_e32 v9, v7
	v_pk_add_f32 v[4:5], v[4:5], v[8:9]
	s_waitcnt vmcnt(0)
	v_pk_add_f32 v[4:5], v[78:79], v[4:5] neg_lo:[0,1] neg_hi:[0,1]
	scratch_store_dwordx2 off, v[4:5], off offset:248
	s_and_saveexec_b64 s[0:1], vcc
	s_cbranch_execz .LBB50_259
; %bb.258:
	scratch_load_dwordx2 v[4:5], off, off offset:240
	v_mov_b32_e32 v3, v2
	scratch_store_dwordx2 off, v[2:3], off offset:240
	s_waitcnt vmcnt(1)
	ds_write_b64 v1, v[4:5]
.LBB50_259:
	s_or_b64 exec, exec, s[0:1]
	s_waitcnt lgkmcnt(0)
	; wave barrier
	scratch_load_dwordx4 v[4:7], off, off offset:248
	scratch_load_dwordx4 v[8:11], off, off offset:264
	;; [unrolled: 1-line block ×7, first 2 shown]
	ds_read2_b64 v[32:35], v2 offset0:83 offset1:84
	ds_read2_b64 v[36:39], v2 offset0:85 offset1:86
	;; [unrolled: 1-line block ×6, first 2 shown]
	scratch_load_dwordx4 v[56:59], off, off offset:360
	scratch_load_dwordx4 v[60:63], off, off offset:376
	;; [unrolled: 1-line block ×3, first 2 shown]
	ds_read2_b64 v[68:71], v2 offset0:95 offset1:96
	ds_read2_b64 v[72:75], v2 offset0:97 offset1:98
	;; [unrolled: 1-line block ×4, first 2 shown]
	scratch_load_dwordx2 v[2:3], off, off offset:240
	v_cmp_lt_u32_e32 vcc, 29, v0
	s_waitcnt vmcnt(10) lgkmcnt(9)
	v_mul_f32_e32 v90, v32, v5
	v_mul_f32_e32 v5, v33, v5
	;; [unrolled: 1-line block ×3, first 2 shown]
	s_waitcnt vmcnt(9) lgkmcnt(8)
	v_mul_f32_e32 v92, v36, v9
	s_waitcnt vmcnt(8) lgkmcnt(7)
	v_mul_f32_e32 v95, v42, v15
	v_mul_f32_e32 v7, v35, v7
	;; [unrolled: 1-line block ×4, first 2 shown]
	v_fmac_f32_e32 v90, v33, v4
	v_fma_f32 v4, v32, v4, -v5
	v_fmac_f32_e32 v91, v35, v6
	v_fmac_f32_e32 v95, v43, v14
	v_fma_f32 v5, v34, v6, -v7
	v_fma_f32 v6, v36, v8, -v9
	;; [unrolled: 1-line block ×3, first 2 shown]
	v_add_f32_e32 v14, 0, v90
	v_add_f32_e32 v4, 0, v4
	v_mul_f32_e32 v93, v38, v11
	v_mul_f32_e32 v11, v39, v11
	v_fmac_f32_e32 v92, v37, v8
	v_add_f32_e32 v14, v14, v91
	v_add_f32_e32 v4, v4, v5
	v_mul_f32_e32 v94, v40, v13
	v_mul_f32_e32 v13, v41, v13
	v_fmac_f32_e32 v93, v39, v10
	v_fma_f32 v7, v38, v10, -v11
	v_add_f32_e32 v5, v14, v92
	v_add_f32_e32 v4, v4, v6
	v_fmac_f32_e32 v94, v41, v12
	v_fma_f32 v8, v40, v12, -v13
	v_add_f32_e32 v5, v5, v93
	v_add_f32_e32 v4, v4, v7
	s_waitcnt vmcnt(7) lgkmcnt(6)
	v_mul_f32_e32 v96, v44, v17
	v_mul_f32_e32 v17, v45, v17
	v_add_f32_e32 v5, v5, v94
	v_add_f32_e32 v4, v4, v8
	v_mul_f32_e32 v97, v46, v19
	v_mul_f32_e32 v19, v47, v19
	v_fmac_f32_e32 v96, v45, v16
	v_fma_f32 v10, v44, v16, -v17
	v_add_f32_e32 v5, v5, v95
	v_add_f32_e32 v4, v4, v9
	s_waitcnt vmcnt(6) lgkmcnt(5)
	v_mul_f32_e32 v98, v48, v21
	v_mul_f32_e32 v21, v49, v21
	v_fmac_f32_e32 v97, v47, v18
	v_fma_f32 v11, v46, v18, -v19
	v_add_f32_e32 v5, v5, v96
	v_add_f32_e32 v4, v4, v10
	v_mul_f32_e32 v99, v50, v23
	v_mul_f32_e32 v23, v51, v23
	v_fmac_f32_e32 v98, v49, v20
	v_fma_f32 v12, v48, v20, -v21
	v_add_f32_e32 v5, v5, v97
	v_add_f32_e32 v4, v4, v11
	s_waitcnt vmcnt(5) lgkmcnt(4)
	v_mul_f32_e32 v85, v52, v25
	v_mul_f32_e32 v25, v53, v25
	v_fmac_f32_e32 v99, v51, v22
	v_fma_f32 v13, v50, v22, -v23
	v_add_f32_e32 v5, v5, v98
	v_add_f32_e32 v4, v4, v12
	v_mul_f32_e32 v87, v54, v27
	v_mul_f32_e32 v27, v55, v27
	s_waitcnt vmcnt(4) lgkmcnt(3)
	v_pk_mul_f32 v[88:89], v[68:69], v[28:29] op_sel:[1,1] op_sel_hi:[0,1]
	v_fmac_f32_e32 v85, v53, v24
	v_fma_f32 v84, v52, v24, -v25
	v_add_f32_e32 v5, v5, v99
	v_add_f32_e32 v4, v4, v13
	v_fmac_f32_e32 v87, v55, v26
	v_fma_f32 v86, v54, v26, -v27
	v_pk_add_f32 v[4:5], v[4:5], v[84:85]
	v_pk_fma_f32 v[6:7], v[68:69], v[28:29], v[88:89] neg_lo:[0,0,1] neg_hi:[0,0,1]
	v_pk_fma_f32 v[8:9], v[68:69], v[28:29], v[88:89] op_sel_hi:[1,0,1]
	v_pk_add_f32 v[4:5], v[4:5], v[86:87]
	v_mov_b32_e32 v7, v9
	v_pk_add_f32 v[4:5], v[4:5], v[6:7]
	v_mov_b32_e32 v6, v31
	v_pk_mul_f32 v[6:7], v[70:71], v[6:7] op_sel:[1,0] op_sel_hi:[0,0]
	v_pk_fma_f32 v[8:9], v[70:71], v[30:31], v[6:7] neg_lo:[0,0,1] neg_hi:[0,0,1]
	v_pk_fma_f32 v[6:7], v[70:71], v[30:31], v[6:7] op_sel_hi:[1,0,1]
	s_nop 0
	v_mov_b32_e32 v9, v7
	s_waitcnt vmcnt(3) lgkmcnt(2)
	v_pk_mul_f32 v[6:7], v[72:73], v[56:57] op_sel:[1,1] op_sel_hi:[0,1]
	v_pk_add_f32 v[4:5], v[4:5], v[8:9]
	v_pk_fma_f32 v[8:9], v[72:73], v[56:57], v[6:7] neg_lo:[0,0,1] neg_hi:[0,0,1]
	v_pk_fma_f32 v[6:7], v[72:73], v[56:57], v[6:7] op_sel_hi:[1,0,1]
	s_nop 0
	v_mov_b32_e32 v6, v59
	v_mov_b32_e32 v9, v7
	v_pk_mul_f32 v[6:7], v[74:75], v[6:7] op_sel:[1,0] op_sel_hi:[0,0]
	v_pk_add_f32 v[4:5], v[4:5], v[8:9]
	v_pk_fma_f32 v[8:9], v[74:75], v[58:59], v[6:7] neg_lo:[0,0,1] neg_hi:[0,0,1]
	v_pk_fma_f32 v[6:7], v[74:75], v[58:59], v[6:7] op_sel_hi:[1,0,1]
	s_nop 0
	v_mov_b32_e32 v9, v7
	s_waitcnt vmcnt(2) lgkmcnt(1)
	v_pk_mul_f32 v[6:7], v[76:77], v[60:61] op_sel:[1,1] op_sel_hi:[0,1]
	v_pk_add_f32 v[4:5], v[4:5], v[8:9]
	v_pk_fma_f32 v[8:9], v[76:77], v[60:61], v[6:7] neg_lo:[0,0,1] neg_hi:[0,0,1]
	v_pk_fma_f32 v[6:7], v[76:77], v[60:61], v[6:7] op_sel_hi:[1,0,1]
	s_nop 0
	v_mov_b32_e32 v6, v63
	v_mov_b32_e32 v9, v7
	v_pk_mul_f32 v[6:7], v[78:79], v[6:7] op_sel:[1,0] op_sel_hi:[0,0]
	v_pk_add_f32 v[4:5], v[4:5], v[8:9]
	;; [unrolled: 14-line block ×3, first 2 shown]
	v_pk_fma_f32 v[8:9], v[82:83], v[66:67], v[6:7] neg_lo:[0,0,1] neg_hi:[0,0,1]
	v_pk_fma_f32 v[6:7], v[82:83], v[66:67], v[6:7] op_sel_hi:[1,0,1]
	s_nop 0
	v_mov_b32_e32 v9, v7
	v_pk_add_f32 v[4:5], v[4:5], v[8:9]
	s_waitcnt vmcnt(0)
	v_pk_add_f32 v[2:3], v[2:3], v[4:5] neg_lo:[0,1] neg_hi:[0,1]
	scratch_store_dwordx2 off, v[2:3], off offset:240
	s_and_saveexec_b64 s[0:1], vcc
	s_cbranch_execz .LBB50_261
; %bb.260:
	scratch_load_dwordx2 v[2:3], off, off offset:232
	v_mov_b32_e32 v4, 0
	v_mov_b32_e32 v5, v4
	scratch_store_dwordx2 off, v[4:5], off offset:232
	s_waitcnt vmcnt(1)
	ds_write_b64 v1, v[2:3]
.LBB50_261:
	s_or_b64 exec, exec, s[0:1]
	s_waitcnt lgkmcnt(0)
	; wave barrier
	scratch_load_dwordx4 v[2:5], off, off offset:240
	scratch_load_dwordx4 v[6:9], off, off offset:256
	;; [unrolled: 1-line block ×10, first 2 shown]
	scratch_load_dwordx2 v[76:77], off, off offset:400
	scratch_load_dwordx2 v[78:79], off, off offset:232
	v_mov_b32_e32 v10, 0
	ds_read_b128 v[44:47], v10 offset:656
	ds_read_b128 v[48:51], v10 offset:672
	;; [unrolled: 1-line block ×8, first 2 shown]
	v_cmp_lt_u32_e32 vcc, 28, v0
	s_waitcnt vmcnt(11) lgkmcnt(7)
	v_mul_f32_e32 v11, v44, v3
	v_mul_f32_e32 v3, v45, v3
	;; [unrolled: 1-line block ×4, first 2 shown]
	v_fmac_f32_e32 v11, v45, v2
	v_fma_f32 v2, v44, v2, -v3
	s_waitcnt vmcnt(10) lgkmcnt(6)
	v_mul_f32_e32 v82, v48, v7
	v_mul_f32_e32 v7, v49, v7
	v_fma_f32 v3, v46, v4, -v5
	v_add_f32_e32 v2, 0, v2
	v_mul_f32_e32 v84, v50, v9
	v_mul_f32_e32 v9, v51, v9
	v_fmac_f32_e32 v80, v47, v4
	v_fma_f32 v4, v48, v6, -v7
	v_add_f32_e32 v11, 0, v11
	v_add_f32_e32 v2, v2, v3
	s_waitcnt vmcnt(9) lgkmcnt(5)
	v_mul_f32_e32 v85, v52, v13
	v_mul_f32_e32 v13, v53, v13
	v_fmac_f32_e32 v82, v49, v6
	v_fma_f32 v5, v50, v8, -v9
	v_add_f32_e32 v11, v11, v80
	v_add_f32_e32 v2, v2, v4
	v_mul_f32_e32 v86, v54, v15
	v_mul_f32_e32 v15, v55, v15
	v_fmac_f32_e32 v84, v51, v8
	v_fma_f32 v6, v52, v12, -v13
	v_add_f32_e32 v3, v11, v82
	v_add_f32_e32 v2, v2, v5
	s_waitcnt vmcnt(8) lgkmcnt(4)
	v_mul_f32_e32 v87, v56, v17
	v_mul_f32_e32 v17, v57, v17
	v_fmac_f32_e32 v85, v53, v12
	v_fma_f32 v7, v54, v14, -v15
	v_add_f32_e32 v3, v3, v84
	;; [unrolled: 13-line block ×4, first 2 shown]
	v_add_f32_e32 v2, v2, v12
	v_fmac_f32_e32 v90, v63, v22
	v_fma_f32 v14, v64, v24, -v25
	v_add_f32_e32 v3, v3, v89
	v_add_f32_e32 v2, v2, v13
	v_mul_f32_e32 v81, v66, v27
	v_fmac_f32_e32 v91, v65, v24
	v_add_f32_e32 v3, v3, v90
	v_add_f32_e32 v12, v2, v14
	v_mul_f32_e32 v2, v67, v27
	s_waitcnt vmcnt(5)
	v_mov_b32_e32 v16, v31
	s_waitcnt lgkmcnt(1)
	v_mul_f32_e32 v83, v68, v29
	v_fmac_f32_e32 v81, v67, v26
	v_add_f32_e32 v13, v3, v91
	v_fma_f32 v80, v66, v26, -v2
	v_mul_f32_e32 v2, v69, v29
	v_pk_mul_f32 v[16:17], v[70:71], v[16:17] op_sel:[1,0] op_sel_hi:[0,0]
	v_fmac_f32_e32 v83, v69, v28
	v_fma_f32 v82, v68, v28, -v2
	v_pk_add_f32 v[12:13], v[12:13], v[80:81]
	v_pk_fma_f32 v[18:19], v[70:71], v[30:31], v[16:17] neg_lo:[0,0,1] neg_hi:[0,0,1]
	v_pk_fma_f32 v[16:17], v[70:71], v[30:31], v[16:17] op_sel_hi:[1,0,1]
	v_pk_add_f32 v[12:13], v[12:13], v[82:83]
	v_mov_b32_e32 v19, v17
	s_waitcnt vmcnt(4) lgkmcnt(0)
	v_pk_mul_f32 v[16:17], v[72:73], v[32:33] op_sel:[1,1] op_sel_hi:[0,1]
	v_pk_add_f32 v[12:13], v[12:13], v[18:19]
	v_pk_fma_f32 v[18:19], v[72:73], v[32:33], v[16:17] neg_lo:[0,0,1] neg_hi:[0,0,1]
	v_pk_fma_f32 v[16:17], v[72:73], v[32:33], v[16:17] op_sel_hi:[1,0,1]
	ds_read_b128 v[2:5], v10 offset:784
	ds_read_b128 v[6:9], v10 offset:800
	ds_read_b64 v[14:15], v10 offset:816
	v_mov_b32_e32 v16, v35
	v_mov_b32_e32 v19, v17
	v_pk_mul_f32 v[16:17], v[74:75], v[16:17] op_sel:[1,0] op_sel_hi:[0,0]
	v_pk_add_f32 v[12:13], v[12:13], v[18:19]
	v_pk_fma_f32 v[18:19], v[74:75], v[34:35], v[16:17] neg_lo:[0,0,1] neg_hi:[0,0,1]
	v_pk_fma_f32 v[16:17], v[74:75], v[34:35], v[16:17] op_sel_hi:[1,0,1]
	s_nop 0
	v_mov_b32_e32 v19, v17
	s_waitcnt vmcnt(3) lgkmcnt(2)
	v_pk_mul_f32 v[16:17], v[2:3], v[36:37] op_sel:[1,1] op_sel_hi:[0,1]
	v_pk_add_f32 v[12:13], v[12:13], v[18:19]
	v_pk_fma_f32 v[18:19], v[2:3], v[36:37], v[16:17] neg_lo:[0,0,1] neg_hi:[0,0,1]
	v_pk_fma_f32 v[2:3], v[2:3], v[36:37], v[16:17] op_sel_hi:[1,0,1]
	s_nop 0
	v_mov_b32_e32 v19, v3
	v_pk_add_f32 v[2:3], v[12:13], v[18:19]
	v_mov_b32_e32 v12, v39
	v_pk_mul_f32 v[12:13], v[4:5], v[12:13] op_sel:[1,0] op_sel_hi:[0,0]
	v_pk_fma_f32 v[16:17], v[4:5], v[38:39], v[12:13] neg_lo:[0,0,1] neg_hi:[0,0,1]
	v_pk_fma_f32 v[4:5], v[4:5], v[38:39], v[12:13] op_sel_hi:[1,0,1]
	s_nop 0
	v_mov_b32_e32 v17, v5
	s_waitcnt vmcnt(2) lgkmcnt(1)
	v_pk_mul_f32 v[4:5], v[6:7], v[40:41] op_sel:[1,1] op_sel_hi:[0,1]
	v_pk_fma_f32 v[12:13], v[6:7], v[40:41], v[4:5] neg_lo:[0,0,1] neg_hi:[0,0,1]
	v_pk_fma_f32 v[4:5], v[6:7], v[40:41], v[4:5] op_sel_hi:[1,0,1]
	v_pk_add_f32 v[2:3], v[2:3], v[16:17]
	v_mov_b32_e32 v4, v43
	v_mov_b32_e32 v13, v5
	v_pk_mul_f32 v[4:5], v[8:9], v[4:5] op_sel:[1,0] op_sel_hi:[0,0]
	v_pk_fma_f32 v[6:7], v[8:9], v[42:43], v[4:5] neg_lo:[0,0,1] neg_hi:[0,0,1]
	v_pk_fma_f32 v[4:5], v[8:9], v[42:43], v[4:5] op_sel_hi:[1,0,1]
	v_pk_add_f32 v[2:3], v[2:3], v[12:13]
	v_mov_b32_e32 v7, v5
	s_waitcnt vmcnt(1) lgkmcnt(0)
	v_pk_mul_f32 v[4:5], v[14:15], v[76:77] op_sel:[1,1] op_sel_hi:[0,1]
	v_pk_add_f32 v[2:3], v[2:3], v[6:7]
	v_pk_fma_f32 v[6:7], v[14:15], v[76:77], v[4:5] neg_lo:[0,0,1] neg_hi:[0,0,1]
	v_pk_fma_f32 v[4:5], v[14:15], v[76:77], v[4:5] op_sel_hi:[1,0,1]
	s_nop 0
	v_mov_b32_e32 v7, v5
	v_pk_add_f32 v[2:3], v[2:3], v[6:7]
	s_waitcnt vmcnt(0)
	v_pk_add_f32 v[2:3], v[78:79], v[2:3] neg_lo:[0,1] neg_hi:[0,1]
	scratch_store_dwordx2 off, v[2:3], off offset:232
	s_and_saveexec_b64 s[0:1], vcc
	s_cbranch_execz .LBB50_263
; %bb.262:
	scratch_load_dwordx2 v[2:3], off, off offset:224
	v_mov_b32_e32 v11, v10
	scratch_store_dwordx2 off, v[10:11], off offset:224
	s_waitcnt vmcnt(1)
	ds_write_b64 v1, v[2:3]
.LBB50_263:
	s_or_b64 exec, exec, s[0:1]
	s_waitcnt lgkmcnt(0)
	; wave barrier
	scratch_load_dwordx4 v[6:9], off, off offset:232
	scratch_load_dwordx4 v[12:15], off, off offset:248
	;; [unrolled: 1-line block ×7, first 2 shown]
	ds_read2_b64 v[36:39], v10 offset0:81 offset1:82
	ds_read2_b64 v[40:43], v10 offset0:83 offset1:84
	;; [unrolled: 1-line block ×6, first 2 shown]
	scratch_load_dwordx4 v[60:63], off, off offset:344
	scratch_load_dwordx4 v[64:67], off, off offset:360
	;; [unrolled: 1-line block ×4, first 2 shown]
	ds_read2_b64 v[72:75], v10 offset0:93 offset1:94
	ds_read2_b64 v[76:79], v10 offset0:95 offset1:96
	scratch_load_dwordx2 v[80:81], off, off offset:224
	v_cmp_lt_u32_e32 vcc, 27, v0
	s_waitcnt vmcnt(11) lgkmcnt(7)
	v_mul_f32_e32 v11, v36, v7
	v_mul_f32_e32 v82, v38, v9
	;; [unrolled: 1-line block ×3, first 2 shown]
	v_fmac_f32_e32 v11, v37, v6
	s_waitcnt vmcnt(10) lgkmcnt(6)
	v_mul_f32_e32 v84, v40, v13
	v_mul_f32_e32 v9, v39, v9
	v_fmac_f32_e32 v82, v39, v8
	v_fma_f32 v6, v36, v6, -v7
	v_add_f32_e32 v11, 0, v11
	v_mul_f32_e32 v86, v42, v15
	v_fmac_f32_e32 v84, v41, v12
	v_fma_f32 v7, v38, v8, -v9
	v_add_f32_e32 v6, 0, v6
	v_add_f32_e32 v11, v11, v82
	s_waitcnt vmcnt(9) lgkmcnt(5)
	v_mul_f32_e32 v87, v44, v17
	v_mul_f32_e32 v13, v41, v13
	v_fmac_f32_e32 v86, v43, v14
	v_add_f32_e32 v6, v6, v7
	v_add_f32_e32 v7, v11, v84
	v_mul_f32_e32 v88, v46, v19
	v_mul_f32_e32 v15, v43, v15
	v_fmac_f32_e32 v87, v45, v16
	v_fma_f32 v8, v40, v12, -v13
	v_add_f32_e32 v7, v7, v86
	s_waitcnt vmcnt(8) lgkmcnt(4)
	v_mul_f32_e32 v89, v48, v21
	v_mul_f32_e32 v17, v45, v17
	v_fmac_f32_e32 v88, v47, v18
	v_fma_f32 v9, v42, v14, -v15
	v_add_f32_e32 v6, v6, v8
	v_add_f32_e32 v7, v7, v87
	v_mul_f32_e32 v90, v50, v23
	v_mul_f32_e32 v19, v47, v19
	v_fmac_f32_e32 v89, v49, v20
	v_fma_f32 v12, v44, v16, -v17
	v_add_f32_e32 v6, v6, v9
	v_add_f32_e32 v7, v7, v88
	s_waitcnt vmcnt(7) lgkmcnt(3)
	v_mul_f32_e32 v91, v52, v25
	v_mul_f32_e32 v21, v49, v21
	v_fmac_f32_e32 v90, v51, v22
	v_fma_f32 v13, v46, v18, -v19
	v_add_f32_e32 v6, v6, v12
	v_add_f32_e32 v7, v7, v89
	v_mul_f32_e32 v92, v54, v27
	v_mul_f32_e32 v23, v51, v23
	v_fmac_f32_e32 v91, v53, v24
	v_fma_f32 v14, v48, v20, -v21
	v_add_f32_e32 v6, v6, v13
	;; [unrolled: 13-line block ×3, first 2 shown]
	v_add_f32_e32 v7, v7, v92
	v_mul_f32_e32 v29, v57, v29
	v_fmac_f32_e32 v94, v59, v30
	v_fma_f32 v17, v54, v26, -v27
	v_add_f32_e32 v6, v6, v16
	v_add_f32_e32 v7, v7, v93
	v_fma_f32 v18, v56, v28, -v29
	v_add_f32_e32 v6, v6, v17
	v_add_f32_e32 v21, v7, v94
	v_mul_f32_e32 v7, v59, v31
	v_add_f32_e32 v6, v6, v18
	v_fma_f32 v7, v58, v30, -v7
	s_waitcnt vmcnt(5) lgkmcnt(1)
	v_mul_f32_e32 v83, v72, v33
	v_add_f32_e32 v20, v6, v7
	v_mul_f32_e32 v6, v73, v33
	v_fmac_f32_e32 v83, v73, v32
	v_fma_f32 v82, v72, v32, -v6
	v_mul_f32_e32 v6, v75, v35
	v_fma_f32 v84, v74, v34, -v6
	ds_read2_b64 v[6:9], v10 offset0:97 offset1:98
	ds_read2_b64 v[12:15], v10 offset0:99 offset1:100
	;; [unrolled: 1-line block ×3, first 2 shown]
	v_pk_add_f32 v[10:11], v[20:21], v[82:83]
	s_waitcnt vmcnt(4) lgkmcnt(3)
	v_pk_mul_f32 v[20:21], v[76:77], v[60:61] op_sel:[1,1] op_sel_hi:[0,1]
	v_mul_f32_e32 v85, v74, v35
	v_pk_fma_f32 v[22:23], v[76:77], v[60:61], v[20:21] neg_lo:[0,0,1] neg_hi:[0,0,1]
	v_pk_fma_f32 v[20:21], v[76:77], v[60:61], v[20:21] op_sel_hi:[1,0,1]
	v_fmac_f32_e32 v85, v75, v34
	v_mov_b32_e32 v20, v63
	v_pk_add_f32 v[10:11], v[10:11], v[84:85]
	v_mov_b32_e32 v23, v21
	v_pk_mul_f32 v[20:21], v[78:79], v[20:21] op_sel:[1,0] op_sel_hi:[0,0]
	v_pk_add_f32 v[10:11], v[10:11], v[22:23]
	v_pk_fma_f32 v[22:23], v[78:79], v[62:63], v[20:21] neg_lo:[0,0,1] neg_hi:[0,0,1]
	v_pk_fma_f32 v[20:21], v[78:79], v[62:63], v[20:21] op_sel_hi:[1,0,1]
	s_nop 0
	v_mov_b32_e32 v23, v21
	s_waitcnt vmcnt(3) lgkmcnt(2)
	v_pk_mul_f32 v[20:21], v[6:7], v[64:65] op_sel:[1,1] op_sel_hi:[0,1]
	v_pk_add_f32 v[10:11], v[10:11], v[22:23]
	v_pk_fma_f32 v[22:23], v[6:7], v[64:65], v[20:21] neg_lo:[0,0,1] neg_hi:[0,0,1]
	v_pk_fma_f32 v[6:7], v[6:7], v[64:65], v[20:21] op_sel_hi:[1,0,1]
	s_nop 0
	v_mov_b32_e32 v23, v7
	v_pk_add_f32 v[6:7], v[10:11], v[22:23]
	v_mov_b32_e32 v10, v67
	v_pk_mul_f32 v[10:11], v[8:9], v[10:11] op_sel:[1,0] op_sel_hi:[0,0]
	v_pk_fma_f32 v[20:21], v[8:9], v[66:67], v[10:11] neg_lo:[0,0,1] neg_hi:[0,0,1]
	v_pk_fma_f32 v[8:9], v[8:9], v[66:67], v[10:11] op_sel_hi:[1,0,1]
	s_nop 0
	v_mov_b32_e32 v21, v9
	s_waitcnt vmcnt(2) lgkmcnt(1)
	v_pk_mul_f32 v[8:9], v[12:13], v[68:69] op_sel:[1,1] op_sel_hi:[0,1]
	v_pk_fma_f32 v[10:11], v[12:13], v[68:69], v[8:9] neg_lo:[0,0,1] neg_hi:[0,0,1]
	v_pk_fma_f32 v[8:9], v[12:13], v[68:69], v[8:9] op_sel_hi:[1,0,1]
	v_pk_add_f32 v[6:7], v[6:7], v[20:21]
	v_mov_b32_e32 v8, v71
	v_mov_b32_e32 v11, v9
	v_pk_mul_f32 v[8:9], v[14:15], v[8:9] op_sel:[1,0] op_sel_hi:[0,0]
	v_pk_add_f32 v[6:7], v[6:7], v[10:11]
	v_pk_fma_f32 v[10:11], v[14:15], v[70:71], v[8:9] neg_lo:[0,0,1] neg_hi:[0,0,1]
	v_pk_fma_f32 v[8:9], v[14:15], v[70:71], v[8:9] op_sel_hi:[1,0,1]
	s_nop 0
	v_mov_b32_e32 v11, v9
	s_waitcnt vmcnt(1) lgkmcnt(0)
	v_pk_mul_f32 v[8:9], v[16:17], v[2:3] op_sel:[1,1] op_sel_hi:[0,1]
	v_pk_add_f32 v[6:7], v[6:7], v[10:11]
	v_pk_fma_f32 v[10:11], v[16:17], v[2:3], v[8:9] neg_lo:[0,0,1] neg_hi:[0,0,1]
	v_pk_fma_f32 v[2:3], v[16:17], v[2:3], v[8:9] op_sel_hi:[1,0,1]
	s_nop 0
	v_mov_b32_e32 v11, v3
	v_pk_add_f32 v[2:3], v[6:7], v[10:11]
	v_mov_b32_e32 v6, v5
	v_pk_mul_f32 v[6:7], v[18:19], v[6:7] op_sel:[1,0] op_sel_hi:[0,0]
	v_pk_fma_f32 v[8:9], v[18:19], v[4:5], v[6:7] neg_lo:[0,0,1] neg_hi:[0,0,1]
	v_pk_fma_f32 v[4:5], v[18:19], v[4:5], v[6:7] op_sel_hi:[1,0,1]
	s_nop 0
	v_mov_b32_e32 v9, v5
	v_pk_add_f32 v[2:3], v[2:3], v[8:9]
	s_waitcnt vmcnt(0)
	v_pk_add_f32 v[2:3], v[80:81], v[2:3] neg_lo:[0,1] neg_hi:[0,1]
	scratch_store_dwordx2 off, v[2:3], off offset:224
	s_and_saveexec_b64 s[0:1], vcc
	s_cbranch_execz .LBB50_265
; %bb.264:
	scratch_load_dwordx2 v[2:3], off, off offset:216
	v_mov_b32_e32 v4, 0
	v_mov_b32_e32 v5, v4
	scratch_store_dwordx2 off, v[4:5], off offset:216
	s_waitcnt vmcnt(1)
	ds_write_b64 v1, v[2:3]
.LBB50_265:
	s_or_b64 exec, exec, s[0:1]
	s_waitcnt lgkmcnt(0)
	; wave barrier
	scratch_load_dwordx4 v[6:9], off, off offset:224
	scratch_load_dwordx4 v[14:17], off, off offset:240
	scratch_load_dwordx4 v[24:27], off, off offset:256
	scratch_load_dwordx4 v[28:31], off, off offset:272
	scratch_load_dwordx4 v[18:21], off, off offset:288
	scratch_load_dwordx4 v[32:35], off, off offset:304
	scratch_load_dwordx4 v[40:43], off, off offset:320
	scratch_load_dwordx4 v[44:47], off, off offset:336
	scratch_load_dwordx4 v[48:51], off, off offset:352
	scratch_load_dwordx4 v[10:13], off, off offset:368
	scratch_load_dwordx4 v[2:5], off, off offset:384
	scratch_load_dwordx2 v[22:23], off, off offset:400
	scratch_load_dwordx2 v[36:37], off, off offset:216
	v_mov_b32_e32 v38, 0
	ds_read_b128 v[52:55], v38 offset:640
	ds_read_b128 v[56:59], v38 offset:656
	ds_read_b128 v[60:63], v38 offset:672
	ds_read_b128 v[64:67], v38 offset:688
	ds_read_b128 v[68:71], v38 offset:704
	ds_read_b128 v[72:75], v38 offset:720
	ds_read_b128 v[76:79], v38 offset:736
	ds_read_b128 v[80:83], v38 offset:752
	v_cmp_lt_u32_e32 vcc, 26, v0
	s_waitcnt vmcnt(12) lgkmcnt(7)
	v_mul_f32_e32 v39, v52, v7
	v_mul_f32_e32 v84, v54, v9
	;; [unrolled: 1-line block ×3, first 2 shown]
	v_fmac_f32_e32 v39, v53, v6
	s_waitcnt vmcnt(8) lgkmcnt(3)
	v_mul_f32_e32 v93, v68, v19
	v_mul_f32_e32 v19, v69, v19
	;; [unrolled: 1-line block ×4, first 2 shown]
	v_fmac_f32_e32 v84, v55, v8
	v_fmac_f32_e32 v93, v69, v18
	v_fma_f32 v6, v52, v6, -v7
	v_fma_f32 v18, v68, v18, -v19
	v_add_f32_e32 v19, 0, v39
	v_mul_f32_e32 v88, v58, v17
	v_fmac_f32_e32 v86, v57, v14
	v_fma_f32 v7, v54, v8, -v9
	v_add_f32_e32 v6, 0, v6
	v_add_f32_e32 v19, v19, v84
	v_mul_f32_e32 v89, v60, v25
	v_fmac_f32_e32 v88, v59, v16
	v_add_f32_e32 v6, v6, v7
	v_add_f32_e32 v7, v19, v86
	v_mul_f32_e32 v90, v62, v27
	v_fmac_f32_e32 v89, v61, v24
	v_add_f32_e32 v7, v7, v88
	v_mul_f32_e32 v91, v64, v29
	v_mul_f32_e32 v15, v57, v15
	v_fmac_f32_e32 v90, v63, v26
	v_add_f32_e32 v7, v7, v89
	v_mul_f32_e32 v92, v66, v31
	v_mul_f32_e32 v17, v59, v17
	v_fmac_f32_e32 v91, v65, v28
	v_fma_f32 v8, v56, v14, -v15
	v_add_f32_e32 v7, v7, v90
	v_mul_f32_e32 v25, v61, v25
	v_fmac_f32_e32 v92, v67, v30
	v_fma_f32 v9, v58, v16, -v17
	v_add_f32_e32 v6, v6, v8
	v_add_f32_e32 v7, v7, v91
	v_mul_f32_e32 v94, v70, v21
	v_mul_f32_e32 v27, v63, v27
	v_fma_f32 v14, v60, v24, -v25
	v_add_f32_e32 v6, v6, v9
	v_add_f32_e32 v7, v7, v92
	s_waitcnt vmcnt(7) lgkmcnt(2)
	v_mul_f32_e32 v95, v72, v33
	v_mul_f32_e32 v29, v65, v29
	v_fmac_f32_e32 v94, v71, v20
	v_fma_f32 v15, v62, v26, -v27
	v_add_f32_e32 v6, v6, v14
	v_add_f32_e32 v7, v7, v93
	v_mul_f32_e32 v96, v74, v35
	v_mul_f32_e32 v31, v67, v31
	v_fmac_f32_e32 v95, v73, v32
	v_fma_f32 v16, v64, v28, -v29
	v_add_f32_e32 v6, v6, v15
	v_add_f32_e32 v7, v7, v94
	s_waitcnt vmcnt(6) lgkmcnt(1)
	v_mul_f32_e32 v97, v76, v41
	v_fmac_f32_e32 v96, v75, v34
	v_fma_f32 v17, v66, v30, -v31
	v_add_f32_e32 v6, v6, v16
	v_add_f32_e32 v7, v7, v95
	v_mul_f32_e32 v21, v71, v21
	v_fmac_f32_e32 v97, v77, v40
	v_add_f32_e32 v6, v6, v17
	v_add_f32_e32 v7, v7, v96
	;; [unrolled: 1-line block ×4, first 2 shown]
	v_fma_f32 v7, v70, v20, -v21
	v_add_f32_e32 v6, v6, v7
	v_mul_f32_e32 v7, v73, v33
	v_fma_f32 v7, v72, v32, -v7
	v_add_f32_e32 v6, v6, v7
	v_mul_f32_e32 v7, v75, v35
	;; [unrolled: 3-line block ×4, first 2 shown]
	v_mul_f32_e32 v85, v78, v43
	v_fma_f32 v84, v78, v42, -v6
	s_waitcnt vmcnt(5) lgkmcnt(0)
	v_mul_f32_e32 v6, v81, v45
	v_mov_b32_e32 v28, v47
	v_mul_f32_e32 v87, v80, v45
	v_fmac_f32_e32 v85, v79, v42
	v_fma_f32 v86, v80, v44, -v6
	ds_read_b128 v[6:9], v38 offset:768
	ds_read_b128 v[14:17], v38 offset:784
	;; [unrolled: 1-line block ×3, first 2 shown]
	ds_read_b64 v[26:27], v38 offset:816
	v_pk_mul_f32 v[28:29], v[82:83], v[28:29] op_sel:[1,0] op_sel_hi:[0,0]
	v_fmac_f32_e32 v87, v81, v44
	v_pk_add_f32 v[24:25], v[24:25], v[84:85]
	v_pk_fma_f32 v[30:31], v[82:83], v[46:47], v[28:29] neg_lo:[0,0,1] neg_hi:[0,0,1]
	v_pk_fma_f32 v[28:29], v[82:83], v[46:47], v[28:29] op_sel_hi:[1,0,1]
	v_pk_add_f32 v[24:25], v[24:25], v[86:87]
	v_mov_b32_e32 v31, v29
	s_waitcnt vmcnt(4) lgkmcnt(3)
	v_pk_mul_f32 v[28:29], v[6:7], v[48:49] op_sel:[1,1] op_sel_hi:[0,1]
	v_pk_add_f32 v[24:25], v[24:25], v[30:31]
	v_pk_fma_f32 v[30:31], v[6:7], v[48:49], v[28:29] neg_lo:[0,0,1] neg_hi:[0,0,1]
	v_pk_fma_f32 v[6:7], v[6:7], v[48:49], v[28:29] op_sel_hi:[1,0,1]
	s_nop 0
	v_mov_b32_e32 v31, v7
	v_pk_add_f32 v[6:7], v[24:25], v[30:31]
	v_mov_b32_e32 v24, v51
	v_pk_mul_f32 v[24:25], v[8:9], v[24:25] op_sel:[1,0] op_sel_hi:[0,0]
	v_pk_fma_f32 v[28:29], v[8:9], v[50:51], v[24:25] neg_lo:[0,0,1] neg_hi:[0,0,1]
	v_pk_fma_f32 v[8:9], v[8:9], v[50:51], v[24:25] op_sel_hi:[1,0,1]
	s_nop 0
	v_mov_b32_e32 v29, v9
	s_waitcnt vmcnt(3) lgkmcnt(2)
	v_pk_mul_f32 v[8:9], v[14:15], v[10:11] op_sel:[1,1] op_sel_hi:[0,1]
	v_pk_fma_f32 v[24:25], v[14:15], v[10:11], v[8:9] neg_lo:[0,0,1] neg_hi:[0,0,1]
	v_pk_fma_f32 v[8:9], v[14:15], v[10:11], v[8:9] op_sel_hi:[1,0,1]
	v_pk_add_f32 v[6:7], v[6:7], v[28:29]
	v_mov_b32_e32 v8, v13
	v_mov_b32_e32 v25, v9
	v_pk_mul_f32 v[8:9], v[16:17], v[8:9] op_sel:[1,0] op_sel_hi:[0,0]
	v_pk_fma_f32 v[10:11], v[16:17], v[12:13], v[8:9] neg_lo:[0,0,1] neg_hi:[0,0,1]
	v_pk_fma_f32 v[8:9], v[16:17], v[12:13], v[8:9] op_sel_hi:[1,0,1]
	v_pk_add_f32 v[6:7], v[6:7], v[24:25]
	v_mov_b32_e32 v11, v9
	s_waitcnt vmcnt(2) lgkmcnt(1)
	v_pk_mul_f32 v[8:9], v[18:19], v[2:3] op_sel:[1,1] op_sel_hi:[0,1]
	v_pk_add_f32 v[6:7], v[6:7], v[10:11]
	v_pk_fma_f32 v[10:11], v[18:19], v[2:3], v[8:9] neg_lo:[0,0,1] neg_hi:[0,0,1]
	v_pk_fma_f32 v[2:3], v[18:19], v[2:3], v[8:9] op_sel_hi:[1,0,1]
	s_nop 0
	v_mov_b32_e32 v11, v3
	v_pk_add_f32 v[2:3], v[6:7], v[10:11]
	v_mov_b32_e32 v6, v5
	v_pk_mul_f32 v[6:7], v[20:21], v[6:7] op_sel:[1,0] op_sel_hi:[0,0]
	v_pk_fma_f32 v[8:9], v[20:21], v[4:5], v[6:7] neg_lo:[0,0,1] neg_hi:[0,0,1]
	v_pk_fma_f32 v[4:5], v[20:21], v[4:5], v[6:7] op_sel_hi:[1,0,1]
	s_nop 0
	v_mov_b32_e32 v9, v5
	s_waitcnt vmcnt(1) lgkmcnt(0)
	v_pk_mul_f32 v[4:5], v[26:27], v[22:23] op_sel:[1,1] op_sel_hi:[0,1]
	v_pk_fma_f32 v[6:7], v[26:27], v[22:23], v[4:5] neg_lo:[0,0,1] neg_hi:[0,0,1]
	v_pk_fma_f32 v[4:5], v[26:27], v[22:23], v[4:5] op_sel_hi:[1,0,1]
	v_pk_add_f32 v[2:3], v[2:3], v[8:9]
	v_mov_b32_e32 v7, v5
	v_pk_add_f32 v[2:3], v[2:3], v[6:7]
	s_waitcnt vmcnt(0)
	v_pk_add_f32 v[2:3], v[36:37], v[2:3] neg_lo:[0,1] neg_hi:[0,1]
	scratch_store_dwordx2 off, v[2:3], off offset:216
	s_and_saveexec_b64 s[0:1], vcc
	s_cbranch_execz .LBB50_267
; %bb.266:
	scratch_load_dwordx2 v[2:3], off, off offset:208
	v_mov_b32_e32 v39, v38
	scratch_store_dwordx2 off, v[38:39], off offset:208
	s_waitcnt vmcnt(1)
	ds_write_b64 v1, v[2:3]
.LBB50_267:
	s_or_b64 exec, exec, s[0:1]
	s_waitcnt lgkmcnt(0)
	; wave barrier
	scratch_load_dwordx4 v[2:5], off, off offset:216
	scratch_load_dwordx4 v[14:17], off, off offset:232
	;; [unrolled: 1-line block ×8, first 2 shown]
	ds_read2_b64 v[48:51], v38 offset0:79 offset1:80
	ds_read2_b64 v[52:55], v38 offset0:81 offset1:82
	;; [unrolled: 1-line block ×8, first 2 shown]
	scratch_load_dwordx4 v[80:83], off, off offset:344
	scratch_load_dwordx4 v[26:29], off, off offset:360
	;; [unrolled: 1-line block ×4, first 2 shown]
	scratch_load_dwordx2 v[84:85], off, off offset:208
	v_cmp_lt_u32_e32 vcc, 25, v0
	s_waitcnt vmcnt(12) lgkmcnt(7)
	v_mul_f32_e32 v39, v48, v3
	v_mul_f32_e32 v86, v50, v5
	;; [unrolled: 1-line block ×3, first 2 shown]
	v_fmac_f32_e32 v39, v49, v2
	s_waitcnt vmcnt(8) lgkmcnt(3)
	v_mul_f32_e32 v95, v64, v19
	v_mul_f32_e32 v19, v65, v19
	;; [unrolled: 1-line block ×4, first 2 shown]
	v_fmac_f32_e32 v86, v51, v4
	v_fmac_f32_e32 v95, v65, v18
	v_fma_f32 v2, v48, v2, -v3
	v_fma_f32 v18, v64, v18, -v19
	v_add_f32_e32 v19, 0, v39
	v_mul_f32_e32 v90, v54, v17
	v_fmac_f32_e32 v88, v53, v14
	v_fma_f32 v3, v50, v4, -v5
	v_add_f32_e32 v2, 0, v2
	v_add_f32_e32 v19, v19, v86
	v_mul_f32_e32 v91, v56, v31
	v_fmac_f32_e32 v90, v55, v16
	v_add_f32_e32 v2, v2, v3
	v_add_f32_e32 v3, v19, v88
	v_mul_f32_e32 v92, v58, v33
	v_fmac_f32_e32 v91, v57, v30
	v_add_f32_e32 v3, v3, v90
	v_mul_f32_e32 v93, v60, v41
	v_fmac_f32_e32 v92, v59, v32
	;; [unrolled: 3-line block ×4, first 2 shown]
	v_add_f32_e32 v3, v3, v93
	v_mul_f32_e32 v96, v66, v21
	v_mul_f32_e32 v17, v55, v17
	v_fma_f32 v4, v52, v14, -v15
	v_add_f32_e32 v3, v3, v94
	s_waitcnt vmcnt(7) lgkmcnt(2)
	v_mul_f32_e32 v97, v68, v23
	v_mul_f32_e32 v31, v57, v31
	v_fmac_f32_e32 v96, v67, v20
	v_fma_f32 v5, v54, v16, -v17
	v_add_f32_e32 v2, v2, v4
	v_add_f32_e32 v3, v3, v95
	v_mul_f32_e32 v98, v70, v25
	v_mul_f32_e32 v33, v59, v33
	v_fmac_f32_e32 v97, v69, v22
	v_fma_f32 v14, v56, v30, -v31
	v_add_f32_e32 v2, v2, v5
	v_add_f32_e32 v3, v3, v96
	s_waitcnt vmcnt(6) lgkmcnt(1)
	v_mul_f32_e32 v99, v72, v35
	v_mul_f32_e32 v41, v61, v41
	v_fmac_f32_e32 v98, v71, v24
	v_fma_f32 v15, v58, v32, -v33
	v_add_f32_e32 v2, v2, v14
	v_add_f32_e32 v3, v3, v97
	v_mul_f32_e32 v100, v74, v37
	v_mul_f32_e32 v43, v63, v43
	v_fmac_f32_e32 v99, v73, v34
	v_fma_f32 v16, v60, v40, -v41
	v_add_f32_e32 v2, v2, v15
	v_add_f32_e32 v3, v3, v98
	v_fmac_f32_e32 v100, v75, v36
	v_fma_f32 v17, v62, v42, -v43
	v_add_f32_e32 v2, v2, v16
	v_add_f32_e32 v3, v3, v99
	;; [unrolled: 1-line block ×4, first 2 shown]
	v_mul_f32_e32 v3, v67, v21
	v_add_f32_e32 v2, v2, v18
	v_fma_f32 v3, v66, v20, -v3
	v_add_f32_e32 v2, v2, v3
	v_mul_f32_e32 v3, v69, v23
	v_fma_f32 v3, v68, v22, -v3
	v_add_f32_e32 v2, v2, v3
	v_mul_f32_e32 v3, v71, v25
	;; [unrolled: 3-line block ×4, first 2 shown]
	v_fma_f32 v3, v74, v36, -v3
	v_add_f32_e32 v30, v2, v3
	s_waitcnt vmcnt(5) lgkmcnt(0)
	v_mul_f32_e32 v2, v77, v45
	v_fma_f32 v86, v76, v44, -v2
	v_mul_f32_e32 v2, v79, v47
	v_fma_f32 v88, v78, v46, -v2
	ds_read2_b64 v[2:5], v38 offset0:95 offset1:96
	ds_read2_b64 v[14:17], v38 offset0:97 offset1:98
	;; [unrolled: 1-line block ×4, first 2 shown]
	v_mul_f32_e32 v87, v76, v45
	v_mul_f32_e32 v89, v78, v47
	v_fmac_f32_e32 v87, v77, v44
	s_waitcnt vmcnt(4) lgkmcnt(3)
	v_pk_mul_f32 v[32:33], v[2:3], v[80:81] op_sel:[1,1] op_sel_hi:[0,1]
	v_fmac_f32_e32 v89, v79, v46
	v_pk_add_f32 v[30:31], v[30:31], v[86:87]
	v_pk_fma_f32 v[34:35], v[2:3], v[80:81], v[32:33] neg_lo:[0,0,1] neg_hi:[0,0,1]
	v_pk_fma_f32 v[2:3], v[2:3], v[80:81], v[32:33] op_sel_hi:[1,0,1]
	v_pk_add_f32 v[30:31], v[30:31], v[88:89]
	v_mov_b32_e32 v35, v3
	v_pk_add_f32 v[2:3], v[30:31], v[34:35]
	v_mov_b32_e32 v30, v83
	v_pk_mul_f32 v[30:31], v[4:5], v[30:31] op_sel:[1,0] op_sel_hi:[0,0]
	v_pk_fma_f32 v[32:33], v[4:5], v[82:83], v[30:31] neg_lo:[0,0,1] neg_hi:[0,0,1]
	v_pk_fma_f32 v[4:5], v[4:5], v[82:83], v[30:31] op_sel_hi:[1,0,1]
	s_nop 0
	v_mov_b32_e32 v33, v5
	s_waitcnt vmcnt(3) lgkmcnt(2)
	v_pk_mul_f32 v[4:5], v[14:15], v[26:27] op_sel:[1,1] op_sel_hi:[0,1]
	v_pk_fma_f32 v[30:31], v[14:15], v[26:27], v[4:5] neg_lo:[0,0,1] neg_hi:[0,0,1]
	v_pk_fma_f32 v[4:5], v[14:15], v[26:27], v[4:5] op_sel_hi:[1,0,1]
	v_pk_add_f32 v[2:3], v[2:3], v[32:33]
	v_mov_b32_e32 v4, v29
	v_mov_b32_e32 v31, v5
	v_pk_mul_f32 v[4:5], v[16:17], v[4:5] op_sel:[1,0] op_sel_hi:[0,0]
	v_pk_fma_f32 v[14:15], v[16:17], v[28:29], v[4:5] neg_lo:[0,0,1] neg_hi:[0,0,1]
	v_pk_fma_f32 v[4:5], v[16:17], v[28:29], v[4:5] op_sel_hi:[1,0,1]
	v_pk_add_f32 v[2:3], v[2:3], v[30:31]
	v_mov_b32_e32 v15, v5
	s_waitcnt vmcnt(2) lgkmcnt(1)
	v_pk_mul_f32 v[4:5], v[18:19], v[10:11] op_sel:[1,1] op_sel_hi:[0,1]
	v_pk_add_f32 v[2:3], v[2:3], v[14:15]
	v_pk_fma_f32 v[14:15], v[18:19], v[10:11], v[4:5] neg_lo:[0,0,1] neg_hi:[0,0,1]
	v_pk_fma_f32 v[4:5], v[18:19], v[10:11], v[4:5] op_sel_hi:[1,0,1]
	s_nop 0
	v_mov_b32_e32 v4, v13
	v_mov_b32_e32 v15, v5
	v_pk_mul_f32 v[4:5], v[20:21], v[4:5] op_sel:[1,0] op_sel_hi:[0,0]
	v_pk_fma_f32 v[10:11], v[20:21], v[12:13], v[4:5] neg_lo:[0,0,1] neg_hi:[0,0,1]
	v_pk_fma_f32 v[4:5], v[20:21], v[12:13], v[4:5] op_sel_hi:[1,0,1]
	v_pk_add_f32 v[2:3], v[2:3], v[14:15]
	v_mov_b32_e32 v11, v5
	s_waitcnt vmcnt(1) lgkmcnt(0)
	v_pk_mul_f32 v[4:5], v[22:23], v[6:7] op_sel:[1,1] op_sel_hi:[0,1]
	v_pk_add_f32 v[2:3], v[2:3], v[10:11]
	v_pk_fma_f32 v[10:11], v[22:23], v[6:7], v[4:5] neg_lo:[0,0,1] neg_hi:[0,0,1]
	v_pk_fma_f32 v[4:5], v[22:23], v[6:7], v[4:5] op_sel_hi:[1,0,1]
	s_nop 0
	v_mov_b32_e32 v4, v9
	v_mov_b32_e32 v11, v5
	v_pk_mul_f32 v[4:5], v[24:25], v[4:5] op_sel:[1,0] op_sel_hi:[0,0]
	v_pk_fma_f32 v[6:7], v[24:25], v[8:9], v[4:5] neg_lo:[0,0,1] neg_hi:[0,0,1]
	v_pk_fma_f32 v[4:5], v[24:25], v[8:9], v[4:5] op_sel_hi:[1,0,1]
	v_pk_add_f32 v[2:3], v[2:3], v[10:11]
	v_mov_b32_e32 v7, v5
	v_pk_add_f32 v[2:3], v[2:3], v[6:7]
	s_waitcnt vmcnt(0)
	v_pk_add_f32 v[2:3], v[84:85], v[2:3] neg_lo:[0,1] neg_hi:[0,1]
	scratch_store_dwordx2 off, v[2:3], off offset:208
	s_and_saveexec_b64 s[0:1], vcc
	s_cbranch_execz .LBB50_269
; %bb.268:
	scratch_load_dwordx2 v[2:3], off, off offset:200
	v_mov_b32_e32 v4, 0
	v_mov_b32_e32 v5, v4
	scratch_store_dwordx2 off, v[4:5], off offset:200
	s_waitcnt vmcnt(1)
	ds_write_b64 v1, v[2:3]
.LBB50_269:
	s_or_b64 exec, exec, s[0:1]
	s_waitcnt lgkmcnt(0)
	; wave barrier
	scratch_load_dwordx4 v[10:13], off, off offset:208
	scratch_load_dwordx4 v[26:29], off, off offset:224
	;; [unrolled: 1-line block ×12, first 2 shown]
	scratch_load_dwordx2 v[50:51], off, off offset:400
	scratch_load_dwordx2 v[56:57], off, off offset:200
	v_mov_b32_e32 v58, 0
	ds_read_b128 v[52:55], v58 offset:624
	ds_read_b128 v[60:63], v58 offset:640
	;; [unrolled: 1-line block ×10, first 2 shown]
	v_cmp_lt_u32_e32 vcc, 24, v0
	s_waitcnt vmcnt(13) lgkmcnt(9)
	v_mul_f32_e32 v59, v52, v11
	v_mul_f32_e32 v96, v54, v13
	v_fmac_f32_e32 v59, v53, v10
	s_waitcnt vmcnt(10) lgkmcnt(6)
	v_mul_f32_e32 v103, v68, v7
	v_mul_f32_e32 v7, v69, v7
	;; [unrolled: 1-line block ×3, first 2 shown]
	v_fmac_f32_e32 v96, v55, v12
	v_fmac_f32_e32 v103, v69, v6
	v_fma_f32 v6, v68, v6, -v7
	v_add_f32_e32 v7, 0, v59
	v_mul_f32_e32 v100, v62, v29
	v_fmac_f32_e32 v98, v61, v26
	v_add_f32_e32 v7, v7, v96
	v_mul_f32_e32 v101, v64, v39
	v_fmac_f32_e32 v100, v63, v28
	v_add_f32_e32 v7, v7, v98
	v_mul_f32_e32 v102, v66, v41
	v_fmac_f32_e32 v101, v65, v38
	v_add_f32_e32 v7, v7, v100
	v_fmac_f32_e32 v102, v67, v40
	v_add_f32_e32 v7, v7, v101
	v_mul_f32_e32 v104, v70, v9
	v_add_f32_e32 v7, v7, v102
	s_waitcnt vmcnt(9) lgkmcnt(5)
	v_mul_f32_e32 v105, v72, v15
	v_fmac_f32_e32 v104, v71, v8
	v_add_f32_e32 v7, v7, v103
	v_mul_f32_e32 v106, v74, v17
	v_mul_f32_e32 v11, v53, v11
	v_fmac_f32_e32 v105, v73, v14
	v_add_f32_e32 v7, v7, v104
	s_waitcnt vmcnt(8) lgkmcnt(4)
	v_mul_f32_e32 v107, v76, v23
	v_mul_f32_e32 v13, v55, v13
	v_fmac_f32_e32 v106, v75, v16
	v_fma_f32 v10, v52, v10, -v11
	v_add_f32_e32 v7, v7, v105
	v_mul_f32_e32 v108, v78, v25
	v_mul_f32_e32 v27, v61, v27
	v_fmac_f32_e32 v107, v77, v22
	v_fma_f32 v11, v54, v12, -v13
	v_add_f32_e32 v10, 0, v10
	v_add_f32_e32 v7, v7, v106
	s_waitcnt vmcnt(7) lgkmcnt(3)
	v_mul_f32_e32 v109, v80, v31
	v_mul_f32_e32 v29, v63, v29
	v_fmac_f32_e32 v108, v79, v24
	v_fma_f32 v12, v60, v26, -v27
	v_add_f32_e32 v10, v10, v11
	v_add_f32_e32 v7, v7, v107
	v_mul_f32_e32 v110, v82, v33
	v_mul_f32_e32 v39, v65, v39
	v_fmac_f32_e32 v109, v81, v30
	v_fma_f32 v13, v62, v28, -v29
	v_add_f32_e32 v10, v10, v12
	v_add_f32_e32 v7, v7, v108
	s_waitcnt vmcnt(6) lgkmcnt(2)
	v_mul_f32_e32 v111, v84, v43
	v_mul_f32_e32 v41, v67, v41
	v_fmac_f32_e32 v110, v83, v32
	v_fma_f32 v26, v64, v38, -v39
	v_add_f32_e32 v10, v10, v13
	v_add_f32_e32 v7, v7, v109
	v_fmac_f32_e32 v111, v85, v42
	v_fma_f32 v27, v66, v40, -v41
	v_add_f32_e32 v10, v10, v26
	v_add_f32_e32 v7, v7, v110
	v_add_f32_e32 v10, v10, v27
	v_add_f32_e32 v27, v7, v111
	v_mul_f32_e32 v7, v71, v9
	v_add_f32_e32 v6, v10, v6
	v_fma_f32 v7, v70, v8, -v7
	v_add_f32_e32 v6, v6, v7
	v_mul_f32_e32 v7, v73, v15
	v_fma_f32 v7, v72, v14, -v7
	v_add_f32_e32 v6, v6, v7
	v_mul_f32_e32 v7, v75, v17
	;; [unrolled: 3-line block ×7, first 2 shown]
	v_fma_f32 v7, v84, v42, -v7
	v_mul_f32_e32 v97, v86, v45
	v_add_f32_e32 v26, v6, v7
	v_mul_f32_e32 v6, v87, v45
	s_waitcnt vmcnt(5)
	v_mov_b32_e32 v22, v49
	s_waitcnt lgkmcnt(1)
	v_mul_f32_e32 v99, v88, v47
	v_fmac_f32_e32 v97, v87, v44
	v_fma_f32 v96, v86, v44, -v6
	v_mul_f32_e32 v6, v89, v47
	v_pk_mul_f32 v[22:23], v[90:91], v[22:23] op_sel:[1,0] op_sel_hi:[0,0]
	v_fmac_f32_e32 v99, v89, v46
	v_fma_f32 v98, v88, v46, -v6
	v_pk_add_f32 v[16:17], v[26:27], v[96:97]
	v_pk_fma_f32 v[24:25], v[90:91], v[48:49], v[22:23] neg_lo:[0,0,1] neg_hi:[0,0,1]
	v_pk_fma_f32 v[22:23], v[90:91], v[48:49], v[22:23] op_sel_hi:[1,0,1]
	v_pk_add_f32 v[16:17], v[16:17], v[98:99]
	v_mov_b32_e32 v25, v23
	s_waitcnt vmcnt(4) lgkmcnt(0)
	v_pk_mul_f32 v[22:23], v[92:93], v[34:35] op_sel:[1,1] op_sel_hi:[0,1]
	v_pk_add_f32 v[16:17], v[16:17], v[24:25]
	v_pk_fma_f32 v[24:25], v[92:93], v[34:35], v[22:23] neg_lo:[0,0,1] neg_hi:[0,0,1]
	v_pk_fma_f32 v[22:23], v[92:93], v[34:35], v[22:23] op_sel_hi:[1,0,1]
	ds_read_b128 v[6:9], v58 offset:784
	ds_read_b128 v[10:13], v58 offset:800
	ds_read_b64 v[14:15], v58 offset:816
	v_mov_b32_e32 v22, v37
	v_mov_b32_e32 v25, v23
	v_pk_mul_f32 v[22:23], v[94:95], v[22:23] op_sel:[1,0] op_sel_hi:[0,0]
	v_pk_add_f32 v[16:17], v[16:17], v[24:25]
	v_pk_fma_f32 v[24:25], v[94:95], v[36:37], v[22:23] neg_lo:[0,0,1] neg_hi:[0,0,1]
	v_pk_fma_f32 v[22:23], v[94:95], v[36:37], v[22:23] op_sel_hi:[1,0,1]
	s_nop 0
	v_mov_b32_e32 v25, v23
	s_waitcnt vmcnt(3) lgkmcnt(2)
	v_pk_mul_f32 v[22:23], v[6:7], v[18:19] op_sel:[1,1] op_sel_hi:[0,1]
	v_pk_add_f32 v[16:17], v[16:17], v[24:25]
	v_pk_fma_f32 v[24:25], v[6:7], v[18:19], v[22:23] neg_lo:[0,0,1] neg_hi:[0,0,1]
	v_pk_fma_f32 v[6:7], v[6:7], v[18:19], v[22:23] op_sel_hi:[1,0,1]
	s_nop 0
	v_mov_b32_e32 v25, v7
	v_pk_add_f32 v[6:7], v[16:17], v[24:25]
	v_mov_b32_e32 v16, v21
	v_pk_mul_f32 v[16:17], v[8:9], v[16:17] op_sel:[1,0] op_sel_hi:[0,0]
	v_pk_fma_f32 v[18:19], v[8:9], v[20:21], v[16:17] neg_lo:[0,0,1] neg_hi:[0,0,1]
	v_pk_fma_f32 v[8:9], v[8:9], v[20:21], v[16:17] op_sel_hi:[1,0,1]
	s_nop 0
	v_mov_b32_e32 v19, v9
	s_waitcnt vmcnt(2) lgkmcnt(1)
	v_pk_mul_f32 v[8:9], v[10:11], v[2:3] op_sel:[1,1] op_sel_hi:[0,1]
	v_pk_fma_f32 v[16:17], v[10:11], v[2:3], v[8:9] neg_lo:[0,0,1] neg_hi:[0,0,1]
	v_pk_fma_f32 v[2:3], v[10:11], v[2:3], v[8:9] op_sel_hi:[1,0,1]
	v_pk_add_f32 v[6:7], v[6:7], v[18:19]
	v_mov_b32_e32 v17, v3
	v_pk_add_f32 v[2:3], v[6:7], v[16:17]
	v_mov_b32_e32 v6, v5
	v_pk_mul_f32 v[6:7], v[12:13], v[6:7] op_sel:[1,0] op_sel_hi:[0,0]
	v_pk_fma_f32 v[8:9], v[12:13], v[4:5], v[6:7] neg_lo:[0,0,1] neg_hi:[0,0,1]
	v_pk_fma_f32 v[4:5], v[12:13], v[4:5], v[6:7] op_sel_hi:[1,0,1]
	s_nop 0
	v_mov_b32_e32 v9, v5
	s_waitcnt vmcnt(1) lgkmcnt(0)
	v_pk_mul_f32 v[4:5], v[14:15], v[50:51] op_sel:[1,1] op_sel_hi:[0,1]
	v_pk_fma_f32 v[6:7], v[14:15], v[50:51], v[4:5] neg_lo:[0,0,1] neg_hi:[0,0,1]
	v_pk_fma_f32 v[4:5], v[14:15], v[50:51], v[4:5] op_sel_hi:[1,0,1]
	v_pk_add_f32 v[2:3], v[2:3], v[8:9]
	v_mov_b32_e32 v7, v5
	v_pk_add_f32 v[2:3], v[2:3], v[6:7]
	s_waitcnt vmcnt(0)
	v_pk_add_f32 v[2:3], v[56:57], v[2:3] neg_lo:[0,1] neg_hi:[0,1]
	scratch_store_dwordx2 off, v[2:3], off offset:200
	s_and_saveexec_b64 s[0:1], vcc
	s_cbranch_execz .LBB50_271
; %bb.270:
	scratch_load_dwordx2 v[2:3], off, off offset:192
	v_mov_b32_e32 v59, v58
	scratch_store_dwordx2 off, v[58:59], off offset:192
	s_waitcnt vmcnt(1)
	ds_write_b64 v1, v[2:3]
.LBB50_271:
	s_or_b64 exec, exec, s[0:1]
	s_waitcnt lgkmcnt(0)
	; wave barrier
	scratch_load_dwordx4 v[2:5], off, off offset:200
	scratch_load_dwordx4 v[18:21], off, off offset:216
	;; [unrolled: 1-line block ×9, first 2 shown]
	ds_read2_b64 v[60:63], v58 offset0:77 offset1:78
	ds_read2_b64 v[64:67], v58 offset0:79 offset1:80
	;; [unrolled: 1-line block ×8, first 2 shown]
	scratch_load_dwordx4 v[50:53], off, off offset:344
	scratch_load_dwordx4 v[34:37], off, off offset:360
	;; [unrolled: 1-line block ×4, first 2 shown]
	ds_read2_b64 v[88:91], v58 offset0:93 offset1:94
	ds_read2_b64 v[92:95], v58 offset0:95 offset1:96
	scratch_load_dwordx2 v[96:97], off, off offset:192
	v_cmp_lt_u32_e32 vcc, 23, v0
	s_waitcnt vmcnt(13) lgkmcnt(9)
	v_mul_f32_e32 v59, v60, v3
	v_mul_f32_e32 v98, v62, v5
	;; [unrolled: 1-line block ×3, first 2 shown]
	s_waitcnt vmcnt(10) lgkmcnt(6)
	v_mul_f32_e32 v105, v72, v7
	v_mul_f32_e32 v7, v73, v7
	v_fmac_f32_e32 v59, v61, v2
	v_mul_f32_e32 v100, v64, v19
	v_mul_f32_e32 v5, v63, v5
	v_fmac_f32_e32 v98, v63, v4
	v_fmac_f32_e32 v105, v73, v6
	v_fma_f32 v2, v60, v2, -v3
	v_fma_f32 v6, v72, v6, -v7
	v_add_f32_e32 v7, 0, v59
	v_mul_f32_e32 v102, v66, v21
	v_fmac_f32_e32 v100, v65, v18
	v_fma_f32 v3, v62, v4, -v5
	v_add_f32_e32 v2, 0, v2
	v_add_f32_e32 v7, v7, v98
	v_mul_f32_e32 v103, v68, v39
	v_fmac_f32_e32 v102, v67, v20
	v_add_f32_e32 v2, v2, v3
	v_add_f32_e32 v3, v7, v100
	v_mul_f32_e32 v104, v70, v41
	v_fmac_f32_e32 v103, v69, v38
	v_add_f32_e32 v3, v3, v102
	v_fmac_f32_e32 v104, v71, v40
	v_add_f32_e32 v3, v3, v103
	v_mul_f32_e32 v106, v74, v9
	v_add_f32_e32 v3, v3, v104
	s_waitcnt vmcnt(9) lgkmcnt(5)
	v_mul_f32_e32 v107, v76, v15
	v_fmac_f32_e32 v106, v75, v8
	v_add_f32_e32 v3, v3, v105
	v_mul_f32_e32 v108, v78, v17
	v_fmac_f32_e32 v107, v77, v14
	v_add_f32_e32 v3, v3, v106
	s_waitcnt vmcnt(8) lgkmcnt(4)
	v_mul_f32_e32 v109, v80, v23
	v_fmac_f32_e32 v108, v79, v16
	v_add_f32_e32 v3, v3, v107
	v_mul_f32_e32 v110, v82, v25
	v_fmac_f32_e32 v109, v81, v22
	v_add_f32_e32 v3, v3, v108
	s_waitcnt vmcnt(7) lgkmcnt(3)
	v_mul_f32_e32 v111, v84, v31
	v_mul_f32_e32 v19, v65, v19
	v_fmac_f32_e32 v110, v83, v24
	v_add_f32_e32 v3, v3, v109
	v_mul_f32_e32 v112, v86, v33
	v_mul_f32_e32 v21, v67, v21
	v_fmac_f32_e32 v111, v85, v30
	v_fma_f32 v4, v64, v18, -v19
	v_add_f32_e32 v3, v3, v110
	s_waitcnt vmcnt(6) lgkmcnt(2)
	v_mul_f32_e32 v113, v54, v43
	v_mul_f32_e32 v39, v69, v39
	v_fmac_f32_e32 v112, v87, v32
	v_fma_f32 v5, v66, v20, -v21
	v_add_f32_e32 v2, v2, v4
	v_add_f32_e32 v3, v3, v111
	v_mul_f32_e32 v114, v56, v45
	v_mul_f32_e32 v41, v71, v41
	v_fmac_f32_e32 v113, v55, v42
	v_fma_f32 v18, v68, v38, -v39
	v_add_f32_e32 v2, v2, v5
	v_add_f32_e32 v3, v3, v112
	v_fmac_f32_e32 v114, v57, v44
	v_fma_f32 v19, v70, v40, -v41
	v_add_f32_e32 v2, v2, v18
	v_add_f32_e32 v3, v3, v113
	;; [unrolled: 1-line block ×4, first 2 shown]
	v_mul_f32_e32 v3, v75, v9
	v_add_f32_e32 v2, v2, v6
	v_fma_f32 v3, v74, v8, -v3
	v_add_f32_e32 v2, v2, v3
	v_mul_f32_e32 v3, v77, v15
	v_fma_f32 v3, v76, v14, -v3
	v_add_f32_e32 v2, v2, v3
	v_mul_f32_e32 v3, v79, v17
	;; [unrolled: 3-line block ×8, first 2 shown]
	v_fma_f32 v3, v56, v44, -v3
	s_waitcnt vmcnt(5) lgkmcnt(1)
	v_mul_f32_e32 v99, v88, v47
	v_add_f32_e32 v18, v2, v3
	v_mul_f32_e32 v2, v89, v47
	s_waitcnt vmcnt(4) lgkmcnt(0)
	v_pk_mul_f32 v[20:21], v[92:93], v[50:51] op_sel:[1,1] op_sel_hi:[0,1]
	v_mul_f32_e32 v101, v90, v49
	v_fmac_f32_e32 v99, v89, v46
	v_fma_f32 v98, v88, v46, -v2
	v_mul_f32_e32 v2, v91, v49
	v_pk_fma_f32 v[22:23], v[92:93], v[50:51], v[20:21] neg_lo:[0,0,1] neg_hi:[0,0,1]
	v_pk_fma_f32 v[20:21], v[92:93], v[50:51], v[20:21] op_sel_hi:[1,0,1]
	v_fmac_f32_e32 v101, v91, v48
	v_fma_f32 v100, v90, v48, -v2
	ds_read2_b64 v[2:5], v58 offset0:97 offset1:98
	ds_read2_b64 v[6:9], v58 offset0:99 offset1:100
	;; [unrolled: 1-line block ×3, first 2 shown]
	v_pk_add_f32 v[18:19], v[18:19], v[98:99]
	v_mov_b32_e32 v20, v53
	v_pk_add_f32 v[18:19], v[18:19], v[100:101]
	v_mov_b32_e32 v23, v21
	v_pk_mul_f32 v[20:21], v[94:95], v[20:21] op_sel:[1,0] op_sel_hi:[0,0]
	v_pk_add_f32 v[18:19], v[18:19], v[22:23]
	v_pk_fma_f32 v[22:23], v[94:95], v[52:53], v[20:21] neg_lo:[0,0,1] neg_hi:[0,0,1]
	v_pk_fma_f32 v[20:21], v[94:95], v[52:53], v[20:21] op_sel_hi:[1,0,1]
	s_nop 0
	v_mov_b32_e32 v23, v21
	s_waitcnt vmcnt(3) lgkmcnt(2)
	v_pk_mul_f32 v[20:21], v[2:3], v[34:35] op_sel:[1,1] op_sel_hi:[0,1]
	v_pk_add_f32 v[18:19], v[18:19], v[22:23]
	v_pk_fma_f32 v[22:23], v[2:3], v[34:35], v[20:21] neg_lo:[0,0,1] neg_hi:[0,0,1]
	v_pk_fma_f32 v[2:3], v[2:3], v[34:35], v[20:21] op_sel_hi:[1,0,1]
	s_nop 0
	v_mov_b32_e32 v23, v3
	v_pk_add_f32 v[2:3], v[18:19], v[22:23]
	v_mov_b32_e32 v18, v37
	v_pk_mul_f32 v[18:19], v[4:5], v[18:19] op_sel:[1,0] op_sel_hi:[0,0]
	v_pk_fma_f32 v[20:21], v[4:5], v[36:37], v[18:19] neg_lo:[0,0,1] neg_hi:[0,0,1]
	v_pk_fma_f32 v[4:5], v[4:5], v[36:37], v[18:19] op_sel_hi:[1,0,1]
	s_nop 0
	v_mov_b32_e32 v21, v5
	s_waitcnt vmcnt(2) lgkmcnt(1)
	v_pk_mul_f32 v[4:5], v[6:7], v[26:27] op_sel:[1,1] op_sel_hi:[0,1]
	v_pk_fma_f32 v[18:19], v[6:7], v[26:27], v[4:5] neg_lo:[0,0,1] neg_hi:[0,0,1]
	v_pk_fma_f32 v[4:5], v[6:7], v[26:27], v[4:5] op_sel_hi:[1,0,1]
	v_pk_add_f32 v[2:3], v[2:3], v[20:21]
	v_mov_b32_e32 v4, v29
	v_mov_b32_e32 v19, v5
	v_pk_mul_f32 v[4:5], v[8:9], v[4:5] op_sel:[1,0] op_sel_hi:[0,0]
	v_pk_fma_f32 v[6:7], v[8:9], v[28:29], v[4:5] neg_lo:[0,0,1] neg_hi:[0,0,1]
	v_pk_fma_f32 v[4:5], v[8:9], v[28:29], v[4:5] op_sel_hi:[1,0,1]
	v_pk_add_f32 v[2:3], v[2:3], v[18:19]
	v_mov_b32_e32 v7, v5
	s_waitcnt vmcnt(1) lgkmcnt(0)
	v_pk_mul_f32 v[4:5], v[14:15], v[10:11] op_sel:[1,1] op_sel_hi:[0,1]
	v_pk_add_f32 v[2:3], v[2:3], v[6:7]
	v_pk_fma_f32 v[6:7], v[14:15], v[10:11], v[4:5] neg_lo:[0,0,1] neg_hi:[0,0,1]
	v_pk_fma_f32 v[4:5], v[14:15], v[10:11], v[4:5] op_sel_hi:[1,0,1]
	s_nop 0
	v_mov_b32_e32 v4, v13
	v_mov_b32_e32 v7, v5
	v_pk_mul_f32 v[4:5], v[16:17], v[4:5] op_sel:[1,0] op_sel_hi:[0,0]
	v_pk_add_f32 v[2:3], v[2:3], v[6:7]
	v_pk_fma_f32 v[6:7], v[16:17], v[12:13], v[4:5] neg_lo:[0,0,1] neg_hi:[0,0,1]
	v_pk_fma_f32 v[4:5], v[16:17], v[12:13], v[4:5] op_sel_hi:[1,0,1]
	s_nop 0
	v_mov_b32_e32 v7, v5
	v_pk_add_f32 v[2:3], v[2:3], v[6:7]
	s_waitcnt vmcnt(0)
	v_pk_add_f32 v[2:3], v[96:97], v[2:3] neg_lo:[0,1] neg_hi:[0,1]
	scratch_store_dwordx2 off, v[2:3], off offset:192
	s_and_saveexec_b64 s[0:1], vcc
	s_cbranch_execz .LBB50_273
; %bb.272:
	scratch_load_dwordx2 v[2:3], off, off offset:184
	v_mov_b32_e32 v4, 0
	v_mov_b32_e32 v5, v4
	scratch_store_dwordx2 off, v[4:5], off offset:184
	s_waitcnt vmcnt(1)
	ds_write_b64 v1, v[2:3]
.LBB50_273:
	s_or_b64 exec, exec, s[0:1]
	s_waitcnt lgkmcnt(0)
	; wave barrier
	scratch_load_dwordx4 v[18:21], off, off offset:192
	scratch_load_dwordx4 v[30:33], off, off offset:208
	scratch_load_dwordx4 v[2:5], off, off offset:224
	scratch_load_dwordx4 v[6:9], off, off offset:240
	scratch_load_dwordx4 v[14:17], off, off offset:256
	scratch_load_dwordx4 v[22:25], off, off offset:272
	scratch_load_dwordx4 v[34:37], off, off offset:288
	scratch_load_dwordx4 v[38:41], off, off offset:304
	scratch_load_dwordx4 v[50:53], off, off offset:320
	scratch_load_dwordx4 v[46:49], off, off offset:336
	scratch_load_dwordx4 v[42:45], off, off offset:352
	scratch_load_dwordx4 v[26:29], off, off offset:368
	scratch_load_dwordx4 v[10:13], off, off offset:384
	scratch_load_dwordx2 v[54:55], off, off offset:400
	scratch_load_dwordx2 v[80:81], off, off offset:184
	v_mov_b32_e32 v82, 0
	ds_read_b128 v[56:59], v82 offset:608
	ds_read_b128 v[60:63], v82 offset:624
	ds_read_b128 v[64:67], v82 offset:640
	ds_read_b128 v[68:71], v82 offset:656
	ds_read_b128 v[72:75], v82 offset:672
	ds_read_b128 v[76:79], v82 offset:688
	ds_read_b128 v[84:87], v82 offset:704
	ds_read_b128 v[88:91], v82 offset:720
	ds_read_b128 v[92:95], v82 offset:736
	ds_read_b128 v[96:99], v82 offset:752
	v_cmp_lt_u32_e32 vcc, 22, v0
	s_waitcnt vmcnt(14) lgkmcnt(9)
	v_mul_f32_e32 v83, v56, v19
	v_mul_f32_e32 v100, v58, v21
	s_waitcnt vmcnt(12) lgkmcnt(7)
	v_mul_f32_e32 v105, v64, v3
	v_mul_f32_e32 v3, v65, v3
	v_fmac_f32_e32 v83, v57, v18
	v_mul_f32_e32 v102, v60, v31
	v_fmac_f32_e32 v100, v59, v20
	v_fmac_f32_e32 v105, v65, v2
	v_fma_f32 v2, v64, v2, -v3
	v_add_f32_e32 v3, 0, v83
	v_mul_f32_e32 v104, v62, v33
	v_fmac_f32_e32 v102, v61, v30
	v_add_f32_e32 v3, v3, v100
	v_fmac_f32_e32 v104, v63, v32
	v_add_f32_e32 v3, v3, v102
	v_mul_f32_e32 v106, v66, v5
	v_add_f32_e32 v3, v3, v104
	s_waitcnt vmcnt(11) lgkmcnt(6)
	v_mul_f32_e32 v107, v68, v7
	v_fmac_f32_e32 v106, v67, v4
	v_add_f32_e32 v3, v3, v105
	v_mul_f32_e32 v108, v70, v9
	v_fmac_f32_e32 v107, v69, v6
	v_add_f32_e32 v3, v3, v106
	s_waitcnt vmcnt(10) lgkmcnt(5)
	v_mul_f32_e32 v109, v72, v15
	v_fmac_f32_e32 v108, v71, v8
	v_add_f32_e32 v3, v3, v107
	v_mul_f32_e32 v110, v74, v17
	v_fmac_f32_e32 v109, v73, v14
	v_add_f32_e32 v3, v3, v108
	s_waitcnt vmcnt(9) lgkmcnt(4)
	v_mul_f32_e32 v111, v76, v23
	v_fmac_f32_e32 v110, v75, v16
	v_add_f32_e32 v3, v3, v109
	v_mul_f32_e32 v112, v78, v25
	v_fmac_f32_e32 v111, v77, v22
	v_add_f32_e32 v3, v3, v110
	s_waitcnt vmcnt(8) lgkmcnt(3)
	v_mul_f32_e32 v113, v84, v35
	v_mul_f32_e32 v19, v57, v19
	v_fmac_f32_e32 v112, v79, v24
	v_add_f32_e32 v3, v3, v111
	v_mul_f32_e32 v114, v86, v37
	v_mul_f32_e32 v21, v59, v21
	v_fmac_f32_e32 v113, v85, v34
	v_fma_f32 v18, v56, v18, -v19
	v_add_f32_e32 v3, v3, v112
	s_waitcnt vmcnt(7) lgkmcnt(2)
	v_mul_f32_e32 v115, v88, v39
	v_mul_f32_e32 v31, v61, v31
	v_fmac_f32_e32 v114, v87, v36
	v_fma_f32 v19, v58, v20, -v21
	v_add_f32_e32 v18, 0, v18
	v_add_f32_e32 v3, v3, v113
	v_mul_f32_e32 v116, v90, v41
	v_mul_f32_e32 v33, v63, v33
	v_fmac_f32_e32 v115, v89, v38
	v_fma_f32 v20, v60, v30, -v31
	v_add_f32_e32 v18, v18, v19
	v_add_f32_e32 v3, v3, v114
	s_waitcnt vmcnt(6) lgkmcnt(1)
	v_mul_f32_e32 v117, v92, v51
	v_fmac_f32_e32 v116, v91, v40
	v_fma_f32 v21, v62, v32, -v33
	v_add_f32_e32 v18, v18, v20
	v_add_f32_e32 v3, v3, v115
	v_mul_f32_e32 v5, v67, v5
	v_fmac_f32_e32 v117, v93, v50
	v_add_f32_e32 v18, v18, v21
	v_add_f32_e32 v3, v3, v116
	;; [unrolled: 1-line block ×4, first 2 shown]
	v_fma_f32 v3, v66, v4, -v5
	v_add_f32_e32 v2, v2, v3
	v_mul_f32_e32 v3, v69, v7
	v_fma_f32 v3, v68, v6, -v3
	v_add_f32_e32 v2, v2, v3
	v_mul_f32_e32 v3, v71, v9
	;; [unrolled: 3-line block ×12, first 2 shown]
	v_mul_f32_e32 v101, v94, v53
	v_fma_f32 v100, v94, v52, -v2
	s_waitcnt vmcnt(5) lgkmcnt(0)
	v_mul_f32_e32 v2, v97, v47
	v_mov_b32_e32 v22, v49
	v_mul_f32_e32 v103, v96, v47
	v_fmac_f32_e32 v101, v95, v52
	v_fma_f32 v102, v96, v46, -v2
	ds_read_b128 v[2:5], v82 offset:768
	ds_read_b128 v[6:9], v82 offset:784
	ds_read_b128 v[14:17], v82 offset:800
	ds_read_b64 v[20:21], v82 offset:816
	v_pk_mul_f32 v[22:23], v[98:99], v[22:23] op_sel:[1,0] op_sel_hi:[0,0]
	v_fmac_f32_e32 v103, v97, v46
	v_pk_add_f32 v[18:19], v[18:19], v[100:101]
	v_pk_fma_f32 v[24:25], v[98:99], v[48:49], v[22:23] neg_lo:[0,0,1] neg_hi:[0,0,1]
	v_pk_fma_f32 v[22:23], v[98:99], v[48:49], v[22:23] op_sel_hi:[1,0,1]
	v_pk_add_f32 v[18:19], v[18:19], v[102:103]
	v_mov_b32_e32 v25, v23
	s_waitcnt vmcnt(4) lgkmcnt(3)
	v_pk_mul_f32 v[22:23], v[2:3], v[42:43] op_sel:[1,1] op_sel_hi:[0,1]
	v_pk_add_f32 v[18:19], v[18:19], v[24:25]
	v_pk_fma_f32 v[24:25], v[2:3], v[42:43], v[22:23] neg_lo:[0,0,1] neg_hi:[0,0,1]
	v_pk_fma_f32 v[2:3], v[2:3], v[42:43], v[22:23] op_sel_hi:[1,0,1]
	s_nop 0
	v_mov_b32_e32 v25, v3
	v_pk_add_f32 v[2:3], v[18:19], v[24:25]
	v_mov_b32_e32 v18, v45
	v_pk_mul_f32 v[18:19], v[4:5], v[18:19] op_sel:[1,0] op_sel_hi:[0,0]
	v_pk_fma_f32 v[22:23], v[4:5], v[44:45], v[18:19] neg_lo:[0,0,1] neg_hi:[0,0,1]
	v_pk_fma_f32 v[4:5], v[4:5], v[44:45], v[18:19] op_sel_hi:[1,0,1]
	s_nop 0
	v_mov_b32_e32 v23, v5
	s_waitcnt vmcnt(3) lgkmcnt(2)
	v_pk_mul_f32 v[4:5], v[6:7], v[26:27] op_sel:[1,1] op_sel_hi:[0,1]
	v_pk_fma_f32 v[18:19], v[6:7], v[26:27], v[4:5] neg_lo:[0,0,1] neg_hi:[0,0,1]
	v_pk_fma_f32 v[4:5], v[6:7], v[26:27], v[4:5] op_sel_hi:[1,0,1]
	v_pk_add_f32 v[2:3], v[2:3], v[22:23]
	v_mov_b32_e32 v4, v29
	v_mov_b32_e32 v19, v5
	v_pk_mul_f32 v[4:5], v[8:9], v[4:5] op_sel:[1,0] op_sel_hi:[0,0]
	v_pk_fma_f32 v[6:7], v[8:9], v[28:29], v[4:5] neg_lo:[0,0,1] neg_hi:[0,0,1]
	v_pk_fma_f32 v[4:5], v[8:9], v[28:29], v[4:5] op_sel_hi:[1,0,1]
	v_pk_add_f32 v[2:3], v[2:3], v[18:19]
	v_mov_b32_e32 v7, v5
	s_waitcnt vmcnt(2) lgkmcnt(1)
	v_pk_mul_f32 v[4:5], v[14:15], v[10:11] op_sel:[1,1] op_sel_hi:[0,1]
	v_pk_add_f32 v[2:3], v[2:3], v[6:7]
	v_pk_fma_f32 v[6:7], v[14:15], v[10:11], v[4:5] neg_lo:[0,0,1] neg_hi:[0,0,1]
	v_pk_fma_f32 v[4:5], v[14:15], v[10:11], v[4:5] op_sel_hi:[1,0,1]
	s_nop 0
	v_mov_b32_e32 v4, v13
	v_mov_b32_e32 v7, v5
	v_pk_mul_f32 v[4:5], v[16:17], v[4:5] op_sel:[1,0] op_sel_hi:[0,0]
	v_pk_add_f32 v[2:3], v[2:3], v[6:7]
	v_pk_fma_f32 v[6:7], v[16:17], v[12:13], v[4:5] neg_lo:[0,0,1] neg_hi:[0,0,1]
	v_pk_fma_f32 v[4:5], v[16:17], v[12:13], v[4:5] op_sel_hi:[1,0,1]
	s_nop 0
	v_mov_b32_e32 v7, v5
	s_waitcnt vmcnt(1) lgkmcnt(0)
	v_pk_mul_f32 v[4:5], v[20:21], v[54:55] op_sel:[1,1] op_sel_hi:[0,1]
	v_pk_add_f32 v[2:3], v[2:3], v[6:7]
	v_pk_fma_f32 v[6:7], v[20:21], v[54:55], v[4:5] neg_lo:[0,0,1] neg_hi:[0,0,1]
	v_pk_fma_f32 v[4:5], v[20:21], v[54:55], v[4:5] op_sel_hi:[1,0,1]
	s_nop 0
	v_mov_b32_e32 v7, v5
	v_pk_add_f32 v[2:3], v[2:3], v[6:7]
	s_waitcnt vmcnt(0)
	v_pk_add_f32 v[2:3], v[80:81], v[2:3] neg_lo:[0,1] neg_hi:[0,1]
	scratch_store_dwordx2 off, v[2:3], off offset:184
	s_and_saveexec_b64 s[0:1], vcc
	s_cbranch_execz .LBB50_275
; %bb.274:
	scratch_load_dwordx2 v[2:3], off, off offset:176
	v_mov_b32_e32 v83, v82
	scratch_store_dwordx2 off, v[82:83], off offset:176
	s_waitcnt vmcnt(1)
	ds_write_b64 v1, v[2:3]
.LBB50_275:
	s_or_b64 exec, exec, s[0:1]
	s_waitcnt lgkmcnt(0)
	; wave barrier
	scratch_load_dwordx4 v[10:13], off, off offset:184
	scratch_load_dwordx4 v[26:29], off, off offset:200
	;; [unrolled: 1-line block ×10, first 2 shown]
	ds_read2_b64 v[84:87], v82 offset0:75 offset1:76
	ds_read2_b64 v[88:91], v82 offset0:77 offset1:78
	;; [unrolled: 1-line block ×10, first 2 shown]
	scratch_load_dwordx4 v[54:57], off, off offset:344
	scratch_load_dwordx4 v[46:49], off, off offset:360
	;; [unrolled: 1-line block ×4, first 2 shown]
	scratch_load_dwordx2 v[100:101], off, off offset:176
	v_cmp_lt_u32_e32 vcc, 21, v0
	s_waitcnt vmcnt(14) lgkmcnt(9)
	v_mul_f32_e32 v83, v84, v11
	v_mul_f32_e32 v102, v86, v13
	s_waitcnt vmcnt(12) lgkmcnt(7)
	v_mul_f32_e32 v107, v92, v3
	v_mul_f32_e32 v3, v93, v3
	v_fmac_f32_e32 v83, v85, v10
	v_mul_f32_e32 v104, v88, v27
	v_fmac_f32_e32 v102, v87, v12
	v_fmac_f32_e32 v107, v93, v2
	v_fma_f32 v2, v92, v2, -v3
	v_add_f32_e32 v3, 0, v83
	v_mul_f32_e32 v106, v90, v29
	v_fmac_f32_e32 v104, v89, v26
	v_add_f32_e32 v3, v3, v102
	v_fmac_f32_e32 v106, v91, v28
	v_add_f32_e32 v3, v3, v104
	v_mul_f32_e32 v108, v94, v5
	v_add_f32_e32 v3, v3, v106
	s_waitcnt vmcnt(11) lgkmcnt(6)
	v_mul_f32_e32 v109, v96, v7
	v_fmac_f32_e32 v108, v95, v4
	v_add_f32_e32 v3, v3, v107
	v_mul_f32_e32 v110, v98, v9
	v_fmac_f32_e32 v109, v97, v6
	v_add_f32_e32 v3, v3, v108
	s_waitcnt vmcnt(10) lgkmcnt(5)
	v_mul_f32_e32 v111, v78, v15
	v_fmac_f32_e32 v110, v99, v8
	v_add_f32_e32 v3, v3, v109
	v_mul_f32_e32 v112, v80, v17
	v_fmac_f32_e32 v111, v79, v14
	;; [unrolled: 7-line block ×4, first 2 shown]
	v_add_f32_e32 v3, v3, v114
	s_waitcnt vmcnt(7) lgkmcnt(2)
	v_mul_f32_e32 v117, v66, v39
	v_mul_f32_e32 v11, v85, v11
	v_fmac_f32_e32 v116, v73, v32
	v_add_f32_e32 v3, v3, v115
	v_mul_f32_e32 v118, v68, v41
	v_mul_f32_e32 v13, v87, v13
	v_fmac_f32_e32 v117, v67, v38
	v_fma_f32 v10, v84, v10, -v11
	v_add_f32_e32 v3, v3, v116
	s_waitcnt vmcnt(6) lgkmcnt(1)
	v_mul_f32_e32 v119, v62, v43
	v_mul_f32_e32 v27, v89, v27
	v_fmac_f32_e32 v118, v69, v40
	v_fma_f32 v11, v86, v12, -v13
	v_add_f32_e32 v10, 0, v10
	v_add_f32_e32 v3, v3, v117
	v_mul_f32_e32 v120, v64, v45
	v_mul_f32_e32 v29, v91, v29
	v_fmac_f32_e32 v119, v63, v42
	v_fma_f32 v12, v88, v26, -v27
	v_add_f32_e32 v10, v10, v11
	v_add_f32_e32 v3, v3, v118
	v_fmac_f32_e32 v120, v65, v44
	v_fma_f32 v13, v90, v28, -v29
	v_add_f32_e32 v10, v10, v12
	v_add_f32_e32 v3, v3, v119
	;; [unrolled: 1-line block ×4, first 2 shown]
	v_mul_f32_e32 v3, v95, v5
	v_add_f32_e32 v2, v10, v2
	v_fma_f32 v3, v94, v4, -v3
	v_add_f32_e32 v2, v2, v3
	v_mul_f32_e32 v3, v97, v7
	v_fma_f32 v3, v96, v6, -v3
	v_add_f32_e32 v2, v2, v3
	v_mul_f32_e32 v3, v99, v9
	;; [unrolled: 3-line block ×12, first 2 shown]
	v_fma_f32 v3, v64, v44, -v3
	v_add_f32_e32 v26, v2, v3
	s_waitcnt vmcnt(5) lgkmcnt(0)
	v_mul_f32_e32 v2, v59, v51
	v_fma_f32 v102, v58, v50, -v2
	v_mul_f32_e32 v2, v61, v53
	v_fma_f32 v104, v60, v52, -v2
	ds_read2_b64 v[2:5], v82 offset0:95 offset1:96
	ds_read2_b64 v[6:9], v82 offset0:97 offset1:98
	;; [unrolled: 1-line block ×4, first 2 shown]
	v_mul_f32_e32 v103, v58, v51
	v_mul_f32_e32 v105, v60, v53
	v_fmac_f32_e32 v103, v59, v50
	s_waitcnt vmcnt(4) lgkmcnt(3)
	v_pk_mul_f32 v[24:25], v[2:3], v[54:55] op_sel:[1,1] op_sel_hi:[0,1]
	v_fmac_f32_e32 v105, v61, v52
	v_pk_add_f32 v[22:23], v[26:27], v[102:103]
	v_pk_fma_f32 v[26:27], v[2:3], v[54:55], v[24:25] neg_lo:[0,0,1] neg_hi:[0,0,1]
	v_pk_fma_f32 v[2:3], v[2:3], v[54:55], v[24:25] op_sel_hi:[1,0,1]
	v_pk_add_f32 v[22:23], v[22:23], v[104:105]
	v_mov_b32_e32 v27, v3
	v_pk_add_f32 v[2:3], v[22:23], v[26:27]
	v_mov_b32_e32 v22, v57
	v_pk_mul_f32 v[22:23], v[4:5], v[22:23] op_sel:[1,0] op_sel_hi:[0,0]
	v_pk_fma_f32 v[24:25], v[4:5], v[56:57], v[22:23] neg_lo:[0,0,1] neg_hi:[0,0,1]
	v_pk_fma_f32 v[4:5], v[4:5], v[56:57], v[22:23] op_sel_hi:[1,0,1]
	s_nop 0
	v_mov_b32_e32 v25, v5
	s_waitcnt vmcnt(3) lgkmcnt(2)
	v_pk_mul_f32 v[4:5], v[6:7], v[46:47] op_sel:[1,1] op_sel_hi:[0,1]
	v_pk_fma_f32 v[22:23], v[6:7], v[46:47], v[4:5] neg_lo:[0,0,1] neg_hi:[0,0,1]
	v_pk_fma_f32 v[4:5], v[6:7], v[46:47], v[4:5] op_sel_hi:[1,0,1]
	v_pk_add_f32 v[2:3], v[2:3], v[24:25]
	v_mov_b32_e32 v4, v49
	v_mov_b32_e32 v23, v5
	v_pk_mul_f32 v[4:5], v[8:9], v[4:5] op_sel:[1,0] op_sel_hi:[0,0]
	v_pk_fma_f32 v[6:7], v[8:9], v[48:49], v[4:5] neg_lo:[0,0,1] neg_hi:[0,0,1]
	v_pk_fma_f32 v[4:5], v[8:9], v[48:49], v[4:5] op_sel_hi:[1,0,1]
	v_pk_add_f32 v[2:3], v[2:3], v[22:23]
	v_mov_b32_e32 v7, v5
	s_waitcnt vmcnt(2) lgkmcnt(1)
	v_pk_mul_f32 v[4:5], v[10:11], v[34:35] op_sel:[1,1] op_sel_hi:[0,1]
	v_pk_add_f32 v[2:3], v[2:3], v[6:7]
	v_pk_fma_f32 v[6:7], v[10:11], v[34:35], v[4:5] neg_lo:[0,0,1] neg_hi:[0,0,1]
	v_pk_fma_f32 v[4:5], v[10:11], v[34:35], v[4:5] op_sel_hi:[1,0,1]
	s_nop 0
	v_mov_b32_e32 v4, v37
	v_mov_b32_e32 v7, v5
	v_pk_mul_f32 v[4:5], v[12:13], v[4:5] op_sel:[1,0] op_sel_hi:[0,0]
	v_pk_add_f32 v[2:3], v[2:3], v[6:7]
	v_pk_fma_f32 v[6:7], v[12:13], v[36:37], v[4:5] neg_lo:[0,0,1] neg_hi:[0,0,1]
	v_pk_fma_f32 v[4:5], v[12:13], v[36:37], v[4:5] op_sel_hi:[1,0,1]
	s_nop 0
	v_mov_b32_e32 v7, v5
	s_waitcnt vmcnt(1) lgkmcnt(0)
	v_pk_mul_f32 v[4:5], v[14:15], v[18:19] op_sel:[1,1] op_sel_hi:[0,1]
	v_pk_add_f32 v[2:3], v[2:3], v[6:7]
	v_pk_fma_f32 v[6:7], v[14:15], v[18:19], v[4:5] neg_lo:[0,0,1] neg_hi:[0,0,1]
	v_pk_fma_f32 v[4:5], v[14:15], v[18:19], v[4:5] op_sel_hi:[1,0,1]
	s_nop 0
	v_mov_b32_e32 v4, v21
	v_mov_b32_e32 v7, v5
	v_pk_mul_f32 v[4:5], v[16:17], v[4:5] op_sel:[1,0] op_sel_hi:[0,0]
	v_pk_add_f32 v[2:3], v[2:3], v[6:7]
	v_pk_fma_f32 v[6:7], v[16:17], v[20:21], v[4:5] neg_lo:[0,0,1] neg_hi:[0,0,1]
	v_pk_fma_f32 v[4:5], v[16:17], v[20:21], v[4:5] op_sel_hi:[1,0,1]
	s_nop 0
	v_mov_b32_e32 v7, v5
	v_pk_add_f32 v[2:3], v[2:3], v[6:7]
	s_waitcnt vmcnt(0)
	v_pk_add_f32 v[2:3], v[100:101], v[2:3] neg_lo:[0,1] neg_hi:[0,1]
	scratch_store_dwordx2 off, v[2:3], off offset:176
	s_and_saveexec_b64 s[0:1], vcc
	s_cbranch_execz .LBB50_277
; %bb.276:
	scratch_load_dwordx2 v[2:3], off, off offset:168
	v_mov_b32_e32 v4, 0
	v_mov_b32_e32 v5, v4
	scratch_store_dwordx2 off, v[4:5], off offset:168
	s_waitcnt vmcnt(1)
	ds_write_b64 v1, v[2:3]
.LBB50_277:
	s_or_b64 exec, exec, s[0:1]
	s_waitcnt lgkmcnt(0)
	; wave barrier
	scratch_load_dwordx4 v[26:29], off, off offset:176
	scratch_load_dwordx4 v[2:5], off, off offset:192
	;; [unrolled: 1-line block ×14, first 2 shown]
	scratch_load_dwordx2 v[58:59], off, off offset:400
	scratch_load_dwordx2 v[100:101], off, off offset:168
	v_mov_b32_e32 v102, 0
	ds_read_b128 v[60:63], v102 offset:592
	ds_read_b128 v[64:67], v102 offset:608
	;; [unrolled: 1-line block ×12, first 2 shown]
	v_cmp_lt_u32_e32 vcc, 20, v0
	s_waitcnt vmcnt(15) lgkmcnt(11)
	v_mul_f32_e32 v103, v60, v27
	v_mul_f32_e32 v112, v62, v29
	s_waitcnt vmcnt(14) lgkmcnt(10)
	v_mul_f32_e32 v114, v64, v3
	v_mul_f32_e32 v3, v65, v3
	v_fmac_f32_e32 v103, v61, v26
	v_fmac_f32_e32 v112, v63, v28
	;; [unrolled: 1-line block ×3, first 2 shown]
	v_fma_f32 v2, v64, v2, -v3
	v_add_f32_e32 v3, 0, v103
	v_mul_f32_e32 v116, v66, v5
	v_add_f32_e32 v3, v3, v112
	s_waitcnt vmcnt(13) lgkmcnt(9)
	v_mul_f32_e32 v117, v68, v7
	v_fmac_f32_e32 v116, v67, v4
	v_add_f32_e32 v3, v3, v114
	v_mul_f32_e32 v118, v70, v9
	v_fmac_f32_e32 v117, v69, v6
	v_add_f32_e32 v3, v3, v116
	s_waitcnt vmcnt(12) lgkmcnt(8)
	v_mul_f32_e32 v119, v72, v11
	v_fmac_f32_e32 v118, v71, v8
	v_add_f32_e32 v3, v3, v117
	v_mul_f32_e32 v120, v74, v13
	v_fmac_f32_e32 v119, v73, v10
	v_add_f32_e32 v3, v3, v118
	s_waitcnt vmcnt(11) lgkmcnt(7)
	v_mul_f32_e32 v121, v76, v15
	v_fmac_f32_e32 v120, v75, v12
	v_add_f32_e32 v3, v3, v119
	v_mul_f32_e32 v122, v78, v17
	v_fmac_f32_e32 v121, v77, v14
	v_add_f32_e32 v3, v3, v120
	s_waitcnt vmcnt(10) lgkmcnt(6)
	v_mul_f32_e32 v123, v80, v23
	v_fmac_f32_e32 v122, v79, v16
	v_add_f32_e32 v3, v3, v121
	v_mul_f32_e32 v124, v82, v25
	v_fmac_f32_e32 v123, v81, v22
	v_add_f32_e32 v3, v3, v122
	s_waitcnt vmcnt(9) lgkmcnt(5)
	v_mul_f32_e32 v125, v84, v31
	v_fmac_f32_e32 v124, v83, v24
	v_add_f32_e32 v3, v3, v123
	v_mul_f32_e32 v126, v86, v33
	v_fmac_f32_e32 v125, v85, v30
	v_add_f32_e32 v3, v3, v124
	s_waitcnt vmcnt(8) lgkmcnt(4)
	v_mul_f32_e32 v127, v88, v39
	v_fmac_f32_e32 v126, v87, v32
	v_add_f32_e32 v3, v3, v125
	v_mul_f32_e32 v128, v90, v41
	v_fmac_f32_e32 v127, v89, v38
	v_add_f32_e32 v3, v3, v126
	s_waitcnt vmcnt(7) lgkmcnt(3)
	v_mul_f32_e32 v129, v92, v43
	v_fmac_f32_e32 v128, v91, v40
	v_add_f32_e32 v3, v3, v127
	v_mul_f32_e32 v130, v94, v45
	v_mul_f32_e32 v27, v61, v27
	v_fmac_f32_e32 v129, v93, v42
	v_add_f32_e32 v3, v3, v128
	s_waitcnt vmcnt(6) lgkmcnt(2)
	v_mul_f32_e32 v131, v96, v51
	v_mul_f32_e32 v29, v63, v29
	v_fmac_f32_e32 v130, v95, v44
	v_fma_f32 v26, v60, v26, -v27
	v_add_f32_e32 v3, v3, v129
	v_fmac_f32_e32 v131, v97, v50
	v_fma_f32 v27, v62, v28, -v29
	v_add_f32_e32 v26, 0, v26
	v_add_f32_e32 v3, v3, v130
	;; [unrolled: 1-line block ×4, first 2 shown]
	v_mul_f32_e32 v3, v67, v5
	v_add_f32_e32 v2, v26, v2
	v_fma_f32 v3, v66, v4, -v3
	v_add_f32_e32 v2, v2, v3
	v_mul_f32_e32 v3, v69, v7
	v_fma_f32 v3, v68, v6, -v3
	v_add_f32_e32 v2, v2, v3
	v_mul_f32_e32 v3, v71, v9
	;; [unrolled: 3-line block ×15, first 2 shown]
	v_fma_f32 v3, v96, v50, -v3
	v_mul_f32_e32 v113, v98, v53
	v_add_f32_e32 v26, v2, v3
	v_mul_f32_e32 v2, v99, v53
	s_waitcnt vmcnt(5)
	v_mov_b32_e32 v14, v57
	s_waitcnt lgkmcnt(1)
	v_mul_f32_e32 v115, v104, v55
	v_fmac_f32_e32 v113, v99, v52
	v_fma_f32 v112, v98, v52, -v2
	v_mul_f32_e32 v2, v105, v55
	v_pk_mul_f32 v[14:15], v[106:107], v[14:15] op_sel:[1,0] op_sel_hi:[0,0]
	v_fmac_f32_e32 v115, v105, v54
	v_fma_f32 v114, v104, v54, -v2
	v_pk_add_f32 v[12:13], v[26:27], v[112:113]
	v_pk_fma_f32 v[16:17], v[106:107], v[56:57], v[14:15] neg_lo:[0,0,1] neg_hi:[0,0,1]
	v_pk_fma_f32 v[14:15], v[106:107], v[56:57], v[14:15] op_sel_hi:[1,0,1]
	v_pk_add_f32 v[12:13], v[12:13], v[114:115]
	v_mov_b32_e32 v17, v15
	s_waitcnt vmcnt(4) lgkmcnt(0)
	v_pk_mul_f32 v[14:15], v[108:109], v[46:47] op_sel:[1,1] op_sel_hi:[0,1]
	v_pk_add_f32 v[12:13], v[12:13], v[16:17]
	v_pk_fma_f32 v[16:17], v[108:109], v[46:47], v[14:15] neg_lo:[0,0,1] neg_hi:[0,0,1]
	v_pk_fma_f32 v[14:15], v[108:109], v[46:47], v[14:15] op_sel_hi:[1,0,1]
	ds_read_b128 v[2:5], v102 offset:784
	ds_read_b128 v[6:9], v102 offset:800
	ds_read_b64 v[10:11], v102 offset:816
	v_mov_b32_e32 v14, v49
	v_mov_b32_e32 v17, v15
	v_pk_mul_f32 v[14:15], v[110:111], v[14:15] op_sel:[1,0] op_sel_hi:[0,0]
	v_pk_add_f32 v[12:13], v[12:13], v[16:17]
	v_pk_fma_f32 v[16:17], v[110:111], v[48:49], v[14:15] neg_lo:[0,0,1] neg_hi:[0,0,1]
	v_pk_fma_f32 v[14:15], v[110:111], v[48:49], v[14:15] op_sel_hi:[1,0,1]
	s_nop 0
	v_mov_b32_e32 v17, v15
	s_waitcnt vmcnt(3) lgkmcnt(2)
	v_pk_mul_f32 v[14:15], v[2:3], v[34:35] op_sel:[1,1] op_sel_hi:[0,1]
	v_pk_add_f32 v[12:13], v[12:13], v[16:17]
	v_pk_fma_f32 v[16:17], v[2:3], v[34:35], v[14:15] neg_lo:[0,0,1] neg_hi:[0,0,1]
	v_pk_fma_f32 v[2:3], v[2:3], v[34:35], v[14:15] op_sel_hi:[1,0,1]
	s_nop 0
	v_mov_b32_e32 v17, v3
	v_pk_add_f32 v[2:3], v[12:13], v[16:17]
	v_mov_b32_e32 v12, v37
	v_pk_mul_f32 v[12:13], v[4:5], v[12:13] op_sel:[1,0] op_sel_hi:[0,0]
	v_pk_fma_f32 v[14:15], v[4:5], v[36:37], v[12:13] neg_lo:[0,0,1] neg_hi:[0,0,1]
	v_pk_fma_f32 v[4:5], v[4:5], v[36:37], v[12:13] op_sel_hi:[1,0,1]
	s_nop 0
	v_mov_b32_e32 v15, v5
	s_waitcnt vmcnt(2) lgkmcnt(1)
	v_pk_mul_f32 v[4:5], v[6:7], v[18:19] op_sel:[1,1] op_sel_hi:[0,1]
	v_pk_fma_f32 v[12:13], v[6:7], v[18:19], v[4:5] neg_lo:[0,0,1] neg_hi:[0,0,1]
	v_pk_fma_f32 v[4:5], v[6:7], v[18:19], v[4:5] op_sel_hi:[1,0,1]
	v_pk_add_f32 v[2:3], v[2:3], v[14:15]
	v_mov_b32_e32 v4, v21
	v_mov_b32_e32 v13, v5
	v_pk_mul_f32 v[4:5], v[8:9], v[4:5] op_sel:[1,0] op_sel_hi:[0,0]
	v_pk_fma_f32 v[6:7], v[8:9], v[20:21], v[4:5] neg_lo:[0,0,1] neg_hi:[0,0,1]
	v_pk_fma_f32 v[4:5], v[8:9], v[20:21], v[4:5] op_sel_hi:[1,0,1]
	v_pk_add_f32 v[2:3], v[2:3], v[12:13]
	v_mov_b32_e32 v7, v5
	s_waitcnt vmcnt(1) lgkmcnt(0)
	v_pk_mul_f32 v[4:5], v[10:11], v[58:59] op_sel:[1,1] op_sel_hi:[0,1]
	v_pk_add_f32 v[2:3], v[2:3], v[6:7]
	v_pk_fma_f32 v[6:7], v[10:11], v[58:59], v[4:5] neg_lo:[0,0,1] neg_hi:[0,0,1]
	v_pk_fma_f32 v[4:5], v[10:11], v[58:59], v[4:5] op_sel_hi:[1,0,1]
	s_nop 0
	v_mov_b32_e32 v7, v5
	v_pk_add_f32 v[2:3], v[2:3], v[6:7]
	s_waitcnt vmcnt(0)
	v_pk_add_f32 v[2:3], v[100:101], v[2:3] neg_lo:[0,1] neg_hi:[0,1]
	scratch_store_dwordx2 off, v[2:3], off offset:168
	s_and_saveexec_b64 s[0:1], vcc
	s_cbranch_execz .LBB50_279
; %bb.278:
	scratch_load_dwordx2 v[2:3], off, off offset:160
	v_mov_b32_e32 v103, v102
	scratch_store_dwordx2 off, v[102:103], off offset:160
	s_waitcnt vmcnt(1)
	ds_write_b64 v1, v[2:3]
.LBB50_279:
	s_or_b64 exec, exec, s[0:1]
	s_waitcnt lgkmcnt(0)
	; wave barrier
	scratch_load_dwordx4 v[18:21], off, off offset:168
	scratch_load_dwordx4 v[2:5], off, off offset:184
	;; [unrolled: 1-line block ×11, first 2 shown]
	ds_read2_b64 v[104:107], v102 offset0:73 offset1:74
	ds_read2_b64 v[98:101], v102 offset0:75 offset1:76
	;; [unrolled: 1-line block ×10, first 2 shown]
	scratch_load_dwordx4 v[58:61], off, off offset:344
	scratch_load_dwordx4 v[50:53], off, off offset:360
	;; [unrolled: 1-line block ×4, first 2 shown]
	ds_read2_b64 v[78:81], v102 offset0:93 offset1:94
	ds_read2_b64 v[108:111], v102 offset0:95 offset1:96
	scratch_load_dwordx2 v[112:113], off, off offset:160
	v_cmp_lt_u32_e32 vcc, 19, v0
	s_waitcnt vmcnt(15) lgkmcnt(11)
	v_mul_f32_e32 v103, v104, v19
	v_mul_f32_e32 v114, v106, v21
	s_waitcnt vmcnt(14) lgkmcnt(10)
	v_mul_f32_e32 v116, v98, v3
	v_mul_f32_e32 v3, v99, v3
	v_fmac_f32_e32 v103, v105, v18
	v_fmac_f32_e32 v114, v107, v20
	;; [unrolled: 1-line block ×3, first 2 shown]
	v_fma_f32 v2, v98, v2, -v3
	v_add_f32_e32 v3, 0, v103
	v_mul_f32_e32 v118, v100, v5
	v_add_f32_e32 v3, v3, v114
	s_waitcnt vmcnt(13) lgkmcnt(9)
	v_mul_f32_e32 v119, v94, v7
	v_fmac_f32_e32 v118, v101, v4
	v_add_f32_e32 v3, v3, v116
	v_mul_f32_e32 v120, v96, v9
	v_fmac_f32_e32 v119, v95, v6
	v_add_f32_e32 v3, v3, v118
	s_waitcnt vmcnt(12) lgkmcnt(8)
	v_mul_f32_e32 v121, v90, v11
	v_fmac_f32_e32 v120, v97, v8
	v_add_f32_e32 v3, v3, v119
	v_mul_f32_e32 v122, v92, v13
	v_fmac_f32_e32 v121, v91, v10
	;; [unrolled: 7-line block ×7, first 2 shown]
	v_add_f32_e32 v3, v3, v130
	s_waitcnt vmcnt(6) lgkmcnt(2)
	v_mul_f32_e32 v133, v62, v47
	v_mul_f32_e32 v19, v105, v19
	v_fmac_f32_e32 v132, v69, v44
	v_add_f32_e32 v3, v3, v131
	v_mul_f32_e32 v134, v64, v49
	v_mul_f32_e32 v21, v107, v21
	v_fmac_f32_e32 v133, v63, v46
	v_fma_f32 v18, v104, v18, -v19
	v_add_f32_e32 v3, v3, v132
	v_fmac_f32_e32 v134, v65, v48
	v_fma_f32 v19, v106, v20, -v21
	v_add_f32_e32 v18, 0, v18
	v_add_f32_e32 v3, v3, v133
	v_add_f32_e32 v18, v18, v19
	v_add_f32_e32 v19, v3, v134
	v_mul_f32_e32 v3, v101, v5
	v_add_f32_e32 v2, v18, v2
	v_fma_f32 v3, v100, v4, -v3
	v_add_f32_e32 v2, v2, v3
	v_mul_f32_e32 v3, v95, v7
	v_fma_f32 v3, v94, v6, -v3
	v_add_f32_e32 v2, v2, v3
	v_mul_f32_e32 v3, v97, v9
	;; [unrolled: 3-line block ×16, first 2 shown]
	v_fma_f32 v3, v64, v48, -v3
	s_waitcnt vmcnt(5) lgkmcnt(1)
	v_mul_f32_e32 v115, v78, v55
	v_add_f32_e32 v18, v2, v3
	v_mul_f32_e32 v2, v79, v55
	v_fmac_f32_e32 v115, v79, v54
	v_fma_f32 v114, v78, v54, -v2
	s_waitcnt vmcnt(4) lgkmcnt(0)
	v_pk_mul_f32 v[16:17], v[108:109], v[58:59] op_sel:[1,1] op_sel_hi:[0,1]
	v_mul_f32_e32 v117, v80, v57
	v_mul_f32_e32 v2, v81, v57
	v_pk_add_f32 v[14:15], v[18:19], v[114:115]
	v_pk_fma_f32 v[18:19], v[108:109], v[58:59], v[16:17] neg_lo:[0,0,1] neg_hi:[0,0,1]
	v_pk_fma_f32 v[16:17], v[108:109], v[58:59], v[16:17] op_sel_hi:[1,0,1]
	v_fmac_f32_e32 v117, v81, v56
	v_fma_f32 v116, v80, v56, -v2
	ds_read2_b64 v[2:5], v102 offset0:97 offset1:98
	ds_read2_b64 v[6:9], v102 offset0:99 offset1:100
	;; [unrolled: 1-line block ×3, first 2 shown]
	v_mov_b32_e32 v16, v61
	v_pk_add_f32 v[14:15], v[14:15], v[116:117]
	v_mov_b32_e32 v19, v17
	v_pk_mul_f32 v[16:17], v[110:111], v[16:17] op_sel:[1,0] op_sel_hi:[0,0]
	v_pk_add_f32 v[14:15], v[14:15], v[18:19]
	v_pk_fma_f32 v[18:19], v[110:111], v[60:61], v[16:17] neg_lo:[0,0,1] neg_hi:[0,0,1]
	v_pk_fma_f32 v[16:17], v[110:111], v[60:61], v[16:17] op_sel_hi:[1,0,1]
	s_nop 0
	v_mov_b32_e32 v19, v17
	s_waitcnt vmcnt(3) lgkmcnt(2)
	v_pk_mul_f32 v[16:17], v[2:3], v[50:51] op_sel:[1,1] op_sel_hi:[0,1]
	v_pk_add_f32 v[14:15], v[14:15], v[18:19]
	v_pk_fma_f32 v[18:19], v[2:3], v[50:51], v[16:17] neg_lo:[0,0,1] neg_hi:[0,0,1]
	v_pk_fma_f32 v[2:3], v[2:3], v[50:51], v[16:17] op_sel_hi:[1,0,1]
	s_nop 0
	v_mov_b32_e32 v19, v3
	v_pk_add_f32 v[2:3], v[14:15], v[18:19]
	v_mov_b32_e32 v14, v53
	v_pk_mul_f32 v[14:15], v[4:5], v[14:15] op_sel:[1,0] op_sel_hi:[0,0]
	v_pk_fma_f32 v[16:17], v[4:5], v[52:53], v[14:15] neg_lo:[0,0,1] neg_hi:[0,0,1]
	v_pk_fma_f32 v[4:5], v[4:5], v[52:53], v[14:15] op_sel_hi:[1,0,1]
	s_nop 0
	v_mov_b32_e32 v17, v5
	s_waitcnt vmcnt(2) lgkmcnt(1)
	v_pk_mul_f32 v[4:5], v[6:7], v[38:39] op_sel:[1,1] op_sel_hi:[0,1]
	v_pk_fma_f32 v[14:15], v[6:7], v[38:39], v[4:5] neg_lo:[0,0,1] neg_hi:[0,0,1]
	v_pk_fma_f32 v[4:5], v[6:7], v[38:39], v[4:5] op_sel_hi:[1,0,1]
	v_pk_add_f32 v[2:3], v[2:3], v[16:17]
	v_mov_b32_e32 v4, v41
	v_mov_b32_e32 v15, v5
	v_pk_mul_f32 v[4:5], v[8:9], v[4:5] op_sel:[1,0] op_sel_hi:[0,0]
	v_pk_fma_f32 v[6:7], v[8:9], v[40:41], v[4:5] neg_lo:[0,0,1] neg_hi:[0,0,1]
	v_pk_fma_f32 v[4:5], v[8:9], v[40:41], v[4:5] op_sel_hi:[1,0,1]
	v_pk_add_f32 v[2:3], v[2:3], v[14:15]
	v_mov_b32_e32 v7, v5
	s_waitcnt vmcnt(1) lgkmcnt(0)
	v_pk_mul_f32 v[4:5], v[10:11], v[26:27] op_sel:[1,1] op_sel_hi:[0,1]
	v_pk_add_f32 v[2:3], v[2:3], v[6:7]
	v_pk_fma_f32 v[6:7], v[10:11], v[26:27], v[4:5] neg_lo:[0,0,1] neg_hi:[0,0,1]
	v_pk_fma_f32 v[4:5], v[10:11], v[26:27], v[4:5] op_sel_hi:[1,0,1]
	s_nop 0
	v_mov_b32_e32 v4, v29
	v_mov_b32_e32 v7, v5
	v_pk_mul_f32 v[4:5], v[12:13], v[4:5] op_sel:[1,0] op_sel_hi:[0,0]
	v_pk_add_f32 v[2:3], v[2:3], v[6:7]
	v_pk_fma_f32 v[6:7], v[12:13], v[28:29], v[4:5] neg_lo:[0,0,1] neg_hi:[0,0,1]
	v_pk_fma_f32 v[4:5], v[12:13], v[28:29], v[4:5] op_sel_hi:[1,0,1]
	s_nop 0
	v_mov_b32_e32 v7, v5
	v_pk_add_f32 v[2:3], v[2:3], v[6:7]
	s_waitcnt vmcnt(0)
	v_pk_add_f32 v[2:3], v[112:113], v[2:3] neg_lo:[0,1] neg_hi:[0,1]
	scratch_store_dwordx2 off, v[2:3], off offset:160
	s_and_saveexec_b64 s[0:1], vcc
	s_cbranch_execz .LBB50_281
; %bb.280:
	scratch_load_dwordx2 v[2:3], off, off offset:152
	v_mov_b32_e32 v4, 0
	v_mov_b32_e32 v5, v4
	scratch_store_dwordx2 off, v[4:5], off offset:152
	s_waitcnt vmcnt(1)
	ds_write_b64 v1, v[2:3]
.LBB50_281:
	s_or_b64 exec, exec, s[0:1]
	s_waitcnt lgkmcnt(0)
	; wave barrier
	scratch_load_dwordx4 v[2:5], off, off offset:160
	scratch_load_dwordx4 v[6:9], off, off offset:176
	;; [unrolled: 1-line block ×15, first 2 shown]
	scratch_load_dwordx2 v[62:63], off, off offset:400
	scratch_load_dwordx2 v[112:113], off, off offset:152
	v_mov_b32_e32 v114, 0
	ds_read_b128 v[64:67], v114 offset:576
	ds_read_b128 v[68:71], v114 offset:592
	;; [unrolled: 1-line block ×12, first 2 shown]
	v_cmp_lt_u32_e32 vcc, 18, v0
	s_waitcnt vmcnt(16) lgkmcnt(11)
	v_mul_f32_e32 v115, v64, v3
	v_mul_f32_e32 v116, v66, v5
	;; [unrolled: 1-line block ×3, first 2 shown]
	v_fmac_f32_e32 v115, v65, v2
	s_waitcnt vmcnt(15) lgkmcnt(10)
	v_mul_f32_e32 v118, v68, v7
	v_fmac_f32_e32 v116, v67, v4
	v_fma_f32 v2, v64, v2, -v3
	v_add_f32_e32 v3, 0, v115
	v_mul_f32_e32 v120, v70, v9
	v_fmac_f32_e32 v118, v69, v6
	v_add_f32_e32 v3, v3, v116
	s_waitcnt vmcnt(14) lgkmcnt(9)
	v_mul_f32_e32 v121, v72, v11
	v_fmac_f32_e32 v120, v71, v8
	v_add_f32_e32 v3, v3, v118
	v_mul_f32_e32 v122, v74, v13
	v_fmac_f32_e32 v121, v73, v10
	v_add_f32_e32 v3, v3, v120
	s_waitcnt vmcnt(13) lgkmcnt(8)
	v_mul_f32_e32 v123, v76, v15
	v_fmac_f32_e32 v122, v75, v12
	;; [unrolled: 7-line block ×9, first 2 shown]
	v_add_f32_e32 v3, v3, v135
	v_mul_f32_e32 v5, v67, v5
	v_fmac_f32_e32 v137, v105, v58
	v_add_f32_e32 v3, v3, v136
	v_add_f32_e32 v2, 0, v2
	;; [unrolled: 1-line block ×3, first 2 shown]
	v_fma_f32 v3, v66, v4, -v5
	v_add_f32_e32 v2, v2, v3
	v_mul_f32_e32 v3, v69, v7
	v_fma_f32 v3, v68, v6, -v3
	v_add_f32_e32 v2, v2, v3
	v_mul_f32_e32 v3, v71, v9
	;; [unrolled: 3-line block ×20, first 2 shown]
	v_mul_f32_e32 v117, v106, v61
	v_fma_f32 v116, v106, v60, -v2
	s_waitcnt vmcnt(5) lgkmcnt(0)
	v_mul_f32_e32 v2, v109, v55
	v_mov_b32_e32 v18, v57
	v_mul_f32_e32 v119, v108, v55
	v_fmac_f32_e32 v117, v107, v60
	v_fma_f32 v118, v108, v54, -v2
	ds_read_b128 v[2:5], v114 offset:768
	ds_read_b128 v[6:9], v114 offset:784
	;; [unrolled: 1-line block ×3, first 2 shown]
	ds_read_b64 v[14:15], v114 offset:816
	v_pk_mul_f32 v[18:19], v[110:111], v[18:19] op_sel:[1,0] op_sel_hi:[0,0]
	v_fmac_f32_e32 v119, v109, v54
	v_pk_add_f32 v[16:17], v[64:65], v[116:117]
	v_pk_fma_f32 v[20:21], v[110:111], v[56:57], v[18:19] neg_lo:[0,0,1] neg_hi:[0,0,1]
	v_pk_fma_f32 v[18:19], v[110:111], v[56:57], v[18:19] op_sel_hi:[1,0,1]
	v_pk_add_f32 v[16:17], v[16:17], v[118:119]
	v_mov_b32_e32 v21, v19
	s_waitcnt vmcnt(4) lgkmcnt(3)
	v_pk_mul_f32 v[18:19], v[2:3], v[50:51] op_sel:[1,1] op_sel_hi:[0,1]
	v_pk_add_f32 v[16:17], v[16:17], v[20:21]
	v_pk_fma_f32 v[20:21], v[2:3], v[50:51], v[18:19] neg_lo:[0,0,1] neg_hi:[0,0,1]
	v_pk_fma_f32 v[2:3], v[2:3], v[50:51], v[18:19] op_sel_hi:[1,0,1]
	s_nop 0
	v_mov_b32_e32 v21, v3
	v_pk_add_f32 v[2:3], v[16:17], v[20:21]
	v_mov_b32_e32 v16, v53
	v_pk_mul_f32 v[16:17], v[4:5], v[16:17] op_sel:[1,0] op_sel_hi:[0,0]
	v_pk_fma_f32 v[18:19], v[4:5], v[52:53], v[16:17] neg_lo:[0,0,1] neg_hi:[0,0,1]
	v_pk_fma_f32 v[4:5], v[4:5], v[52:53], v[16:17] op_sel_hi:[1,0,1]
	s_nop 0
	v_mov_b32_e32 v19, v5
	s_waitcnt vmcnt(3) lgkmcnt(2)
	v_pk_mul_f32 v[4:5], v[6:7], v[38:39] op_sel:[1,1] op_sel_hi:[0,1]
	v_pk_fma_f32 v[16:17], v[6:7], v[38:39], v[4:5] neg_lo:[0,0,1] neg_hi:[0,0,1]
	v_pk_fma_f32 v[4:5], v[6:7], v[38:39], v[4:5] op_sel_hi:[1,0,1]
	v_pk_add_f32 v[2:3], v[2:3], v[18:19]
	v_mov_b32_e32 v4, v41
	v_mov_b32_e32 v17, v5
	v_pk_mul_f32 v[4:5], v[8:9], v[4:5] op_sel:[1,0] op_sel_hi:[0,0]
	v_pk_fma_f32 v[6:7], v[8:9], v[40:41], v[4:5] neg_lo:[0,0,1] neg_hi:[0,0,1]
	v_pk_fma_f32 v[4:5], v[8:9], v[40:41], v[4:5] op_sel_hi:[1,0,1]
	v_pk_add_f32 v[2:3], v[2:3], v[16:17]
	v_mov_b32_e32 v7, v5
	s_waitcnt vmcnt(2) lgkmcnt(1)
	v_pk_mul_f32 v[4:5], v[10:11], v[26:27] op_sel:[1,1] op_sel_hi:[0,1]
	v_pk_add_f32 v[2:3], v[2:3], v[6:7]
	v_pk_fma_f32 v[6:7], v[10:11], v[26:27], v[4:5] neg_lo:[0,0,1] neg_hi:[0,0,1]
	v_pk_fma_f32 v[4:5], v[10:11], v[26:27], v[4:5] op_sel_hi:[1,0,1]
	s_nop 0
	v_mov_b32_e32 v4, v29
	v_mov_b32_e32 v7, v5
	v_pk_mul_f32 v[4:5], v[12:13], v[4:5] op_sel:[1,0] op_sel_hi:[0,0]
	v_pk_add_f32 v[2:3], v[2:3], v[6:7]
	v_pk_fma_f32 v[6:7], v[12:13], v[28:29], v[4:5] neg_lo:[0,0,1] neg_hi:[0,0,1]
	v_pk_fma_f32 v[4:5], v[12:13], v[28:29], v[4:5] op_sel_hi:[1,0,1]
	s_nop 0
	v_mov_b32_e32 v7, v5
	s_waitcnt vmcnt(1) lgkmcnt(0)
	v_pk_mul_f32 v[4:5], v[14:15], v[62:63] op_sel:[1,1] op_sel_hi:[0,1]
	v_pk_add_f32 v[2:3], v[2:3], v[6:7]
	v_pk_fma_f32 v[6:7], v[14:15], v[62:63], v[4:5] neg_lo:[0,0,1] neg_hi:[0,0,1]
	v_pk_fma_f32 v[4:5], v[14:15], v[62:63], v[4:5] op_sel_hi:[1,0,1]
	s_nop 0
	v_mov_b32_e32 v7, v5
	v_pk_add_f32 v[2:3], v[2:3], v[6:7]
	s_waitcnt vmcnt(0)
	v_pk_add_f32 v[2:3], v[112:113], v[2:3] neg_lo:[0,1] neg_hi:[0,1]
	scratch_store_dwordx2 off, v[2:3], off offset:152
	s_and_saveexec_b64 s[0:1], vcc
	s_cbranch_execz .LBB50_283
; %bb.282:
	scratch_load_dwordx2 v[2:3], off, off offset:144
	v_mov_b32_e32 v115, v114
	scratch_store_dwordx2 off, v[114:115], off offset:144
	s_waitcnt vmcnt(1)
	ds_write_b64 v1, v[2:3]
.LBB50_283:
	s_or_b64 exec, exec, s[0:1]
	s_waitcnt lgkmcnt(0)
	; wave barrier
	scratch_load_dwordx4 v[2:5], off, off offset:152
	scratch_load_dwordx4 v[6:9], off, off offset:168
	;; [unrolled: 1-line block ×12, first 2 shown]
	ds_read2_b64 v[110:113], v114 offset0:71 offset1:72
	ds_read2_b64 v[106:109], v114 offset0:73 offset1:74
	;; [unrolled: 1-line block ×12, first 2 shown]
	scratch_load_dwordx4 v[62:65], off, off offset:344
	scratch_load_dwordx4 v[54:57], off, off offset:360
	;; [unrolled: 1-line block ×4, first 2 shown]
	scratch_load_dwordx2 v[116:117], off, off offset:144
	v_cmp_lt_u32_e32 vcc, 17, v0
	s_waitcnt vmcnt(16) lgkmcnt(11)
	v_mul_f32_e32 v115, v110, v3
	v_mul_f32_e32 v118, v112, v5
	;; [unrolled: 1-line block ×3, first 2 shown]
	v_fmac_f32_e32 v115, v111, v2
	s_waitcnt vmcnt(15) lgkmcnt(10)
	v_mul_f32_e32 v120, v106, v7
	v_fmac_f32_e32 v118, v113, v4
	v_fma_f32 v2, v110, v2, -v3
	v_add_f32_e32 v3, 0, v115
	v_mul_f32_e32 v122, v108, v9
	v_fmac_f32_e32 v120, v107, v6
	v_add_f32_e32 v3, v3, v118
	s_waitcnt vmcnt(14) lgkmcnt(9)
	v_mul_f32_e32 v123, v102, v11
	v_fmac_f32_e32 v122, v109, v8
	v_add_f32_e32 v3, v3, v120
	v_mul_f32_e32 v124, v104, v13
	v_fmac_f32_e32 v123, v103, v10
	v_add_f32_e32 v3, v3, v122
	s_waitcnt vmcnt(13) lgkmcnt(8)
	v_mul_f32_e32 v125, v98, v15
	v_fmac_f32_e32 v124, v105, v12
	v_add_f32_e32 v3, v3, v123
	v_mul_f32_e32 v126, v100, v17
	v_fmac_f32_e32 v125, v99, v14
	v_add_f32_e32 v3, v3, v124
	s_waitcnt vmcnt(12) lgkmcnt(7)
	v_mul_f32_e32 v127, v94, v19
	v_fmac_f32_e32 v126, v101, v16
	v_add_f32_e32 v3, v3, v125
	v_mul_f32_e32 v128, v96, v21
	v_fmac_f32_e32 v127, v95, v18
	v_add_f32_e32 v3, v3, v126
	s_waitcnt vmcnt(11) lgkmcnt(6)
	v_mul_f32_e32 v129, v90, v23
	v_fmac_f32_e32 v128, v97, v20
	v_add_f32_e32 v3, v3, v127
	v_mul_f32_e32 v130, v92, v25
	v_fmac_f32_e32 v129, v91, v22
	v_add_f32_e32 v3, v3, v128
	s_waitcnt vmcnt(10) lgkmcnt(5)
	v_mul_f32_e32 v131, v86, v27
	v_fmac_f32_e32 v130, v93, v24
	v_add_f32_e32 v3, v3, v129
	v_mul_f32_e32 v132, v88, v29
	v_fmac_f32_e32 v131, v87, v26
	v_add_f32_e32 v3, v3, v130
	s_waitcnt vmcnt(9) lgkmcnt(4)
	v_mul_f32_e32 v133, v82, v31
	v_fmac_f32_e32 v132, v89, v28
	v_add_f32_e32 v3, v3, v131
	v_mul_f32_e32 v134, v84, v33
	v_fmac_f32_e32 v133, v83, v30
	v_add_f32_e32 v3, v3, v132
	s_waitcnt vmcnt(8) lgkmcnt(3)
	v_mul_f32_e32 v135, v78, v39
	v_fmac_f32_e32 v134, v85, v32
	v_add_f32_e32 v3, v3, v133
	v_mul_f32_e32 v136, v80, v41
	v_fmac_f32_e32 v135, v79, v38
	v_add_f32_e32 v3, v3, v134
	s_waitcnt vmcnt(7) lgkmcnt(2)
	v_mul_f32_e32 v137, v74, v47
	v_fmac_f32_e32 v136, v81, v40
	v_add_f32_e32 v3, v3, v135
	v_mul_f32_e32 v138, v76, v49
	v_fmac_f32_e32 v137, v75, v46
	v_add_f32_e32 v3, v3, v136
	s_waitcnt vmcnt(6) lgkmcnt(1)
	v_mul_f32_e32 v139, v70, v51
	v_fmac_f32_e32 v138, v77, v48
	v_add_f32_e32 v3, v3, v137
	v_mul_f32_e32 v140, v72, v53
	v_fmac_f32_e32 v139, v71, v50
	v_add_f32_e32 v3, v3, v138
	v_fmac_f32_e32 v140, v73, v52
	v_add_f32_e32 v3, v3, v139
	v_add_f32_e32 v111, v3, v140
	v_mul_f32_e32 v3, v113, v5
	v_add_f32_e32 v2, 0, v2
	v_fma_f32 v3, v112, v4, -v3
	v_add_f32_e32 v2, v2, v3
	v_mul_f32_e32 v3, v107, v7
	v_fma_f32 v3, v106, v6, -v3
	v_add_f32_e32 v2, v2, v3
	v_mul_f32_e32 v3, v109, v9
	;; [unrolled: 3-line block ×20, first 2 shown]
	v_fma_f32 v3, v72, v52, -v3
	v_add_f32_e32 v110, v2, v3
	s_waitcnt vmcnt(5) lgkmcnt(0)
	v_mul_f32_e32 v2, v67, v59
	v_fma_f32 v118, v66, v58, -v2
	v_mul_f32_e32 v2, v69, v61
	v_fma_f32 v120, v68, v60, -v2
	ds_read2_b64 v[2:5], v114 offset0:95 offset1:96
	ds_read2_b64 v[6:9], v114 offset0:97 offset1:98
	;; [unrolled: 1-line block ×4, first 2 shown]
	v_mul_f32_e32 v119, v66, v59
	v_mul_f32_e32 v121, v68, v61
	v_fmac_f32_e32 v119, v67, v58
	s_waitcnt vmcnt(4) lgkmcnt(3)
	v_pk_mul_f32 v[20:21], v[2:3], v[62:63] op_sel:[1,1] op_sel_hi:[0,1]
	v_fmac_f32_e32 v121, v69, v60
	v_pk_add_f32 v[18:19], v[110:111], v[118:119]
	v_pk_fma_f32 v[22:23], v[2:3], v[62:63], v[20:21] neg_lo:[0,0,1] neg_hi:[0,0,1]
	v_pk_fma_f32 v[2:3], v[2:3], v[62:63], v[20:21] op_sel_hi:[1,0,1]
	v_pk_add_f32 v[18:19], v[18:19], v[120:121]
	v_mov_b32_e32 v23, v3
	v_pk_add_f32 v[2:3], v[18:19], v[22:23]
	v_mov_b32_e32 v18, v65
	v_pk_mul_f32 v[18:19], v[4:5], v[18:19] op_sel:[1,0] op_sel_hi:[0,0]
	v_pk_fma_f32 v[20:21], v[4:5], v[64:65], v[18:19] neg_lo:[0,0,1] neg_hi:[0,0,1]
	v_pk_fma_f32 v[4:5], v[4:5], v[64:65], v[18:19] op_sel_hi:[1,0,1]
	s_nop 0
	v_mov_b32_e32 v21, v5
	s_waitcnt vmcnt(3) lgkmcnt(2)
	v_pk_mul_f32 v[4:5], v[6:7], v[54:55] op_sel:[1,1] op_sel_hi:[0,1]
	v_pk_fma_f32 v[18:19], v[6:7], v[54:55], v[4:5] neg_lo:[0,0,1] neg_hi:[0,0,1]
	v_pk_fma_f32 v[4:5], v[6:7], v[54:55], v[4:5] op_sel_hi:[1,0,1]
	v_pk_add_f32 v[2:3], v[2:3], v[20:21]
	v_mov_b32_e32 v4, v57
	v_mov_b32_e32 v19, v5
	v_pk_mul_f32 v[4:5], v[8:9], v[4:5] op_sel:[1,0] op_sel_hi:[0,0]
	v_pk_fma_f32 v[6:7], v[8:9], v[56:57], v[4:5] neg_lo:[0,0,1] neg_hi:[0,0,1]
	v_pk_fma_f32 v[4:5], v[8:9], v[56:57], v[4:5] op_sel_hi:[1,0,1]
	v_pk_add_f32 v[2:3], v[2:3], v[18:19]
	v_mov_b32_e32 v7, v5
	s_waitcnt vmcnt(2) lgkmcnt(1)
	v_pk_mul_f32 v[4:5], v[10:11], v[42:43] op_sel:[1,1] op_sel_hi:[0,1]
	v_pk_add_f32 v[2:3], v[2:3], v[6:7]
	v_pk_fma_f32 v[6:7], v[10:11], v[42:43], v[4:5] neg_lo:[0,0,1] neg_hi:[0,0,1]
	v_pk_fma_f32 v[4:5], v[10:11], v[42:43], v[4:5] op_sel_hi:[1,0,1]
	s_nop 0
	v_mov_b32_e32 v4, v45
	v_mov_b32_e32 v7, v5
	v_pk_mul_f32 v[4:5], v[12:13], v[4:5] op_sel:[1,0] op_sel_hi:[0,0]
	v_pk_add_f32 v[2:3], v[2:3], v[6:7]
	v_pk_fma_f32 v[6:7], v[12:13], v[44:45], v[4:5] neg_lo:[0,0,1] neg_hi:[0,0,1]
	v_pk_fma_f32 v[4:5], v[12:13], v[44:45], v[4:5] op_sel_hi:[1,0,1]
	s_nop 0
	v_mov_b32_e32 v7, v5
	s_waitcnt vmcnt(1) lgkmcnt(0)
	v_pk_mul_f32 v[4:5], v[14:15], v[34:35] op_sel:[1,1] op_sel_hi:[0,1]
	v_pk_add_f32 v[2:3], v[2:3], v[6:7]
	v_pk_fma_f32 v[6:7], v[14:15], v[34:35], v[4:5] neg_lo:[0,0,1] neg_hi:[0,0,1]
	v_pk_fma_f32 v[4:5], v[14:15], v[34:35], v[4:5] op_sel_hi:[1,0,1]
	s_nop 0
	v_mov_b32_e32 v4, v37
	v_mov_b32_e32 v7, v5
	v_pk_mul_f32 v[4:5], v[16:17], v[4:5] op_sel:[1,0] op_sel_hi:[0,0]
	v_pk_add_f32 v[2:3], v[2:3], v[6:7]
	v_pk_fma_f32 v[6:7], v[16:17], v[36:37], v[4:5] neg_lo:[0,0,1] neg_hi:[0,0,1]
	v_pk_fma_f32 v[4:5], v[16:17], v[36:37], v[4:5] op_sel_hi:[1,0,1]
	s_nop 0
	v_mov_b32_e32 v7, v5
	v_pk_add_f32 v[2:3], v[2:3], v[6:7]
	s_waitcnt vmcnt(0)
	v_pk_add_f32 v[2:3], v[116:117], v[2:3] neg_lo:[0,1] neg_hi:[0,1]
	scratch_store_dwordx2 off, v[2:3], off offset:144
	s_and_saveexec_b64 s[0:1], vcc
	s_cbranch_execz .LBB50_285
; %bb.284:
	scratch_load_dwordx2 v[2:3], off, off offset:136
	v_mov_b32_e32 v4, 0
	v_mov_b32_e32 v5, v4
	scratch_store_dwordx2 off, v[4:5], off offset:136
	s_waitcnt vmcnt(1)
	ds_write_b64 v1, v[2:3]
.LBB50_285:
	s_or_b64 exec, exec, s[0:1]
	s_waitcnt lgkmcnt(0)
	; wave barrier
	scratch_load_dwordx4 v[2:5], off, off offset:144
	scratch_load_dwordx4 v[6:9], off, off offset:160
	;; [unrolled: 1-line block ×13, first 2 shown]
	v_mov_b32_e32 v106, 0
	scratch_load_dwordx2 v[124:125], off, off offset:136
	ds_read_b128 v[54:57], v106 offset:560
	ds_read_b128 v[58:61], v106 offset:576
	;; [unrolled: 1-line block ×14, first 2 shown]
	v_cmp_lt_u32_e32 vcc, 16, v0
	s_waitcnt vmcnt(13) lgkmcnt(13)
	v_mul_f32_e32 v107, v54, v3
	v_mul_f32_e32 v112, v56, v5
	v_fmac_f32_e32 v107, v55, v2
	s_waitcnt vmcnt(12) lgkmcnt(12)
	v_mul_f32_e32 v113, v58, v7
	v_fmac_f32_e32 v112, v57, v4
	v_add_f32_e32 v107, 0, v107
	v_mul_f32_e32 v114, v60, v9
	v_fmac_f32_e32 v113, v59, v6
	v_add_f32_e32 v107, v107, v112
	s_waitcnt vmcnt(11) lgkmcnt(11)
	v_mul_f32_e32 v115, v62, v11
	v_fmac_f32_e32 v114, v61, v8
	v_add_f32_e32 v107, v107, v113
	v_mul_f32_e32 v116, v64, v13
	v_fmac_f32_e32 v115, v63, v10
	v_add_f32_e32 v107, v107, v114
	;; [unrolled: 7-line block ×8, first 2 shown]
	s_waitcnt vmcnt(4) lgkmcnt(4)
	v_mul_f32_e32 v133, v90, v39
	v_fmac_f32_e32 v132, v89, v36
	v_add_f32_e32 v107, v107, v131
	v_fmac_f32_e32 v133, v91, v38
	v_add_f32_e32 v107, v107, v132
	v_add_f32_e32 v107, v107, v133
	scratch_load_dwordx4 v[112:115], off, off offset:352
	scratch_load_dwordx4 v[116:119], off, off offset:368
	scratch_load_dwordx4 v[120:123], off, off offset:384
	scratch_load_dwordx2 v[132:133], off, off offset:400
	v_mul_f32_e32 v3, v55, v3
	v_fma_f32 v2, v54, v2, -v3
	v_mul_f32_e32 v3, v57, v5
	v_add_f32_e32 v2, 0, v2
	v_fma_f32 v3, v56, v4, -v3
	v_add_f32_e32 v2, v2, v3
	v_mul_f32_e32 v3, v59, v7
	v_fma_f32 v3, v58, v6, -v3
	v_add_f32_e32 v2, v2, v3
	v_mul_f32_e32 v3, v61, v9
	;; [unrolled: 3-line block ×18, first 2 shown]
	v_fma_f32 v3, v92, v40, -v3
	v_add_f32_e32 v2, v2, v3
	s_waitcnt vmcnt(7) lgkmcnt(3)
	v_mul_f32_e32 v3, v95, v43
	v_fma_f32 v3, v94, v42, -v3
	v_mul_f32_e32 v134, v92, v41
	v_add_f32_e32 v2, v2, v3
	v_mul_f32_e32 v3, v97, v45
	v_mul_f32_e32 v135, v94, v43
	v_fmac_f32_e32 v134, v93, v40
	v_fma_f32 v3, v96, v44, -v3
	v_mul_f32_e32 v136, v96, v45
	v_fmac_f32_e32 v135, v95, v42
	v_add_f32_e32 v107, v107, v134
	v_add_f32_e32 v2, v2, v3
	s_waitcnt vmcnt(6) lgkmcnt(2)
	v_mul_f32_e32 v3, v99, v47
	v_mul_f32_e32 v137, v98, v47
	v_fmac_f32_e32 v136, v97, v44
	v_add_f32_e32 v107, v107, v135
	v_fma_f32 v3, v98, v46, -v3
	v_mul_f32_e32 v127, v100, v49
	v_fmac_f32_e32 v137, v99, v46
	v_add_f32_e32 v107, v107, v136
	v_add_f32_e32 v130, v2, v3
	v_mul_f32_e32 v2, v101, v49
	s_waitcnt vmcnt(5)
	v_mov_b32_e32 v14, v53
	s_waitcnt lgkmcnt(1)
	v_mul_f32_e32 v129, v102, v51
	v_fmac_f32_e32 v127, v101, v48
	v_add_f32_e32 v131, v107, v137
	v_fma_f32 v126, v100, v48, -v2
	v_mul_f32_e32 v2, v103, v51
	v_pk_mul_f32 v[14:15], v[104:105], v[14:15] op_sel:[1,0] op_sel_hi:[0,0]
	v_fmac_f32_e32 v129, v103, v50
	v_fma_f32 v128, v102, v50, -v2
	v_pk_add_f32 v[12:13], v[130:131], v[126:127]
	v_pk_fma_f32 v[16:17], v[104:105], v[52:53], v[14:15] neg_lo:[0,0,1] neg_hi:[0,0,1]
	v_pk_fma_f32 v[14:15], v[104:105], v[52:53], v[14:15] op_sel_hi:[1,0,1]
	v_pk_add_f32 v[12:13], v[12:13], v[128:129]
	v_mov_b32_e32 v17, v15
	s_waitcnt vmcnt(3) lgkmcnt(0)
	v_pk_mul_f32 v[14:15], v[108:109], v[112:113] op_sel:[1,1] op_sel_hi:[0,1]
	v_pk_add_f32 v[12:13], v[12:13], v[16:17]
	v_pk_fma_f32 v[16:17], v[108:109], v[112:113], v[14:15] neg_lo:[0,0,1] neg_hi:[0,0,1]
	v_pk_fma_f32 v[14:15], v[108:109], v[112:113], v[14:15] op_sel_hi:[1,0,1]
	ds_read_b128 v[2:5], v106 offset:784
	ds_read_b128 v[6:9], v106 offset:800
	ds_read_b64 v[10:11], v106 offset:816
	v_mov_b32_e32 v14, v115
	v_mov_b32_e32 v17, v15
	v_pk_mul_f32 v[14:15], v[110:111], v[14:15] op_sel:[1,0] op_sel_hi:[0,0]
	v_pk_add_f32 v[12:13], v[12:13], v[16:17]
	v_pk_fma_f32 v[16:17], v[110:111], v[114:115], v[14:15] neg_lo:[0,0,1] neg_hi:[0,0,1]
	v_pk_fma_f32 v[14:15], v[110:111], v[114:115], v[14:15] op_sel_hi:[1,0,1]
	s_nop 0
	v_mov_b32_e32 v17, v15
	s_waitcnt vmcnt(2) lgkmcnt(2)
	v_pk_mul_f32 v[14:15], v[2:3], v[116:117] op_sel:[1,1] op_sel_hi:[0,1]
	v_pk_add_f32 v[12:13], v[12:13], v[16:17]
	v_pk_fma_f32 v[16:17], v[2:3], v[116:117], v[14:15] neg_lo:[0,0,1] neg_hi:[0,0,1]
	v_pk_fma_f32 v[2:3], v[2:3], v[116:117], v[14:15] op_sel_hi:[1,0,1]
	s_nop 0
	v_mov_b32_e32 v17, v3
	v_pk_add_f32 v[2:3], v[12:13], v[16:17]
	v_mov_b32_e32 v12, v119
	v_pk_mul_f32 v[12:13], v[4:5], v[12:13] op_sel:[1,0] op_sel_hi:[0,0]
	v_pk_fma_f32 v[14:15], v[4:5], v[118:119], v[12:13] neg_lo:[0,0,1] neg_hi:[0,0,1]
	v_pk_fma_f32 v[4:5], v[4:5], v[118:119], v[12:13] op_sel_hi:[1,0,1]
	s_nop 0
	v_mov_b32_e32 v15, v5
	s_waitcnt vmcnt(1) lgkmcnt(1)
	v_pk_mul_f32 v[4:5], v[6:7], v[120:121] op_sel:[1,1] op_sel_hi:[0,1]
	v_pk_fma_f32 v[12:13], v[6:7], v[120:121], v[4:5] neg_lo:[0,0,1] neg_hi:[0,0,1]
	v_pk_fma_f32 v[4:5], v[6:7], v[120:121], v[4:5] op_sel_hi:[1,0,1]
	v_pk_add_f32 v[2:3], v[2:3], v[14:15]
	v_mov_b32_e32 v4, v123
	v_mov_b32_e32 v13, v5
	v_pk_mul_f32 v[4:5], v[8:9], v[4:5] op_sel:[1,0] op_sel_hi:[0,0]
	v_pk_fma_f32 v[6:7], v[8:9], v[122:123], v[4:5] neg_lo:[0,0,1] neg_hi:[0,0,1]
	v_pk_fma_f32 v[4:5], v[8:9], v[122:123], v[4:5] op_sel_hi:[1,0,1]
	v_pk_add_f32 v[2:3], v[2:3], v[12:13]
	v_mov_b32_e32 v7, v5
	s_waitcnt vmcnt(0) lgkmcnt(0)
	v_pk_mul_f32 v[4:5], v[10:11], v[132:133] op_sel:[1,1] op_sel_hi:[0,1]
	v_pk_add_f32 v[2:3], v[2:3], v[6:7]
	v_pk_fma_f32 v[6:7], v[10:11], v[132:133], v[4:5] neg_lo:[0,0,1] neg_hi:[0,0,1]
	v_pk_fma_f32 v[4:5], v[10:11], v[132:133], v[4:5] op_sel_hi:[1,0,1]
	s_nop 0
	v_mov_b32_e32 v7, v5
	v_pk_add_f32 v[2:3], v[2:3], v[6:7]
	s_nop 0
	v_pk_add_f32 v[2:3], v[124:125], v[2:3] neg_lo:[0,1] neg_hi:[0,1]
	scratch_store_dwordx2 off, v[2:3], off offset:136
	s_and_saveexec_b64 s[0:1], vcc
	s_cbranch_execz .LBB50_287
; %bb.286:
	scratch_load_dwordx2 v[2:3], off, off offset:128
	v_mov_b32_e32 v107, v106
	scratch_store_dwordx2 off, v[106:107], off offset:128
	s_waitcnt vmcnt(1)
	ds_write_b64 v1, v[2:3]
.LBB50_287:
	s_or_b64 exec, exec, s[0:1]
	s_waitcnt lgkmcnt(0)
	; wave barrier
	scratch_load_dwordx4 v[2:5], off, off offset:136
	scratch_load_dwordx4 v[6:9], off, off offset:152
	scratch_load_dwordx4 v[10:13], off, off offset:168
	scratch_load_dwordx4 v[14:17], off, off offset:184
	scratch_load_dwordx4 v[18:21], off, off offset:200
	scratch_load_dwordx4 v[22:25], off, off offset:216
	scratch_load_dwordx4 v[26:29], off, off offset:232
	scratch_load_dwordx4 v[30:33], off, off offset:248
	scratch_load_dwordx4 v[34:37], off, off offset:264
	scratch_load_dwordx4 v[38:41], off, off offset:280
	scratch_load_dwordx4 v[42:45], off, off offset:296
	scratch_load_dwordx4 v[46:49], off, off offset:312
	scratch_load_dwordx4 v[50:53], off, off offset:328
	ds_read2_b64 v[102:105], v106 offset0:69 offset1:70
	ds_read2_b64 v[98:101], v106 offset0:71 offset1:72
	;; [unrolled: 1-line block ×14, first 2 shown]
	scratch_load_dwordx2 v[128:129], off, off offset:128
	v_cmp_lt_u32_e32 vcc, 15, v0
	s_waitcnt vmcnt(13) lgkmcnt(13)
	v_mul_f32_e32 v107, v102, v3
	v_mul_f32_e32 v112, v104, v5
	v_fmac_f32_e32 v107, v103, v2
	s_waitcnt vmcnt(12) lgkmcnt(12)
	v_mul_f32_e32 v113, v98, v7
	v_fmac_f32_e32 v112, v105, v4
	v_add_f32_e32 v107, 0, v107
	v_mul_f32_e32 v114, v100, v9
	v_fmac_f32_e32 v113, v99, v6
	v_add_f32_e32 v107, v107, v112
	s_waitcnt vmcnt(11) lgkmcnt(11)
	v_mul_f32_e32 v115, v94, v11
	v_fmac_f32_e32 v114, v101, v8
	v_add_f32_e32 v107, v107, v113
	v_mul_f32_e32 v116, v96, v13
	v_fmac_f32_e32 v115, v95, v10
	v_add_f32_e32 v107, v107, v114
	;; [unrolled: 7-line block ×7, first 2 shown]
	s_waitcnt vmcnt(5) lgkmcnt(5)
	v_mul_f32_e32 v127, v70, v35
	v_fmac_f32_e32 v126, v77, v32
	v_add_f32_e32 v107, v107, v125
	v_fmac_f32_e32 v127, v71, v34
	v_add_f32_e32 v107, v107, v126
	v_add_f32_e32 v107, v107, v127
	scratch_load_dwordx4 v[112:115], off, off offset:344
	scratch_load_dwordx4 v[116:119], off, off offset:360
	;; [unrolled: 1-line block ×4, first 2 shown]
	v_mul_f32_e32 v3, v103, v3
	v_fma_f32 v2, v102, v2, -v3
	v_mul_f32_e32 v3, v105, v5
	v_add_f32_e32 v2, 0, v2
	v_fma_f32 v3, v104, v4, -v3
	v_add_f32_e32 v2, v2, v3
	v_mul_f32_e32 v3, v99, v7
	v_fma_f32 v3, v98, v6, -v3
	v_add_f32_e32 v2, v2, v3
	v_mul_f32_e32 v3, v101, v9
	v_fma_f32 v3, v100, v8, -v3
	v_add_f32_e32 v2, v2, v3
	v_mul_f32_e32 v3, v95, v11
	v_fma_f32 v3, v94, v10, -v3
	v_add_f32_e32 v2, v2, v3
	v_mul_f32_e32 v3, v97, v13
	v_fma_f32 v3, v96, v12, -v3
	v_add_f32_e32 v2, v2, v3
	v_mul_f32_e32 v3, v91, v15
	v_fma_f32 v3, v90, v14, -v3
	v_add_f32_e32 v2, v2, v3
	v_mul_f32_e32 v3, v93, v17
	v_fma_f32 v3, v92, v16, -v3
	v_add_f32_e32 v2, v2, v3
	v_mul_f32_e32 v3, v87, v19
	v_fma_f32 v3, v86, v18, -v3
	v_add_f32_e32 v2, v2, v3
	v_mul_f32_e32 v3, v89, v21
	v_fma_f32 v3, v88, v20, -v3
	v_add_f32_e32 v2, v2, v3
	v_mul_f32_e32 v3, v83, v23
	v_fma_f32 v3, v82, v22, -v3
	v_add_f32_e32 v2, v2, v3
	v_mul_f32_e32 v3, v85, v25
	v_fma_f32 v3, v84, v24, -v3
	v_add_f32_e32 v2, v2, v3
	v_mul_f32_e32 v3, v79, v27
	v_fma_f32 v3, v78, v26, -v3
	v_add_f32_e32 v2, v2, v3
	v_mul_f32_e32 v3, v81, v29
	v_fma_f32 v3, v80, v28, -v3
	v_add_f32_e32 v2, v2, v3
	v_mul_f32_e32 v3, v75, v31
	v_fma_f32 v3, v74, v30, -v3
	v_add_f32_e32 v2, v2, v3
	v_mul_f32_e32 v3, v77, v33
	v_fma_f32 v3, v76, v32, -v3
	v_add_f32_e32 v2, v2, v3
	v_mul_f32_e32 v3, v71, v35
	v_fma_f32 v3, v70, v34, -v3
	v_add_f32_e32 v2, v2, v3
	v_mul_f32_e32 v3, v73, v37
	v_fma_f32 v3, v72, v36, -v3
	v_add_f32_e32 v2, v2, v3
	s_waitcnt vmcnt(8) lgkmcnt(4)
	v_mul_f32_e32 v3, v67, v39
	v_fma_f32 v3, v66, v38, -v3
	v_add_f32_e32 v2, v2, v3
	v_mul_f32_e32 v3, v69, v41
	v_fma_f32 v3, v68, v40, -v3
	v_add_f32_e32 v2, v2, v3
	s_waitcnt vmcnt(7) lgkmcnt(3)
	v_mul_f32_e32 v3, v63, v43
	v_mul_f32_e32 v130, v72, v37
	v_fma_f32 v3, v62, v42, -v3
	v_mul_f32_e32 v132, v66, v39
	v_fmac_f32_e32 v130, v73, v36
	v_add_f32_e32 v2, v2, v3
	v_mul_f32_e32 v3, v65, v45
	v_mul_f32_e32 v134, v68, v41
	v_fmac_f32_e32 v132, v67, v38
	v_add_f32_e32 v107, v107, v130
	v_fma_f32 v3, v64, v44, -v3
	v_mul_f32_e32 v135, v62, v43
	v_fmac_f32_e32 v134, v69, v40
	v_add_f32_e32 v107, v107, v132
	v_add_f32_e32 v2, v2, v3
	s_waitcnt vmcnt(6) lgkmcnt(2)
	v_mul_f32_e32 v3, v59, v47
	v_mul_f32_e32 v136, v64, v45
	v_fmac_f32_e32 v135, v63, v42
	v_add_f32_e32 v107, v107, v134
	v_fma_f32 v3, v58, v46, -v3
	v_mul_f32_e32 v137, v58, v47
	v_fmac_f32_e32 v136, v65, v44
	v_add_f32_e32 v107, v107, v135
	v_add_f32_e32 v2, v2, v3
	v_mul_f32_e32 v3, v61, v49
	v_mul_f32_e32 v138, v60, v49
	v_fmac_f32_e32 v137, v59, v46
	v_add_f32_e32 v107, v107, v136
	v_fma_f32 v3, v60, v48, -v3
	s_waitcnt vmcnt(5) lgkmcnt(1)
	v_mul_f32_e32 v131, v54, v51
	v_fmac_f32_e32 v138, v61, v48
	v_add_f32_e32 v107, v107, v137
	v_add_f32_e32 v134, v2, v3
	v_mul_f32_e32 v2, v55, v51
	s_waitcnt vmcnt(3) lgkmcnt(0)
	v_pk_mul_f32 v[16:17], v[108:109], v[112:113] op_sel:[1,1] op_sel_hi:[0,1]
	v_mul_f32_e32 v133, v56, v53
	v_fmac_f32_e32 v131, v55, v50
	v_add_f32_e32 v135, v107, v138
	v_fma_f32 v130, v54, v50, -v2
	v_mul_f32_e32 v2, v57, v53
	v_pk_fma_f32 v[18:19], v[108:109], v[112:113], v[16:17] neg_lo:[0,0,1] neg_hi:[0,0,1]
	v_pk_fma_f32 v[16:17], v[108:109], v[112:113], v[16:17] op_sel_hi:[1,0,1]
	v_fmac_f32_e32 v133, v57, v52
	v_fma_f32 v132, v56, v52, -v2
	ds_read2_b64 v[2:5], v106 offset0:97 offset1:98
	ds_read2_b64 v[6:9], v106 offset0:99 offset1:100
	;; [unrolled: 1-line block ×3, first 2 shown]
	v_pk_add_f32 v[14:15], v[134:135], v[130:131]
	v_mov_b32_e32 v16, v115
	v_pk_add_f32 v[14:15], v[14:15], v[132:133]
	v_mov_b32_e32 v19, v17
	v_pk_mul_f32 v[16:17], v[110:111], v[16:17] op_sel:[1,0] op_sel_hi:[0,0]
	v_pk_add_f32 v[14:15], v[14:15], v[18:19]
	v_pk_fma_f32 v[18:19], v[110:111], v[114:115], v[16:17] neg_lo:[0,0,1] neg_hi:[0,0,1]
	v_pk_fma_f32 v[16:17], v[110:111], v[114:115], v[16:17] op_sel_hi:[1,0,1]
	s_nop 0
	v_mov_b32_e32 v19, v17
	s_waitcnt vmcnt(2) lgkmcnt(2)
	v_pk_mul_f32 v[16:17], v[2:3], v[116:117] op_sel:[1,1] op_sel_hi:[0,1]
	v_pk_add_f32 v[14:15], v[14:15], v[18:19]
	v_pk_fma_f32 v[18:19], v[2:3], v[116:117], v[16:17] neg_lo:[0,0,1] neg_hi:[0,0,1]
	v_pk_fma_f32 v[2:3], v[2:3], v[116:117], v[16:17] op_sel_hi:[1,0,1]
	s_nop 0
	v_mov_b32_e32 v19, v3
	v_pk_add_f32 v[2:3], v[14:15], v[18:19]
	v_mov_b32_e32 v14, v119
	v_pk_mul_f32 v[14:15], v[4:5], v[14:15] op_sel:[1,0] op_sel_hi:[0,0]
	v_pk_fma_f32 v[16:17], v[4:5], v[118:119], v[14:15] neg_lo:[0,0,1] neg_hi:[0,0,1]
	v_pk_fma_f32 v[4:5], v[4:5], v[118:119], v[14:15] op_sel_hi:[1,0,1]
	s_nop 0
	v_mov_b32_e32 v17, v5
	s_waitcnt vmcnt(1) lgkmcnt(1)
	v_pk_mul_f32 v[4:5], v[6:7], v[120:121] op_sel:[1,1] op_sel_hi:[0,1]
	v_pk_fma_f32 v[14:15], v[6:7], v[120:121], v[4:5] neg_lo:[0,0,1] neg_hi:[0,0,1]
	v_pk_fma_f32 v[4:5], v[6:7], v[120:121], v[4:5] op_sel_hi:[1,0,1]
	v_pk_add_f32 v[2:3], v[2:3], v[16:17]
	v_mov_b32_e32 v4, v123
	v_mov_b32_e32 v15, v5
	v_pk_mul_f32 v[4:5], v[8:9], v[4:5] op_sel:[1,0] op_sel_hi:[0,0]
	v_pk_fma_f32 v[6:7], v[8:9], v[122:123], v[4:5] neg_lo:[0,0,1] neg_hi:[0,0,1]
	v_pk_fma_f32 v[4:5], v[8:9], v[122:123], v[4:5] op_sel_hi:[1,0,1]
	v_pk_add_f32 v[2:3], v[2:3], v[14:15]
	v_mov_b32_e32 v7, v5
	s_waitcnt vmcnt(0) lgkmcnt(0)
	v_pk_mul_f32 v[4:5], v[10:11], v[124:125] op_sel:[1,1] op_sel_hi:[0,1]
	v_pk_add_f32 v[2:3], v[2:3], v[6:7]
	v_pk_fma_f32 v[6:7], v[10:11], v[124:125], v[4:5] neg_lo:[0,0,1] neg_hi:[0,0,1]
	v_pk_fma_f32 v[4:5], v[10:11], v[124:125], v[4:5] op_sel_hi:[1,0,1]
	s_nop 0
	v_mov_b32_e32 v4, v127
	v_mov_b32_e32 v7, v5
	v_pk_mul_f32 v[4:5], v[12:13], v[4:5] op_sel:[1,0] op_sel_hi:[0,0]
	v_pk_add_f32 v[2:3], v[2:3], v[6:7]
	v_pk_fma_f32 v[6:7], v[12:13], v[126:127], v[4:5] neg_lo:[0,0,1] neg_hi:[0,0,1]
	v_pk_fma_f32 v[4:5], v[12:13], v[126:127], v[4:5] op_sel_hi:[1,0,1]
	s_nop 0
	v_mov_b32_e32 v7, v5
	v_pk_add_f32 v[2:3], v[2:3], v[6:7]
	s_nop 0
	v_pk_add_f32 v[2:3], v[128:129], v[2:3] neg_lo:[0,1] neg_hi:[0,1]
	scratch_store_dwordx2 off, v[2:3], off offset:128
	s_and_saveexec_b64 s[0:1], vcc
	s_cbranch_execz .LBB50_289
; %bb.288:
	scratch_load_dwordx2 v[2:3], off, off offset:120
	v_mov_b32_e32 v4, 0
	v_mov_b32_e32 v5, v4
	scratch_store_dwordx2 off, v[4:5], off offset:120
	s_waitcnt vmcnt(1)
	ds_write_b64 v1, v[2:3]
.LBB50_289:
	s_or_b64 exec, exec, s[0:1]
	s_waitcnt lgkmcnt(0)
	; wave barrier
	scratch_load_dwordx4 v[2:5], off, off offset:128
	scratch_load_dwordx4 v[6:9], off, off offset:144
	;; [unrolled: 1-line block ×13, first 2 shown]
	v_mov_b32_e32 v114, 0
	scratch_load_dwordx4 v[54:57], off, off offset:336
	scratch_load_dwordx2 v[128:129], off, off offset:120
	ds_read_b128 v[58:61], v114 offset:544
	ds_read_b128 v[62:65], v114 offset:560
	;; [unrolled: 1-line block ×14, first 2 shown]
	v_cmp_lt_u32_e32 vcc, 14, v0
	s_waitcnt vmcnt(14) lgkmcnt(13)
	v_mul_f32_e32 v115, v58, v3
	v_mul_f32_e32 v116, v60, v5
	v_fmac_f32_e32 v115, v59, v2
	s_waitcnt vmcnt(13) lgkmcnt(12)
	v_mul_f32_e32 v117, v62, v7
	v_fmac_f32_e32 v116, v61, v4
	v_add_f32_e32 v115, 0, v115
	v_mul_f32_e32 v118, v64, v9
	v_fmac_f32_e32 v117, v63, v6
	v_add_f32_e32 v115, v115, v116
	s_waitcnt vmcnt(12) lgkmcnt(11)
	v_mul_f32_e32 v119, v66, v11
	v_fmac_f32_e32 v118, v65, v8
	v_add_f32_e32 v115, v115, v117
	v_mul_f32_e32 v120, v68, v13
	v_fmac_f32_e32 v119, v67, v10
	v_add_f32_e32 v115, v115, v118
	;; [unrolled: 7-line block ×6, first 2 shown]
	s_waitcnt vmcnt(7) lgkmcnt(6)
	v_mul_f32_e32 v131, v86, v31
	v_fmac_f32_e32 v130, v85, v28
	v_add_f32_e32 v115, v115, v127
	scratch_load_dwordx4 v[116:119], off, off offset:352
	v_mul_f32_e32 v132, v88, v33
	v_fmac_f32_e32 v131, v87, v30
	v_add_f32_e32 v115, v115, v130
	s_waitcnt vmcnt(7) lgkmcnt(5)
	v_mul_f32_e32 v133, v90, v35
	v_fmac_f32_e32 v132, v89, v32
	v_add_f32_e32 v115, v115, v131
	v_mul_f32_e32 v134, v92, v37
	v_fmac_f32_e32 v133, v91, v34
	v_add_f32_e32 v115, v115, v132
	s_waitcnt vmcnt(6) lgkmcnt(4)
	v_mul_f32_e32 v135, v94, v39
	v_fmac_f32_e32 v134, v93, v36
	v_add_f32_e32 v115, v115, v133
	v_mul_f32_e32 v136, v96, v41
	v_fmac_f32_e32 v135, v95, v38
	v_add_f32_e32 v115, v115, v134
	s_waitcnt vmcnt(5) lgkmcnt(3)
	v_mul_f32_e32 v137, v98, v43
	v_fmac_f32_e32 v136, v97, v40
	v_add_f32_e32 v115, v115, v135
	v_fmac_f32_e32 v137, v99, v42
	v_add_f32_e32 v115, v115, v136
	v_add_f32_e32 v115, v115, v137
	scratch_load_dwordx4 v[120:123], off, off offset:368
	scratch_load_dwordx4 v[124:127], off, off offset:384
	scratch_load_dwordx2 v[136:137], off, off offset:400
	v_mul_f32_e32 v3, v59, v3
	v_fma_f32 v2, v58, v2, -v3
	v_mul_f32_e32 v3, v61, v5
	v_add_f32_e32 v2, 0, v2
	v_fma_f32 v3, v60, v4, -v3
	v_add_f32_e32 v2, v2, v3
	v_mul_f32_e32 v3, v63, v7
	v_fma_f32 v3, v62, v6, -v3
	v_add_f32_e32 v2, v2, v3
	v_mul_f32_e32 v3, v65, v9
	;; [unrolled: 3-line block ×20, first 2 shown]
	v_fma_f32 v3, v100, v44, -v3
	v_add_f32_e32 v2, v2, v3
	s_waitcnt vmcnt(7) lgkmcnt(2)
	v_mul_f32_e32 v3, v103, v47
	v_fma_f32 v3, v102, v46, -v3
	v_add_f32_e32 v2, v2, v3
	v_mul_f32_e32 v3, v105, v49
	v_mul_f32_e32 v138, v100, v45
	v_fma_f32 v3, v104, v48, -v3
	v_mul_f32_e32 v139, v102, v47
	v_fmac_f32_e32 v138, v101, v44
	v_add_f32_e32 v2, v2, v3
	s_waitcnt vmcnt(6) lgkmcnt(1)
	v_mul_f32_e32 v3, v107, v51
	v_mul_f32_e32 v140, v104, v49
	v_fmac_f32_e32 v139, v103, v46
	v_add_f32_e32 v115, v115, v138
	v_fma_f32 v3, v106, v50, -v3
	v_mul_f32_e32 v141, v106, v51
	v_fmac_f32_e32 v140, v105, v48
	v_add_f32_e32 v115, v115, v139
	v_add_f32_e32 v130, v2, v3
	v_mul_f32_e32 v2, v109, v53
	v_fmac_f32_e32 v141, v107, v50
	v_add_f32_e32 v115, v115, v140
	v_mul_f32_e32 v133, v108, v53
	v_fma_f32 v132, v108, v52, -v2
	s_waitcnt vmcnt(5) lgkmcnt(0)
	v_mul_f32_e32 v2, v111, v55
	v_mov_b32_e32 v18, v57
	v_add_f32_e32 v131, v115, v141
	v_fmac_f32_e32 v133, v109, v52
	v_mul_f32_e32 v135, v110, v55
	v_fma_f32 v134, v110, v54, -v2
	ds_read_b128 v[2:5], v114 offset:768
	ds_read_b128 v[6:9], v114 offset:784
	;; [unrolled: 1-line block ×3, first 2 shown]
	ds_read_b64 v[14:15], v114 offset:816
	v_pk_mul_f32 v[18:19], v[112:113], v[18:19] op_sel:[1,0] op_sel_hi:[0,0]
	v_fmac_f32_e32 v135, v111, v54
	v_pk_add_f32 v[16:17], v[130:131], v[132:133]
	v_pk_fma_f32 v[20:21], v[112:113], v[56:57], v[18:19] neg_lo:[0,0,1] neg_hi:[0,0,1]
	v_pk_fma_f32 v[18:19], v[112:113], v[56:57], v[18:19] op_sel_hi:[1,0,1]
	v_pk_add_f32 v[16:17], v[16:17], v[134:135]
	v_mov_b32_e32 v21, v19
	s_waitcnt vmcnt(3) lgkmcnt(3)
	v_pk_mul_f32 v[18:19], v[2:3], v[116:117] op_sel:[1,1] op_sel_hi:[0,1]
	v_pk_add_f32 v[16:17], v[16:17], v[20:21]
	v_pk_fma_f32 v[20:21], v[2:3], v[116:117], v[18:19] neg_lo:[0,0,1] neg_hi:[0,0,1]
	v_pk_fma_f32 v[2:3], v[2:3], v[116:117], v[18:19] op_sel_hi:[1,0,1]
	s_nop 0
	v_mov_b32_e32 v21, v3
	v_pk_add_f32 v[2:3], v[16:17], v[20:21]
	v_mov_b32_e32 v16, v119
	v_pk_mul_f32 v[16:17], v[4:5], v[16:17] op_sel:[1,0] op_sel_hi:[0,0]
	v_pk_fma_f32 v[18:19], v[4:5], v[118:119], v[16:17] neg_lo:[0,0,1] neg_hi:[0,0,1]
	v_pk_fma_f32 v[4:5], v[4:5], v[118:119], v[16:17] op_sel_hi:[1,0,1]
	s_nop 0
	v_mov_b32_e32 v19, v5
	s_waitcnt vmcnt(2) lgkmcnt(2)
	v_pk_mul_f32 v[4:5], v[6:7], v[120:121] op_sel:[1,1] op_sel_hi:[0,1]
	v_pk_fma_f32 v[16:17], v[6:7], v[120:121], v[4:5] neg_lo:[0,0,1] neg_hi:[0,0,1]
	v_pk_fma_f32 v[4:5], v[6:7], v[120:121], v[4:5] op_sel_hi:[1,0,1]
	v_pk_add_f32 v[2:3], v[2:3], v[18:19]
	v_mov_b32_e32 v4, v123
	v_mov_b32_e32 v17, v5
	v_pk_mul_f32 v[4:5], v[8:9], v[4:5] op_sel:[1,0] op_sel_hi:[0,0]
	v_pk_fma_f32 v[6:7], v[8:9], v[122:123], v[4:5] neg_lo:[0,0,1] neg_hi:[0,0,1]
	v_pk_fma_f32 v[4:5], v[8:9], v[122:123], v[4:5] op_sel_hi:[1,0,1]
	v_pk_add_f32 v[2:3], v[2:3], v[16:17]
	v_mov_b32_e32 v7, v5
	s_waitcnt vmcnt(1) lgkmcnt(1)
	v_pk_mul_f32 v[4:5], v[10:11], v[124:125] op_sel:[1,1] op_sel_hi:[0,1]
	v_pk_add_f32 v[2:3], v[2:3], v[6:7]
	v_pk_fma_f32 v[6:7], v[10:11], v[124:125], v[4:5] neg_lo:[0,0,1] neg_hi:[0,0,1]
	v_pk_fma_f32 v[4:5], v[10:11], v[124:125], v[4:5] op_sel_hi:[1,0,1]
	s_nop 0
	v_mov_b32_e32 v4, v127
	v_mov_b32_e32 v7, v5
	v_pk_mul_f32 v[4:5], v[12:13], v[4:5] op_sel:[1,0] op_sel_hi:[0,0]
	v_pk_add_f32 v[2:3], v[2:3], v[6:7]
	v_pk_fma_f32 v[6:7], v[12:13], v[126:127], v[4:5] neg_lo:[0,0,1] neg_hi:[0,0,1]
	v_pk_fma_f32 v[4:5], v[12:13], v[126:127], v[4:5] op_sel_hi:[1,0,1]
	s_nop 0
	v_mov_b32_e32 v7, v5
	s_waitcnt vmcnt(0) lgkmcnt(0)
	v_pk_mul_f32 v[4:5], v[14:15], v[136:137] op_sel:[1,1] op_sel_hi:[0,1]
	v_pk_add_f32 v[2:3], v[2:3], v[6:7]
	v_pk_fma_f32 v[6:7], v[14:15], v[136:137], v[4:5] neg_lo:[0,0,1] neg_hi:[0,0,1]
	v_pk_fma_f32 v[4:5], v[14:15], v[136:137], v[4:5] op_sel_hi:[1,0,1]
	s_nop 0
	v_mov_b32_e32 v7, v5
	v_pk_add_f32 v[2:3], v[2:3], v[6:7]
	s_nop 0
	v_pk_add_f32 v[2:3], v[128:129], v[2:3] neg_lo:[0,1] neg_hi:[0,1]
	scratch_store_dwordx2 off, v[2:3], off offset:120
	s_and_saveexec_b64 s[0:1], vcc
	s_cbranch_execz .LBB50_291
; %bb.290:
	scratch_load_dwordx2 v[2:3], off, off offset:112
	v_mov_b32_e32 v115, v114
	scratch_store_dwordx2 off, v[114:115], off offset:112
	s_waitcnt vmcnt(1)
	ds_write_b64 v1, v[2:3]
.LBB50_291:
	s_or_b64 exec, exec, s[0:1]
	s_waitcnt lgkmcnt(0)
	; wave barrier
	scratch_load_dwordx4 v[2:5], off, off offset:120
	scratch_load_dwordx4 v[6:9], off, off offset:136
	;; [unrolled: 1-line block ×13, first 2 shown]
	ds_read2_b64 v[110:113], v114 offset0:67 offset1:68
	ds_read2_b64 v[106:109], v114 offset0:69 offset1:70
	;; [unrolled: 1-line block ×14, first 2 shown]
	scratch_load_dwordx4 v[66:69], off, off offset:328
	scratch_load_dwordx2 v[132:133], off, off offset:112
	v_cmp_lt_u32_e32 vcc, 13, v0
	s_waitcnt vmcnt(14) lgkmcnt(13)
	v_mul_f32_e32 v115, v110, v3
	v_mul_f32_e32 v116, v112, v5
	v_fmac_f32_e32 v115, v111, v2
	s_waitcnt vmcnt(13) lgkmcnt(12)
	v_mul_f32_e32 v117, v106, v7
	v_fmac_f32_e32 v116, v113, v4
	v_add_f32_e32 v115, 0, v115
	v_mul_f32_e32 v118, v108, v9
	v_fmac_f32_e32 v117, v107, v6
	v_add_f32_e32 v115, v115, v116
	s_waitcnt vmcnt(12) lgkmcnt(11)
	v_mul_f32_e32 v119, v102, v11
	v_fmac_f32_e32 v118, v109, v8
	v_add_f32_e32 v115, v115, v117
	v_mul_f32_e32 v120, v104, v13
	v_fmac_f32_e32 v119, v103, v10
	v_add_f32_e32 v115, v115, v118
	;; [unrolled: 7-line block ×4, first 2 shown]
	s_waitcnt vmcnt(9) lgkmcnt(8)
	v_mul_f32_e32 v125, v90, v23
	v_fmac_f32_e32 v124, v97, v20
	v_add_f32_e32 v115, v115, v123
	scratch_load_dwordx4 v[116:119], off, off offset:344
	v_mul_f32_e32 v126, v92, v25
	v_fmac_f32_e32 v125, v91, v22
	v_add_f32_e32 v115, v115, v124
	s_waitcnt vmcnt(9) lgkmcnt(7)
	v_mul_f32_e32 v127, v86, v27
	v_fmac_f32_e32 v126, v93, v24
	v_add_f32_e32 v115, v115, v125
	v_mul_f32_e32 v128, v88, v29
	v_fmac_f32_e32 v127, v87, v26
	v_add_f32_e32 v115, v115, v126
	s_waitcnt vmcnt(8) lgkmcnt(6)
	v_mul_f32_e32 v129, v82, v31
	v_fmac_f32_e32 v128, v89, v28
	v_add_f32_e32 v115, v115, v127
	;; [unrolled: 7-line block ×3, first 2 shown]
	v_fmac_f32_e32 v131, v79, v34
	v_add_f32_e32 v115, v115, v130
	v_add_f32_e32 v115, v115, v131
	scratch_load_dwordx4 v[120:123], off, off offset:360
	scratch_load_dwordx4 v[124:127], off, off offset:376
	;; [unrolled: 1-line block ×3, first 2 shown]
	v_mul_f32_e32 v3, v111, v3
	v_fma_f32 v2, v110, v2, -v3
	v_mul_f32_e32 v3, v113, v5
	v_add_f32_e32 v2, 0, v2
	v_fma_f32 v3, v112, v4, -v3
	v_add_f32_e32 v2, v2, v3
	v_mul_f32_e32 v3, v107, v7
	v_fma_f32 v3, v106, v6, -v3
	v_add_f32_e32 v2, v2, v3
	v_mul_f32_e32 v3, v109, v9
	v_fma_f32 v3, v108, v8, -v3
	v_add_f32_e32 v2, v2, v3
	v_mul_f32_e32 v3, v103, v11
	v_fma_f32 v3, v102, v10, -v3
	v_add_f32_e32 v2, v2, v3
	v_mul_f32_e32 v3, v105, v13
	v_fma_f32 v3, v104, v12, -v3
	v_add_f32_e32 v2, v2, v3
	v_mul_f32_e32 v3, v99, v15
	v_fma_f32 v3, v98, v14, -v3
	v_add_f32_e32 v2, v2, v3
	v_mul_f32_e32 v3, v101, v17
	v_fma_f32 v3, v100, v16, -v3
	v_add_f32_e32 v2, v2, v3
	v_mul_f32_e32 v3, v95, v19
	v_fma_f32 v3, v94, v18, -v3
	v_add_f32_e32 v2, v2, v3
	v_mul_f32_e32 v3, v97, v21
	v_fma_f32 v3, v96, v20, -v3
	v_add_f32_e32 v2, v2, v3
	v_mul_f32_e32 v3, v91, v23
	v_fma_f32 v3, v90, v22, -v3
	v_add_f32_e32 v2, v2, v3
	v_mul_f32_e32 v3, v93, v25
	v_fma_f32 v3, v92, v24, -v3
	v_add_f32_e32 v2, v2, v3
	v_mul_f32_e32 v3, v87, v27
	v_fma_f32 v3, v86, v26, -v3
	v_add_f32_e32 v2, v2, v3
	v_mul_f32_e32 v3, v89, v29
	v_fma_f32 v3, v88, v28, -v3
	v_add_f32_e32 v2, v2, v3
	v_mul_f32_e32 v3, v83, v31
	v_fma_f32 v3, v82, v30, -v3
	v_add_f32_e32 v2, v2, v3
	v_mul_f32_e32 v3, v85, v33
	v_fma_f32 v3, v84, v32, -v3
	v_add_f32_e32 v2, v2, v3
	v_mul_f32_e32 v3, v79, v35
	v_fma_f32 v3, v78, v34, -v3
	v_add_f32_e32 v2, v2, v3
	v_mul_f32_e32 v3, v81, v37
	v_fma_f32 v3, v80, v36, -v3
	v_add_f32_e32 v2, v2, v3
	s_waitcnt vmcnt(9) lgkmcnt(4)
	v_mul_f32_e32 v3, v75, v39
	v_fma_f32 v3, v74, v38, -v3
	v_add_f32_e32 v2, v2, v3
	v_mul_f32_e32 v3, v77, v41
	v_fma_f32 v3, v76, v40, -v3
	v_add_f32_e32 v2, v2, v3
	s_waitcnt vmcnt(8) lgkmcnt(3)
	v_mul_f32_e32 v3, v71, v43
	v_fma_f32 v3, v70, v42, -v3
	v_add_f32_e32 v2, v2, v3
	v_mul_f32_e32 v3, v73, v45
	v_fma_f32 v3, v72, v44, -v3
	v_add_f32_e32 v2, v2, v3
	s_waitcnt vmcnt(7) lgkmcnt(2)
	v_mul_f32_e32 v3, v63, v47
	v_fma_f32 v3, v62, v46, -v3
	v_mul_f32_e32 v134, v80, v37
	v_add_f32_e32 v2, v2, v3
	v_mul_f32_e32 v3, v65, v49
	v_mul_f32_e32 v135, v74, v39
	v_fmac_f32_e32 v134, v81, v36
	v_fma_f32 v3, v64, v48, -v3
	v_mul_f32_e32 v136, v76, v41
	v_fmac_f32_e32 v135, v75, v38
	v_add_f32_e32 v115, v115, v134
	v_add_f32_e32 v2, v2, v3
	s_waitcnt vmcnt(6) lgkmcnt(1)
	v_mul_f32_e32 v3, v55, v51
	v_mul_f32_e32 v137, v70, v43
	v_fmac_f32_e32 v136, v77, v40
	v_add_f32_e32 v115, v115, v135
	v_fma_f32 v3, v54, v50, -v3
	v_mul_f32_e32 v138, v72, v45
	v_fmac_f32_e32 v137, v71, v42
	v_add_f32_e32 v115, v115, v136
	v_add_f32_e32 v2, v2, v3
	v_mul_f32_e32 v3, v57, v53
	v_mul_f32_e32 v139, v62, v47
	v_fmac_f32_e32 v138, v73, v44
	v_add_f32_e32 v115, v115, v137
	v_fma_f32 v3, v56, v52, -v3
	v_mul_f32_e32 v140, v64, v49
	v_fmac_f32_e32 v139, v63, v46
	v_add_f32_e32 v115, v115, v138
	v_add_f32_e32 v134, v2, v3
	s_waitcnt vmcnt(5) lgkmcnt(0)
	v_mul_f32_e32 v2, v59, v67
	v_mul_f32_e32 v141, v54, v51
	v_fmac_f32_e32 v140, v65, v48
	v_add_f32_e32 v115, v115, v139
	v_fma_f32 v136, v58, v66, -v2
	v_mul_f32_e32 v2, v61, v69
	v_mul_f32_e32 v142, v56, v53
	v_fmac_f32_e32 v141, v55, v50
	v_add_f32_e32 v115, v115, v140
	v_fma_f32 v138, v60, v68, -v2
	ds_read2_b64 v[2:5], v114 offset0:95 offset1:96
	ds_read2_b64 v[6:9], v114 offset0:97 offset1:98
	;; [unrolled: 1-line block ×4, first 2 shown]
	v_add_f32_e32 v115, v115, v141
	v_fmac_f32_e32 v142, v57, v52
	v_mul_f32_e32 v137, v58, v67
	v_add_f32_e32 v135, v115, v142
	v_fmac_f32_e32 v137, v59, v66
	v_mul_f32_e32 v139, v60, v69
	s_waitcnt vmcnt(3) lgkmcnt(3)
	v_pk_mul_f32 v[20:21], v[2:3], v[116:117] op_sel:[1,1] op_sel_hi:[0,1]
	v_fmac_f32_e32 v139, v61, v68
	v_pk_add_f32 v[18:19], v[134:135], v[136:137]
	v_pk_fma_f32 v[22:23], v[2:3], v[116:117], v[20:21] neg_lo:[0,0,1] neg_hi:[0,0,1]
	v_pk_fma_f32 v[2:3], v[2:3], v[116:117], v[20:21] op_sel_hi:[1,0,1]
	v_pk_add_f32 v[18:19], v[18:19], v[138:139]
	v_mov_b32_e32 v23, v3
	v_pk_add_f32 v[2:3], v[18:19], v[22:23]
	v_mov_b32_e32 v18, v119
	v_pk_mul_f32 v[18:19], v[4:5], v[18:19] op_sel:[1,0] op_sel_hi:[0,0]
	v_pk_fma_f32 v[20:21], v[4:5], v[118:119], v[18:19] neg_lo:[0,0,1] neg_hi:[0,0,1]
	v_pk_fma_f32 v[4:5], v[4:5], v[118:119], v[18:19] op_sel_hi:[1,0,1]
	s_nop 0
	v_mov_b32_e32 v21, v5
	s_waitcnt vmcnt(2) lgkmcnt(2)
	v_pk_mul_f32 v[4:5], v[6:7], v[120:121] op_sel:[1,1] op_sel_hi:[0,1]
	v_pk_fma_f32 v[18:19], v[6:7], v[120:121], v[4:5] neg_lo:[0,0,1] neg_hi:[0,0,1]
	v_pk_fma_f32 v[4:5], v[6:7], v[120:121], v[4:5] op_sel_hi:[1,0,1]
	v_pk_add_f32 v[2:3], v[2:3], v[20:21]
	v_mov_b32_e32 v4, v123
	v_mov_b32_e32 v19, v5
	v_pk_mul_f32 v[4:5], v[8:9], v[4:5] op_sel:[1,0] op_sel_hi:[0,0]
	v_pk_fma_f32 v[6:7], v[8:9], v[122:123], v[4:5] neg_lo:[0,0,1] neg_hi:[0,0,1]
	v_pk_fma_f32 v[4:5], v[8:9], v[122:123], v[4:5] op_sel_hi:[1,0,1]
	v_pk_add_f32 v[2:3], v[2:3], v[18:19]
	v_mov_b32_e32 v7, v5
	s_waitcnt vmcnt(1) lgkmcnt(1)
	v_pk_mul_f32 v[4:5], v[10:11], v[124:125] op_sel:[1,1] op_sel_hi:[0,1]
	v_pk_add_f32 v[2:3], v[2:3], v[6:7]
	v_pk_fma_f32 v[6:7], v[10:11], v[124:125], v[4:5] neg_lo:[0,0,1] neg_hi:[0,0,1]
	v_pk_fma_f32 v[4:5], v[10:11], v[124:125], v[4:5] op_sel_hi:[1,0,1]
	s_nop 0
	v_mov_b32_e32 v4, v127
	v_mov_b32_e32 v7, v5
	v_pk_mul_f32 v[4:5], v[12:13], v[4:5] op_sel:[1,0] op_sel_hi:[0,0]
	v_pk_add_f32 v[2:3], v[2:3], v[6:7]
	v_pk_fma_f32 v[6:7], v[12:13], v[126:127], v[4:5] neg_lo:[0,0,1] neg_hi:[0,0,1]
	v_pk_fma_f32 v[4:5], v[12:13], v[126:127], v[4:5] op_sel_hi:[1,0,1]
	s_nop 0
	v_mov_b32_e32 v7, v5
	s_waitcnt vmcnt(0) lgkmcnt(0)
	v_pk_mul_f32 v[4:5], v[14:15], v[128:129] op_sel:[1,1] op_sel_hi:[0,1]
	v_pk_add_f32 v[2:3], v[2:3], v[6:7]
	v_pk_fma_f32 v[6:7], v[14:15], v[128:129], v[4:5] neg_lo:[0,0,1] neg_hi:[0,0,1]
	v_pk_fma_f32 v[4:5], v[14:15], v[128:129], v[4:5] op_sel_hi:[1,0,1]
	s_nop 0
	v_mov_b32_e32 v4, v131
	v_mov_b32_e32 v7, v5
	v_pk_mul_f32 v[4:5], v[16:17], v[4:5] op_sel:[1,0] op_sel_hi:[0,0]
	v_pk_add_f32 v[2:3], v[2:3], v[6:7]
	v_pk_fma_f32 v[6:7], v[16:17], v[130:131], v[4:5] neg_lo:[0,0,1] neg_hi:[0,0,1]
	v_pk_fma_f32 v[4:5], v[16:17], v[130:131], v[4:5] op_sel_hi:[1,0,1]
	s_nop 0
	v_mov_b32_e32 v7, v5
	v_pk_add_f32 v[2:3], v[2:3], v[6:7]
	s_nop 0
	v_pk_add_f32 v[2:3], v[132:133], v[2:3] neg_lo:[0,1] neg_hi:[0,1]
	scratch_store_dwordx2 off, v[2:3], off offset:112
	s_and_saveexec_b64 s[0:1], vcc
	s_cbranch_execz .LBB50_293
; %bb.292:
	scratch_load_dwordx2 v[2:3], off, off offset:104
	v_mov_b32_e32 v4, 0
	v_mov_b32_e32 v5, v4
	scratch_store_dwordx2 off, v[4:5], off offset:104
	s_waitcnt vmcnt(1)
	ds_write_b64 v1, v[2:3]
.LBB50_293:
	s_or_b64 exec, exec, s[0:1]
	s_waitcnt lgkmcnt(0)
	; wave barrier
	scratch_load_dwordx4 v[2:5], off, off offset:112
	scratch_load_dwordx4 v[6:9], off, off offset:128
	;; [unrolled: 1-line block ×15, first 2 shown]
	scratch_load_dwordx2 v[132:133], off, off offset:104
	v_mov_b32_e32 v118, 0
	ds_read_b128 v[62:65], v118 offset:528
	ds_read_b128 v[66:69], v118 offset:544
	;; [unrolled: 1-line block ×14, first 2 shown]
	v_cmp_lt_u32_e32 vcc, 12, v0
	s_waitcnt vmcnt(15) lgkmcnt(13)
	v_mul_f32_e32 v119, v62, v3
	v_mul_f32_e32 v120, v64, v5
	v_fmac_f32_e32 v119, v63, v2
	s_waitcnt vmcnt(14) lgkmcnt(12)
	v_mul_f32_e32 v121, v66, v7
	v_fmac_f32_e32 v120, v65, v4
	v_add_f32_e32 v119, 0, v119
	v_mul_f32_e32 v122, v68, v9
	v_fmac_f32_e32 v121, v67, v6
	v_add_f32_e32 v119, v119, v120
	s_waitcnt vmcnt(13) lgkmcnt(11)
	v_mul_f32_e32 v123, v70, v11
	v_fmac_f32_e32 v122, v69, v8
	v_add_f32_e32 v119, v119, v121
	v_mul_f32_e32 v124, v72, v13
	v_fmac_f32_e32 v123, v71, v10
	v_add_f32_e32 v119, v119, v122
	;; [unrolled: 7-line block ×11, first 2 shown]
	s_waitcnt vmcnt(3) lgkmcnt(1)
	v_mul_f32_e32 v145, v110, v51
	v_fmac_f32_e32 v144, v109, v48
	v_add_f32_e32 v119, v119, v143
	v_add_f32_e32 v119, v119, v144
	v_fmac_f32_e32 v145, v111, v50
	v_mul_f32_e32 v120, v112, v53
	v_add_f32_e32 v119, v119, v145
	v_fmac_f32_e32 v120, v113, v52
	s_waitcnt vmcnt(2) lgkmcnt(0)
	v_mul_f32_e32 v124, v114, v55
	v_add_f32_e32 v119, v119, v120
	v_fmac_f32_e32 v124, v115, v54
	ds_read_b128 v[120:123], v118 offset:752
	v_add_f32_e32 v135, v119, v124
	ds_read_b128 v[124:127], v118 offset:768
	scratch_load_dwordx4 v[128:131], off, off offset:352
	scratch_load_dwordx4 v[234:237], off, off offset:368
	;; [unrolled: 1-line block ×3, first 2 shown]
	scratch_load_dwordx2 v[140:141], off, off offset:400
	v_mul_f32_e32 v3, v63, v3
	v_fma_f32 v2, v62, v2, -v3
	v_mul_f32_e32 v3, v65, v5
	v_add_f32_e32 v2, 0, v2
	v_fma_f32 v3, v64, v4, -v3
	v_add_f32_e32 v2, v2, v3
	v_mul_f32_e32 v3, v67, v7
	v_fma_f32 v3, v66, v6, -v3
	v_add_f32_e32 v2, v2, v3
	v_mul_f32_e32 v3, v69, v9
	;; [unrolled: 3-line block ×25, first 2 shown]
	v_fma_f32 v3, v114, v54, -v3
	v_mul_f32_e32 v137, v116, v57
	v_add_f32_e32 v134, v2, v3
	v_mul_f32_e32 v2, v117, v57
	s_waitcnt vmcnt(5)
	v_mov_b32_e32 v14, v61
	v_fmac_f32_e32 v137, v117, v56
	s_waitcnt lgkmcnt(1)
	v_mul_f32_e32 v139, v120, v59
	v_fma_f32 v136, v116, v56, -v2
	v_mul_f32_e32 v2, v121, v59
	v_pk_mul_f32 v[14:15], v[122:123], v[14:15] op_sel:[1,0] op_sel_hi:[0,0]
	v_fmac_f32_e32 v139, v121, v58
	v_fma_f32 v138, v120, v58, -v2
	v_pk_add_f32 v[12:13], v[134:135], v[136:137]
	v_pk_fma_f32 v[16:17], v[122:123], v[60:61], v[14:15] neg_lo:[0,0,1] neg_hi:[0,0,1]
	v_pk_fma_f32 v[14:15], v[122:123], v[60:61], v[14:15] op_sel_hi:[1,0,1]
	v_pk_add_f32 v[12:13], v[12:13], v[138:139]
	v_mov_b32_e32 v17, v15
	s_waitcnt vmcnt(3) lgkmcnt(0)
	v_pk_mul_f32 v[14:15], v[124:125], v[128:129] op_sel:[1,1] op_sel_hi:[0,1]
	v_pk_add_f32 v[12:13], v[12:13], v[16:17]
	v_pk_fma_f32 v[16:17], v[124:125], v[128:129], v[14:15] neg_lo:[0,0,1] neg_hi:[0,0,1]
	v_pk_fma_f32 v[14:15], v[124:125], v[128:129], v[14:15] op_sel_hi:[1,0,1]
	ds_read_b128 v[2:5], v118 offset:784
	ds_read_b128 v[6:9], v118 offset:800
	ds_read_b64 v[10:11], v118 offset:816
	v_mov_b32_e32 v14, v131
	v_mov_b32_e32 v17, v15
	v_pk_mul_f32 v[14:15], v[126:127], v[14:15] op_sel:[1,0] op_sel_hi:[0,0]
	v_pk_add_f32 v[12:13], v[12:13], v[16:17]
	v_pk_fma_f32 v[16:17], v[126:127], v[130:131], v[14:15] neg_lo:[0,0,1] neg_hi:[0,0,1]
	v_pk_fma_f32 v[14:15], v[126:127], v[130:131], v[14:15] op_sel_hi:[1,0,1]
	s_nop 0
	v_mov_b32_e32 v17, v15
	s_waitcnt vmcnt(2) lgkmcnt(2)
	v_pk_mul_f32 v[14:15], v[2:3], v[234:235] op_sel:[1,1] op_sel_hi:[0,1]
	v_pk_add_f32 v[12:13], v[12:13], v[16:17]
	v_pk_fma_f32 v[16:17], v[2:3], v[234:235], v[14:15] neg_lo:[0,0,1] neg_hi:[0,0,1]
	v_pk_fma_f32 v[2:3], v[2:3], v[234:235], v[14:15] op_sel_hi:[1,0,1]
	s_nop 0
	v_mov_b32_e32 v17, v3
	v_pk_add_f32 v[2:3], v[12:13], v[16:17]
	v_mov_b32_e32 v12, v237
	v_pk_mul_f32 v[12:13], v[4:5], v[12:13] op_sel:[1,0] op_sel_hi:[0,0]
	v_pk_fma_f32 v[14:15], v[4:5], v[236:237], v[12:13] neg_lo:[0,0,1] neg_hi:[0,0,1]
	v_pk_fma_f32 v[4:5], v[4:5], v[236:237], v[12:13] op_sel_hi:[1,0,1]
	s_nop 0
	v_mov_b32_e32 v15, v5
	s_waitcnt vmcnt(1) lgkmcnt(1)
	v_pk_mul_f32 v[4:5], v[6:7], v[238:239] op_sel:[1,1] op_sel_hi:[0,1]
	v_pk_fma_f32 v[12:13], v[6:7], v[238:239], v[4:5] neg_lo:[0,0,1] neg_hi:[0,0,1]
	v_pk_fma_f32 v[4:5], v[6:7], v[238:239], v[4:5] op_sel_hi:[1,0,1]
	v_pk_add_f32 v[2:3], v[2:3], v[14:15]
	v_mov_b32_e32 v4, v241
	v_mov_b32_e32 v13, v5
	v_pk_mul_f32 v[4:5], v[8:9], v[4:5] op_sel:[1,0] op_sel_hi:[0,0]
	v_pk_fma_f32 v[6:7], v[8:9], v[240:241], v[4:5] neg_lo:[0,0,1] neg_hi:[0,0,1]
	v_pk_fma_f32 v[4:5], v[8:9], v[240:241], v[4:5] op_sel_hi:[1,0,1]
	v_pk_add_f32 v[2:3], v[2:3], v[12:13]
	v_mov_b32_e32 v7, v5
	s_waitcnt vmcnt(0) lgkmcnt(0)
	v_pk_mul_f32 v[4:5], v[10:11], v[140:141] op_sel:[1,1] op_sel_hi:[0,1]
	v_pk_add_f32 v[2:3], v[2:3], v[6:7]
	v_pk_fma_f32 v[6:7], v[10:11], v[140:141], v[4:5] neg_lo:[0,0,1] neg_hi:[0,0,1]
	v_pk_fma_f32 v[4:5], v[10:11], v[140:141], v[4:5] op_sel_hi:[1,0,1]
	s_nop 0
	v_mov_b32_e32 v7, v5
	v_pk_add_f32 v[2:3], v[2:3], v[6:7]
	s_nop 0
	v_pk_add_f32 v[2:3], v[132:133], v[2:3] neg_lo:[0,1] neg_hi:[0,1]
	scratch_store_dwordx2 off, v[2:3], off offset:104
	s_and_saveexec_b64 s[0:1], vcc
	s_cbranch_execz .LBB50_295
; %bb.294:
	scratch_load_dwordx2 v[2:3], off, off offset:96
	v_mov_b32_e32 v119, v118
	scratch_store_dwordx2 off, v[118:119], off offset:96
	s_waitcnt vmcnt(1)
	ds_write_b64 v1, v[2:3]
.LBB50_295:
	s_or_b64 exec, exec, s[0:1]
	s_waitcnt lgkmcnt(0)
	; wave barrier
	scratch_load_dwordx4 v[2:5], off, off offset:104
	scratch_load_dwordx4 v[6:9], off, off offset:120
	;; [unrolled: 1-line block ×13, first 2 shown]
	ds_read2_b64 v[114:117], v118 offset0:65 offset1:66
	ds_read2_b64 v[110:113], v118 offset0:67 offset1:68
	;; [unrolled: 1-line block ×14, first 2 shown]
	scratch_load_dwordx4 v[62:65], off, off offset:312
	scratch_load_dwordx4 v[70:73], off, off offset:328
	scratch_load_dwordx2 v[132:133], off, off offset:96
	v_cmp_lt_u32_e32 vcc, 11, v0
	s_waitcnt vmcnt(15) lgkmcnt(13)
	v_mul_f32_e32 v119, v114, v3
	v_mul_f32_e32 v120, v116, v5
	v_fmac_f32_e32 v119, v115, v2
	s_waitcnt vmcnt(14) lgkmcnt(12)
	v_mul_f32_e32 v121, v110, v7
	v_fmac_f32_e32 v120, v117, v4
	v_add_f32_e32 v119, 0, v119
	v_mul_f32_e32 v122, v112, v9
	v_fmac_f32_e32 v121, v111, v6
	v_add_f32_e32 v119, v119, v120
	s_waitcnt vmcnt(13) lgkmcnt(11)
	v_mul_f32_e32 v123, v106, v11
	v_fmac_f32_e32 v122, v113, v8
	v_add_f32_e32 v119, v119, v121
	v_mul_f32_e32 v124, v108, v13
	v_fmac_f32_e32 v123, v107, v10
	v_add_f32_e32 v119, v119, v122
	;; [unrolled: 7-line block ×11, first 2 shown]
	s_waitcnt vmcnt(3) lgkmcnt(1)
	v_mul_f32_e32 v145, v54, v51
	v_fmac_f32_e32 v144, v69, v48
	v_add_f32_e32 v119, v119, v143
	v_fmac_f32_e32 v145, v55, v50
	v_add_f32_e32 v119, v119, v144
	v_mul_f32_e32 v120, v56, v53
	v_add_f32_e32 v119, v119, v145
	v_fmac_f32_e32 v120, v57, v52
	v_add_f32_e32 v119, v119, v120
	s_waitcnt vmcnt(2) lgkmcnt(0)
	v_mul_f32_e32 v120, v58, v63
	v_fmac_f32_e32 v120, v59, v62
	v_mul_f32_e32 v124, v60, v65
	v_add_f32_e32 v119, v119, v120
	v_fmac_f32_e32 v124, v61, v64
	ds_read2_b64 v[120:123], v118 offset0:93 offset1:94
	v_add_f32_e32 v135, v119, v124
	ds_read2_b64 v[124:127], v118 offset0:95 offset1:96
	scratch_load_dwordx4 v[128:131], off, off offset:344
	scratch_load_dwordx4 v[234:237], off, off offset:360
	;; [unrolled: 1-line block ×4, first 2 shown]
	v_mul_f32_e32 v3, v115, v3
	v_fma_f32 v2, v114, v2, -v3
	v_mul_f32_e32 v3, v117, v5
	v_add_f32_e32 v2, 0, v2
	v_fma_f32 v3, v116, v4, -v3
	v_add_f32_e32 v2, v2, v3
	v_mul_f32_e32 v3, v111, v7
	v_fma_f32 v3, v110, v6, -v3
	v_add_f32_e32 v2, v2, v3
	v_mul_f32_e32 v3, v113, v9
	;; [unrolled: 3-line block ×26, first 2 shown]
	v_fma_f32 v3, v60, v64, -v3
	s_waitcnt vmcnt(5) lgkmcnt(1)
	v_mul_f32_e32 v137, v120, v71
	v_add_f32_e32 v134, v2, v3
	v_mul_f32_e32 v2, v121, v71
	s_waitcnt vmcnt(3) lgkmcnt(0)
	v_pk_mul_f32 v[16:17], v[124:125], v[128:129] op_sel:[1,1] op_sel_hi:[0,1]
	v_fmac_f32_e32 v137, v121, v70
	v_mul_f32_e32 v139, v122, v73
	v_fma_f32 v136, v120, v70, -v2
	v_mul_f32_e32 v2, v123, v73
	v_pk_fma_f32 v[18:19], v[124:125], v[128:129], v[16:17] neg_lo:[0,0,1] neg_hi:[0,0,1]
	v_pk_fma_f32 v[16:17], v[124:125], v[128:129], v[16:17] op_sel_hi:[1,0,1]
	v_fmac_f32_e32 v139, v123, v72
	v_fma_f32 v138, v122, v72, -v2
	ds_read2_b64 v[2:5], v118 offset0:97 offset1:98
	ds_read2_b64 v[6:9], v118 offset0:99 offset1:100
	;; [unrolled: 1-line block ×3, first 2 shown]
	v_pk_add_f32 v[14:15], v[134:135], v[136:137]
	v_mov_b32_e32 v16, v131
	v_pk_add_f32 v[14:15], v[14:15], v[138:139]
	v_mov_b32_e32 v19, v17
	v_pk_mul_f32 v[16:17], v[126:127], v[16:17] op_sel:[1,0] op_sel_hi:[0,0]
	v_pk_add_f32 v[14:15], v[14:15], v[18:19]
	v_pk_fma_f32 v[18:19], v[126:127], v[130:131], v[16:17] neg_lo:[0,0,1] neg_hi:[0,0,1]
	v_pk_fma_f32 v[16:17], v[126:127], v[130:131], v[16:17] op_sel_hi:[1,0,1]
	s_nop 0
	v_mov_b32_e32 v19, v17
	s_waitcnt vmcnt(2) lgkmcnt(2)
	v_pk_mul_f32 v[16:17], v[2:3], v[234:235] op_sel:[1,1] op_sel_hi:[0,1]
	v_pk_add_f32 v[14:15], v[14:15], v[18:19]
	v_pk_fma_f32 v[18:19], v[2:3], v[234:235], v[16:17] neg_lo:[0,0,1] neg_hi:[0,0,1]
	v_pk_fma_f32 v[2:3], v[2:3], v[234:235], v[16:17] op_sel_hi:[1,0,1]
	s_nop 0
	v_mov_b32_e32 v19, v3
	v_pk_add_f32 v[2:3], v[14:15], v[18:19]
	v_mov_b32_e32 v14, v237
	v_pk_mul_f32 v[14:15], v[4:5], v[14:15] op_sel:[1,0] op_sel_hi:[0,0]
	v_pk_fma_f32 v[16:17], v[4:5], v[236:237], v[14:15] neg_lo:[0,0,1] neg_hi:[0,0,1]
	v_pk_fma_f32 v[4:5], v[4:5], v[236:237], v[14:15] op_sel_hi:[1,0,1]
	s_nop 0
	v_mov_b32_e32 v17, v5
	s_waitcnt vmcnt(1) lgkmcnt(1)
	v_pk_mul_f32 v[4:5], v[6:7], v[238:239] op_sel:[1,1] op_sel_hi:[0,1]
	v_pk_fma_f32 v[14:15], v[6:7], v[238:239], v[4:5] neg_lo:[0,0,1] neg_hi:[0,0,1]
	v_pk_fma_f32 v[4:5], v[6:7], v[238:239], v[4:5] op_sel_hi:[1,0,1]
	v_pk_add_f32 v[2:3], v[2:3], v[16:17]
	v_mov_b32_e32 v4, v241
	v_mov_b32_e32 v15, v5
	v_pk_mul_f32 v[4:5], v[8:9], v[4:5] op_sel:[1,0] op_sel_hi:[0,0]
	v_pk_fma_f32 v[6:7], v[8:9], v[240:241], v[4:5] neg_lo:[0,0,1] neg_hi:[0,0,1]
	v_pk_fma_f32 v[4:5], v[8:9], v[240:241], v[4:5] op_sel_hi:[1,0,1]
	v_pk_add_f32 v[2:3], v[2:3], v[14:15]
	v_mov_b32_e32 v7, v5
	s_waitcnt vmcnt(0) lgkmcnt(0)
	v_pk_mul_f32 v[4:5], v[10:11], v[242:243] op_sel:[1,1] op_sel_hi:[0,1]
	v_pk_add_f32 v[2:3], v[2:3], v[6:7]
	v_pk_fma_f32 v[6:7], v[10:11], v[242:243], v[4:5] neg_lo:[0,0,1] neg_hi:[0,0,1]
	v_pk_fma_f32 v[4:5], v[10:11], v[242:243], v[4:5] op_sel_hi:[1,0,1]
	s_nop 0
	v_mov_b32_e32 v4, v245
	v_mov_b32_e32 v7, v5
	v_pk_mul_f32 v[4:5], v[12:13], v[4:5] op_sel:[1,0] op_sel_hi:[0,0]
	v_pk_add_f32 v[2:3], v[2:3], v[6:7]
	v_pk_fma_f32 v[6:7], v[12:13], v[244:245], v[4:5] neg_lo:[0,0,1] neg_hi:[0,0,1]
	v_pk_fma_f32 v[4:5], v[12:13], v[244:245], v[4:5] op_sel_hi:[1,0,1]
	s_nop 0
	v_mov_b32_e32 v7, v5
	v_pk_add_f32 v[2:3], v[2:3], v[6:7]
	s_nop 0
	v_pk_add_f32 v[2:3], v[132:133], v[2:3] neg_lo:[0,1] neg_hi:[0,1]
	scratch_store_dwordx2 off, v[2:3], off offset:96
	s_and_saveexec_b64 s[0:1], vcc
	s_cbranch_execz .LBB50_297
; %bb.296:
	scratch_load_dwordx2 v[2:3], off, off offset:88
	v_mov_b32_e32 v4, 0
	v_mov_b32_e32 v5, v4
	scratch_store_dwordx2 off, v[4:5], off offset:88
	s_waitcnt vmcnt(1)
	ds_write_b64 v1, v[2:3]
.LBB50_297:
	s_or_b64 exec, exec, s[0:1]
	s_waitcnt lgkmcnt(0)
	; wave barrier
	scratch_load_dwordx4 v[2:5], off, off offset:96
	scratch_load_dwordx4 v[6:9], off, off offset:112
	;; [unrolled: 1-line block ×16, first 2 shown]
	scratch_load_dwordx2 v[132:133], off, off offset:88
	v_mov_b32_e32 v122, 0
	ds_read_b128 v[66:69], v122 offset:512
	ds_read_b128 v[70:73], v122 offset:528
	;; [unrolled: 1-line block ×14, first 2 shown]
	scratch_load_dwordx4 v[234:237], off, off offset:352
	v_cmp_lt_u32_e32 vcc, 10, v0
	s_waitcnt vmcnt(17) lgkmcnt(13)
	v_mul_f32_e32 v123, v66, v3
	v_mul_f32_e32 v124, v68, v5
	v_fmac_f32_e32 v123, v67, v2
	s_waitcnt vmcnt(16) lgkmcnt(12)
	v_mul_f32_e32 v125, v70, v7
	v_fmac_f32_e32 v124, v69, v4
	v_add_f32_e32 v123, 0, v123
	v_mul_f32_e32 v126, v72, v9
	v_fmac_f32_e32 v125, v71, v6
	v_add_f32_e32 v123, v123, v124
	s_waitcnt vmcnt(15) lgkmcnt(11)
	v_mul_f32_e32 v127, v74, v11
	v_fmac_f32_e32 v126, v73, v8
	v_add_f32_e32 v123, v123, v125
	v_mul_f32_e32 v128, v76, v13
	v_fmac_f32_e32 v127, v75, v10
	v_add_f32_e32 v123, v123, v126
	;; [unrolled: 7-line block ×11, first 2 shown]
	v_fmac_f32_e32 v148, v113, v48
	v_add_f32_e32 v123, v123, v147
	s_waitcnt vmcnt(5) lgkmcnt(1)
	v_mul_f32_e32 v124, v114, v51
	v_add_f32_e32 v123, v123, v148
	v_fmac_f32_e32 v124, v115, v50
	v_add_f32_e32 v123, v123, v124
	v_mul_f32_e32 v124, v116, v53
	v_fmac_f32_e32 v124, v117, v52
	v_add_f32_e32 v123, v123, v124
	s_waitcnt vmcnt(4) lgkmcnt(0)
	v_mul_f32_e32 v124, v118, v55
	v_fmac_f32_e32 v124, v119, v54
	v_mul_f32_e32 v128, v120, v57
	v_add_f32_e32 v123, v123, v124
	v_fmac_f32_e32 v128, v121, v56
	ds_read_b128 v[124:127], v122 offset:736
	v_add_f32_e32 v123, v123, v128
	ds_read_b128 v[128:131], v122 offset:752
	scratch_load_dwordx4 v[238:241], off, off offset:368
	scratch_load_dwordx4 v[242:245], off, off offset:384
	scratch_load_dwordx2 v[140:141], off, off offset:400
	v_mul_f32_e32 v3, v67, v3
	v_fma_f32 v2, v66, v2, -v3
	v_mul_f32_e32 v3, v69, v5
	v_add_f32_e32 v2, 0, v2
	v_fma_f32 v3, v68, v4, -v3
	v_add_f32_e32 v2, v2, v3
	v_mul_f32_e32 v3, v71, v7
	v_fma_f32 v3, v70, v6, -v3
	v_add_f32_e32 v2, v2, v3
	v_mul_f32_e32 v3, v73, v9
	;; [unrolled: 3-line block ×26, first 2 shown]
	v_fma_f32 v3, v120, v56, -v3
	s_waitcnt vmcnt(6) lgkmcnt(1)
	v_mul_f32_e32 v134, v124, v63
	v_add_f32_e32 v2, v2, v3
	v_mul_f32_e32 v3, v125, v63
	v_fmac_f32_e32 v134, v125, v62
	v_fma_f32 v3, v124, v62, -v3
	v_add_f32_e32 v135, v123, v134
	v_add_f32_e32 v134, v2, v3
	v_mul_f32_e32 v2, v127, v65
	v_mul_f32_e32 v137, v126, v65
	v_fma_f32 v136, v126, v64, -v2
	s_waitcnt vmcnt(5) lgkmcnt(0)
	v_mul_f32_e32 v2, v129, v59
	v_mov_b32_e32 v18, v61
	v_fmac_f32_e32 v137, v127, v64
	v_mul_f32_e32 v139, v128, v59
	v_fma_f32 v138, v128, v58, -v2
	ds_read_b128 v[2:5], v122 offset:768
	ds_read_b128 v[6:9], v122 offset:784
	;; [unrolled: 1-line block ×3, first 2 shown]
	ds_read_b64 v[14:15], v122 offset:816
	v_pk_mul_f32 v[18:19], v[130:131], v[18:19] op_sel:[1,0] op_sel_hi:[0,0]
	v_fmac_f32_e32 v139, v129, v58
	v_pk_add_f32 v[16:17], v[134:135], v[136:137]
	v_pk_fma_f32 v[20:21], v[130:131], v[60:61], v[18:19] neg_lo:[0,0,1] neg_hi:[0,0,1]
	v_pk_fma_f32 v[18:19], v[130:131], v[60:61], v[18:19] op_sel_hi:[1,0,1]
	v_pk_add_f32 v[16:17], v[16:17], v[138:139]
	v_mov_b32_e32 v21, v19
	s_waitcnt vmcnt(3) lgkmcnt(3)
	v_pk_mul_f32 v[18:19], v[2:3], v[234:235] op_sel:[1,1] op_sel_hi:[0,1]
	v_pk_add_f32 v[16:17], v[16:17], v[20:21]
	v_pk_fma_f32 v[20:21], v[2:3], v[234:235], v[18:19] neg_lo:[0,0,1] neg_hi:[0,0,1]
	v_pk_fma_f32 v[2:3], v[2:3], v[234:235], v[18:19] op_sel_hi:[1,0,1]
	s_nop 0
	v_mov_b32_e32 v21, v3
	v_pk_add_f32 v[2:3], v[16:17], v[20:21]
	v_mov_b32_e32 v16, v237
	v_pk_mul_f32 v[16:17], v[4:5], v[16:17] op_sel:[1,0] op_sel_hi:[0,0]
	v_pk_fma_f32 v[18:19], v[4:5], v[236:237], v[16:17] neg_lo:[0,0,1] neg_hi:[0,0,1]
	v_pk_fma_f32 v[4:5], v[4:5], v[236:237], v[16:17] op_sel_hi:[1,0,1]
	s_nop 0
	v_mov_b32_e32 v19, v5
	s_waitcnt vmcnt(2) lgkmcnt(2)
	v_pk_mul_f32 v[4:5], v[6:7], v[238:239] op_sel:[1,1] op_sel_hi:[0,1]
	v_pk_fma_f32 v[16:17], v[6:7], v[238:239], v[4:5] neg_lo:[0,0,1] neg_hi:[0,0,1]
	v_pk_fma_f32 v[4:5], v[6:7], v[238:239], v[4:5] op_sel_hi:[1,0,1]
	v_pk_add_f32 v[2:3], v[2:3], v[18:19]
	v_mov_b32_e32 v4, v241
	v_mov_b32_e32 v17, v5
	v_pk_mul_f32 v[4:5], v[8:9], v[4:5] op_sel:[1,0] op_sel_hi:[0,0]
	v_pk_fma_f32 v[6:7], v[8:9], v[240:241], v[4:5] neg_lo:[0,0,1] neg_hi:[0,0,1]
	v_pk_fma_f32 v[4:5], v[8:9], v[240:241], v[4:5] op_sel_hi:[1,0,1]
	v_pk_add_f32 v[2:3], v[2:3], v[16:17]
	v_mov_b32_e32 v7, v5
	s_waitcnt vmcnt(1) lgkmcnt(1)
	v_pk_mul_f32 v[4:5], v[10:11], v[242:243] op_sel:[1,1] op_sel_hi:[0,1]
	v_pk_add_f32 v[2:3], v[2:3], v[6:7]
	v_pk_fma_f32 v[6:7], v[10:11], v[242:243], v[4:5] neg_lo:[0,0,1] neg_hi:[0,0,1]
	v_pk_fma_f32 v[4:5], v[10:11], v[242:243], v[4:5] op_sel_hi:[1,0,1]
	s_nop 0
	v_mov_b32_e32 v4, v245
	v_mov_b32_e32 v7, v5
	v_pk_mul_f32 v[4:5], v[12:13], v[4:5] op_sel:[1,0] op_sel_hi:[0,0]
	v_pk_add_f32 v[2:3], v[2:3], v[6:7]
	v_pk_fma_f32 v[6:7], v[12:13], v[244:245], v[4:5] neg_lo:[0,0,1] neg_hi:[0,0,1]
	v_pk_fma_f32 v[4:5], v[12:13], v[244:245], v[4:5] op_sel_hi:[1,0,1]
	s_nop 0
	v_mov_b32_e32 v7, v5
	s_waitcnt vmcnt(0) lgkmcnt(0)
	v_pk_mul_f32 v[4:5], v[14:15], v[140:141] op_sel:[1,1] op_sel_hi:[0,1]
	v_pk_add_f32 v[2:3], v[2:3], v[6:7]
	v_pk_fma_f32 v[6:7], v[14:15], v[140:141], v[4:5] neg_lo:[0,0,1] neg_hi:[0,0,1]
	v_pk_fma_f32 v[4:5], v[14:15], v[140:141], v[4:5] op_sel_hi:[1,0,1]
	s_nop 0
	v_mov_b32_e32 v7, v5
	v_pk_add_f32 v[2:3], v[2:3], v[6:7]
	s_nop 0
	v_pk_add_f32 v[2:3], v[132:133], v[2:3] neg_lo:[0,1] neg_hi:[0,1]
	scratch_store_dwordx2 off, v[2:3], off offset:88
	s_and_saveexec_b64 s[0:1], vcc
	s_cbranch_execz .LBB50_299
; %bb.298:
	scratch_load_dwordx2 v[2:3], off, off offset:80
	v_mov_b32_e32 v123, v122
	scratch_store_dwordx2 off, v[122:123], off offset:80
	s_waitcnt vmcnt(1)
	ds_write_b64 v1, v[2:3]
.LBB50_299:
	s_or_b64 exec, exec, s[0:1]
	s_waitcnt lgkmcnt(0)
	; wave barrier
	scratch_load_dwordx4 v[2:5], off, off offset:88
	scratch_load_dwordx4 v[6:9], off, off offset:104
	;; [unrolled: 1-line block ×13, first 2 shown]
	ds_read2_b64 v[118:121], v122 offset0:63 offset1:64
	ds_read2_b64 v[114:117], v122 offset0:65 offset1:66
	;; [unrolled: 1-line block ×14, first 2 shown]
	scratch_load_dwordx4 v[62:65], off, off offset:296
	scratch_load_dwordx4 v[70:73], off, off offset:312
	;; [unrolled: 1-line block ×3, first 2 shown]
	scratch_load_dwordx2 v[132:133], off, off offset:80
	scratch_load_dwordx4 v[234:237], off, off offset:344
	v_cmp_lt_u32_e32 vcc, 9, v0
	s_waitcnt vmcnt(17) lgkmcnt(13)
	v_mul_f32_e32 v123, v118, v3
	v_mul_f32_e32 v124, v120, v5
	v_fmac_f32_e32 v123, v119, v2
	s_waitcnt vmcnt(16) lgkmcnt(12)
	v_mul_f32_e32 v125, v114, v7
	v_fmac_f32_e32 v124, v121, v4
	v_add_f32_e32 v123, 0, v123
	v_mul_f32_e32 v126, v116, v9
	v_fmac_f32_e32 v125, v115, v6
	v_add_f32_e32 v123, v123, v124
	s_waitcnt vmcnt(15) lgkmcnt(11)
	v_mul_f32_e32 v127, v110, v11
	v_fmac_f32_e32 v126, v117, v8
	v_add_f32_e32 v123, v123, v125
	v_mul_f32_e32 v128, v112, v13
	v_fmac_f32_e32 v127, v111, v10
	v_add_f32_e32 v123, v123, v126
	;; [unrolled: 7-line block ×11, first 2 shown]
	s_waitcnt vmcnt(5) lgkmcnt(1)
	v_mul_f32_e32 v149, v54, v51
	v_fmac_f32_e32 v148, v69, v48
	v_add_f32_e32 v123, v123, v147
	v_add_f32_e32 v123, v123, v148
	v_fmac_f32_e32 v149, v55, v50
	v_mul_f32_e32 v124, v56, v53
	v_add_f32_e32 v123, v123, v149
	v_fmac_f32_e32 v124, v57, v52
	v_add_f32_e32 v123, v123, v124
	s_waitcnt vmcnt(4) lgkmcnt(0)
	v_mul_f32_e32 v124, v58, v63
	v_fmac_f32_e32 v124, v59, v62
	v_mul_f32_e32 v128, v60, v65
	v_add_f32_e32 v123, v123, v124
	v_fmac_f32_e32 v128, v61, v64
	ds_read2_b64 v[124:127], v122 offset0:91 offset1:92
	v_add_f32_e32 v123, v123, v128
	ds_read2_b64 v[128:131], v122 offset0:93 offset1:94
	scratch_load_dwordx4 v[238:241], off, off offset:360
	scratch_load_dwordx4 v[242:245], off, off offset:376
	;; [unrolled: 1-line block ×3, first 2 shown]
	v_mul_f32_e32 v3, v119, v3
	v_fma_f32 v2, v118, v2, -v3
	v_mul_f32_e32 v3, v121, v5
	v_add_f32_e32 v2, 0, v2
	v_fma_f32 v3, v120, v4, -v3
	v_add_f32_e32 v2, v2, v3
	v_mul_f32_e32 v3, v115, v7
	v_fma_f32 v3, v114, v6, -v3
	v_add_f32_e32 v2, v2, v3
	v_mul_f32_e32 v3, v117, v9
	;; [unrolled: 3-line block ×26, first 2 shown]
	v_fma_f32 v3, v60, v64, -v3
	s_waitcnt vmcnt(6) lgkmcnt(1)
	v_mul_f32_e32 v134, v124, v71
	v_add_f32_e32 v2, v2, v3
	v_mul_f32_e32 v3, v125, v71
	v_fmac_f32_e32 v134, v125, v70
	v_fma_f32 v3, v124, v70, -v3
	v_add_f32_e32 v123, v123, v134
	v_mul_f32_e32 v134, v126, v73
	v_add_f32_e32 v2, v2, v3
	v_mul_f32_e32 v3, v127, v73
	v_fmac_f32_e32 v134, v127, v72
	v_fma_f32 v3, v126, v72, -v3
	v_add_f32_e32 v135, v123, v134
	v_add_f32_e32 v134, v2, v3
	s_waitcnt vmcnt(5) lgkmcnt(0)
	v_mul_f32_e32 v2, v129, v79
	v_fma_f32 v136, v128, v78, -v2
	v_mul_f32_e32 v2, v131, v81
	v_fma_f32 v138, v130, v80, -v2
	ds_read2_b64 v[2:5], v122 offset0:95 offset1:96
	ds_read2_b64 v[6:9], v122 offset0:97 offset1:98
	;; [unrolled: 1-line block ×4, first 2 shown]
	v_mul_f32_e32 v137, v128, v79
	v_fmac_f32_e32 v137, v129, v78
	v_mul_f32_e32 v139, v130, v81
	s_waitcnt vmcnt(3) lgkmcnt(3)
	v_pk_mul_f32 v[20:21], v[2:3], v[234:235] op_sel:[1,1] op_sel_hi:[0,1]
	v_fmac_f32_e32 v139, v131, v80
	v_pk_add_f32 v[18:19], v[134:135], v[136:137]
	v_pk_fma_f32 v[22:23], v[2:3], v[234:235], v[20:21] neg_lo:[0,0,1] neg_hi:[0,0,1]
	v_pk_fma_f32 v[2:3], v[2:3], v[234:235], v[20:21] op_sel_hi:[1,0,1]
	v_pk_add_f32 v[18:19], v[18:19], v[138:139]
	v_mov_b32_e32 v23, v3
	v_pk_add_f32 v[2:3], v[18:19], v[22:23]
	v_mov_b32_e32 v18, v237
	v_pk_mul_f32 v[18:19], v[4:5], v[18:19] op_sel:[1,0] op_sel_hi:[0,0]
	v_pk_fma_f32 v[20:21], v[4:5], v[236:237], v[18:19] neg_lo:[0,0,1] neg_hi:[0,0,1]
	v_pk_fma_f32 v[4:5], v[4:5], v[236:237], v[18:19] op_sel_hi:[1,0,1]
	s_nop 0
	v_mov_b32_e32 v21, v5
	s_waitcnt vmcnt(2) lgkmcnt(2)
	v_pk_mul_f32 v[4:5], v[6:7], v[238:239] op_sel:[1,1] op_sel_hi:[0,1]
	v_pk_fma_f32 v[18:19], v[6:7], v[238:239], v[4:5] neg_lo:[0,0,1] neg_hi:[0,0,1]
	v_pk_fma_f32 v[4:5], v[6:7], v[238:239], v[4:5] op_sel_hi:[1,0,1]
	v_pk_add_f32 v[2:3], v[2:3], v[20:21]
	v_mov_b32_e32 v4, v241
	v_mov_b32_e32 v19, v5
	v_pk_mul_f32 v[4:5], v[8:9], v[4:5] op_sel:[1,0] op_sel_hi:[0,0]
	v_pk_fma_f32 v[6:7], v[8:9], v[240:241], v[4:5] neg_lo:[0,0,1] neg_hi:[0,0,1]
	v_pk_fma_f32 v[4:5], v[8:9], v[240:241], v[4:5] op_sel_hi:[1,0,1]
	v_pk_add_f32 v[2:3], v[2:3], v[18:19]
	v_mov_b32_e32 v7, v5
	s_waitcnt vmcnt(1) lgkmcnt(1)
	v_pk_mul_f32 v[4:5], v[10:11], v[242:243] op_sel:[1,1] op_sel_hi:[0,1]
	v_pk_add_f32 v[2:3], v[2:3], v[6:7]
	v_pk_fma_f32 v[6:7], v[10:11], v[242:243], v[4:5] neg_lo:[0,0,1] neg_hi:[0,0,1]
	v_pk_fma_f32 v[4:5], v[10:11], v[242:243], v[4:5] op_sel_hi:[1,0,1]
	s_nop 0
	v_mov_b32_e32 v4, v245
	v_mov_b32_e32 v7, v5
	v_pk_mul_f32 v[4:5], v[12:13], v[4:5] op_sel:[1,0] op_sel_hi:[0,0]
	v_pk_add_f32 v[2:3], v[2:3], v[6:7]
	v_pk_fma_f32 v[6:7], v[12:13], v[244:245], v[4:5] neg_lo:[0,0,1] neg_hi:[0,0,1]
	v_pk_fma_f32 v[4:5], v[12:13], v[244:245], v[4:5] op_sel_hi:[1,0,1]
	s_nop 0
	v_mov_b32_e32 v7, v5
	s_waitcnt vmcnt(0) lgkmcnt(0)
	v_pk_mul_f32 v[4:5], v[14:15], v[246:247] op_sel:[1,1] op_sel_hi:[0,1]
	v_pk_add_f32 v[2:3], v[2:3], v[6:7]
	v_pk_fma_f32 v[6:7], v[14:15], v[246:247], v[4:5] neg_lo:[0,0,1] neg_hi:[0,0,1]
	v_pk_fma_f32 v[4:5], v[14:15], v[246:247], v[4:5] op_sel_hi:[1,0,1]
	s_nop 0
	v_mov_b32_e32 v4, v249
	v_mov_b32_e32 v7, v5
	v_pk_mul_f32 v[4:5], v[16:17], v[4:5] op_sel:[1,0] op_sel_hi:[0,0]
	v_pk_add_f32 v[2:3], v[2:3], v[6:7]
	v_pk_fma_f32 v[6:7], v[16:17], v[248:249], v[4:5] neg_lo:[0,0,1] neg_hi:[0,0,1]
	v_pk_fma_f32 v[4:5], v[16:17], v[248:249], v[4:5] op_sel_hi:[1,0,1]
	s_nop 0
	v_mov_b32_e32 v7, v5
	v_pk_add_f32 v[2:3], v[2:3], v[6:7]
	s_nop 0
	v_pk_add_f32 v[2:3], v[132:133], v[2:3] neg_lo:[0,1] neg_hi:[0,1]
	scratch_store_dwordx2 off, v[2:3], off offset:80
	s_and_saveexec_b64 s[0:1], vcc
	s_cbranch_execz .LBB50_301
; %bb.300:
	scratch_load_dwordx2 v[2:3], off, off offset:72
	v_mov_b32_e32 v4, 0
	v_mov_b32_e32 v5, v4
	scratch_store_dwordx2 off, v[4:5], off offset:72
	s_waitcnt vmcnt(1)
	ds_write_b64 v1, v[2:3]
.LBB50_301:
	s_or_b64 exec, exec, s[0:1]
	v_mov_b32_e32 v102, 0
	s_waitcnt lgkmcnt(0)
	; wave barrier
	ds_read_b128 v[14:17], v102 offset:496
	ds_read_b128 v[10:13], v102 offset:512
	;; [unrolled: 1-line block ×4, first 2 shown]
	scratch_load_dwordx4 v[18:21], off, off offset:80
	scratch_load_dwordx4 v[38:41], off, off offset:144
	scratch_load_dwordx4 v[70:73], off, off offset:208
	scratch_load_dwordx4 v[78:81], off, off offset:224
	scratch_load_dwordx4 v[86:89], off, off offset:240
	scratch_load_dwordx4 v[94:97], off, off offset:256
	scratch_load_dwordx4 v[104:107], off, off offset:272
	scratch_load_dwordx4 v[112:115], off, off offset:288
	scratch_load_dwordx4 v[120:123], off, off offset:304
	scratch_load_dwordx4 v[128:131], off, off offset:320
	scratch_load_dwordx4 v[238:241], off, off offset:336
	v_cmp_lt_u32_e32 vcc, 8, v0
	scratch_load_dwordx4 v[46:49], off, off offset:160
	scratch_load_dwordx4 v[54:57], off, off offset:176
	;; [unrolled: 1-line block ×3, first 2 shown]
	ds_read_b128 v[234:237], v102 offset:752
	s_waitcnt vmcnt(13) lgkmcnt(4)
	v_mul_f32_e32 v22, v14, v19
	v_fmac_f32_e32 v22, v15, v18
	v_mul_f32_e32 v23, v16, v21
	v_add_f32_e32 v22, 0, v22
	v_fmac_f32_e32 v23, v17, v20
	v_add_f32_e32 v26, v22, v23
	scratch_load_dwordx4 v[22:25], off, off offset:96
	v_mul_f32_e32 v15, v15, v19
	v_fma_f32 v14, v14, v18, -v15
	v_mul_f32_e32 v15, v17, v21
	v_add_f32_e32 v14, 0, v14
	v_fma_f32 v15, v16, v20, -v15
	v_add_f32_e32 v14, v14, v15
	s_waitcnt vmcnt(4)
	v_mov_b32_e32 v18, v241
	s_waitcnt lgkmcnt(0)
	v_mul_f32_e32 v137, v234, v239
	v_pk_mul_f32 v[18:19], v[236:237], v[18:19] op_sel:[1,0] op_sel_hi:[0,0]
	v_fmac_f32_e32 v137, v235, v238
	v_pk_fma_f32 v[20:21], v[236:237], v[240:241], v[18:19] neg_lo:[0,0,1] neg_hi:[0,0,1]
	v_pk_fma_f32 v[18:19], v[236:237], v[240:241], v[18:19] op_sel_hi:[1,0,1]
	s_waitcnt vmcnt(0)
	v_mul_f32_e32 v27, v10, v23
	v_fmac_f32_e32 v27, v11, v22
	v_add_f32_e32 v26, v26, v27
	v_mul_f32_e32 v27, v12, v25
	v_fmac_f32_e32 v27, v13, v24
	v_add_f32_e32 v30, v26, v27
	scratch_load_dwordx4 v[26:29], off, off offset:112
	v_mul_f32_e32 v11, v11, v23
	v_fma_f32 v10, v10, v22, -v11
	v_mul_f32_e32 v11, v13, v25
	v_add_f32_e32 v10, v14, v10
	v_fma_f32 v11, v12, v24, -v11
	v_add_f32_e32 v10, v10, v11
	v_mov_b32_e32 v21, v19
	s_waitcnt vmcnt(0)
	v_mul_f32_e32 v31, v6, v27
	v_fmac_f32_e32 v31, v7, v26
	v_add_f32_e32 v30, v30, v31
	v_mul_f32_e32 v31, v8, v29
	v_fmac_f32_e32 v31, v9, v28
	v_add_f32_e32 v34, v30, v31
	scratch_load_dwordx4 v[30:33], off, off offset:128
	v_mul_f32_e32 v7, v7, v27
	v_fma_f32 v6, v6, v26, -v7
	v_mul_f32_e32 v7, v9, v29
	v_add_f32_e32 v6, v10, v6
	v_fma_f32 v7, v8, v28, -v7
	v_add_f32_e32 v6, v6, v7
	s_waitcnt vmcnt(0)
	v_mul_f32_e32 v35, v2, v31
	v_fmac_f32_e32 v35, v3, v30
	v_add_f32_e32 v34, v34, v35
	v_mul_f32_e32 v35, v4, v33
	v_fmac_f32_e32 v35, v5, v32
	v_add_f32_e32 v42, v34, v35
	ds_read_b128 v[34:37], v102 offset:560
	v_mul_f32_e32 v3, v3, v31
	v_fma_f32 v2, v2, v30, -v3
	v_mul_f32_e32 v3, v5, v33
	v_add_f32_e32 v2, v6, v2
	s_waitcnt lgkmcnt(0)
	v_mul_f32_e32 v43, v34, v39
	v_fmac_f32_e32 v43, v35, v38
	v_add_f32_e32 v42, v42, v43
	v_mul_f32_e32 v43, v36, v41
	v_fmac_f32_e32 v43, v37, v40
	v_add_f32_e32 v50, v42, v43
	ds_read_b128 v[42:45], v102 offset:576
	v_fma_f32 v3, v4, v32, -v3
	v_add_f32_e32 v2, v2, v3
	v_mul_f32_e32 v3, v35, v39
	v_fma_f32 v3, v34, v38, -v3
	s_waitcnt lgkmcnt(0)
	v_mul_f32_e32 v51, v42, v47
	v_fmac_f32_e32 v51, v43, v46
	v_add_f32_e32 v50, v50, v51
	v_mul_f32_e32 v51, v44, v49
	v_fmac_f32_e32 v51, v45, v48
	v_add_f32_e32 v58, v50, v51
	ds_read_b128 v[50:53], v102 offset:592
	v_add_f32_e32 v2, v2, v3
	v_mul_f32_e32 v3, v37, v41
	v_fma_f32 v3, v36, v40, -v3
	v_add_f32_e32 v2, v2, v3
	s_waitcnt lgkmcnt(0)
	v_mul_f32_e32 v59, v50, v55
	v_fmac_f32_e32 v59, v51, v54
	v_add_f32_e32 v58, v58, v59
	v_mul_f32_e32 v59, v52, v57
	v_fmac_f32_e32 v59, v53, v56
	v_add_f32_e32 v66, v58, v59
	ds_read_b128 v[58:61], v102 offset:608
	v_mul_f32_e32 v3, v43, v47
	v_fma_f32 v3, v42, v46, -v3
	v_add_f32_e32 v2, v2, v3
	v_mul_f32_e32 v3, v45, v49
	s_waitcnt lgkmcnt(0)
	v_mul_f32_e32 v67, v58, v63
	v_fmac_f32_e32 v67, v59, v62
	v_add_f32_e32 v66, v66, v67
	v_mul_f32_e32 v67, v60, v65
	v_fmac_f32_e32 v67, v61, v64
	v_add_f32_e32 v74, v66, v67
	ds_read_b128 v[66:69], v102 offset:624
	v_fma_f32 v3, v44, v48, -v3
	v_add_f32_e32 v2, v2, v3
	v_mul_f32_e32 v3, v51, v55
	v_fma_f32 v3, v50, v54, -v3
	s_waitcnt lgkmcnt(0)
	v_mul_f32_e32 v75, v66, v71
	v_fmac_f32_e32 v75, v67, v70
	v_add_f32_e32 v74, v74, v75
	v_mul_f32_e32 v75, v68, v73
	v_fmac_f32_e32 v75, v69, v72
	v_add_f32_e32 v82, v74, v75
	ds_read_b128 v[74:77], v102 offset:640
	v_add_f32_e32 v2, v2, v3
	v_mul_f32_e32 v3, v53, v57
	v_fma_f32 v3, v52, v56, -v3
	v_add_f32_e32 v2, v2, v3
	s_waitcnt lgkmcnt(0)
	v_mul_f32_e32 v83, v74, v79
	v_fmac_f32_e32 v83, v75, v78
	v_add_f32_e32 v82, v82, v83
	v_mul_f32_e32 v83, v76, v81
	v_fmac_f32_e32 v83, v77, v80
	v_add_f32_e32 v90, v82, v83
	ds_read_b128 v[82:85], v102 offset:656
	v_mul_f32_e32 v3, v59, v63
	v_fma_f32 v3, v58, v62, -v3
	v_add_f32_e32 v2, v2, v3
	v_mul_f32_e32 v3, v61, v65
	;; [unrolled: 36-line block ×3, first 2 shown]
	s_waitcnt lgkmcnt(0)
	v_mul_f32_e32 v116, v108, v113
	v_fmac_f32_e32 v116, v109, v112
	v_add_f32_e32 v103, v103, v116
	v_mul_f32_e32 v116, v110, v115
	v_fmac_f32_e32 v116, v111, v114
	v_add_f32_e32 v103, v103, v116
	ds_read_b128 v[116:119], v102 offset:720
	v_fma_f32 v3, v76, v80, -v3
	v_add_f32_e32 v2, v2, v3
	v_mul_f32_e32 v3, v83, v87
	v_fma_f32 v3, v82, v86, -v3
	s_waitcnt lgkmcnt(0)
	v_mul_f32_e32 v124, v116, v121
	v_fmac_f32_e32 v124, v117, v120
	v_add_f32_e32 v103, v103, v124
	v_mul_f32_e32 v124, v118, v123
	v_fmac_f32_e32 v124, v119, v122
	v_add_f32_e32 v103, v103, v124
	ds_read_b128 v[124:127], v102 offset:736
	scratch_load_dwordx4 v[242:245], off, off offset:352
	scratch_load_dwordx4 v[246:249], off, off offset:368
	;; [unrolled: 1-line block ×3, first 2 shown]
	scratch_load_dwordx2 v[138:139], off, off offset:400
	v_add_f32_e32 v2, v2, v3
	v_mul_f32_e32 v3, v85, v89
	v_fma_f32 v3, v84, v88, -v3
	v_add_f32_e32 v2, v2, v3
	v_mul_f32_e32 v3, v91, v95
	v_fma_f32 v3, v90, v94, -v3
	;; [unrolled: 3-line block ×9, first 2 shown]
	s_waitcnt lgkmcnt(0)
	v_mul_f32_e32 v132, v124, v129
	v_add_f32_e32 v2, v2, v3
	v_mul_f32_e32 v3, v125, v129
	v_fmac_f32_e32 v132, v125, v128
	v_fma_f32 v3, v124, v128, -v3
	v_add_f32_e32 v133, v103, v132
	v_add_f32_e32 v132, v2, v3
	v_mul_f32_e32 v2, v127, v131
	v_mul_f32_e32 v135, v126, v131
	v_fma_f32 v134, v126, v130, -v2
	v_mul_f32_e32 v2, v235, v239
	v_fmac_f32_e32 v135, v127, v130
	v_fma_f32 v136, v234, v238, -v2
	ds_read_b128 v[2:5], v102 offset:768
	ds_read_b128 v[6:9], v102 offset:784
	ds_read_b128 v[10:13], v102 offset:800
	ds_read_b64 v[14:15], v102 offset:816
	v_pk_add_f32 v[16:17], v[132:133], v[134:135]
	s_waitcnt vmcnt(3) lgkmcnt(3)
	v_pk_mul_f32 v[18:19], v[2:3], v[242:243] op_sel:[1,1] op_sel_hi:[0,1]
	v_pk_add_f32 v[16:17], v[16:17], v[136:137]
	s_nop 0
	v_pk_add_f32 v[16:17], v[16:17], v[20:21]
	v_pk_fma_f32 v[20:21], v[2:3], v[242:243], v[18:19] neg_lo:[0,0,1] neg_hi:[0,0,1]
	v_pk_fma_f32 v[2:3], v[2:3], v[242:243], v[18:19] op_sel_hi:[1,0,1]
	s_nop 0
	v_mov_b32_e32 v21, v3
	v_pk_add_f32 v[2:3], v[16:17], v[20:21]
	v_mov_b32_e32 v16, v245
	v_pk_mul_f32 v[16:17], v[4:5], v[16:17] op_sel:[1,0] op_sel_hi:[0,0]
	v_pk_fma_f32 v[18:19], v[4:5], v[244:245], v[16:17] neg_lo:[0,0,1] neg_hi:[0,0,1]
	v_pk_fma_f32 v[4:5], v[4:5], v[244:245], v[16:17] op_sel_hi:[1,0,1]
	s_nop 0
	v_mov_b32_e32 v19, v5
	s_waitcnt vmcnt(2) lgkmcnt(2)
	v_pk_mul_f32 v[4:5], v[6:7], v[246:247] op_sel:[1,1] op_sel_hi:[0,1]
	v_pk_fma_f32 v[16:17], v[6:7], v[246:247], v[4:5] neg_lo:[0,0,1] neg_hi:[0,0,1]
	v_pk_fma_f32 v[4:5], v[6:7], v[246:247], v[4:5] op_sel_hi:[1,0,1]
	v_pk_add_f32 v[2:3], v[2:3], v[18:19]
	v_mov_b32_e32 v4, v249
	v_mov_b32_e32 v17, v5
	v_pk_mul_f32 v[4:5], v[8:9], v[4:5] op_sel:[1,0] op_sel_hi:[0,0]
	v_pk_fma_f32 v[6:7], v[8:9], v[248:249], v[4:5] neg_lo:[0,0,1] neg_hi:[0,0,1]
	v_pk_fma_f32 v[4:5], v[8:9], v[248:249], v[4:5] op_sel_hi:[1,0,1]
	v_pk_add_f32 v[2:3], v[2:3], v[16:17]
	v_mov_b32_e32 v7, v5
	s_waitcnt vmcnt(1) lgkmcnt(1)
	v_pk_mul_f32 v[4:5], v[10:11], v[250:251] op_sel:[1,1] op_sel_hi:[0,1]
	v_pk_add_f32 v[2:3], v[2:3], v[6:7]
	v_pk_fma_f32 v[6:7], v[10:11], v[250:251], v[4:5] neg_lo:[0,0,1] neg_hi:[0,0,1]
	v_pk_fma_f32 v[4:5], v[10:11], v[250:251], v[4:5] op_sel_hi:[1,0,1]
	s_nop 0
	v_mov_b32_e32 v4, v253
	v_mov_b32_e32 v7, v5
	v_pk_mul_f32 v[4:5], v[12:13], v[4:5] op_sel:[1,0] op_sel_hi:[0,0]
	v_pk_add_f32 v[2:3], v[2:3], v[6:7]
	v_pk_fma_f32 v[6:7], v[12:13], v[252:253], v[4:5] neg_lo:[0,0,1] neg_hi:[0,0,1]
	v_pk_fma_f32 v[4:5], v[12:13], v[252:253], v[4:5] op_sel_hi:[1,0,1]
	s_nop 0
	v_mov_b32_e32 v7, v5
	s_waitcnt vmcnt(0) lgkmcnt(0)
	v_pk_mul_f32 v[4:5], v[14:15], v[138:139] op_sel:[1,1] op_sel_hi:[0,1]
	v_pk_add_f32 v[2:3], v[2:3], v[6:7]
	v_pk_fma_f32 v[6:7], v[14:15], v[138:139], v[4:5] neg_lo:[0,0,1] neg_hi:[0,0,1]
	v_pk_fma_f32 v[4:5], v[14:15], v[138:139], v[4:5] op_sel_hi:[1,0,1]
	s_nop 0
	v_mov_b32_e32 v7, v5
	scratch_load_dwordx2 v[4:5], off, off offset:72
	v_pk_add_f32 v[2:3], v[2:3], v[6:7]
	s_waitcnt vmcnt(0)
	v_pk_add_f32 v[2:3], v[4:5], v[2:3] neg_lo:[0,1] neg_hi:[0,1]
	scratch_store_dwordx2 off, v[2:3], off offset:72
	s_and_saveexec_b64 s[0:1], vcc
	s_cbranch_execz .LBB50_303
; %bb.302:
	scratch_load_dwordx2 v[2:3], off, off offset:64
	v_mov_b32_e32 v103, v102
	scratch_store_dwordx2 off, v[102:103], off offset:64
	s_waitcnt vmcnt(1)
	ds_write_b64 v1, v[2:3]
.LBB50_303:
	s_or_b64 exec, exec, s[0:1]
	s_waitcnt lgkmcnt(0)
	; wave barrier
	scratch_load_dwordx4 v[6:9], off, off offset:72
	scratch_load_dwordx4 v[14:17], off, off offset:88
	scratch_load_dwordx4 v[22:25], off, off offset:104
	scratch_load_dwordx4 v[30:33], off, off offset:120
	scratch_load_dwordx4 v[38:41], off, off offset:136
	scratch_load_dwordx4 v[46:49], off, off offset:152
	scratch_load_dwordx4 v[54:57], off, off offset:168
	scratch_load_dwordx4 v[62:65], off, off offset:184
	scratch_load_dwordx4 v[70:73], off, off offset:200
	scratch_load_dwordx4 v[78:81], off, off offset:216
	ds_read2_b64 v[2:5], v102 offset0:61 offset1:62
	ds_read2_b64 v[234:237], v102 offset0:93 offset1:94
	scratch_load_dwordx4 v[86:89], off, off offset:232
	scratch_load_dwordx4 v[94:97], off, off offset:248
	;; [unrolled: 1-line block ×7, first 2 shown]
	v_cmp_lt_u32_e32 vcc, 7, v0
	s_waitcnt vmcnt(16) lgkmcnt(1)
	v_mul_f32_e32 v10, v2, v7
	v_fmac_f32_e32 v10, v3, v6
	v_mul_f32_e32 v11, v4, v9
	v_add_f32_e32 v10, 0, v10
	v_fmac_f32_e32 v11, v5, v8
	v_add_f32_e32 v18, v10, v11
	ds_read2_b64 v[10:13], v102 offset0:63 offset1:64
	v_mul_f32_e32 v3, v3, v7
	v_fma_f32 v2, v2, v6, -v3
	v_mul_f32_e32 v3, v5, v9
	v_add_f32_e32 v2, 0, v2
	s_waitcnt vmcnt(15) lgkmcnt(0)
	v_mul_f32_e32 v19, v10, v15
	v_fmac_f32_e32 v19, v11, v14
	v_add_f32_e32 v18, v18, v19
	v_mul_f32_e32 v19, v12, v17
	v_fmac_f32_e32 v19, v13, v16
	v_add_f32_e32 v26, v18, v19
	ds_read2_b64 v[18:21], v102 offset0:65 offset1:66
	v_fma_f32 v3, v4, v8, -v3
	v_add_f32_e32 v2, v2, v3
	v_mul_f32_e32 v3, v11, v15
	v_fma_f32 v3, v10, v14, -v3
	s_waitcnt vmcnt(14) lgkmcnt(0)
	v_mul_f32_e32 v27, v18, v23
	v_fmac_f32_e32 v27, v19, v22
	v_add_f32_e32 v26, v26, v27
	v_mul_f32_e32 v27, v20, v25
	v_fmac_f32_e32 v27, v21, v24
	v_add_f32_e32 v34, v26, v27
	ds_read2_b64 v[26:29], v102 offset0:67 offset1:68
	v_add_f32_e32 v2, v2, v3
	v_mul_f32_e32 v3, v13, v17
	v_fma_f32 v3, v12, v16, -v3
	v_add_f32_e32 v2, v2, v3
	s_waitcnt vmcnt(13) lgkmcnt(0)
	v_mul_f32_e32 v35, v26, v31
	v_fmac_f32_e32 v35, v27, v30
	v_add_f32_e32 v34, v34, v35
	v_mul_f32_e32 v35, v28, v33
	v_fmac_f32_e32 v35, v29, v32
	v_add_f32_e32 v42, v34, v35
	ds_read2_b64 v[34:37], v102 offset0:69 offset1:70
	v_mul_f32_e32 v3, v19, v23
	v_fma_f32 v3, v18, v22, -v3
	v_add_f32_e32 v2, v2, v3
	v_mul_f32_e32 v3, v21, v25
	s_waitcnt vmcnt(12) lgkmcnt(0)
	v_mul_f32_e32 v43, v34, v39
	v_fmac_f32_e32 v43, v35, v38
	v_add_f32_e32 v42, v42, v43
	v_mul_f32_e32 v43, v36, v41
	v_fmac_f32_e32 v43, v37, v40
	v_add_f32_e32 v50, v42, v43
	ds_read2_b64 v[42:45], v102 offset0:71 offset1:72
	v_fma_f32 v3, v20, v24, -v3
	v_add_f32_e32 v2, v2, v3
	v_mul_f32_e32 v3, v27, v31
	v_fma_f32 v3, v26, v30, -v3
	s_waitcnt vmcnt(11) lgkmcnt(0)
	v_mul_f32_e32 v51, v42, v47
	v_fmac_f32_e32 v51, v43, v46
	v_add_f32_e32 v50, v50, v51
	v_mul_f32_e32 v51, v44, v49
	v_fmac_f32_e32 v51, v45, v48
	v_add_f32_e32 v58, v50, v51
	ds_read2_b64 v[50:53], v102 offset0:73 offset1:74
	v_add_f32_e32 v2, v2, v3
	v_mul_f32_e32 v3, v29, v33
	v_fma_f32 v3, v28, v32, -v3
	v_add_f32_e32 v2, v2, v3
	s_waitcnt vmcnt(10) lgkmcnt(0)
	v_mul_f32_e32 v59, v50, v55
	v_fmac_f32_e32 v59, v51, v54
	v_add_f32_e32 v58, v58, v59
	v_mul_f32_e32 v59, v52, v57
	v_fmac_f32_e32 v59, v53, v56
	v_add_f32_e32 v66, v58, v59
	ds_read2_b64 v[58:61], v102 offset0:75 offset1:76
	v_mul_f32_e32 v3, v35, v39
	v_fma_f32 v3, v34, v38, -v3
	v_add_f32_e32 v2, v2, v3
	v_mul_f32_e32 v3, v37, v41
	;; [unrolled: 36-line block ×4, first 2 shown]
	s_waitcnt vmcnt(3) lgkmcnt(0)
	v_mul_f32_e32 v116, v108, v113
	v_fmac_f32_e32 v116, v109, v112
	v_add_f32_e32 v103, v103, v116
	v_mul_f32_e32 v116, v110, v115
	v_fmac_f32_e32 v116, v111, v114
	v_add_f32_e32 v103, v103, v116
	ds_read2_b64 v[116:119], v102 offset0:89 offset1:90
	v_fma_f32 v3, v68, v72, -v3
	v_add_f32_e32 v2, v2, v3
	v_mul_f32_e32 v3, v75, v79
	v_fma_f32 v3, v74, v78, -v3
	s_waitcnt vmcnt(2) lgkmcnt(0)
	v_mul_f32_e32 v124, v116, v121
	v_fmac_f32_e32 v124, v117, v120
	v_add_f32_e32 v103, v103, v124
	v_mul_f32_e32 v124, v118, v123
	v_fmac_f32_e32 v124, v119, v122
	v_add_f32_e32 v103, v103, v124
	ds_read2_b64 v[124:127], v102 offset0:91 offset1:92
	v_add_f32_e32 v2, v2, v3
	v_mul_f32_e32 v3, v77, v81
	v_fma_f32 v3, v76, v80, -v3
	v_add_f32_e32 v2, v2, v3
	s_waitcnt vmcnt(1) lgkmcnt(0)
	v_mul_f32_e32 v132, v124, v129
	v_fmac_f32_e32 v132, v125, v128
	v_add_f32_e32 v103, v103, v132
	v_mul_f32_e32 v132, v126, v131
	v_fmac_f32_e32 v132, v127, v130
	v_add_f32_e32 v137, v103, v132
	scratch_load_dwordx4 v[242:245], off, off offset:344
	scratch_load_dwordx4 v[246:249], off, off offset:360
	;; [unrolled: 1-line block ×4, first 2 shown]
	v_mul_f32_e32 v3, v83, v87
	v_fma_f32 v3, v82, v86, -v3
	v_add_f32_e32 v2, v2, v3
	v_mul_f32_e32 v3, v85, v89
	v_fma_f32 v3, v84, v88, -v3
	v_add_f32_e32 v2, v2, v3
	;; [unrolled: 3-line block ×12, first 2 shown]
	s_waitcnt vmcnt(4)
	v_mul_f32_e32 v2, v235, v239
	v_fma_f32 v138, v234, v238, -v2
	v_mul_f32_e32 v2, v237, v241
	v_fma_f32 v140, v236, v240, -v2
	ds_read2_b64 v[2:5], v102 offset0:95 offset1:96
	ds_read2_b64 v[6:9], v102 offset0:97 offset1:98
	;; [unrolled: 1-line block ×4, first 2 shown]
	v_mul_f32_e32 v139, v234, v239
	v_fmac_f32_e32 v139, v235, v238
	v_mul_f32_e32 v141, v236, v241
	v_fmac_f32_e32 v141, v237, v240
	v_pk_add_f32 v[18:19], v[136:137], v[138:139]
	s_waitcnt vmcnt(3) lgkmcnt(3)
	v_pk_mul_f32 v[20:21], v[2:3], v[242:243] op_sel:[1,1] op_sel_hi:[0,1]
	v_pk_fma_f32 v[22:23], v[2:3], v[242:243], v[20:21] neg_lo:[0,0,1] neg_hi:[0,0,1]
	v_pk_fma_f32 v[2:3], v[2:3], v[242:243], v[20:21] op_sel_hi:[1,0,1]
	v_pk_add_f32 v[18:19], v[18:19], v[140:141]
	v_mov_b32_e32 v23, v3
	v_pk_add_f32 v[2:3], v[18:19], v[22:23]
	v_mov_b32_e32 v18, v245
	v_pk_mul_f32 v[18:19], v[4:5], v[18:19] op_sel:[1,0] op_sel_hi:[0,0]
	v_pk_fma_f32 v[20:21], v[4:5], v[244:245], v[18:19] neg_lo:[0,0,1] neg_hi:[0,0,1]
	v_pk_fma_f32 v[4:5], v[4:5], v[244:245], v[18:19] op_sel_hi:[1,0,1]
	s_nop 0
	v_mov_b32_e32 v21, v5
	s_waitcnt vmcnt(2) lgkmcnt(2)
	v_pk_mul_f32 v[4:5], v[6:7], v[246:247] op_sel:[1,1] op_sel_hi:[0,1]
	v_pk_fma_f32 v[18:19], v[6:7], v[246:247], v[4:5] neg_lo:[0,0,1] neg_hi:[0,0,1]
	v_pk_fma_f32 v[4:5], v[6:7], v[246:247], v[4:5] op_sel_hi:[1,0,1]
	v_pk_add_f32 v[2:3], v[2:3], v[20:21]
	v_mov_b32_e32 v4, v249
	v_mov_b32_e32 v19, v5
	v_pk_mul_f32 v[4:5], v[8:9], v[4:5] op_sel:[1,0] op_sel_hi:[0,0]
	v_pk_fma_f32 v[6:7], v[8:9], v[248:249], v[4:5] neg_lo:[0,0,1] neg_hi:[0,0,1]
	v_pk_fma_f32 v[4:5], v[8:9], v[248:249], v[4:5] op_sel_hi:[1,0,1]
	v_pk_add_f32 v[2:3], v[2:3], v[18:19]
	v_mov_b32_e32 v7, v5
	s_waitcnt vmcnt(1) lgkmcnt(1)
	v_pk_mul_f32 v[4:5], v[10:11], v[250:251] op_sel:[1,1] op_sel_hi:[0,1]
	v_pk_add_f32 v[2:3], v[2:3], v[6:7]
	v_pk_fma_f32 v[6:7], v[10:11], v[250:251], v[4:5] neg_lo:[0,0,1] neg_hi:[0,0,1]
	v_pk_fma_f32 v[4:5], v[10:11], v[250:251], v[4:5] op_sel_hi:[1,0,1]
	s_nop 0
	v_mov_b32_e32 v4, v253
	v_mov_b32_e32 v7, v5
	v_pk_mul_f32 v[4:5], v[12:13], v[4:5] op_sel:[1,0] op_sel_hi:[0,0]
	v_pk_add_f32 v[2:3], v[2:3], v[6:7]
	v_pk_fma_f32 v[6:7], v[12:13], v[252:253], v[4:5] neg_lo:[0,0,1] neg_hi:[0,0,1]
	v_pk_fma_f32 v[4:5], v[12:13], v[252:253], v[4:5] op_sel_hi:[1,0,1]
	s_nop 0
	v_mov_b32_e32 v7, v5
	s_waitcnt vmcnt(0) lgkmcnt(0)
	v_pk_mul_f32 v[4:5], v[14:15], v[132:133] op_sel:[1,1] op_sel_hi:[0,1]
	v_pk_add_f32 v[2:3], v[2:3], v[6:7]
	v_pk_fma_f32 v[6:7], v[14:15], v[132:133], v[4:5] neg_lo:[0,0,1] neg_hi:[0,0,1]
	v_pk_fma_f32 v[4:5], v[14:15], v[132:133], v[4:5] op_sel_hi:[1,0,1]
	s_nop 0
	v_mov_b32_e32 v4, v135
	v_mov_b32_e32 v7, v5
	v_pk_mul_f32 v[4:5], v[16:17], v[4:5] op_sel:[1,0] op_sel_hi:[0,0]
	v_pk_add_f32 v[2:3], v[2:3], v[6:7]
	v_pk_fma_f32 v[6:7], v[16:17], v[134:135], v[4:5] neg_lo:[0,0,1] neg_hi:[0,0,1]
	v_pk_fma_f32 v[4:5], v[16:17], v[134:135], v[4:5] op_sel_hi:[1,0,1]
	s_nop 0
	v_mov_b32_e32 v7, v5
	scratch_load_dwordx2 v[4:5], off, off offset:64
	v_pk_add_f32 v[2:3], v[2:3], v[6:7]
	s_waitcnt vmcnt(0)
	v_pk_add_f32 v[2:3], v[4:5], v[2:3] neg_lo:[0,1] neg_hi:[0,1]
	scratch_store_dwordx2 off, v[2:3], off offset:64
	s_and_saveexec_b64 s[0:1], vcc
	s_cbranch_execz .LBB50_305
; %bb.304:
	scratch_load_dwordx2 v[2:3], off, off offset:56
	v_mov_b32_e32 v4, 0
	v_mov_b32_e32 v5, v4
	scratch_store_dwordx2 off, v[4:5], off offset:56
	s_waitcnt vmcnt(1)
	ds_write_b64 v1, v[2:3]
.LBB50_305:
	s_or_b64 exec, exec, s[0:1]
	v_mov_b32_e32 v102, 0
	s_waitcnt lgkmcnt(0)
	; wave barrier
	ds_read_b128 v[14:17], v102 offset:480
	ds_read_b128 v[10:13], v102 offset:496
	;; [unrolled: 1-line block ×4, first 2 shown]
	scratch_load_dwordx4 v[18:21], off, off offset:64
	scratch_load_dwordx4 v[38:41], off, off offset:128
	;; [unrolled: 1-line block ×12, first 2 shown]
	v_cmp_lt_u32_e32 vcc, 6, v0
	scratch_load_dwordx4 v[46:49], off, off offset:144
	scratch_load_dwordx4 v[54:57], off, off offset:160
	;; [unrolled: 1-line block ×3, first 2 shown]
	ds_read_b128 v[238:241], v102 offset:752
	s_waitcnt vmcnt(14) lgkmcnt(4)
	v_mul_f32_e32 v22, v14, v19
	v_fmac_f32_e32 v22, v15, v18
	v_mul_f32_e32 v23, v16, v21
	v_add_f32_e32 v22, 0, v22
	v_fmac_f32_e32 v23, v17, v20
	v_add_f32_e32 v26, v22, v23
	scratch_load_dwordx4 v[22:25], off, off offset:80
	v_mul_f32_e32 v15, v15, v19
	v_fma_f32 v14, v14, v18, -v15
	v_mul_f32_e32 v15, v17, v21
	v_add_f32_e32 v14, 0, v14
	v_fma_f32 v15, v16, v20, -v15
	v_add_f32_e32 v14, v14, v15
	s_waitcnt vmcnt(4)
	v_mov_b32_e32 v18, v245
	s_waitcnt lgkmcnt(0)
	v_mul_f32_e32 v145, v238, v243
	v_pk_mul_f32 v[18:19], v[240:241], v[18:19] op_sel:[1,0] op_sel_hi:[0,0]
	v_fmac_f32_e32 v145, v239, v242
	v_pk_fma_f32 v[20:21], v[240:241], v[244:245], v[18:19] neg_lo:[0,0,1] neg_hi:[0,0,1]
	v_pk_fma_f32 v[18:19], v[240:241], v[244:245], v[18:19] op_sel_hi:[1,0,1]
	s_waitcnt vmcnt(0)
	v_mul_f32_e32 v27, v10, v23
	v_fmac_f32_e32 v27, v11, v22
	v_add_f32_e32 v26, v26, v27
	v_mul_f32_e32 v27, v12, v25
	v_fmac_f32_e32 v27, v13, v24
	v_add_f32_e32 v30, v26, v27
	scratch_load_dwordx4 v[26:29], off, off offset:96
	v_mul_f32_e32 v11, v11, v23
	v_fma_f32 v10, v10, v22, -v11
	v_mul_f32_e32 v11, v13, v25
	v_add_f32_e32 v10, v14, v10
	v_fma_f32 v11, v12, v24, -v11
	v_add_f32_e32 v10, v10, v11
	v_mov_b32_e32 v21, v19
	s_waitcnt vmcnt(0)
	v_mul_f32_e32 v31, v6, v27
	v_fmac_f32_e32 v31, v7, v26
	v_add_f32_e32 v30, v30, v31
	v_mul_f32_e32 v31, v8, v29
	v_fmac_f32_e32 v31, v9, v28
	v_add_f32_e32 v34, v30, v31
	scratch_load_dwordx4 v[30:33], off, off offset:112
	v_mul_f32_e32 v7, v7, v27
	v_fma_f32 v6, v6, v26, -v7
	v_mul_f32_e32 v7, v9, v29
	v_add_f32_e32 v6, v10, v6
	v_fma_f32 v7, v8, v28, -v7
	v_add_f32_e32 v6, v6, v7
	s_waitcnt vmcnt(0)
	v_mul_f32_e32 v35, v2, v31
	v_fmac_f32_e32 v35, v3, v30
	v_add_f32_e32 v34, v34, v35
	v_mul_f32_e32 v35, v4, v33
	v_fmac_f32_e32 v35, v5, v32
	v_add_f32_e32 v42, v34, v35
	ds_read_b128 v[34:37], v102 offset:544
	v_mul_f32_e32 v3, v3, v31
	v_fma_f32 v2, v2, v30, -v3
	v_mul_f32_e32 v3, v5, v33
	v_add_f32_e32 v2, v6, v2
	s_waitcnt lgkmcnt(0)
	v_mul_f32_e32 v43, v34, v39
	v_fmac_f32_e32 v43, v35, v38
	v_add_f32_e32 v42, v42, v43
	v_mul_f32_e32 v43, v36, v41
	v_fmac_f32_e32 v43, v37, v40
	v_add_f32_e32 v50, v42, v43
	ds_read_b128 v[42:45], v102 offset:560
	v_fma_f32 v3, v4, v32, -v3
	v_add_f32_e32 v2, v2, v3
	v_mul_f32_e32 v3, v35, v39
	v_fma_f32 v3, v34, v38, -v3
	s_waitcnt lgkmcnt(0)
	v_mul_f32_e32 v51, v42, v47
	v_fmac_f32_e32 v51, v43, v46
	v_add_f32_e32 v50, v50, v51
	v_mul_f32_e32 v51, v44, v49
	v_fmac_f32_e32 v51, v45, v48
	v_add_f32_e32 v58, v50, v51
	ds_read_b128 v[50:53], v102 offset:576
	v_add_f32_e32 v2, v2, v3
	v_mul_f32_e32 v3, v37, v41
	v_fma_f32 v3, v36, v40, -v3
	v_add_f32_e32 v2, v2, v3
	s_waitcnt lgkmcnt(0)
	v_mul_f32_e32 v59, v50, v55
	v_fmac_f32_e32 v59, v51, v54
	v_add_f32_e32 v58, v58, v59
	v_mul_f32_e32 v59, v52, v57
	v_fmac_f32_e32 v59, v53, v56
	v_add_f32_e32 v66, v58, v59
	ds_read_b128 v[58:61], v102 offset:592
	v_mul_f32_e32 v3, v43, v47
	v_fma_f32 v3, v42, v46, -v3
	v_add_f32_e32 v2, v2, v3
	v_mul_f32_e32 v3, v45, v49
	s_waitcnt lgkmcnt(0)
	v_mul_f32_e32 v67, v58, v63
	v_fmac_f32_e32 v67, v59, v62
	v_add_f32_e32 v66, v66, v67
	v_mul_f32_e32 v67, v60, v65
	v_fmac_f32_e32 v67, v61, v64
	v_add_f32_e32 v74, v66, v67
	ds_read_b128 v[66:69], v102 offset:608
	v_fma_f32 v3, v44, v48, -v3
	v_add_f32_e32 v2, v2, v3
	v_mul_f32_e32 v3, v51, v55
	v_fma_f32 v3, v50, v54, -v3
	s_waitcnt lgkmcnt(0)
	v_mul_f32_e32 v75, v66, v71
	v_fmac_f32_e32 v75, v67, v70
	v_add_f32_e32 v74, v74, v75
	v_mul_f32_e32 v75, v68, v73
	v_fmac_f32_e32 v75, v69, v72
	v_add_f32_e32 v82, v74, v75
	ds_read_b128 v[74:77], v102 offset:624
	v_add_f32_e32 v2, v2, v3
	v_mul_f32_e32 v3, v53, v57
	v_fma_f32 v3, v52, v56, -v3
	v_add_f32_e32 v2, v2, v3
	s_waitcnt lgkmcnt(0)
	v_mul_f32_e32 v83, v74, v79
	v_fmac_f32_e32 v83, v75, v78
	v_add_f32_e32 v82, v82, v83
	v_mul_f32_e32 v83, v76, v81
	v_fmac_f32_e32 v83, v77, v80
	v_add_f32_e32 v90, v82, v83
	ds_read_b128 v[82:85], v102 offset:640
	v_mul_f32_e32 v3, v59, v63
	v_fma_f32 v3, v58, v62, -v3
	v_add_f32_e32 v2, v2, v3
	v_mul_f32_e32 v3, v61, v65
	s_waitcnt lgkmcnt(0)
	v_mul_f32_e32 v91, v82, v87
	v_fmac_f32_e32 v91, v83, v86
	v_add_f32_e32 v90, v90, v91
	v_mul_f32_e32 v91, v84, v89
	v_fmac_f32_e32 v91, v85, v88
	v_add_f32_e32 v98, v90, v91
	ds_read_b128 v[90:93], v102 offset:656
	v_fma_f32 v3, v60, v64, -v3
	v_add_f32_e32 v2, v2, v3
	v_mul_f32_e32 v3, v67, v71
	v_fma_f32 v3, v66, v70, -v3
	s_waitcnt lgkmcnt(0)
	v_mul_f32_e32 v99, v90, v95
	v_fmac_f32_e32 v99, v91, v94
	v_add_f32_e32 v98, v98, v99
	v_mul_f32_e32 v99, v92, v97
	v_fmac_f32_e32 v99, v93, v96
	v_add_f32_e32 v103, v98, v99
	ds_read_b128 v[98:101], v102 offset:672
	v_add_f32_e32 v2, v2, v3
	v_mul_f32_e32 v3, v69, v73
	v_fma_f32 v3, v68, v72, -v3
	v_add_f32_e32 v2, v2, v3
	s_waitcnt lgkmcnt(0)
	v_mul_f32_e32 v108, v98, v105
	v_fmac_f32_e32 v108, v99, v104
	v_add_f32_e32 v103, v103, v108
	v_mul_f32_e32 v108, v100, v107
	v_fmac_f32_e32 v108, v101, v106
	v_add_f32_e32 v103, v103, v108
	ds_read_b128 v[108:111], v102 offset:688
	v_mul_f32_e32 v3, v75, v79
	v_fma_f32 v3, v74, v78, -v3
	v_add_f32_e32 v2, v2, v3
	v_mul_f32_e32 v3, v77, v81
	s_waitcnt lgkmcnt(0)
	v_mul_f32_e32 v116, v108, v113
	v_fmac_f32_e32 v116, v109, v112
	v_add_f32_e32 v103, v103, v116
	v_mul_f32_e32 v116, v110, v115
	v_fmac_f32_e32 v116, v111, v114
	v_add_f32_e32 v103, v103, v116
	ds_read_b128 v[116:119], v102 offset:704
	v_fma_f32 v3, v76, v80, -v3
	v_add_f32_e32 v2, v2, v3
	v_mul_f32_e32 v3, v83, v87
	v_fma_f32 v3, v82, v86, -v3
	s_waitcnt lgkmcnt(0)
	v_mul_f32_e32 v124, v116, v121
	v_fmac_f32_e32 v124, v117, v120
	v_add_f32_e32 v103, v103, v124
	v_mul_f32_e32 v124, v118, v123
	v_fmac_f32_e32 v124, v119, v122
	v_add_f32_e32 v103, v103, v124
	ds_read_b128 v[124:127], v102 offset:720
	v_add_f32_e32 v2, v2, v3
	v_mul_f32_e32 v3, v85, v89
	v_fma_f32 v3, v84, v88, -v3
	v_add_f32_e32 v2, v2, v3
	s_waitcnt lgkmcnt(0)
	v_mul_f32_e32 v132, v124, v129
	v_fmac_f32_e32 v132, v125, v128
	v_add_f32_e32 v103, v103, v132
	v_mul_f32_e32 v132, v126, v131
	v_fmac_f32_e32 v132, v127, v130
	v_add_f32_e32 v103, v103, v132
	ds_read_b128 v[132:135], v102 offset:736
	v_mul_f32_e32 v3, v91, v95
	v_fma_f32 v3, v90, v94, -v3
	v_add_f32_e32 v2, v2, v3
	v_mul_f32_e32 v3, v93, v97
	s_waitcnt lgkmcnt(0)
	v_mul_f32_e32 v136, v132, v235
	v_fmac_f32_e32 v136, v133, v234
	v_add_f32_e32 v141, v103, v136
	scratch_load_dwordx4 v[246:249], off, off offset:352
	scratch_load_dwordx4 v[250:253], off, off offset:368
	;; [unrolled: 1-line block ×3, first 2 shown]
	scratch_load_dwordx2 v[146:147], off, off offset:400
	v_fma_f32 v3, v92, v96, -v3
	v_add_f32_e32 v2, v2, v3
	v_mul_f32_e32 v3, v99, v105
	v_fma_f32 v3, v98, v104, -v3
	v_add_f32_e32 v2, v2, v3
	v_mul_f32_e32 v3, v101, v107
	;; [unrolled: 3-line block ×10, first 2 shown]
	v_mul_f32_e32 v143, v134, v237
	v_fma_f32 v142, v134, v236, -v2
	v_mul_f32_e32 v2, v239, v243
	v_fmac_f32_e32 v143, v135, v236
	v_fma_f32 v144, v238, v242, -v2
	ds_read_b128 v[2:5], v102 offset:768
	ds_read_b128 v[6:9], v102 offset:784
	;; [unrolled: 1-line block ×3, first 2 shown]
	ds_read_b64 v[14:15], v102 offset:816
	v_pk_add_f32 v[16:17], v[140:141], v[142:143]
	s_waitcnt vmcnt(3) lgkmcnt(3)
	v_pk_mul_f32 v[18:19], v[2:3], v[246:247] op_sel:[1,1] op_sel_hi:[0,1]
	v_pk_add_f32 v[16:17], v[16:17], v[144:145]
	s_nop 0
	v_pk_add_f32 v[16:17], v[16:17], v[20:21]
	v_pk_fma_f32 v[20:21], v[2:3], v[246:247], v[18:19] neg_lo:[0,0,1] neg_hi:[0,0,1]
	v_pk_fma_f32 v[2:3], v[2:3], v[246:247], v[18:19] op_sel_hi:[1,0,1]
	s_nop 0
	v_mov_b32_e32 v21, v3
	v_pk_add_f32 v[2:3], v[16:17], v[20:21]
	v_mov_b32_e32 v16, v249
	v_pk_mul_f32 v[16:17], v[4:5], v[16:17] op_sel:[1,0] op_sel_hi:[0,0]
	v_pk_fma_f32 v[18:19], v[4:5], v[248:249], v[16:17] neg_lo:[0,0,1] neg_hi:[0,0,1]
	v_pk_fma_f32 v[4:5], v[4:5], v[248:249], v[16:17] op_sel_hi:[1,0,1]
	s_nop 0
	v_mov_b32_e32 v19, v5
	s_waitcnt vmcnt(2) lgkmcnt(2)
	v_pk_mul_f32 v[4:5], v[6:7], v[250:251] op_sel:[1,1] op_sel_hi:[0,1]
	v_pk_fma_f32 v[16:17], v[6:7], v[250:251], v[4:5] neg_lo:[0,0,1] neg_hi:[0,0,1]
	v_pk_fma_f32 v[4:5], v[6:7], v[250:251], v[4:5] op_sel_hi:[1,0,1]
	v_pk_add_f32 v[2:3], v[2:3], v[18:19]
	v_mov_b32_e32 v4, v253
	v_mov_b32_e32 v17, v5
	v_pk_mul_f32 v[4:5], v[8:9], v[4:5] op_sel:[1,0] op_sel_hi:[0,0]
	v_pk_fma_f32 v[6:7], v[8:9], v[252:253], v[4:5] neg_lo:[0,0,1] neg_hi:[0,0,1]
	v_pk_fma_f32 v[4:5], v[8:9], v[252:253], v[4:5] op_sel_hi:[1,0,1]
	v_pk_add_f32 v[2:3], v[2:3], v[16:17]
	v_mov_b32_e32 v7, v5
	s_waitcnt vmcnt(1) lgkmcnt(1)
	v_pk_mul_f32 v[4:5], v[10:11], v[136:137] op_sel:[1,1] op_sel_hi:[0,1]
	v_pk_add_f32 v[2:3], v[2:3], v[6:7]
	v_pk_fma_f32 v[6:7], v[10:11], v[136:137], v[4:5] neg_lo:[0,0,1] neg_hi:[0,0,1]
	v_pk_fma_f32 v[4:5], v[10:11], v[136:137], v[4:5] op_sel_hi:[1,0,1]
	s_nop 0
	v_mov_b32_e32 v4, v139
	v_mov_b32_e32 v7, v5
	v_pk_mul_f32 v[4:5], v[12:13], v[4:5] op_sel:[1,0] op_sel_hi:[0,0]
	v_pk_add_f32 v[2:3], v[2:3], v[6:7]
	v_pk_fma_f32 v[6:7], v[12:13], v[138:139], v[4:5] neg_lo:[0,0,1] neg_hi:[0,0,1]
	v_pk_fma_f32 v[4:5], v[12:13], v[138:139], v[4:5] op_sel_hi:[1,0,1]
	s_nop 0
	v_mov_b32_e32 v7, v5
	s_waitcnt vmcnt(0) lgkmcnt(0)
	v_pk_mul_f32 v[4:5], v[14:15], v[146:147] op_sel:[1,1] op_sel_hi:[0,1]
	v_pk_add_f32 v[2:3], v[2:3], v[6:7]
	v_pk_fma_f32 v[6:7], v[14:15], v[146:147], v[4:5] neg_lo:[0,0,1] neg_hi:[0,0,1]
	v_pk_fma_f32 v[4:5], v[14:15], v[146:147], v[4:5] op_sel_hi:[1,0,1]
	s_nop 0
	v_mov_b32_e32 v7, v5
	scratch_load_dwordx2 v[4:5], off, off offset:56
	v_pk_add_f32 v[2:3], v[2:3], v[6:7]
	s_waitcnt vmcnt(0)
	v_pk_add_f32 v[2:3], v[4:5], v[2:3] neg_lo:[0,1] neg_hi:[0,1]
	scratch_store_dwordx2 off, v[2:3], off offset:56
	s_and_saveexec_b64 s[0:1], vcc
	s_cbranch_execz .LBB50_307
; %bb.306:
	scratch_load_dwordx2 v[2:3], off, off offset:48
	v_mov_b32_e32 v103, v102
	scratch_store_dwordx2 off, v[102:103], off offset:48
	s_waitcnt vmcnt(1)
	ds_write_b64 v1, v[2:3]
.LBB50_307:
	s_or_b64 exec, exec, s[0:1]
	s_waitcnt lgkmcnt(0)
	; wave barrier
	scratch_load_dwordx4 v[6:9], off, off offset:56
	scratch_load_dwordx4 v[14:17], off, off offset:72
	;; [unrolled: 1-line block ×10, first 2 shown]
	ds_read2_b64 v[2:5], v102 offset0:59 offset1:60
	ds_read2_b64 v[234:237], v102 offset0:93 offset1:94
	scratch_load_dwordx4 v[86:89], off, off offset:216
	scratch_load_dwordx4 v[94:97], off, off offset:232
	;; [unrolled: 1-line block ×8, first 2 shown]
	v_cmp_lt_u32_e32 vcc, 5, v0
	s_waitcnt vmcnt(17) lgkmcnt(1)
	v_mul_f32_e32 v10, v2, v7
	v_fmac_f32_e32 v10, v3, v6
	v_mul_f32_e32 v11, v4, v9
	v_add_f32_e32 v10, 0, v10
	v_fmac_f32_e32 v11, v5, v8
	v_add_f32_e32 v18, v10, v11
	ds_read2_b64 v[10:13], v102 offset0:61 offset1:62
	v_mul_f32_e32 v3, v3, v7
	v_fma_f32 v2, v2, v6, -v3
	v_mul_f32_e32 v3, v5, v9
	v_add_f32_e32 v2, 0, v2
	s_waitcnt vmcnt(16) lgkmcnt(0)
	v_mul_f32_e32 v19, v10, v15
	v_fmac_f32_e32 v19, v11, v14
	v_add_f32_e32 v18, v18, v19
	v_mul_f32_e32 v19, v12, v17
	v_fmac_f32_e32 v19, v13, v16
	v_add_f32_e32 v26, v18, v19
	ds_read2_b64 v[18:21], v102 offset0:63 offset1:64
	v_fma_f32 v3, v4, v8, -v3
	v_add_f32_e32 v2, v2, v3
	v_mul_f32_e32 v3, v11, v15
	v_fma_f32 v3, v10, v14, -v3
	s_waitcnt vmcnt(15) lgkmcnt(0)
	v_mul_f32_e32 v27, v18, v23
	v_fmac_f32_e32 v27, v19, v22
	v_add_f32_e32 v26, v26, v27
	v_mul_f32_e32 v27, v20, v25
	v_fmac_f32_e32 v27, v21, v24
	v_add_f32_e32 v34, v26, v27
	ds_read2_b64 v[26:29], v102 offset0:65 offset1:66
	v_add_f32_e32 v2, v2, v3
	v_mul_f32_e32 v3, v13, v17
	v_fma_f32 v3, v12, v16, -v3
	v_add_f32_e32 v2, v2, v3
	s_waitcnt vmcnt(14) lgkmcnt(0)
	v_mul_f32_e32 v35, v26, v31
	v_fmac_f32_e32 v35, v27, v30
	v_add_f32_e32 v34, v34, v35
	v_mul_f32_e32 v35, v28, v33
	v_fmac_f32_e32 v35, v29, v32
	v_add_f32_e32 v42, v34, v35
	ds_read2_b64 v[34:37], v102 offset0:67 offset1:68
	v_mul_f32_e32 v3, v19, v23
	v_fma_f32 v3, v18, v22, -v3
	v_add_f32_e32 v2, v2, v3
	v_mul_f32_e32 v3, v21, v25
	s_waitcnt vmcnt(13) lgkmcnt(0)
	v_mul_f32_e32 v43, v34, v39
	v_fmac_f32_e32 v43, v35, v38
	v_add_f32_e32 v42, v42, v43
	v_mul_f32_e32 v43, v36, v41
	v_fmac_f32_e32 v43, v37, v40
	v_add_f32_e32 v50, v42, v43
	ds_read2_b64 v[42:45], v102 offset0:69 offset1:70
	v_fma_f32 v3, v20, v24, -v3
	v_add_f32_e32 v2, v2, v3
	v_mul_f32_e32 v3, v27, v31
	v_fma_f32 v3, v26, v30, -v3
	s_waitcnt vmcnt(12) lgkmcnt(0)
	v_mul_f32_e32 v51, v42, v47
	v_fmac_f32_e32 v51, v43, v46
	v_add_f32_e32 v50, v50, v51
	v_mul_f32_e32 v51, v44, v49
	v_fmac_f32_e32 v51, v45, v48
	v_add_f32_e32 v58, v50, v51
	ds_read2_b64 v[50:53], v102 offset0:71 offset1:72
	v_add_f32_e32 v2, v2, v3
	v_mul_f32_e32 v3, v29, v33
	v_fma_f32 v3, v28, v32, -v3
	v_add_f32_e32 v2, v2, v3
	s_waitcnt vmcnt(11) lgkmcnt(0)
	v_mul_f32_e32 v59, v50, v55
	v_fmac_f32_e32 v59, v51, v54
	v_add_f32_e32 v58, v58, v59
	v_mul_f32_e32 v59, v52, v57
	v_fmac_f32_e32 v59, v53, v56
	v_add_f32_e32 v66, v58, v59
	ds_read2_b64 v[58:61], v102 offset0:73 offset1:74
	v_mul_f32_e32 v3, v35, v39
	v_fma_f32 v3, v34, v38, -v3
	v_add_f32_e32 v2, v2, v3
	v_mul_f32_e32 v3, v37, v41
	;; [unrolled: 36-line block ×5, first 2 shown]
	s_waitcnt vmcnt(1) lgkmcnt(0)
	v_mul_f32_e32 v140, v132, v137
	v_fmac_f32_e32 v140, v133, v136
	v_add_f32_e32 v103, v103, v140
	v_mul_f32_e32 v140, v134, v139
	v_fmac_f32_e32 v140, v135, v138
	v_add_f32_e32 v145, v103, v140
	scratch_load_dwordx4 v[242:245], off, off offset:344
	scratch_load_dwordx4 v[246:249], off, off offset:360
	;; [unrolled: 1-line block ×4, first 2 shown]
	v_fma_f32 v3, v84, v88, -v3
	v_add_f32_e32 v2, v2, v3
	v_mul_f32_e32 v3, v91, v95
	v_fma_f32 v3, v90, v94, -v3
	v_add_f32_e32 v2, v2, v3
	v_mul_f32_e32 v3, v93, v97
	v_fma_f32 v3, v92, v96, -v3
	v_add_f32_e32 v2, v2, v3
	v_mul_f32_e32 v3, v99, v105
	v_fma_f32 v3, v98, v104, -v3
	v_add_f32_e32 v2, v2, v3
	v_mul_f32_e32 v3, v101, v107
	v_fma_f32 v3, v100, v106, -v3
	v_add_f32_e32 v2, v2, v3
	v_mul_f32_e32 v3, v109, v113
	v_fma_f32 v3, v108, v112, -v3
	v_add_f32_e32 v2, v2, v3
	v_mul_f32_e32 v3, v111, v115
	v_fma_f32 v3, v110, v114, -v3
	v_add_f32_e32 v2, v2, v3
	v_mul_f32_e32 v3, v117, v121
	v_fma_f32 v3, v116, v120, -v3
	v_add_f32_e32 v2, v2, v3
	v_mul_f32_e32 v3, v119, v123
	v_fma_f32 v3, v118, v122, -v3
	v_add_f32_e32 v2, v2, v3
	v_mul_f32_e32 v3, v125, v129
	v_fma_f32 v3, v124, v128, -v3
	v_add_f32_e32 v2, v2, v3
	v_mul_f32_e32 v3, v127, v131
	v_fma_f32 v3, v126, v130, -v3
	v_add_f32_e32 v2, v2, v3
	v_mul_f32_e32 v3, v133, v137
	v_fma_f32 v3, v132, v136, -v3
	v_add_f32_e32 v2, v2, v3
	v_mul_f32_e32 v3, v135, v139
	v_fma_f32 v3, v134, v138, -v3
	v_add_f32_e32 v144, v2, v3
	s_waitcnt vmcnt(4)
	v_mul_f32_e32 v2, v235, v239
	v_fma_f32 v146, v234, v238, -v2
	v_mul_f32_e32 v2, v237, v241
	v_fma_f32 v148, v236, v240, -v2
	ds_read2_b64 v[2:5], v102 offset0:95 offset1:96
	ds_read2_b64 v[6:9], v102 offset0:97 offset1:98
	;; [unrolled: 1-line block ×4, first 2 shown]
	v_mul_f32_e32 v147, v234, v239
	v_fmac_f32_e32 v147, v235, v238
	v_mul_f32_e32 v149, v236, v241
	v_fmac_f32_e32 v149, v237, v240
	v_pk_add_f32 v[18:19], v[144:145], v[146:147]
	s_waitcnt vmcnt(3) lgkmcnt(3)
	v_pk_mul_f32 v[20:21], v[2:3], v[242:243] op_sel:[1,1] op_sel_hi:[0,1]
	v_pk_fma_f32 v[22:23], v[2:3], v[242:243], v[20:21] neg_lo:[0,0,1] neg_hi:[0,0,1]
	v_pk_fma_f32 v[2:3], v[2:3], v[242:243], v[20:21] op_sel_hi:[1,0,1]
	v_pk_add_f32 v[18:19], v[18:19], v[148:149]
	v_mov_b32_e32 v23, v3
	v_pk_add_f32 v[2:3], v[18:19], v[22:23]
	v_mov_b32_e32 v18, v245
	v_pk_mul_f32 v[18:19], v[4:5], v[18:19] op_sel:[1,0] op_sel_hi:[0,0]
	v_pk_fma_f32 v[20:21], v[4:5], v[244:245], v[18:19] neg_lo:[0,0,1] neg_hi:[0,0,1]
	v_pk_fma_f32 v[4:5], v[4:5], v[244:245], v[18:19] op_sel_hi:[1,0,1]
	s_nop 0
	v_mov_b32_e32 v21, v5
	s_waitcnt vmcnt(2) lgkmcnt(2)
	v_pk_mul_f32 v[4:5], v[6:7], v[246:247] op_sel:[1,1] op_sel_hi:[0,1]
	v_pk_fma_f32 v[18:19], v[6:7], v[246:247], v[4:5] neg_lo:[0,0,1] neg_hi:[0,0,1]
	v_pk_fma_f32 v[4:5], v[6:7], v[246:247], v[4:5] op_sel_hi:[1,0,1]
	v_pk_add_f32 v[2:3], v[2:3], v[20:21]
	v_mov_b32_e32 v4, v249
	v_mov_b32_e32 v19, v5
	v_pk_mul_f32 v[4:5], v[8:9], v[4:5] op_sel:[1,0] op_sel_hi:[0,0]
	v_pk_fma_f32 v[6:7], v[8:9], v[248:249], v[4:5] neg_lo:[0,0,1] neg_hi:[0,0,1]
	v_pk_fma_f32 v[4:5], v[8:9], v[248:249], v[4:5] op_sel_hi:[1,0,1]
	v_pk_add_f32 v[2:3], v[2:3], v[18:19]
	v_mov_b32_e32 v7, v5
	s_waitcnt vmcnt(1) lgkmcnt(1)
	v_pk_mul_f32 v[4:5], v[10:11], v[250:251] op_sel:[1,1] op_sel_hi:[0,1]
	v_pk_add_f32 v[2:3], v[2:3], v[6:7]
	v_pk_fma_f32 v[6:7], v[10:11], v[250:251], v[4:5] neg_lo:[0,0,1] neg_hi:[0,0,1]
	v_pk_fma_f32 v[4:5], v[10:11], v[250:251], v[4:5] op_sel_hi:[1,0,1]
	s_nop 0
	v_mov_b32_e32 v4, v253
	v_mov_b32_e32 v7, v5
	v_pk_mul_f32 v[4:5], v[12:13], v[4:5] op_sel:[1,0] op_sel_hi:[0,0]
	v_pk_add_f32 v[2:3], v[2:3], v[6:7]
	v_pk_fma_f32 v[6:7], v[12:13], v[252:253], v[4:5] neg_lo:[0,0,1] neg_hi:[0,0,1]
	v_pk_fma_f32 v[4:5], v[12:13], v[252:253], v[4:5] op_sel_hi:[1,0,1]
	s_nop 0
	v_mov_b32_e32 v7, v5
	s_waitcnt vmcnt(0) lgkmcnt(0)
	v_pk_mul_f32 v[4:5], v[14:15], v[140:141] op_sel:[1,1] op_sel_hi:[0,1]
	v_pk_add_f32 v[2:3], v[2:3], v[6:7]
	v_pk_fma_f32 v[6:7], v[14:15], v[140:141], v[4:5] neg_lo:[0,0,1] neg_hi:[0,0,1]
	v_pk_fma_f32 v[4:5], v[14:15], v[140:141], v[4:5] op_sel_hi:[1,0,1]
	s_nop 0
	v_mov_b32_e32 v4, v143
	v_mov_b32_e32 v7, v5
	v_pk_mul_f32 v[4:5], v[16:17], v[4:5] op_sel:[1,0] op_sel_hi:[0,0]
	v_pk_add_f32 v[2:3], v[2:3], v[6:7]
	v_pk_fma_f32 v[6:7], v[16:17], v[142:143], v[4:5] neg_lo:[0,0,1] neg_hi:[0,0,1]
	v_pk_fma_f32 v[4:5], v[16:17], v[142:143], v[4:5] op_sel_hi:[1,0,1]
	s_nop 0
	v_mov_b32_e32 v7, v5
	scratch_load_dwordx2 v[4:5], off, off offset:48
	v_pk_add_f32 v[2:3], v[2:3], v[6:7]
	s_waitcnt vmcnt(0)
	v_pk_add_f32 v[2:3], v[4:5], v[2:3] neg_lo:[0,1] neg_hi:[0,1]
	scratch_store_dwordx2 off, v[2:3], off offset:48
	s_and_saveexec_b64 s[0:1], vcc
	s_cbranch_execz .LBB50_309
; %bb.308:
	scratch_load_dwordx2 v[2:3], off, off offset:40
	v_mov_b32_e32 v4, 0
	v_mov_b32_e32 v5, v4
	scratch_store_dwordx2 off, v[4:5], off offset:40
	s_waitcnt vmcnt(1)
	ds_write_b64 v1, v[2:3]
.LBB50_309:
	s_or_b64 exec, exec, s[0:1]
	v_mov_b32_e32 v110, 0
	s_waitcnt lgkmcnt(0)
	; wave barrier
	ds_read_b128 v[14:17], v110 offset:464
	ds_read_b128 v[10:13], v110 offset:480
	;; [unrolled: 1-line block ×4, first 2 shown]
	scratch_load_dwordx4 v[18:21], off, off offset:48
	scratch_load_dwordx4 v[38:41], off, off offset:112
	;; [unrolled: 1-line block ×13, first 2 shown]
	v_cmp_lt_u32_e32 vcc, 4, v0
	scratch_load_dwordx4 v[46:49], off, off offset:128
	scratch_load_dwordx4 v[54:57], off, off offset:144
	;; [unrolled: 1-line block ×3, first 2 shown]
	ds_read_b128 v[238:241], v110 offset:752
	s_waitcnt vmcnt(15) lgkmcnt(4)
	v_mul_f32_e32 v22, v14, v19
	v_fmac_f32_e32 v22, v15, v18
	v_mul_f32_e32 v23, v16, v21
	v_add_f32_e32 v22, 0, v22
	v_fmac_f32_e32 v23, v17, v20
	v_add_f32_e32 v26, v22, v23
	scratch_load_dwordx4 v[22:25], off, off offset:64
	v_mul_f32_e32 v15, v15, v19
	v_fma_f32 v14, v14, v18, -v15
	v_mul_f32_e32 v15, v17, v21
	v_add_f32_e32 v14, 0, v14
	v_fma_f32 v15, v16, v20, -v15
	v_add_f32_e32 v14, v14, v15
	s_waitcnt vmcnt(4)
	v_mov_b32_e32 v18, v245
	s_waitcnt lgkmcnt(0)
	v_mul_f32_e32 v153, v238, v243
	v_pk_mul_f32 v[18:19], v[240:241], v[18:19] op_sel:[1,0] op_sel_hi:[0,0]
	v_fmac_f32_e32 v153, v239, v242
	v_pk_fma_f32 v[20:21], v[240:241], v[244:245], v[18:19] neg_lo:[0,0,1] neg_hi:[0,0,1]
	v_pk_fma_f32 v[18:19], v[240:241], v[244:245], v[18:19] op_sel_hi:[1,0,1]
	s_waitcnt vmcnt(0)
	v_mul_f32_e32 v27, v10, v23
	v_fmac_f32_e32 v27, v11, v22
	v_add_f32_e32 v26, v26, v27
	v_mul_f32_e32 v27, v12, v25
	v_fmac_f32_e32 v27, v13, v24
	v_add_f32_e32 v30, v26, v27
	scratch_load_dwordx4 v[26:29], off, off offset:80
	v_mul_f32_e32 v11, v11, v23
	v_fma_f32 v10, v10, v22, -v11
	v_mul_f32_e32 v11, v13, v25
	v_add_f32_e32 v10, v14, v10
	v_fma_f32 v11, v12, v24, -v11
	v_add_f32_e32 v10, v10, v11
	v_mov_b32_e32 v21, v19
	s_waitcnt vmcnt(0)
	v_mul_f32_e32 v31, v6, v27
	v_fmac_f32_e32 v31, v7, v26
	v_add_f32_e32 v30, v30, v31
	v_mul_f32_e32 v31, v8, v29
	v_fmac_f32_e32 v31, v9, v28
	v_add_f32_e32 v34, v30, v31
	scratch_load_dwordx4 v[30:33], off, off offset:96
	v_mul_f32_e32 v7, v7, v27
	v_fma_f32 v6, v6, v26, -v7
	v_mul_f32_e32 v7, v9, v29
	v_add_f32_e32 v6, v10, v6
	v_fma_f32 v7, v8, v28, -v7
	v_add_f32_e32 v6, v6, v7
	s_waitcnt vmcnt(0)
	v_mul_f32_e32 v35, v2, v31
	v_fmac_f32_e32 v35, v3, v30
	v_add_f32_e32 v34, v34, v35
	v_mul_f32_e32 v35, v4, v33
	v_fmac_f32_e32 v35, v5, v32
	v_add_f32_e32 v42, v34, v35
	ds_read_b128 v[34:37], v110 offset:528
	v_mul_f32_e32 v3, v3, v31
	v_fma_f32 v2, v2, v30, -v3
	v_mul_f32_e32 v3, v5, v33
	v_add_f32_e32 v2, v6, v2
	s_waitcnt lgkmcnt(0)
	v_mul_f32_e32 v43, v34, v39
	v_fmac_f32_e32 v43, v35, v38
	v_add_f32_e32 v42, v42, v43
	v_mul_f32_e32 v43, v36, v41
	v_fmac_f32_e32 v43, v37, v40
	v_add_f32_e32 v50, v42, v43
	ds_read_b128 v[42:45], v110 offset:544
	v_fma_f32 v3, v4, v32, -v3
	v_add_f32_e32 v2, v2, v3
	v_mul_f32_e32 v3, v35, v39
	v_fma_f32 v3, v34, v38, -v3
	s_waitcnt lgkmcnt(0)
	v_mul_f32_e32 v51, v42, v47
	v_fmac_f32_e32 v51, v43, v46
	v_add_f32_e32 v50, v50, v51
	v_mul_f32_e32 v51, v44, v49
	v_fmac_f32_e32 v51, v45, v48
	v_add_f32_e32 v58, v50, v51
	ds_read_b128 v[50:53], v110 offset:560
	v_add_f32_e32 v2, v2, v3
	v_mul_f32_e32 v3, v37, v41
	v_fma_f32 v3, v36, v40, -v3
	v_add_f32_e32 v2, v2, v3
	s_waitcnt lgkmcnt(0)
	v_mul_f32_e32 v59, v50, v55
	v_fmac_f32_e32 v59, v51, v54
	v_add_f32_e32 v58, v58, v59
	v_mul_f32_e32 v59, v52, v57
	v_fmac_f32_e32 v59, v53, v56
	v_add_f32_e32 v66, v58, v59
	ds_read_b128 v[58:61], v110 offset:576
	v_mul_f32_e32 v3, v43, v47
	v_fma_f32 v3, v42, v46, -v3
	v_add_f32_e32 v2, v2, v3
	v_mul_f32_e32 v3, v45, v49
	s_waitcnt lgkmcnt(0)
	v_mul_f32_e32 v67, v58, v63
	v_fmac_f32_e32 v67, v59, v62
	v_add_f32_e32 v66, v66, v67
	v_mul_f32_e32 v67, v60, v65
	v_fmac_f32_e32 v67, v61, v64
	v_add_f32_e32 v74, v66, v67
	ds_read_b128 v[66:69], v110 offset:592
	v_fma_f32 v3, v44, v48, -v3
	v_add_f32_e32 v2, v2, v3
	v_mul_f32_e32 v3, v51, v55
	v_fma_f32 v3, v50, v54, -v3
	s_waitcnt lgkmcnt(0)
	v_mul_f32_e32 v75, v66, v71
	v_fmac_f32_e32 v75, v67, v70
	v_add_f32_e32 v74, v74, v75
	v_mul_f32_e32 v75, v68, v73
	v_fmac_f32_e32 v75, v69, v72
	v_add_f32_e32 v82, v74, v75
	ds_read_b128 v[74:77], v110 offset:608
	v_add_f32_e32 v2, v2, v3
	v_mul_f32_e32 v3, v53, v57
	v_fma_f32 v3, v52, v56, -v3
	v_add_f32_e32 v2, v2, v3
	s_waitcnt lgkmcnt(0)
	v_mul_f32_e32 v83, v74, v79
	v_fmac_f32_e32 v83, v75, v78
	v_add_f32_e32 v82, v82, v83
	v_mul_f32_e32 v83, v76, v81
	v_fmac_f32_e32 v83, v77, v80
	v_add_f32_e32 v90, v82, v83
	ds_read_b128 v[82:85], v110 offset:624
	v_mul_f32_e32 v3, v59, v63
	v_fma_f32 v3, v58, v62, -v3
	v_add_f32_e32 v2, v2, v3
	v_mul_f32_e32 v3, v61, v65
	;; [unrolled: 36-line block ×4, first 2 shown]
	s_waitcnt lgkmcnt(0)
	v_mul_f32_e32 v140, v132, v137
	v_fmac_f32_e32 v140, v133, v136
	v_add_f32_e32 v111, v111, v140
	v_mul_f32_e32 v140, v134, v139
	v_fmac_f32_e32 v140, v135, v138
	v_add_f32_e32 v111, v111, v140
	ds_read_b128 v[140:143], v110 offset:736
	v_fma_f32 v3, v92, v96, -v3
	v_add_f32_e32 v2, v2, v3
	v_mul_f32_e32 v3, v99, v103
	v_fma_f32 v3, v98, v102, -v3
	s_waitcnt lgkmcnt(0)
	v_mul_f32_e32 v144, v140, v235
	v_fmac_f32_e32 v144, v141, v234
	v_add_f32_e32 v149, v111, v144
	scratch_load_dwordx4 v[246:249], off, off offset:352
	scratch_load_dwordx4 v[250:253], off, off offset:368
	;; [unrolled: 1-line block ×3, first 2 shown]
	scratch_load_dwordx2 v[154:155], off, off offset:400
	v_add_f32_e32 v2, v2, v3
	v_mul_f32_e32 v3, v101, v105
	v_fma_f32 v3, v100, v104, -v3
	v_add_f32_e32 v2, v2, v3
	v_mul_f32_e32 v3, v107, v113
	v_fma_f32 v3, v106, v112, -v3
	;; [unrolled: 3-line block ×10, first 2 shown]
	v_add_f32_e32 v148, v2, v3
	v_mul_f32_e32 v2, v143, v237
	v_mul_f32_e32 v151, v142, v237
	v_fma_f32 v150, v142, v236, -v2
	v_mul_f32_e32 v2, v239, v243
	v_fmac_f32_e32 v151, v143, v236
	v_fma_f32 v152, v238, v242, -v2
	ds_read_b128 v[2:5], v110 offset:768
	ds_read_b128 v[6:9], v110 offset:784
	;; [unrolled: 1-line block ×3, first 2 shown]
	ds_read_b64 v[14:15], v110 offset:816
	v_pk_add_f32 v[16:17], v[148:149], v[150:151]
	s_waitcnt vmcnt(3) lgkmcnt(3)
	v_pk_mul_f32 v[18:19], v[2:3], v[246:247] op_sel:[1,1] op_sel_hi:[0,1]
	v_pk_add_f32 v[16:17], v[16:17], v[152:153]
	s_nop 0
	v_pk_add_f32 v[16:17], v[16:17], v[20:21]
	v_pk_fma_f32 v[20:21], v[2:3], v[246:247], v[18:19] neg_lo:[0,0,1] neg_hi:[0,0,1]
	v_pk_fma_f32 v[2:3], v[2:3], v[246:247], v[18:19] op_sel_hi:[1,0,1]
	s_nop 0
	v_mov_b32_e32 v21, v3
	v_pk_add_f32 v[2:3], v[16:17], v[20:21]
	v_mov_b32_e32 v16, v249
	v_pk_mul_f32 v[16:17], v[4:5], v[16:17] op_sel:[1,0] op_sel_hi:[0,0]
	v_pk_fma_f32 v[18:19], v[4:5], v[248:249], v[16:17] neg_lo:[0,0,1] neg_hi:[0,0,1]
	v_pk_fma_f32 v[4:5], v[4:5], v[248:249], v[16:17] op_sel_hi:[1,0,1]
	s_nop 0
	v_mov_b32_e32 v19, v5
	s_waitcnt vmcnt(2) lgkmcnt(2)
	v_pk_mul_f32 v[4:5], v[6:7], v[250:251] op_sel:[1,1] op_sel_hi:[0,1]
	v_pk_fma_f32 v[16:17], v[6:7], v[250:251], v[4:5] neg_lo:[0,0,1] neg_hi:[0,0,1]
	v_pk_fma_f32 v[4:5], v[6:7], v[250:251], v[4:5] op_sel_hi:[1,0,1]
	v_pk_add_f32 v[2:3], v[2:3], v[18:19]
	v_mov_b32_e32 v4, v253
	v_mov_b32_e32 v17, v5
	v_pk_mul_f32 v[4:5], v[8:9], v[4:5] op_sel:[1,0] op_sel_hi:[0,0]
	v_pk_fma_f32 v[6:7], v[8:9], v[252:253], v[4:5] neg_lo:[0,0,1] neg_hi:[0,0,1]
	v_pk_fma_f32 v[4:5], v[8:9], v[252:253], v[4:5] op_sel_hi:[1,0,1]
	v_pk_add_f32 v[2:3], v[2:3], v[16:17]
	v_mov_b32_e32 v7, v5
	s_waitcnt vmcnt(1) lgkmcnt(1)
	v_pk_mul_f32 v[4:5], v[10:11], v[144:145] op_sel:[1,1] op_sel_hi:[0,1]
	v_pk_add_f32 v[2:3], v[2:3], v[6:7]
	v_pk_fma_f32 v[6:7], v[10:11], v[144:145], v[4:5] neg_lo:[0,0,1] neg_hi:[0,0,1]
	v_pk_fma_f32 v[4:5], v[10:11], v[144:145], v[4:5] op_sel_hi:[1,0,1]
	s_nop 0
	v_mov_b32_e32 v4, v147
	v_mov_b32_e32 v7, v5
	v_pk_mul_f32 v[4:5], v[12:13], v[4:5] op_sel:[1,0] op_sel_hi:[0,0]
	v_pk_add_f32 v[2:3], v[2:3], v[6:7]
	v_pk_fma_f32 v[6:7], v[12:13], v[146:147], v[4:5] neg_lo:[0,0,1] neg_hi:[0,0,1]
	v_pk_fma_f32 v[4:5], v[12:13], v[146:147], v[4:5] op_sel_hi:[1,0,1]
	s_nop 0
	v_mov_b32_e32 v7, v5
	s_waitcnt vmcnt(0) lgkmcnt(0)
	v_pk_mul_f32 v[4:5], v[14:15], v[154:155] op_sel:[1,1] op_sel_hi:[0,1]
	v_pk_add_f32 v[2:3], v[2:3], v[6:7]
	v_pk_fma_f32 v[6:7], v[14:15], v[154:155], v[4:5] neg_lo:[0,0,1] neg_hi:[0,0,1]
	v_pk_fma_f32 v[4:5], v[14:15], v[154:155], v[4:5] op_sel_hi:[1,0,1]
	s_nop 0
	v_mov_b32_e32 v7, v5
	scratch_load_dwordx2 v[4:5], off, off offset:40
	v_pk_add_f32 v[2:3], v[2:3], v[6:7]
	s_waitcnt vmcnt(0)
	v_pk_add_f32 v[2:3], v[4:5], v[2:3] neg_lo:[0,1] neg_hi:[0,1]
	scratch_store_dwordx2 off, v[2:3], off offset:40
	s_and_saveexec_b64 s[0:1], vcc
	s_cbranch_execz .LBB50_311
; %bb.310:
	scratch_load_dwordx2 v[2:3], off, off offset:32
	v_mov_b32_e32 v111, v110
	scratch_store_dwordx2 off, v[110:111], off offset:32
	s_waitcnt vmcnt(1)
	ds_write_b64 v1, v[2:3]
.LBB50_311:
	s_or_b64 exec, exec, s[0:1]
	s_waitcnt lgkmcnt(0)
	; wave barrier
	scratch_load_dwordx4 v[6:9], off, off offset:40
	scratch_load_dwordx4 v[14:17], off, off offset:56
	;; [unrolled: 1-line block ×10, first 2 shown]
	ds_read2_b64 v[2:5], v110 offset0:57 offset1:58
	ds_read2_b64 v[234:237], v110 offset0:93 offset1:94
	scratch_load_dwordx4 v[86:89], off, off offset:200
	scratch_load_dwordx4 v[94:97], off, off offset:216
	;; [unrolled: 1-line block ×9, first 2 shown]
	v_cmp_lt_u32_e32 vcc, 3, v0
	s_waitcnt vmcnt(18) lgkmcnt(1)
	v_mul_f32_e32 v10, v2, v7
	v_fmac_f32_e32 v10, v3, v6
	v_mul_f32_e32 v11, v4, v9
	v_add_f32_e32 v10, 0, v10
	v_fmac_f32_e32 v11, v5, v8
	v_add_f32_e32 v18, v10, v11
	ds_read2_b64 v[10:13], v110 offset0:59 offset1:60
	v_mul_f32_e32 v3, v3, v7
	v_fma_f32 v2, v2, v6, -v3
	v_mul_f32_e32 v3, v5, v9
	v_add_f32_e32 v2, 0, v2
	s_waitcnt vmcnt(17) lgkmcnt(0)
	v_mul_f32_e32 v19, v10, v15
	v_fmac_f32_e32 v19, v11, v14
	v_add_f32_e32 v18, v18, v19
	v_mul_f32_e32 v19, v12, v17
	v_fmac_f32_e32 v19, v13, v16
	v_add_f32_e32 v26, v18, v19
	ds_read2_b64 v[18:21], v110 offset0:61 offset1:62
	v_fma_f32 v3, v4, v8, -v3
	v_add_f32_e32 v2, v2, v3
	v_mul_f32_e32 v3, v11, v15
	v_fma_f32 v3, v10, v14, -v3
	s_waitcnt vmcnt(16) lgkmcnt(0)
	v_mul_f32_e32 v27, v18, v23
	v_fmac_f32_e32 v27, v19, v22
	v_add_f32_e32 v26, v26, v27
	v_mul_f32_e32 v27, v20, v25
	v_fmac_f32_e32 v27, v21, v24
	v_add_f32_e32 v34, v26, v27
	ds_read2_b64 v[26:29], v110 offset0:63 offset1:64
	v_add_f32_e32 v2, v2, v3
	v_mul_f32_e32 v3, v13, v17
	v_fma_f32 v3, v12, v16, -v3
	v_add_f32_e32 v2, v2, v3
	s_waitcnt vmcnt(15) lgkmcnt(0)
	v_mul_f32_e32 v35, v26, v31
	v_fmac_f32_e32 v35, v27, v30
	v_add_f32_e32 v34, v34, v35
	v_mul_f32_e32 v35, v28, v33
	v_fmac_f32_e32 v35, v29, v32
	v_add_f32_e32 v42, v34, v35
	ds_read2_b64 v[34:37], v110 offset0:65 offset1:66
	v_mul_f32_e32 v3, v19, v23
	v_fma_f32 v3, v18, v22, -v3
	v_add_f32_e32 v2, v2, v3
	v_mul_f32_e32 v3, v21, v25
	s_waitcnt vmcnt(14) lgkmcnt(0)
	v_mul_f32_e32 v43, v34, v39
	v_fmac_f32_e32 v43, v35, v38
	v_add_f32_e32 v42, v42, v43
	v_mul_f32_e32 v43, v36, v41
	v_fmac_f32_e32 v43, v37, v40
	v_add_f32_e32 v50, v42, v43
	ds_read2_b64 v[42:45], v110 offset0:67 offset1:68
	v_fma_f32 v3, v20, v24, -v3
	v_add_f32_e32 v2, v2, v3
	v_mul_f32_e32 v3, v27, v31
	v_fma_f32 v3, v26, v30, -v3
	s_waitcnt vmcnt(13) lgkmcnt(0)
	v_mul_f32_e32 v51, v42, v47
	v_fmac_f32_e32 v51, v43, v46
	v_add_f32_e32 v50, v50, v51
	v_mul_f32_e32 v51, v44, v49
	v_fmac_f32_e32 v51, v45, v48
	v_add_f32_e32 v58, v50, v51
	ds_read2_b64 v[50:53], v110 offset0:69 offset1:70
	v_add_f32_e32 v2, v2, v3
	v_mul_f32_e32 v3, v29, v33
	v_fma_f32 v3, v28, v32, -v3
	v_add_f32_e32 v2, v2, v3
	s_waitcnt vmcnt(12) lgkmcnt(0)
	v_mul_f32_e32 v59, v50, v55
	v_fmac_f32_e32 v59, v51, v54
	v_add_f32_e32 v58, v58, v59
	v_mul_f32_e32 v59, v52, v57
	v_fmac_f32_e32 v59, v53, v56
	v_add_f32_e32 v66, v58, v59
	ds_read2_b64 v[58:61], v110 offset0:71 offset1:72
	v_mul_f32_e32 v3, v35, v39
	v_fma_f32 v3, v34, v38, -v3
	v_add_f32_e32 v2, v2, v3
	v_mul_f32_e32 v3, v37, v41
	;; [unrolled: 36-line block ×5, first 2 shown]
	s_waitcnt vmcnt(2) lgkmcnt(0)
	v_mul_f32_e32 v140, v132, v137
	v_fmac_f32_e32 v140, v133, v136
	v_add_f32_e32 v111, v111, v140
	v_mul_f32_e32 v140, v134, v139
	v_fmac_f32_e32 v140, v135, v138
	v_add_f32_e32 v111, v111, v140
	ds_read2_b64 v[140:143], v110 offset0:91 offset1:92
	v_fma_f32 v3, v84, v88, -v3
	v_add_f32_e32 v2, v2, v3
	v_mul_f32_e32 v3, v91, v95
	v_fma_f32 v3, v90, v94, -v3
	s_waitcnt vmcnt(1) lgkmcnt(0)
	v_mul_f32_e32 v148, v140, v145
	v_fmac_f32_e32 v148, v141, v144
	v_add_f32_e32 v111, v111, v148
	v_mul_f32_e32 v148, v142, v147
	v_fmac_f32_e32 v148, v143, v146
	v_add_f32_e32 v153, v111, v148
	scratch_load_dwordx4 v[242:245], off, off offset:344
	scratch_load_dwordx4 v[246:249], off, off offset:360
	;; [unrolled: 1-line block ×4, first 2 shown]
	v_add_f32_e32 v2, v2, v3
	v_mul_f32_e32 v3, v93, v97
	v_fma_f32 v3, v92, v96, -v3
	v_add_f32_e32 v2, v2, v3
	v_mul_f32_e32 v3, v99, v103
	v_fma_f32 v3, v98, v102, -v3
	;; [unrolled: 3-line block ×13, first 2 shown]
	v_add_f32_e32 v152, v2, v3
	s_waitcnt vmcnt(4)
	v_mul_f32_e32 v2, v235, v239
	v_fma_f32 v154, v234, v238, -v2
	v_mul_f32_e32 v2, v237, v241
	v_fma_f32 v156, v236, v240, -v2
	ds_read2_b64 v[2:5], v110 offset0:95 offset1:96
	ds_read2_b64 v[6:9], v110 offset0:97 offset1:98
	;; [unrolled: 1-line block ×4, first 2 shown]
	v_mul_f32_e32 v155, v234, v239
	v_fmac_f32_e32 v155, v235, v238
	v_mul_f32_e32 v157, v236, v241
	v_fmac_f32_e32 v157, v237, v240
	v_pk_add_f32 v[18:19], v[152:153], v[154:155]
	s_waitcnt vmcnt(3) lgkmcnt(3)
	v_pk_mul_f32 v[20:21], v[2:3], v[242:243] op_sel:[1,1] op_sel_hi:[0,1]
	v_pk_fma_f32 v[22:23], v[2:3], v[242:243], v[20:21] neg_lo:[0,0,1] neg_hi:[0,0,1]
	v_pk_fma_f32 v[2:3], v[2:3], v[242:243], v[20:21] op_sel_hi:[1,0,1]
	v_pk_add_f32 v[18:19], v[18:19], v[156:157]
	v_mov_b32_e32 v23, v3
	v_pk_add_f32 v[2:3], v[18:19], v[22:23]
	v_mov_b32_e32 v18, v245
	v_pk_mul_f32 v[18:19], v[4:5], v[18:19] op_sel:[1,0] op_sel_hi:[0,0]
	v_pk_fma_f32 v[20:21], v[4:5], v[244:245], v[18:19] neg_lo:[0,0,1] neg_hi:[0,0,1]
	v_pk_fma_f32 v[4:5], v[4:5], v[244:245], v[18:19] op_sel_hi:[1,0,1]
	s_nop 0
	v_mov_b32_e32 v21, v5
	s_waitcnt vmcnt(2) lgkmcnt(2)
	v_pk_mul_f32 v[4:5], v[6:7], v[246:247] op_sel:[1,1] op_sel_hi:[0,1]
	v_pk_fma_f32 v[18:19], v[6:7], v[246:247], v[4:5] neg_lo:[0,0,1] neg_hi:[0,0,1]
	v_pk_fma_f32 v[4:5], v[6:7], v[246:247], v[4:5] op_sel_hi:[1,0,1]
	v_pk_add_f32 v[2:3], v[2:3], v[20:21]
	v_mov_b32_e32 v4, v249
	v_mov_b32_e32 v19, v5
	v_pk_mul_f32 v[4:5], v[8:9], v[4:5] op_sel:[1,0] op_sel_hi:[0,0]
	v_pk_fma_f32 v[6:7], v[8:9], v[248:249], v[4:5] neg_lo:[0,0,1] neg_hi:[0,0,1]
	v_pk_fma_f32 v[4:5], v[8:9], v[248:249], v[4:5] op_sel_hi:[1,0,1]
	v_pk_add_f32 v[2:3], v[2:3], v[18:19]
	v_mov_b32_e32 v7, v5
	s_waitcnt vmcnt(1) lgkmcnt(1)
	v_pk_mul_f32 v[4:5], v[10:11], v[250:251] op_sel:[1,1] op_sel_hi:[0,1]
	v_pk_add_f32 v[2:3], v[2:3], v[6:7]
	v_pk_fma_f32 v[6:7], v[10:11], v[250:251], v[4:5] neg_lo:[0,0,1] neg_hi:[0,0,1]
	v_pk_fma_f32 v[4:5], v[10:11], v[250:251], v[4:5] op_sel_hi:[1,0,1]
	s_nop 0
	v_mov_b32_e32 v4, v253
	v_mov_b32_e32 v7, v5
	v_pk_mul_f32 v[4:5], v[12:13], v[4:5] op_sel:[1,0] op_sel_hi:[0,0]
	v_pk_add_f32 v[2:3], v[2:3], v[6:7]
	v_pk_fma_f32 v[6:7], v[12:13], v[252:253], v[4:5] neg_lo:[0,0,1] neg_hi:[0,0,1]
	v_pk_fma_f32 v[4:5], v[12:13], v[252:253], v[4:5] op_sel_hi:[1,0,1]
	s_nop 0
	v_mov_b32_e32 v7, v5
	s_waitcnt vmcnt(0) lgkmcnt(0)
	v_pk_mul_f32 v[4:5], v[14:15], v[148:149] op_sel:[1,1] op_sel_hi:[0,1]
	v_pk_add_f32 v[2:3], v[2:3], v[6:7]
	v_pk_fma_f32 v[6:7], v[14:15], v[148:149], v[4:5] neg_lo:[0,0,1] neg_hi:[0,0,1]
	v_pk_fma_f32 v[4:5], v[14:15], v[148:149], v[4:5] op_sel_hi:[1,0,1]
	s_nop 0
	v_mov_b32_e32 v4, v151
	v_mov_b32_e32 v7, v5
	v_pk_mul_f32 v[4:5], v[16:17], v[4:5] op_sel:[1,0] op_sel_hi:[0,0]
	v_pk_add_f32 v[2:3], v[2:3], v[6:7]
	v_pk_fma_f32 v[6:7], v[16:17], v[150:151], v[4:5] neg_lo:[0,0,1] neg_hi:[0,0,1]
	v_pk_fma_f32 v[4:5], v[16:17], v[150:151], v[4:5] op_sel_hi:[1,0,1]
	s_nop 0
	v_mov_b32_e32 v7, v5
	scratch_load_dwordx2 v[4:5], off, off offset:32
	v_pk_add_f32 v[2:3], v[2:3], v[6:7]
	s_waitcnt vmcnt(0)
	v_pk_add_f32 v[2:3], v[4:5], v[2:3] neg_lo:[0,1] neg_hi:[0,1]
	scratch_store_dwordx2 off, v[2:3], off offset:32
	s_and_saveexec_b64 s[0:1], vcc
	s_cbranch_execz .LBB50_313
; %bb.312:
	scratch_load_dwordx2 v[2:3], off, off offset:24
	v_mov_b32_e32 v4, 0
	v_mov_b32_e32 v5, v4
	scratch_store_dwordx2 off, v[4:5], off offset:24
	s_waitcnt vmcnt(1)
	ds_write_b64 v1, v[2:3]
.LBB50_313:
	s_or_b64 exec, exec, s[0:1]
	v_mov_b32_e32 v118, 0
	s_waitcnt lgkmcnt(0)
	; wave barrier
	ds_read_b128 v[14:17], v118 offset:448
	ds_read_b128 v[10:13], v118 offset:464
	;; [unrolled: 1-line block ×4, first 2 shown]
	scratch_load_dwordx4 v[18:21], off, off offset:32
	scratch_load_dwordx4 v[38:41], off, off offset:96
	;; [unrolled: 1-line block ×14, first 2 shown]
	v_cmp_lt_u32_e32 vcc, 2, v0
	scratch_load_dwordx4 v[46:49], off, off offset:112
	scratch_load_dwordx4 v[54:57], off, off offset:128
	;; [unrolled: 1-line block ×3, first 2 shown]
	ds_read_b128 v[238:241], v118 offset:752
	s_waitcnt vmcnt(16) lgkmcnt(4)
	v_mul_f32_e32 v22, v14, v19
	v_fmac_f32_e32 v22, v15, v18
	v_mul_f32_e32 v23, v16, v21
	v_add_f32_e32 v22, 0, v22
	v_fmac_f32_e32 v23, v17, v20
	v_add_f32_e32 v26, v22, v23
	scratch_load_dwordx4 v[22:25], off, off offset:48
	v_mul_f32_e32 v15, v15, v19
	v_fma_f32 v14, v14, v18, -v15
	v_mul_f32_e32 v15, v17, v21
	v_add_f32_e32 v14, 0, v14
	v_fma_f32 v15, v16, v20, -v15
	v_add_f32_e32 v14, v14, v15
	s_waitcnt vmcnt(4)
	v_mov_b32_e32 v18, v245
	s_waitcnt lgkmcnt(0)
	v_mul_f32_e32 v161, v238, v243
	v_pk_mul_f32 v[18:19], v[240:241], v[18:19] op_sel:[1,0] op_sel_hi:[0,0]
	v_fmac_f32_e32 v161, v239, v242
	v_pk_fma_f32 v[20:21], v[240:241], v[244:245], v[18:19] neg_lo:[0,0,1] neg_hi:[0,0,1]
	v_pk_fma_f32 v[18:19], v[240:241], v[244:245], v[18:19] op_sel_hi:[1,0,1]
	s_waitcnt vmcnt(0)
	v_mul_f32_e32 v27, v10, v23
	v_fmac_f32_e32 v27, v11, v22
	v_add_f32_e32 v26, v26, v27
	v_mul_f32_e32 v27, v12, v25
	v_fmac_f32_e32 v27, v13, v24
	v_add_f32_e32 v30, v26, v27
	scratch_load_dwordx4 v[26:29], off, off offset:64
	v_mul_f32_e32 v11, v11, v23
	v_fma_f32 v10, v10, v22, -v11
	v_mul_f32_e32 v11, v13, v25
	v_add_f32_e32 v10, v14, v10
	v_fma_f32 v11, v12, v24, -v11
	v_add_f32_e32 v10, v10, v11
	v_mov_b32_e32 v21, v19
	s_waitcnt vmcnt(0)
	v_mul_f32_e32 v31, v6, v27
	v_fmac_f32_e32 v31, v7, v26
	v_add_f32_e32 v30, v30, v31
	v_mul_f32_e32 v31, v8, v29
	v_fmac_f32_e32 v31, v9, v28
	v_add_f32_e32 v34, v30, v31
	scratch_load_dwordx4 v[30:33], off, off offset:80
	v_mul_f32_e32 v7, v7, v27
	v_fma_f32 v6, v6, v26, -v7
	v_mul_f32_e32 v7, v9, v29
	v_add_f32_e32 v6, v10, v6
	v_fma_f32 v7, v8, v28, -v7
	v_add_f32_e32 v6, v6, v7
	s_waitcnt vmcnt(0)
	v_mul_f32_e32 v35, v2, v31
	v_fmac_f32_e32 v35, v3, v30
	v_add_f32_e32 v34, v34, v35
	v_mul_f32_e32 v35, v4, v33
	v_fmac_f32_e32 v35, v5, v32
	v_add_f32_e32 v42, v34, v35
	ds_read_b128 v[34:37], v118 offset:512
	v_mul_f32_e32 v3, v3, v31
	v_fma_f32 v2, v2, v30, -v3
	v_mul_f32_e32 v3, v5, v33
	v_add_f32_e32 v2, v6, v2
	s_waitcnt lgkmcnt(0)
	v_mul_f32_e32 v43, v34, v39
	v_fmac_f32_e32 v43, v35, v38
	v_add_f32_e32 v42, v42, v43
	v_mul_f32_e32 v43, v36, v41
	v_fmac_f32_e32 v43, v37, v40
	v_add_f32_e32 v50, v42, v43
	ds_read_b128 v[42:45], v118 offset:528
	v_fma_f32 v3, v4, v32, -v3
	v_add_f32_e32 v2, v2, v3
	v_mul_f32_e32 v3, v35, v39
	v_fma_f32 v3, v34, v38, -v3
	s_waitcnt lgkmcnt(0)
	v_mul_f32_e32 v51, v42, v47
	v_fmac_f32_e32 v51, v43, v46
	v_add_f32_e32 v50, v50, v51
	v_mul_f32_e32 v51, v44, v49
	v_fmac_f32_e32 v51, v45, v48
	v_add_f32_e32 v58, v50, v51
	ds_read_b128 v[50:53], v118 offset:544
	v_add_f32_e32 v2, v2, v3
	v_mul_f32_e32 v3, v37, v41
	v_fma_f32 v3, v36, v40, -v3
	v_add_f32_e32 v2, v2, v3
	s_waitcnt lgkmcnt(0)
	v_mul_f32_e32 v59, v50, v55
	v_fmac_f32_e32 v59, v51, v54
	v_add_f32_e32 v58, v58, v59
	v_mul_f32_e32 v59, v52, v57
	v_fmac_f32_e32 v59, v53, v56
	v_add_f32_e32 v66, v58, v59
	ds_read_b128 v[58:61], v118 offset:560
	v_mul_f32_e32 v3, v43, v47
	v_fma_f32 v3, v42, v46, -v3
	v_add_f32_e32 v2, v2, v3
	v_mul_f32_e32 v3, v45, v49
	s_waitcnt lgkmcnt(0)
	v_mul_f32_e32 v67, v58, v63
	v_fmac_f32_e32 v67, v59, v62
	v_add_f32_e32 v66, v66, v67
	v_mul_f32_e32 v67, v60, v65
	v_fmac_f32_e32 v67, v61, v64
	v_add_f32_e32 v74, v66, v67
	ds_read_b128 v[66:69], v118 offset:576
	v_fma_f32 v3, v44, v48, -v3
	v_add_f32_e32 v2, v2, v3
	v_mul_f32_e32 v3, v51, v55
	v_fma_f32 v3, v50, v54, -v3
	s_waitcnt lgkmcnt(0)
	v_mul_f32_e32 v75, v66, v71
	v_fmac_f32_e32 v75, v67, v70
	v_add_f32_e32 v74, v74, v75
	v_mul_f32_e32 v75, v68, v73
	v_fmac_f32_e32 v75, v69, v72
	v_add_f32_e32 v82, v74, v75
	ds_read_b128 v[74:77], v118 offset:592
	v_add_f32_e32 v2, v2, v3
	v_mul_f32_e32 v3, v53, v57
	v_fma_f32 v3, v52, v56, -v3
	v_add_f32_e32 v2, v2, v3
	s_waitcnt lgkmcnt(0)
	v_mul_f32_e32 v83, v74, v79
	v_fmac_f32_e32 v83, v75, v78
	v_add_f32_e32 v82, v82, v83
	v_mul_f32_e32 v83, v76, v81
	v_fmac_f32_e32 v83, v77, v80
	v_add_f32_e32 v90, v82, v83
	ds_read_b128 v[82:85], v118 offset:608
	v_mul_f32_e32 v3, v59, v63
	v_fma_f32 v3, v58, v62, -v3
	v_add_f32_e32 v2, v2, v3
	v_mul_f32_e32 v3, v61, v65
	;; [unrolled: 36-line block ×4, first 2 shown]
	s_waitcnt lgkmcnt(0)
	v_mul_f32_e32 v140, v132, v137
	v_fmac_f32_e32 v140, v133, v136
	v_add_f32_e32 v119, v119, v140
	v_mul_f32_e32 v140, v134, v139
	v_fmac_f32_e32 v140, v135, v138
	v_add_f32_e32 v119, v119, v140
	ds_read_b128 v[140:143], v118 offset:720
	v_fma_f32 v3, v92, v96, -v3
	v_add_f32_e32 v2, v2, v3
	v_mul_f32_e32 v3, v99, v103
	v_fma_f32 v3, v98, v102, -v3
	s_waitcnt lgkmcnt(0)
	v_mul_f32_e32 v148, v140, v145
	v_fmac_f32_e32 v148, v141, v144
	v_add_f32_e32 v119, v119, v148
	v_mul_f32_e32 v148, v142, v147
	v_fmac_f32_e32 v148, v143, v146
	v_add_f32_e32 v119, v119, v148
	ds_read_b128 v[148:151], v118 offset:736
	v_add_f32_e32 v2, v2, v3
	v_mul_f32_e32 v3, v101, v105
	v_fma_f32 v3, v100, v104, -v3
	v_add_f32_e32 v2, v2, v3
	s_waitcnt lgkmcnt(0)
	v_mul_f32_e32 v152, v148, v235
	v_fmac_f32_e32 v152, v149, v234
	v_add_f32_e32 v157, v119, v152
	scratch_load_dwordx4 v[246:249], off, off offset:352
	scratch_load_dwordx4 v[250:253], off, off offset:368
	;; [unrolled: 1-line block ×3, first 2 shown]
	scratch_load_dwordx2 v[162:163], off, off offset:400
	v_mul_f32_e32 v3, v107, v111
	v_fma_f32 v3, v106, v110, -v3
	v_add_f32_e32 v2, v2, v3
	v_mul_f32_e32 v3, v109, v113
	v_fma_f32 v3, v108, v112, -v3
	v_add_f32_e32 v2, v2, v3
	;; [unrolled: 3-line block ×11, first 2 shown]
	v_mul_f32_e32 v2, v151, v237
	v_mul_f32_e32 v159, v150, v237
	v_fma_f32 v158, v150, v236, -v2
	v_mul_f32_e32 v2, v239, v243
	v_fmac_f32_e32 v159, v151, v236
	v_fma_f32 v160, v238, v242, -v2
	ds_read_b128 v[2:5], v118 offset:768
	ds_read_b128 v[6:9], v118 offset:784
	;; [unrolled: 1-line block ×3, first 2 shown]
	ds_read_b64 v[14:15], v118 offset:816
	v_pk_add_f32 v[16:17], v[156:157], v[158:159]
	s_waitcnt vmcnt(3) lgkmcnt(3)
	v_pk_mul_f32 v[18:19], v[2:3], v[246:247] op_sel:[1,1] op_sel_hi:[0,1]
	v_pk_add_f32 v[16:17], v[16:17], v[160:161]
	s_nop 0
	v_pk_add_f32 v[16:17], v[16:17], v[20:21]
	v_pk_fma_f32 v[20:21], v[2:3], v[246:247], v[18:19] neg_lo:[0,0,1] neg_hi:[0,0,1]
	v_pk_fma_f32 v[2:3], v[2:3], v[246:247], v[18:19] op_sel_hi:[1,0,1]
	s_nop 0
	v_mov_b32_e32 v21, v3
	v_pk_add_f32 v[2:3], v[16:17], v[20:21]
	v_mov_b32_e32 v16, v249
	v_pk_mul_f32 v[16:17], v[4:5], v[16:17] op_sel:[1,0] op_sel_hi:[0,0]
	v_pk_fma_f32 v[18:19], v[4:5], v[248:249], v[16:17] neg_lo:[0,0,1] neg_hi:[0,0,1]
	v_pk_fma_f32 v[4:5], v[4:5], v[248:249], v[16:17] op_sel_hi:[1,0,1]
	s_nop 0
	v_mov_b32_e32 v19, v5
	s_waitcnt vmcnt(2) lgkmcnt(2)
	v_pk_mul_f32 v[4:5], v[6:7], v[250:251] op_sel:[1,1] op_sel_hi:[0,1]
	v_pk_fma_f32 v[16:17], v[6:7], v[250:251], v[4:5] neg_lo:[0,0,1] neg_hi:[0,0,1]
	v_pk_fma_f32 v[4:5], v[6:7], v[250:251], v[4:5] op_sel_hi:[1,0,1]
	v_pk_add_f32 v[2:3], v[2:3], v[18:19]
	v_mov_b32_e32 v4, v253
	v_mov_b32_e32 v17, v5
	v_pk_mul_f32 v[4:5], v[8:9], v[4:5] op_sel:[1,0] op_sel_hi:[0,0]
	v_pk_fma_f32 v[6:7], v[8:9], v[252:253], v[4:5] neg_lo:[0,0,1] neg_hi:[0,0,1]
	v_pk_fma_f32 v[4:5], v[8:9], v[252:253], v[4:5] op_sel_hi:[1,0,1]
	v_pk_add_f32 v[2:3], v[2:3], v[16:17]
	v_mov_b32_e32 v7, v5
	s_waitcnt vmcnt(1) lgkmcnt(1)
	v_pk_mul_f32 v[4:5], v[10:11], v[152:153] op_sel:[1,1] op_sel_hi:[0,1]
	v_pk_add_f32 v[2:3], v[2:3], v[6:7]
	v_pk_fma_f32 v[6:7], v[10:11], v[152:153], v[4:5] neg_lo:[0,0,1] neg_hi:[0,0,1]
	v_pk_fma_f32 v[4:5], v[10:11], v[152:153], v[4:5] op_sel_hi:[1,0,1]
	s_nop 0
	v_mov_b32_e32 v4, v155
	v_mov_b32_e32 v7, v5
	v_pk_mul_f32 v[4:5], v[12:13], v[4:5] op_sel:[1,0] op_sel_hi:[0,0]
	v_pk_add_f32 v[2:3], v[2:3], v[6:7]
	v_pk_fma_f32 v[6:7], v[12:13], v[154:155], v[4:5] neg_lo:[0,0,1] neg_hi:[0,0,1]
	v_pk_fma_f32 v[4:5], v[12:13], v[154:155], v[4:5] op_sel_hi:[1,0,1]
	s_nop 0
	v_mov_b32_e32 v7, v5
	s_waitcnt vmcnt(0) lgkmcnt(0)
	v_pk_mul_f32 v[4:5], v[14:15], v[162:163] op_sel:[1,1] op_sel_hi:[0,1]
	v_pk_add_f32 v[2:3], v[2:3], v[6:7]
	v_pk_fma_f32 v[6:7], v[14:15], v[162:163], v[4:5] neg_lo:[0,0,1] neg_hi:[0,0,1]
	v_pk_fma_f32 v[4:5], v[14:15], v[162:163], v[4:5] op_sel_hi:[1,0,1]
	s_nop 0
	v_mov_b32_e32 v7, v5
	scratch_load_dwordx2 v[4:5], off, off offset:24
	v_pk_add_f32 v[2:3], v[2:3], v[6:7]
	s_waitcnt vmcnt(0)
	v_pk_add_f32 v[2:3], v[4:5], v[2:3] neg_lo:[0,1] neg_hi:[0,1]
	scratch_store_dwordx2 off, v[2:3], off offset:24
	s_and_saveexec_b64 s[0:1], vcc
	s_cbranch_execz .LBB50_315
; %bb.314:
	scratch_load_dwordx2 v[2:3], off, off offset:16
	v_mov_b32_e32 v119, v118
	scratch_store_dwordx2 off, v[118:119], off offset:16
	s_waitcnt vmcnt(1)
	ds_write_b64 v1, v[2:3]
.LBB50_315:
	s_or_b64 exec, exec, s[0:1]
	s_waitcnt lgkmcnt(0)
	; wave barrier
	scratch_load_dwordx4 v[6:9], off, off offset:24
	scratch_load_dwordx4 v[14:17], off, off offset:40
	;; [unrolled: 1-line block ×10, first 2 shown]
	ds_read2_b64 v[2:5], v118 offset0:55 offset1:56
	ds_read2_b64 v[234:237], v118 offset0:93 offset1:94
	scratch_load_dwordx4 v[86:89], off, off offset:184
	scratch_load_dwordx4 v[94:97], off, off offset:200
	;; [unrolled: 1-line block ×10, first 2 shown]
	v_cmp_lt_u32_e32 vcc, 1, v0
	s_waitcnt vmcnt(19) lgkmcnt(1)
	v_mul_f32_e32 v10, v2, v7
	v_fmac_f32_e32 v10, v3, v6
	v_mul_f32_e32 v11, v4, v9
	v_add_f32_e32 v10, 0, v10
	v_fmac_f32_e32 v11, v5, v8
	v_add_f32_e32 v18, v10, v11
	ds_read2_b64 v[10:13], v118 offset0:57 offset1:58
	v_mul_f32_e32 v3, v3, v7
	v_fma_f32 v2, v2, v6, -v3
	v_mul_f32_e32 v3, v5, v9
	v_add_f32_e32 v2, 0, v2
	s_waitcnt vmcnt(18) lgkmcnt(0)
	v_mul_f32_e32 v19, v10, v15
	v_fmac_f32_e32 v19, v11, v14
	v_add_f32_e32 v18, v18, v19
	v_mul_f32_e32 v19, v12, v17
	v_fmac_f32_e32 v19, v13, v16
	v_add_f32_e32 v26, v18, v19
	ds_read2_b64 v[18:21], v118 offset0:59 offset1:60
	v_fma_f32 v3, v4, v8, -v3
	v_add_f32_e32 v2, v2, v3
	v_mul_f32_e32 v3, v11, v15
	v_fma_f32 v3, v10, v14, -v3
	s_waitcnt vmcnt(17) lgkmcnt(0)
	v_mul_f32_e32 v27, v18, v23
	v_fmac_f32_e32 v27, v19, v22
	v_add_f32_e32 v26, v26, v27
	v_mul_f32_e32 v27, v20, v25
	v_fmac_f32_e32 v27, v21, v24
	v_add_f32_e32 v34, v26, v27
	ds_read2_b64 v[26:29], v118 offset0:61 offset1:62
	v_add_f32_e32 v2, v2, v3
	v_mul_f32_e32 v3, v13, v17
	v_fma_f32 v3, v12, v16, -v3
	v_add_f32_e32 v2, v2, v3
	s_waitcnt vmcnt(16) lgkmcnt(0)
	v_mul_f32_e32 v35, v26, v31
	v_fmac_f32_e32 v35, v27, v30
	v_add_f32_e32 v34, v34, v35
	v_mul_f32_e32 v35, v28, v33
	v_fmac_f32_e32 v35, v29, v32
	v_add_f32_e32 v42, v34, v35
	ds_read2_b64 v[34:37], v118 offset0:63 offset1:64
	v_mul_f32_e32 v3, v19, v23
	v_fma_f32 v3, v18, v22, -v3
	v_add_f32_e32 v2, v2, v3
	v_mul_f32_e32 v3, v21, v25
	s_waitcnt vmcnt(15) lgkmcnt(0)
	v_mul_f32_e32 v43, v34, v39
	v_fmac_f32_e32 v43, v35, v38
	v_add_f32_e32 v42, v42, v43
	v_mul_f32_e32 v43, v36, v41
	v_fmac_f32_e32 v43, v37, v40
	v_add_f32_e32 v50, v42, v43
	ds_read2_b64 v[42:45], v118 offset0:65 offset1:66
	v_fma_f32 v3, v20, v24, -v3
	v_add_f32_e32 v2, v2, v3
	v_mul_f32_e32 v3, v27, v31
	v_fma_f32 v3, v26, v30, -v3
	s_waitcnt vmcnt(14) lgkmcnt(0)
	v_mul_f32_e32 v51, v42, v47
	v_fmac_f32_e32 v51, v43, v46
	v_add_f32_e32 v50, v50, v51
	v_mul_f32_e32 v51, v44, v49
	v_fmac_f32_e32 v51, v45, v48
	v_add_f32_e32 v58, v50, v51
	ds_read2_b64 v[50:53], v118 offset0:67 offset1:68
	v_add_f32_e32 v2, v2, v3
	v_mul_f32_e32 v3, v29, v33
	v_fma_f32 v3, v28, v32, -v3
	v_add_f32_e32 v2, v2, v3
	s_waitcnt vmcnt(13) lgkmcnt(0)
	v_mul_f32_e32 v59, v50, v55
	v_fmac_f32_e32 v59, v51, v54
	v_add_f32_e32 v58, v58, v59
	v_mul_f32_e32 v59, v52, v57
	v_fmac_f32_e32 v59, v53, v56
	v_add_f32_e32 v66, v58, v59
	ds_read2_b64 v[58:61], v118 offset0:69 offset1:70
	v_mul_f32_e32 v3, v35, v39
	v_fma_f32 v3, v34, v38, -v3
	v_add_f32_e32 v2, v2, v3
	v_mul_f32_e32 v3, v37, v41
	;; [unrolled: 36-line block ×5, first 2 shown]
	s_waitcnt vmcnt(3) lgkmcnt(0)
	v_mul_f32_e32 v140, v132, v137
	v_fmac_f32_e32 v140, v133, v136
	v_add_f32_e32 v119, v119, v140
	v_mul_f32_e32 v140, v134, v139
	v_fmac_f32_e32 v140, v135, v138
	v_add_f32_e32 v119, v119, v140
	ds_read2_b64 v[140:143], v118 offset0:89 offset1:90
	v_fma_f32 v3, v84, v88, -v3
	v_add_f32_e32 v2, v2, v3
	v_mul_f32_e32 v3, v91, v95
	v_fma_f32 v3, v90, v94, -v3
	s_waitcnt vmcnt(2) lgkmcnt(0)
	v_mul_f32_e32 v148, v140, v145
	v_fmac_f32_e32 v148, v141, v144
	v_add_f32_e32 v119, v119, v148
	v_mul_f32_e32 v148, v142, v147
	v_fmac_f32_e32 v148, v143, v146
	v_add_f32_e32 v119, v119, v148
	ds_read2_b64 v[148:151], v118 offset0:91 offset1:92
	v_add_f32_e32 v2, v2, v3
	v_mul_f32_e32 v3, v93, v97
	v_fma_f32 v3, v92, v96, -v3
	v_add_f32_e32 v2, v2, v3
	s_waitcnt vmcnt(1) lgkmcnt(0)
	v_mul_f32_e32 v156, v148, v153
	v_fmac_f32_e32 v156, v149, v152
	v_add_f32_e32 v119, v119, v156
	v_mul_f32_e32 v156, v150, v155
	v_fmac_f32_e32 v156, v151, v154
	v_add_f32_e32 v161, v119, v156
	scratch_load_dwordx4 v[242:245], off, off offset:344
	scratch_load_dwordx4 v[246:249], off, off offset:360
	scratch_load_dwordx4 v[250:253], off, off offset:376
	scratch_load_dwordx4 v[156:159], off, off offset:392
	v_mul_f32_e32 v3, v99, v103
	v_fma_f32 v3, v98, v102, -v3
	v_add_f32_e32 v2, v2, v3
	v_mul_f32_e32 v3, v101, v105
	v_fma_f32 v3, v100, v104, -v3
	v_add_f32_e32 v2, v2, v3
	v_mul_f32_e32 v3, v107, v111
	v_fma_f32 v3, v106, v110, -v3
	v_add_f32_e32 v2, v2, v3
	v_mul_f32_e32 v3, v109, v113
	v_fma_f32 v3, v108, v112, -v3
	v_add_f32_e32 v2, v2, v3
	v_mul_f32_e32 v3, v115, v121
	v_fma_f32 v3, v114, v120, -v3
	v_add_f32_e32 v2, v2, v3
	v_mul_f32_e32 v3, v117, v123
	v_fma_f32 v3, v116, v122, -v3
	v_add_f32_e32 v2, v2, v3
	v_mul_f32_e32 v3, v125, v129
	v_fma_f32 v3, v124, v128, -v3
	v_add_f32_e32 v2, v2, v3
	v_mul_f32_e32 v3, v127, v131
	v_fma_f32 v3, v126, v130, -v3
	v_add_f32_e32 v2, v2, v3
	v_mul_f32_e32 v3, v133, v137
	v_fma_f32 v3, v132, v136, -v3
	v_add_f32_e32 v2, v2, v3
	v_mul_f32_e32 v3, v135, v139
	v_fma_f32 v3, v134, v138, -v3
	v_add_f32_e32 v2, v2, v3
	v_mul_f32_e32 v3, v141, v145
	v_fma_f32 v3, v140, v144, -v3
	v_add_f32_e32 v2, v2, v3
	v_mul_f32_e32 v3, v143, v147
	v_fma_f32 v3, v142, v146, -v3
	v_add_f32_e32 v2, v2, v3
	v_mul_f32_e32 v3, v149, v153
	v_fma_f32 v3, v148, v152, -v3
	v_add_f32_e32 v2, v2, v3
	v_mul_f32_e32 v3, v151, v155
	v_fma_f32 v3, v150, v154, -v3
	v_add_f32_e32 v160, v2, v3
	s_waitcnt vmcnt(4)
	v_mul_f32_e32 v2, v235, v239
	v_fma_f32 v162, v234, v238, -v2
	v_mul_f32_e32 v2, v237, v241
	v_fma_f32 v254, v236, v240, -v2
	ds_read2_b64 v[2:5], v118 offset0:95 offset1:96
	ds_read2_b64 v[6:9], v118 offset0:97 offset1:98
	;; [unrolled: 1-line block ×4, first 2 shown]
	v_mul_f32_e32 v163, v234, v239
	v_fmac_f32_e32 v163, v235, v238
	v_mul_f32_e32 v255, v236, v241
	v_fmac_f32_e32 v255, v237, v240
	v_pk_add_f32 v[18:19], v[160:161], v[162:163]
	s_waitcnt vmcnt(3) lgkmcnt(3)
	v_pk_mul_f32 v[20:21], v[2:3], v[242:243] op_sel:[1,1] op_sel_hi:[0,1]
	v_pk_fma_f32 v[22:23], v[2:3], v[242:243], v[20:21] neg_lo:[0,0,1] neg_hi:[0,0,1]
	v_pk_fma_f32 v[2:3], v[2:3], v[242:243], v[20:21] op_sel_hi:[1,0,1]
	v_pk_add_f32 v[18:19], v[18:19], v[254:255]
	v_mov_b32_e32 v23, v3
	v_pk_add_f32 v[2:3], v[18:19], v[22:23]
	v_mov_b32_e32 v18, v245
	v_pk_mul_f32 v[18:19], v[4:5], v[18:19] op_sel:[1,0] op_sel_hi:[0,0]
	v_pk_fma_f32 v[20:21], v[4:5], v[244:245], v[18:19] neg_lo:[0,0,1] neg_hi:[0,0,1]
	v_pk_fma_f32 v[4:5], v[4:5], v[244:245], v[18:19] op_sel_hi:[1,0,1]
	s_nop 0
	v_mov_b32_e32 v21, v5
	s_waitcnt vmcnt(2) lgkmcnt(2)
	v_pk_mul_f32 v[4:5], v[6:7], v[246:247] op_sel:[1,1] op_sel_hi:[0,1]
	v_pk_fma_f32 v[18:19], v[6:7], v[246:247], v[4:5] neg_lo:[0,0,1] neg_hi:[0,0,1]
	v_pk_fma_f32 v[4:5], v[6:7], v[246:247], v[4:5] op_sel_hi:[1,0,1]
	v_pk_add_f32 v[2:3], v[2:3], v[20:21]
	v_mov_b32_e32 v4, v249
	v_mov_b32_e32 v19, v5
	v_pk_mul_f32 v[4:5], v[8:9], v[4:5] op_sel:[1,0] op_sel_hi:[0,0]
	v_pk_fma_f32 v[6:7], v[8:9], v[248:249], v[4:5] neg_lo:[0,0,1] neg_hi:[0,0,1]
	v_pk_fma_f32 v[4:5], v[8:9], v[248:249], v[4:5] op_sel_hi:[1,0,1]
	v_pk_add_f32 v[2:3], v[2:3], v[18:19]
	v_mov_b32_e32 v7, v5
	s_waitcnt vmcnt(1) lgkmcnt(1)
	v_pk_mul_f32 v[4:5], v[10:11], v[250:251] op_sel:[1,1] op_sel_hi:[0,1]
	v_pk_add_f32 v[2:3], v[2:3], v[6:7]
	v_pk_fma_f32 v[6:7], v[10:11], v[250:251], v[4:5] neg_lo:[0,0,1] neg_hi:[0,0,1]
	v_pk_fma_f32 v[4:5], v[10:11], v[250:251], v[4:5] op_sel_hi:[1,0,1]
	s_nop 0
	v_mov_b32_e32 v4, v253
	v_mov_b32_e32 v7, v5
	v_pk_mul_f32 v[4:5], v[12:13], v[4:5] op_sel:[1,0] op_sel_hi:[0,0]
	v_pk_add_f32 v[2:3], v[2:3], v[6:7]
	v_pk_fma_f32 v[6:7], v[12:13], v[252:253], v[4:5] neg_lo:[0,0,1] neg_hi:[0,0,1]
	v_pk_fma_f32 v[4:5], v[12:13], v[252:253], v[4:5] op_sel_hi:[1,0,1]
	s_nop 0
	v_mov_b32_e32 v7, v5
	s_waitcnt vmcnt(0) lgkmcnt(0)
	v_pk_mul_f32 v[4:5], v[14:15], v[156:157] op_sel:[1,1] op_sel_hi:[0,1]
	v_pk_add_f32 v[2:3], v[2:3], v[6:7]
	v_pk_fma_f32 v[6:7], v[14:15], v[156:157], v[4:5] neg_lo:[0,0,1] neg_hi:[0,0,1]
	v_pk_fma_f32 v[4:5], v[14:15], v[156:157], v[4:5] op_sel_hi:[1,0,1]
	s_nop 0
	v_mov_b32_e32 v4, v159
	v_mov_b32_e32 v7, v5
	v_pk_mul_f32 v[4:5], v[16:17], v[4:5] op_sel:[1,0] op_sel_hi:[0,0]
	v_pk_add_f32 v[2:3], v[2:3], v[6:7]
	v_pk_fma_f32 v[6:7], v[16:17], v[158:159], v[4:5] neg_lo:[0,0,1] neg_hi:[0,0,1]
	v_pk_fma_f32 v[4:5], v[16:17], v[158:159], v[4:5] op_sel_hi:[1,0,1]
	s_nop 0
	v_mov_b32_e32 v7, v5
	scratch_load_dwordx2 v[4:5], off, off offset:16
	v_pk_add_f32 v[2:3], v[2:3], v[6:7]
	s_waitcnt vmcnt(0)
	v_pk_add_f32 v[2:3], v[4:5], v[2:3] neg_lo:[0,1] neg_hi:[0,1]
	scratch_store_dwordx2 off, v[2:3], off offset:16
	s_and_saveexec_b64 s[0:1], vcc
	s_cbranch_execz .LBB50_317
; %bb.316:
	scratch_load_dwordx2 v[2:3], off, off offset:8
	v_mov_b32_e32 v4, 0
	v_mov_b32_e32 v5, v4
	scratch_store_dwordx2 off, v[4:5], off offset:8
	s_waitcnt vmcnt(1)
	ds_write_b64 v1, v[2:3]
.LBB50_317:
	s_or_b64 exec, exec, s[0:1]
	v_mov_b32_e32 v234, 0
	s_waitcnt lgkmcnt(0)
	; wave barrier
	ds_read_b128 v[14:17], v234 offset:432
	ds_read_b128 v[10:13], v234 offset:448
	ds_read_b128 v[6:9], v234 offset:464
	ds_read_b128 v[2:5], v234 offset:480
	scratch_load_dwordx4 v[18:21], off, off offset:16
	scratch_load_dwordx4 v[38:41], off, off offset:80
	;; [unrolled: 1-line block ×15, first 2 shown]
	v_cmp_ne_u32_e32 vcc, 0, v0
	scratch_load_dwordx4 v[46:49], off, off offset:96
	scratch_load_dwordx4 v[54:57], off, off offset:112
	scratch_load_dwordx4 v[62:65], off, off offset:128
	ds_read_b128 v[240:243], v234 offset:752
	s_waitcnt vmcnt(17) lgkmcnt(4)
	v_mul_f32_e32 v22, v14, v19
	v_fmac_f32_e32 v22, v15, v18
	v_mul_f32_e32 v23, v16, v21
	v_add_f32_e32 v22, 0, v22
	v_fmac_f32_e32 v23, v17, v20
	v_add_f32_e32 v26, v22, v23
	scratch_load_dwordx4 v[22:25], off, off offset:32
	v_mul_f32_e32 v15, v15, v19
	v_fma_f32 v14, v14, v18, -v15
	v_mul_f32_e32 v15, v17, v21
	v_add_f32_e32 v14, 0, v14
	v_fma_f32 v15, v16, v20, -v15
	v_add_f32_e32 v14, v14, v15
	s_waitcnt vmcnt(4)
	v_mov_b32_e32 v18, v247
	s_waitcnt lgkmcnt(0)
	v_mul_f32_e32 v167, v240, v245
	v_pk_mul_f32 v[18:19], v[242:243], v[18:19] op_sel:[1,0] op_sel_hi:[0,0]
	v_fmac_f32_e32 v167, v241, v244
	v_pk_fma_f32 v[20:21], v[242:243], v[246:247], v[18:19] neg_lo:[0,0,1] neg_hi:[0,0,1]
	v_pk_fma_f32 v[18:19], v[242:243], v[246:247], v[18:19] op_sel_hi:[1,0,1]
	s_waitcnt vmcnt(0)
	v_mul_f32_e32 v27, v10, v23
	v_fmac_f32_e32 v27, v11, v22
	v_add_f32_e32 v26, v26, v27
	v_mul_f32_e32 v27, v12, v25
	v_fmac_f32_e32 v27, v13, v24
	v_add_f32_e32 v30, v26, v27
	scratch_load_dwordx4 v[26:29], off, off offset:48
	v_mul_f32_e32 v11, v11, v23
	v_fma_f32 v10, v10, v22, -v11
	v_mul_f32_e32 v11, v13, v25
	v_add_f32_e32 v10, v14, v10
	v_fma_f32 v11, v12, v24, -v11
	v_add_f32_e32 v10, v10, v11
	v_mov_b32_e32 v21, v19
	s_waitcnt vmcnt(0)
	v_mul_f32_e32 v31, v6, v27
	v_fmac_f32_e32 v31, v7, v26
	v_add_f32_e32 v30, v30, v31
	v_mul_f32_e32 v31, v8, v29
	v_fmac_f32_e32 v31, v9, v28
	v_add_f32_e32 v34, v30, v31
	scratch_load_dwordx4 v[30:33], off, off offset:64
	v_mul_f32_e32 v7, v7, v27
	v_fma_f32 v6, v6, v26, -v7
	v_mul_f32_e32 v7, v9, v29
	v_add_f32_e32 v6, v10, v6
	v_fma_f32 v7, v8, v28, -v7
	v_add_f32_e32 v6, v6, v7
	s_waitcnt vmcnt(0)
	v_mul_f32_e32 v35, v2, v31
	v_fmac_f32_e32 v35, v3, v30
	v_add_f32_e32 v34, v34, v35
	v_mul_f32_e32 v35, v4, v33
	v_fmac_f32_e32 v35, v5, v32
	v_add_f32_e32 v42, v34, v35
	ds_read_b128 v[34:37], v234 offset:496
	v_mul_f32_e32 v3, v3, v31
	v_fma_f32 v2, v2, v30, -v3
	v_mul_f32_e32 v3, v5, v33
	v_add_f32_e32 v2, v6, v2
	s_waitcnt lgkmcnt(0)
	v_mul_f32_e32 v43, v34, v39
	v_fmac_f32_e32 v43, v35, v38
	v_add_f32_e32 v42, v42, v43
	v_mul_f32_e32 v43, v36, v41
	v_fmac_f32_e32 v43, v37, v40
	v_add_f32_e32 v50, v42, v43
	ds_read_b128 v[42:45], v234 offset:512
	v_fma_f32 v3, v4, v32, -v3
	v_add_f32_e32 v2, v2, v3
	v_mul_f32_e32 v3, v35, v39
	v_fma_f32 v3, v34, v38, -v3
	s_waitcnt lgkmcnt(0)
	v_mul_f32_e32 v51, v42, v47
	v_fmac_f32_e32 v51, v43, v46
	v_add_f32_e32 v50, v50, v51
	v_mul_f32_e32 v51, v44, v49
	v_fmac_f32_e32 v51, v45, v48
	v_add_f32_e32 v58, v50, v51
	ds_read_b128 v[50:53], v234 offset:528
	v_add_f32_e32 v2, v2, v3
	v_mul_f32_e32 v3, v37, v41
	v_fma_f32 v3, v36, v40, -v3
	v_add_f32_e32 v2, v2, v3
	s_waitcnt lgkmcnt(0)
	v_mul_f32_e32 v59, v50, v55
	v_fmac_f32_e32 v59, v51, v54
	v_add_f32_e32 v58, v58, v59
	v_mul_f32_e32 v59, v52, v57
	v_fmac_f32_e32 v59, v53, v56
	v_add_f32_e32 v66, v58, v59
	ds_read_b128 v[58:61], v234 offset:544
	v_mul_f32_e32 v3, v43, v47
	v_fma_f32 v3, v42, v46, -v3
	v_add_f32_e32 v2, v2, v3
	v_mul_f32_e32 v3, v45, v49
	s_waitcnt lgkmcnt(0)
	v_mul_f32_e32 v67, v58, v63
	v_fmac_f32_e32 v67, v59, v62
	v_add_f32_e32 v66, v66, v67
	v_mul_f32_e32 v67, v60, v65
	v_fmac_f32_e32 v67, v61, v64
	v_add_f32_e32 v74, v66, v67
	ds_read_b128 v[66:69], v234 offset:560
	v_fma_f32 v3, v44, v48, -v3
	v_add_f32_e32 v2, v2, v3
	v_mul_f32_e32 v3, v51, v55
	v_fma_f32 v3, v50, v54, -v3
	s_waitcnt lgkmcnt(0)
	v_mul_f32_e32 v75, v66, v71
	v_fmac_f32_e32 v75, v67, v70
	v_add_f32_e32 v74, v74, v75
	v_mul_f32_e32 v75, v68, v73
	v_fmac_f32_e32 v75, v69, v72
	v_add_f32_e32 v82, v74, v75
	ds_read_b128 v[74:77], v234 offset:576
	v_add_f32_e32 v2, v2, v3
	v_mul_f32_e32 v3, v53, v57
	v_fma_f32 v3, v52, v56, -v3
	v_add_f32_e32 v2, v2, v3
	s_waitcnt lgkmcnt(0)
	v_mul_f32_e32 v83, v74, v79
	v_fmac_f32_e32 v83, v75, v78
	v_add_f32_e32 v82, v82, v83
	v_mul_f32_e32 v83, v76, v81
	v_fmac_f32_e32 v83, v77, v80
	v_add_f32_e32 v90, v82, v83
	ds_read_b128 v[82:85], v234 offset:592
	v_mul_f32_e32 v3, v59, v63
	v_fma_f32 v3, v58, v62, -v3
	v_add_f32_e32 v2, v2, v3
	v_mul_f32_e32 v3, v61, v65
	;; [unrolled: 36-line block ×5, first 2 shown]
	s_waitcnt lgkmcnt(0)
	v_mul_f32_e32 v159, v154, v237
	v_fmac_f32_e32 v159, v155, v236
	v_add_f32_e32 v163, v158, v159
	scratch_load_dwordx4 v[248:251], off, off offset:352
	scratch_load_dwordx4 v[252:255], off, off offset:368
	;; [unrolled: 1-line block ×3, first 2 shown]
	scratch_load_dwordx2 v[168:169], off, off offset:400
	v_fma_f32 v3, v108, v112, -v3
	v_add_f32_e32 v2, v2, v3
	v_mul_f32_e32 v3, v115, v119
	v_fma_f32 v3, v114, v118, -v3
	v_add_f32_e32 v2, v2, v3
	v_mul_f32_e32 v3, v117, v121
	;; [unrolled: 3-line block ×12, first 2 shown]
	v_mul_f32_e32 v165, v156, v239
	v_fma_f32 v164, v156, v238, -v2
	v_mul_f32_e32 v2, v241, v245
	v_fmac_f32_e32 v165, v157, v238
	v_fma_f32 v166, v240, v244, -v2
	ds_read_b128 v[2:5], v234 offset:768
	ds_read_b128 v[6:9], v234 offset:784
	;; [unrolled: 1-line block ×3, first 2 shown]
	ds_read_b64 v[14:15], v234 offset:816
	v_pk_add_f32 v[16:17], v[162:163], v[164:165]
	s_waitcnt vmcnt(3) lgkmcnt(3)
	v_pk_mul_f32 v[18:19], v[2:3], v[248:249] op_sel:[1,1] op_sel_hi:[0,1]
	v_pk_add_f32 v[16:17], v[16:17], v[166:167]
	s_nop 0
	v_pk_add_f32 v[16:17], v[16:17], v[20:21]
	v_pk_fma_f32 v[20:21], v[2:3], v[248:249], v[18:19] neg_lo:[0,0,1] neg_hi:[0,0,1]
	v_pk_fma_f32 v[2:3], v[2:3], v[248:249], v[18:19] op_sel_hi:[1,0,1]
	s_nop 0
	v_mov_b32_e32 v21, v3
	v_pk_add_f32 v[2:3], v[16:17], v[20:21]
	v_mov_b32_e32 v16, v251
	v_pk_mul_f32 v[16:17], v[4:5], v[16:17] op_sel:[1,0] op_sel_hi:[0,0]
	v_pk_fma_f32 v[18:19], v[4:5], v[250:251], v[16:17] neg_lo:[0,0,1] neg_hi:[0,0,1]
	v_pk_fma_f32 v[4:5], v[4:5], v[250:251], v[16:17] op_sel_hi:[1,0,1]
	s_nop 0
	v_mov_b32_e32 v19, v5
	s_waitcnt vmcnt(2) lgkmcnt(2)
	v_pk_mul_f32 v[4:5], v[6:7], v[252:253] op_sel:[1,1] op_sel_hi:[0,1]
	v_pk_fma_f32 v[16:17], v[6:7], v[252:253], v[4:5] neg_lo:[0,0,1] neg_hi:[0,0,1]
	v_pk_fma_f32 v[4:5], v[6:7], v[252:253], v[4:5] op_sel_hi:[1,0,1]
	v_pk_add_f32 v[2:3], v[2:3], v[18:19]
	v_mov_b32_e32 v4, v255
	v_mov_b32_e32 v17, v5
	v_pk_mul_f32 v[4:5], v[8:9], v[4:5] op_sel:[1,0] op_sel_hi:[0,0]
	v_pk_fma_f32 v[6:7], v[8:9], v[254:255], v[4:5] neg_lo:[0,0,1] neg_hi:[0,0,1]
	v_pk_fma_f32 v[4:5], v[8:9], v[254:255], v[4:5] op_sel_hi:[1,0,1]
	v_pk_add_f32 v[2:3], v[2:3], v[16:17]
	v_mov_b32_e32 v7, v5
	s_waitcnt vmcnt(1) lgkmcnt(1)
	v_pk_mul_f32 v[4:5], v[10:11], v[158:159] op_sel:[1,1] op_sel_hi:[0,1]
	v_pk_add_f32 v[2:3], v[2:3], v[6:7]
	v_pk_fma_f32 v[6:7], v[10:11], v[158:159], v[4:5] neg_lo:[0,0,1] neg_hi:[0,0,1]
	v_pk_fma_f32 v[4:5], v[10:11], v[158:159], v[4:5] op_sel_hi:[1,0,1]
	s_nop 0
	v_mov_b32_e32 v4, v161
	v_mov_b32_e32 v7, v5
	v_pk_mul_f32 v[4:5], v[12:13], v[4:5] op_sel:[1,0] op_sel_hi:[0,0]
	v_pk_add_f32 v[2:3], v[2:3], v[6:7]
	v_pk_fma_f32 v[6:7], v[12:13], v[160:161], v[4:5] neg_lo:[0,0,1] neg_hi:[0,0,1]
	v_pk_fma_f32 v[4:5], v[12:13], v[160:161], v[4:5] op_sel_hi:[1,0,1]
	s_nop 0
	v_mov_b32_e32 v7, v5
	s_waitcnt vmcnt(0) lgkmcnt(0)
	v_pk_mul_f32 v[4:5], v[14:15], v[168:169] op_sel:[1,1] op_sel_hi:[0,1]
	v_pk_add_f32 v[2:3], v[2:3], v[6:7]
	v_pk_fma_f32 v[6:7], v[14:15], v[168:169], v[4:5] neg_lo:[0,0,1] neg_hi:[0,0,1]
	v_pk_fma_f32 v[4:5], v[14:15], v[168:169], v[4:5] op_sel_hi:[1,0,1]
	s_nop 0
	v_mov_b32_e32 v7, v5
	scratch_load_dwordx2 v[4:5], off, off offset:8
	v_pk_add_f32 v[2:3], v[2:3], v[6:7]
	s_waitcnt vmcnt(0)
	v_pk_add_f32 v[2:3], v[4:5], v[2:3] neg_lo:[0,1] neg_hi:[0,1]
	scratch_store_dwordx2 off, v[2:3], off offset:8
	s_and_saveexec_b64 s[0:1], vcc
	s_cbranch_execz .LBB50_319
; %bb.318:
	scratch_load_dwordx2 v[2:3], off, off
	v_mov_b32_e32 v235, v234
	scratch_store_dwordx2 off, v[234:235], off
	s_waitcnt vmcnt(1)
	ds_write_b64 v1, v[2:3]
.LBB50_319:
	s_or_b64 exec, exec, s[0:1]
	s_waitcnt lgkmcnt(0)
	; wave barrier
	scratch_load_dwordx4 v[4:7], off, off offset:8
	scratch_load_dwordx4 v[12:15], off, off offset:24
	;; [unrolled: 1-line block ×10, first 2 shown]
	ds_read2_b64 v[0:3], v234 offset0:53 offset1:54
	ds_read2_b64 v[236:239], v234 offset0:93 offset1:94
	scratch_load_dwordx4 v[84:87], off, off offset:168
	scratch_load_dwordx4 v[92:95], off, off offset:184
	;; [unrolled: 1-line block ×11, first 2 shown]
	s_and_b64 vcc, exec, s[18:19]
	s_waitcnt vmcnt(20) lgkmcnt(1)
	v_mul_f32_e32 v8, v0, v5
	v_fmac_f32_e32 v8, v1, v4
	v_mul_f32_e32 v9, v2, v7
	v_add_f32_e32 v8, 0, v8
	v_fmac_f32_e32 v9, v3, v6
	v_add_f32_e32 v16, v8, v9
	ds_read2_b64 v[8:11], v234 offset0:55 offset1:56
	v_mul_f32_e32 v1, v1, v5
	v_fma_f32 v0, v0, v4, -v1
	v_mul_f32_e32 v1, v3, v7
	v_add_f32_e32 v0, 0, v0
	s_waitcnt vmcnt(19) lgkmcnt(0)
	v_mul_f32_e32 v17, v8, v13
	v_fmac_f32_e32 v17, v9, v12
	v_add_f32_e32 v16, v16, v17
	v_mul_f32_e32 v17, v10, v15
	v_fmac_f32_e32 v17, v11, v14
	v_add_f32_e32 v24, v16, v17
	ds_read2_b64 v[16:19], v234 offset0:57 offset1:58
	v_fma_f32 v1, v2, v6, -v1
	v_add_f32_e32 v0, v0, v1
	v_mul_f32_e32 v1, v9, v13
	v_fma_f32 v1, v8, v12, -v1
	s_waitcnt vmcnt(18) lgkmcnt(0)
	v_mul_f32_e32 v25, v16, v21
	v_fmac_f32_e32 v25, v17, v20
	v_add_f32_e32 v24, v24, v25
	v_mul_f32_e32 v25, v18, v23
	v_fmac_f32_e32 v25, v19, v22
	v_add_f32_e32 v32, v24, v25
	ds_read2_b64 v[24:27], v234 offset0:59 offset1:60
	v_add_f32_e32 v0, v0, v1
	v_mul_f32_e32 v1, v11, v15
	v_fma_f32 v1, v10, v14, -v1
	v_add_f32_e32 v0, v0, v1
	s_waitcnt vmcnt(17) lgkmcnt(0)
	v_mul_f32_e32 v33, v24, v29
	v_fmac_f32_e32 v33, v25, v28
	v_add_f32_e32 v32, v32, v33
	v_mul_f32_e32 v33, v26, v31
	v_fmac_f32_e32 v33, v27, v30
	v_add_f32_e32 v40, v32, v33
	ds_read2_b64 v[32:35], v234 offset0:61 offset1:62
	v_mul_f32_e32 v1, v17, v21
	v_fma_f32 v1, v16, v20, -v1
	v_add_f32_e32 v0, v0, v1
	v_mul_f32_e32 v1, v19, v23
	s_waitcnt vmcnt(16) lgkmcnt(0)
	v_mul_f32_e32 v41, v32, v37
	v_fmac_f32_e32 v41, v33, v36
	v_add_f32_e32 v40, v40, v41
	v_mul_f32_e32 v41, v34, v39
	v_fmac_f32_e32 v41, v35, v38
	v_add_f32_e32 v48, v40, v41
	ds_read2_b64 v[40:43], v234 offset0:63 offset1:64
	v_fma_f32 v1, v18, v22, -v1
	v_add_f32_e32 v0, v0, v1
	v_mul_f32_e32 v1, v25, v29
	v_fma_f32 v1, v24, v28, -v1
	s_waitcnt vmcnt(15) lgkmcnt(0)
	v_mul_f32_e32 v49, v40, v45
	v_fmac_f32_e32 v49, v41, v44
	v_add_f32_e32 v48, v48, v49
	v_mul_f32_e32 v49, v42, v47
	v_fmac_f32_e32 v49, v43, v46
	v_add_f32_e32 v56, v48, v49
	ds_read2_b64 v[48:51], v234 offset0:65 offset1:66
	v_add_f32_e32 v0, v0, v1
	v_mul_f32_e32 v1, v27, v31
	v_fma_f32 v1, v26, v30, -v1
	v_add_f32_e32 v0, v0, v1
	s_waitcnt vmcnt(14) lgkmcnt(0)
	v_mul_f32_e32 v57, v48, v53
	v_fmac_f32_e32 v57, v49, v52
	v_add_f32_e32 v56, v56, v57
	v_mul_f32_e32 v57, v50, v55
	v_fmac_f32_e32 v57, v51, v54
	v_add_f32_e32 v64, v56, v57
	ds_read2_b64 v[56:59], v234 offset0:67 offset1:68
	v_mul_f32_e32 v1, v33, v37
	v_fma_f32 v1, v32, v36, -v1
	v_add_f32_e32 v0, v0, v1
	v_mul_f32_e32 v1, v35, v39
	;; [unrolled: 36-line block ×6, first 2 shown]
	s_waitcnt vmcnt(1) lgkmcnt(0)
	v_mul_f32_e32 v161, v152, v157
	v_fmac_f32_e32 v161, v153, v156
	v_add_f32_e32 v160, v160, v161
	v_mul_f32_e32 v161, v154, v159
	v_fmac_f32_e32 v161, v155, v158
	v_add_f32_e32 v165, v160, v161
	scratch_load_dwordx4 v[244:247], off, off offset:344
	scratch_load_dwordx4 v[248:251], off, off offset:360
	scratch_load_dwordx4 v[252:255], off, off offset:376
	scratch_load_dwordx4 v[160:163], off, off offset:392
	v_fma_f32 v1, v98, v102, -v1
	v_add_f32_e32 v0, v0, v1
	v_mul_f32_e32 v1, v105, v109
	v_fma_f32 v1, v104, v108, -v1
	v_add_f32_e32 v0, v0, v1
	v_mul_f32_e32 v1, v107, v111
	;; [unrolled: 3-line block ×14, first 2 shown]
	v_fma_f32 v1, v154, v158, -v1
	v_add_f32_e32 v164, v0, v1
	s_waitcnt vmcnt(4)
	v_mul_f32_e32 v0, v237, v241
	v_fma_f32 v166, v236, v240, -v0
	v_mul_f32_e32 v0, v239, v243
	v_fma_f32 v168, v238, v242, -v0
	ds_read2_b64 v[0:3], v234 offset0:95 offset1:96
	ds_read2_b64 v[4:7], v234 offset0:97 offset1:98
	;; [unrolled: 1-line block ×4, first 2 shown]
	v_mul_f32_e32 v167, v236, v241
	v_fmac_f32_e32 v167, v237, v240
	v_mul_f32_e32 v169, v238, v243
	v_fmac_f32_e32 v169, v239, v242
	v_pk_add_f32 v[16:17], v[164:165], v[166:167]
	s_waitcnt vmcnt(3) lgkmcnt(3)
	v_pk_mul_f32 v[18:19], v[0:1], v[244:245] op_sel:[1,1] op_sel_hi:[0,1]
	v_pk_fma_f32 v[20:21], v[0:1], v[244:245], v[18:19] neg_lo:[0,0,1] neg_hi:[0,0,1]
	v_pk_fma_f32 v[0:1], v[0:1], v[244:245], v[18:19] op_sel_hi:[1,0,1]
	v_pk_add_f32 v[16:17], v[16:17], v[168:169]
	v_mov_b32_e32 v21, v1
	v_pk_add_f32 v[0:1], v[16:17], v[20:21]
	v_mov_b32_e32 v16, v247
	v_pk_mul_f32 v[16:17], v[2:3], v[16:17] op_sel:[1,0] op_sel_hi:[0,0]
	v_pk_fma_f32 v[18:19], v[2:3], v[246:247], v[16:17] neg_lo:[0,0,1] neg_hi:[0,0,1]
	v_pk_fma_f32 v[2:3], v[2:3], v[246:247], v[16:17] op_sel_hi:[1,0,1]
	s_nop 0
	v_mov_b32_e32 v19, v3
	s_waitcnt vmcnt(2) lgkmcnt(2)
	v_pk_mul_f32 v[2:3], v[4:5], v[248:249] op_sel:[1,1] op_sel_hi:[0,1]
	v_pk_fma_f32 v[16:17], v[4:5], v[248:249], v[2:3] neg_lo:[0,0,1] neg_hi:[0,0,1]
	v_pk_fma_f32 v[2:3], v[4:5], v[248:249], v[2:3] op_sel_hi:[1,0,1]
	v_pk_add_f32 v[0:1], v[0:1], v[18:19]
	v_mov_b32_e32 v2, v251
	v_mov_b32_e32 v17, v3
	v_pk_mul_f32 v[2:3], v[6:7], v[2:3] op_sel:[1,0] op_sel_hi:[0,0]
	v_pk_fma_f32 v[4:5], v[6:7], v[250:251], v[2:3] neg_lo:[0,0,1] neg_hi:[0,0,1]
	v_pk_fma_f32 v[2:3], v[6:7], v[250:251], v[2:3] op_sel_hi:[1,0,1]
	v_pk_add_f32 v[0:1], v[0:1], v[16:17]
	v_mov_b32_e32 v5, v3
	s_waitcnt vmcnt(1) lgkmcnt(1)
	v_pk_mul_f32 v[2:3], v[8:9], v[252:253] op_sel:[1,1] op_sel_hi:[0,1]
	v_pk_add_f32 v[0:1], v[0:1], v[4:5]
	v_pk_fma_f32 v[4:5], v[8:9], v[252:253], v[2:3] neg_lo:[0,0,1] neg_hi:[0,0,1]
	v_pk_fma_f32 v[2:3], v[8:9], v[252:253], v[2:3] op_sel_hi:[1,0,1]
	s_nop 0
	v_mov_b32_e32 v2, v255
	v_mov_b32_e32 v5, v3
	v_pk_mul_f32 v[2:3], v[10:11], v[2:3] op_sel:[1,0] op_sel_hi:[0,0]
	v_pk_add_f32 v[0:1], v[0:1], v[4:5]
	v_pk_fma_f32 v[4:5], v[10:11], v[254:255], v[2:3] neg_lo:[0,0,1] neg_hi:[0,0,1]
	v_pk_fma_f32 v[2:3], v[10:11], v[254:255], v[2:3] op_sel_hi:[1,0,1]
	s_nop 0
	v_mov_b32_e32 v5, v3
	s_waitcnt vmcnt(0) lgkmcnt(0)
	v_pk_mul_f32 v[2:3], v[12:13], v[160:161] op_sel:[1,1] op_sel_hi:[0,1]
	v_pk_add_f32 v[0:1], v[0:1], v[4:5]
	v_pk_fma_f32 v[4:5], v[12:13], v[160:161], v[2:3] neg_lo:[0,0,1] neg_hi:[0,0,1]
	v_pk_fma_f32 v[2:3], v[12:13], v[160:161], v[2:3] op_sel_hi:[1,0,1]
	s_nop 0
	v_mov_b32_e32 v2, v163
	v_mov_b32_e32 v5, v3
	v_pk_mul_f32 v[2:3], v[14:15], v[2:3] op_sel:[1,0] op_sel_hi:[0,0]
	v_pk_add_f32 v[0:1], v[0:1], v[4:5]
	v_pk_fma_f32 v[4:5], v[14:15], v[162:163], v[2:3] neg_lo:[0,0,1] neg_hi:[0,0,1]
	v_pk_fma_f32 v[2:3], v[14:15], v[162:163], v[2:3] op_sel_hi:[1,0,1]
	s_nop 0
	v_mov_b32_e32 v5, v3
	scratch_load_dwordx2 v[2:3], off, off
	v_pk_add_f32 v[0:1], v[0:1], v[4:5]
	s_waitcnt vmcnt(0)
	v_pk_add_f32 v[0:1], v[2:3], v[0:1] neg_lo:[0,1] neg_hi:[0,1]
	scratch_store_dwordx2 off, v[0:1], off
	s_cbranch_vccz .LBB50_420
; %bb.320:
	v_mov_b32_e32 v0, 0
	global_load_dword v1, v0, s[16:17] offset:196
	s_waitcnt vmcnt(0)
	v_readfirstlane_b32 s0, v1
	s_add_i32 s0, s0, -1
	s_cmp_lg_u32 s0, 49
	s_cbranch_scc0 .LBB50_322
; %bb.321:
	s_lshl_b32 s0, s0, 3
	s_nop 0
	scratch_load_dwordx2 v[2:3], off, s0
	scratch_load_dwordx2 v[4:5], off, off offset:392
	s_waitcnt vmcnt(1)
	scratch_store_dwordx2 off, v[2:3], off offset:392
	s_waitcnt vmcnt(1)
	scratch_store_dwordx2 off, v[4:5], s0
.LBB50_322:
	global_load_dword v0, v0, s[16:17] offset:192
	s_waitcnt vmcnt(0)
	v_readfirstlane_b32 s0, v0
	s_add_i32 s0, s0, -1
	s_cmp_eq_u32 s0, 48
	s_cbranch_scc1 .LBB50_324
; %bb.323:
	s_lshl_b32 s0, s0, 3
	s_nop 0
	scratch_load_dwordx2 v[0:1], off, s0
	scratch_load_dwordx2 v[2:3], off, off offset:384
	s_waitcnt vmcnt(1)
	scratch_store_dwordx2 off, v[0:1], off offset:384
	s_waitcnt vmcnt(1)
	scratch_store_dwordx2 off, v[2:3], s0
.LBB50_324:
	v_mov_b32_e32 v0, 0
	global_load_dword v1, v0, s[16:17] offset:188
	s_waitcnt vmcnt(0)
	v_readfirstlane_b32 s0, v1
	s_add_i32 s0, s0, -1
	s_cmp_eq_u32 s0, 47
	s_cbranch_scc1 .LBB50_326
; %bb.325:
	s_lshl_b32 s0, s0, 3
	s_nop 0
	scratch_load_dwordx2 v[2:3], off, s0
	scratch_load_dwordx2 v[4:5], off, off offset:376
	s_waitcnt vmcnt(1)
	scratch_store_dwordx2 off, v[2:3], off offset:376
	s_waitcnt vmcnt(1)
	scratch_store_dwordx2 off, v[4:5], s0
.LBB50_326:
	global_load_dword v0, v0, s[16:17] offset:184
	s_waitcnt vmcnt(0)
	v_readfirstlane_b32 s0, v0
	s_add_i32 s0, s0, -1
	s_cmp_eq_u32 s0, 46
	s_cbranch_scc1 .LBB50_328
; %bb.327:
	s_lshl_b32 s0, s0, 3
	s_nop 0
	scratch_load_dwordx2 v[0:1], off, s0
	scratch_load_dwordx2 v[2:3], off, off offset:368
	s_waitcnt vmcnt(1)
	scratch_store_dwordx2 off, v[0:1], off offset:368
	s_waitcnt vmcnt(1)
	scratch_store_dwordx2 off, v[2:3], s0
.LBB50_328:
	v_mov_b32_e32 v0, 0
	global_load_dword v1, v0, s[16:17] offset:180
	s_waitcnt vmcnt(0)
	v_readfirstlane_b32 s0, v1
	s_add_i32 s0, s0, -1
	s_cmp_eq_u32 s0, 45
	s_cbranch_scc1 .LBB50_330
; %bb.329:
	s_lshl_b32 s0, s0, 3
	s_nop 0
	scratch_load_dwordx2 v[2:3], off, s0
	scratch_load_dwordx2 v[4:5], off, off offset:360
	s_waitcnt vmcnt(1)
	scratch_store_dwordx2 off, v[2:3], off offset:360
	s_waitcnt vmcnt(1)
	scratch_store_dwordx2 off, v[4:5], s0
.LBB50_330:
	;; [unrolled: 33-line block ×24, first 2 shown]
	global_load_dword v2, v0, s[16:17]
	s_nop 0
	scratch_load_dwordx2 v[0:1], off, off
	s_waitcnt vmcnt(1)
	v_readfirstlane_b32 s0, v2
	s_add_i32 s0, s0, -1
	s_cmp_eq_u32 s0, 0
	s_cbranch_scc1 .LBB50_420
; %bb.419:
	s_lshl_b32 s0, s0, 3
	s_nop 0
	scratch_load_dwordx2 v[2:3], off, s0
	s_waitcnt vmcnt(0)
	scratch_store_dwordx2 off, v[2:3], off
	scratch_store_dwordx2 off, v[0:1], s0
	scratch_load_dwordx2 v[0:1], off, off
.LBB50_420:
	s_nop 0
	scratch_load_dwordx4 v[2:5], off, off offset:8
	scratch_load_dwordx4 v[6:9], off, off offset:24
	;; [unrolled: 1-line block ×25, first 2 shown]
	v_accvgpr_read_b32 v103, a1
	v_accvgpr_read_b32 v102, a0
	s_waitcnt vmcnt(25)
	global_store_dwordx2 v[102:103], v[0:1], off
	v_accvgpr_read_b32 v0, a2
	v_accvgpr_read_b32 v1, a3
	s_waitcnt vmcnt(25)
	global_store_dwordx2 v[0:1], v[2:3], off
	v_accvgpr_read_b32 v0, a4
	v_accvgpr_read_b32 v1, a5
	global_store_dwordx2 v[0:1], v[4:5], off
	v_accvgpr_read_b32 v0, a6
	v_accvgpr_read_b32 v1, a7
	s_waitcnt vmcnt(26)
	global_store_dwordx2 v[0:1], v[6:7], off
	v_accvgpr_read_b32 v0, a8
	v_accvgpr_read_b32 v1, a9
	;; [unrolled: 7-line block ×9, first 2 shown]
	global_store_dwordx2 v[0:1], v[36:37], off
	s_waitcnt vmcnt(34)
	global_store_dwordx2 v[170:171], v[38:39], off
	global_store_dwordx2 v[172:173], v[40:41], off
	s_waitcnt vmcnt(35)
	global_store_dwordx2 v[174:175], v[42:43], off
	;; [unrolled: 3-line block ×16, first 2 shown]
	global_store_dwordx2 v[232:233], v[100:101], off
	s_endpgm
	.section	.rodata,"a",@progbits
	.p2align	6, 0x0
	.amdhsa_kernel _ZN9rocsolver6v33100L18getri_kernel_smallILi51E19rocblas_complex_numIfEPS3_EEvT1_iilPiilS6_bb
		.amdhsa_group_segment_fixed_size 824
		.amdhsa_private_segment_fixed_size 416
		.amdhsa_kernarg_size 60
		.amdhsa_user_sgpr_count 2
		.amdhsa_user_sgpr_dispatch_ptr 0
		.amdhsa_user_sgpr_queue_ptr 0
		.amdhsa_user_sgpr_kernarg_segment_ptr 1
		.amdhsa_user_sgpr_dispatch_id 0
		.amdhsa_user_sgpr_kernarg_preload_length 0
		.amdhsa_user_sgpr_kernarg_preload_offset 0
		.amdhsa_user_sgpr_private_segment_size 0
		.amdhsa_uses_dynamic_stack 0
		.amdhsa_enable_private_segment 1
		.amdhsa_system_sgpr_workgroup_id_x 1
		.amdhsa_system_sgpr_workgroup_id_y 0
		.amdhsa_system_sgpr_workgroup_id_z 0
		.amdhsa_system_sgpr_workgroup_info 0
		.amdhsa_system_vgpr_workitem_id 0
		.amdhsa_next_free_vgpr 294
		.amdhsa_next_free_sgpr 20
		.amdhsa_accum_offset 256
		.amdhsa_reserve_vcc 1
		.amdhsa_float_round_mode_32 0
		.amdhsa_float_round_mode_16_64 0
		.amdhsa_float_denorm_mode_32 3
		.amdhsa_float_denorm_mode_16_64 3
		.amdhsa_dx10_clamp 1
		.amdhsa_ieee_mode 1
		.amdhsa_fp16_overflow 0
		.amdhsa_tg_split 0
		.amdhsa_exception_fp_ieee_invalid_op 0
		.amdhsa_exception_fp_denorm_src 0
		.amdhsa_exception_fp_ieee_div_zero 0
		.amdhsa_exception_fp_ieee_overflow 0
		.amdhsa_exception_fp_ieee_underflow 0
		.amdhsa_exception_fp_ieee_inexact 0
		.amdhsa_exception_int_div_zero 0
	.end_amdhsa_kernel
	.section	.text._ZN9rocsolver6v33100L18getri_kernel_smallILi51E19rocblas_complex_numIfEPS3_EEvT1_iilPiilS6_bb,"axG",@progbits,_ZN9rocsolver6v33100L18getri_kernel_smallILi51E19rocblas_complex_numIfEPS3_EEvT1_iilPiilS6_bb,comdat
.Lfunc_end50:
	.size	_ZN9rocsolver6v33100L18getri_kernel_smallILi51E19rocblas_complex_numIfEPS3_EEvT1_iilPiilS6_bb, .Lfunc_end50-_ZN9rocsolver6v33100L18getri_kernel_smallILi51E19rocblas_complex_numIfEPS3_EEvT1_iilPiilS6_bb
                                        ; -- End function
	.set _ZN9rocsolver6v33100L18getri_kernel_smallILi51E19rocblas_complex_numIfEPS3_EEvT1_iilPiilS6_bb.num_vgpr, 256
	.set _ZN9rocsolver6v33100L18getri_kernel_smallILi51E19rocblas_complex_numIfEPS3_EEvT1_iilPiilS6_bb.num_agpr, 38
	.set _ZN9rocsolver6v33100L18getri_kernel_smallILi51E19rocblas_complex_numIfEPS3_EEvT1_iilPiilS6_bb.numbered_sgpr, 20
	.set _ZN9rocsolver6v33100L18getri_kernel_smallILi51E19rocblas_complex_numIfEPS3_EEvT1_iilPiilS6_bb.num_named_barrier, 0
	.set _ZN9rocsolver6v33100L18getri_kernel_smallILi51E19rocblas_complex_numIfEPS3_EEvT1_iilPiilS6_bb.private_seg_size, 416
	.set _ZN9rocsolver6v33100L18getri_kernel_smallILi51E19rocblas_complex_numIfEPS3_EEvT1_iilPiilS6_bb.uses_vcc, 1
	.set _ZN9rocsolver6v33100L18getri_kernel_smallILi51E19rocblas_complex_numIfEPS3_EEvT1_iilPiilS6_bb.uses_flat_scratch, 0
	.set _ZN9rocsolver6v33100L18getri_kernel_smallILi51E19rocblas_complex_numIfEPS3_EEvT1_iilPiilS6_bb.has_dyn_sized_stack, 0
	.set _ZN9rocsolver6v33100L18getri_kernel_smallILi51E19rocblas_complex_numIfEPS3_EEvT1_iilPiilS6_bb.has_recursion, 0
	.set _ZN9rocsolver6v33100L18getri_kernel_smallILi51E19rocblas_complex_numIfEPS3_EEvT1_iilPiilS6_bb.has_indirect_call, 0
	.section	.AMDGPU.csdata,"",@progbits
; Kernel info:
; codeLenInByte = 75900
; TotalNumSgprs: 26
; NumVgprs: 256
; NumAgprs: 38
; TotalNumVgprs: 294
; ScratchSize: 416
; MemoryBound: 0
; FloatMode: 240
; IeeeMode: 1
; LDSByteSize: 824 bytes/workgroup (compile time only)
; SGPRBlocks: 3
; VGPRBlocks: 36
; NumSGPRsForWavesPerEU: 26
; NumVGPRsForWavesPerEU: 294
; AccumOffset: 256
; Occupancy: 1
; WaveLimiterHint : 1
; COMPUTE_PGM_RSRC2:SCRATCH_EN: 1
; COMPUTE_PGM_RSRC2:USER_SGPR: 2
; COMPUTE_PGM_RSRC2:TRAP_HANDLER: 0
; COMPUTE_PGM_RSRC2:TGID_X_EN: 1
; COMPUTE_PGM_RSRC2:TGID_Y_EN: 0
; COMPUTE_PGM_RSRC2:TGID_Z_EN: 0
; COMPUTE_PGM_RSRC2:TIDIG_COMP_CNT: 0
; COMPUTE_PGM_RSRC3_GFX90A:ACCUM_OFFSET: 63
; COMPUTE_PGM_RSRC3_GFX90A:TG_SPLIT: 0
	.section	.text._ZN9rocsolver6v33100L18getri_kernel_smallILi52E19rocblas_complex_numIfEPS3_EEvT1_iilPiilS6_bb,"axG",@progbits,_ZN9rocsolver6v33100L18getri_kernel_smallILi52E19rocblas_complex_numIfEPS3_EEvT1_iilPiilS6_bb,comdat
	.globl	_ZN9rocsolver6v33100L18getri_kernel_smallILi52E19rocblas_complex_numIfEPS3_EEvT1_iilPiilS6_bb ; -- Begin function _ZN9rocsolver6v33100L18getri_kernel_smallILi52E19rocblas_complex_numIfEPS3_EEvT1_iilPiilS6_bb
	.p2align	8
	.type	_ZN9rocsolver6v33100L18getri_kernel_smallILi52E19rocblas_complex_numIfEPS3_EEvT1_iilPiilS6_bb,@function
_ZN9rocsolver6v33100L18getri_kernel_smallILi52E19rocblas_complex_numIfEPS3_EEvT1_iilPiilS6_bb: ; @_ZN9rocsolver6v33100L18getri_kernel_smallILi52E19rocblas_complex_numIfEPS3_EEvT1_iilPiilS6_bb
; %bb.0:
	v_cmp_gt_u32_e32 vcc, 52, v0
	s_and_saveexec_b64 s[4:5], vcc
	s_cbranch_execz .LBB51_222
; %bb.1:
	s_load_dword s8, s[0:1], 0x38
	s_load_dwordx4 s[12:15], s[0:1], 0x10
	s_load_dwordx4 s[4:7], s[0:1], 0x28
                                        ; implicit-def: $sgpr16_sgpr17
	s_waitcnt lgkmcnt(0)
	s_bitcmp1_b32 s8, 8
	s_cselect_b64 s[18:19], -1, 0
	s_ashr_i32 s3, s2, 31
	s_bfe_u32 s8, s8, 0x10008
	s_cmp_eq_u32 s8, 0
	s_cbranch_scc1 .LBB51_3
; %bb.2:
	s_load_dword s8, s[0:1], 0x20
	s_mul_i32 s9, s4, s3
	s_mul_hi_u32 s10, s4, s2
	s_mul_i32 s5, s5, s2
	s_add_i32 s10, s10, s9
	s_add_i32 s5, s10, s5
	s_mul_i32 s4, s4, s2
	s_waitcnt lgkmcnt(0)
	s_ashr_i32 s9, s8, 31
	s_lshl_b64 s[4:5], s[4:5], 2
	s_add_u32 s10, s14, s4
	s_addc_u32 s11, s15, s5
	s_lshl_b64 s[4:5], s[8:9], 2
	s_add_u32 s16, s10, s4
	s_addc_u32 s17, s11, s5
.LBB51_3:
	s_load_dwordx4 s[8:11], s[0:1], 0x0
	s_load_dword s4, s[0:1], 0x38
	s_mul_i32 s5, s12, s3
	s_mul_hi_u32 s14, s12, s2
	s_add_i32 s5, s14, s5
	s_waitcnt lgkmcnt(0)
	s_ashr_i32 s1, s10, 31
	s_mov_b32 s0, s10
	s_mul_i32 s10, s13, s2
	s_add_i32 s13, s5, s10
	s_mul_i32 s12, s12, s2
	s_lshl_b64 s[12:13], s[12:13], 3
	s_add_u32 s5, s8, s12
	s_addc_u32 s8, s9, s13
	s_lshl_b64 s[0:1], s[0:1], 3
	s_add_u32 s0, s5, s0
	s_addc_u32 s1, s8, s1
	v_lshlrev_b32_e32 v2, 3, v0
	v_mov_b32_e32 v3, 0
	v_lshl_add_u64 v[6:7], s[0:1], 0, v[2:3]
	s_ashr_i32 s9, s11, 31
	s_mov_b32 s8, s11
	v_accvgpr_write_b32 a0, v6
	s_add_i32 s5, s11, s11
	v_accvgpr_write_b32 a1, v7
	v_lshl_add_u64 v[10:11], s[8:9], 3, v[6:7]
	v_add_u32_e32 v6, s5, v0
	v_ashrrev_i32_e32 v7, 31, v6
	v_lshl_add_u64 v[12:13], v[6:7], 3, s[0:1]
	v_add_u32_e32 v6, s11, v6
	v_add_u32_e32 v8, s11, v6
	v_ashrrev_i32_e32 v7, 31, v6
	v_ashrrev_i32_e32 v9, 31, v8
	v_lshl_add_u64 v[14:15], v[6:7], 3, s[0:1]
	v_lshl_add_u64 v[16:17], v[8:9], 3, s[0:1]
	v_add_u32_e32 v8, s11, v8
	v_accvgpr_write_b32 a2, v10
	v_accvgpr_write_b32 a4, v12
	;; [unrolled: 1-line block ×4, first 2 shown]
	v_ashrrev_i32_e32 v9, 31, v8
	global_load_dwordx2 v[4:5], v2, s[0:1]
	global_load_dwordx2 v[6:7], v[10:11], off
	v_accvgpr_write_b32 a3, v11
	v_accvgpr_write_b32 a5, v13
	global_load_dwordx2 v[10:11], v[12:13], off
	v_accvgpr_write_b32 a7, v15
	global_load_dwordx2 v[12:13], v[14:15], off
	;; [unrolled: 2-line block ×3, first 2 shown]
	v_lshl_add_u64 v[16:17], v[8:9], 3, s[0:1]
	v_add_u32_e32 v8, s11, v8
	v_ashrrev_i32_e32 v9, 31, v8
	v_lshl_add_u64 v[18:19], v[8:9], 3, s[0:1]
	v_add_u32_e32 v8, s11, v8
	v_ashrrev_i32_e32 v9, 31, v8
	;; [unrolled: 3-line block ×45, first 2 shown]
	v_lshl_add_u64 v[240:241], v[8:9], 3, s[0:1]
	v_add_u32_e32 v8, s11, v8
	v_accvgpr_write_b32 a10, v16
	v_accvgpr_write_b32 a12, v18
	;; [unrolled: 1-line block ×18, first 2 shown]
	v_ashrrev_i32_e32 v9, 31, v8
	v_accvgpr_write_b32 a11, v17
	global_load_dwordx2 v[16:17], v[16:17], off
	v_accvgpr_write_b32 a13, v19
	global_load_dwordx2 v[18:19], v[18:19], off
	v_accvgpr_write_b32 a15, v21
	global_load_dwordx2 v[20:21], v[20:21], off
	v_accvgpr_write_b32 a17, v23
	global_load_dwordx2 v[22:23], v[22:23], off
	v_accvgpr_write_b32 a19, v25
	global_load_dwordx2 v[24:25], v[24:25], off
	v_accvgpr_write_b32 a21, v27
	global_load_dwordx2 v[26:27], v[26:27], off
	v_accvgpr_write_b32 a23, v29
	global_load_dwordx2 v[28:29], v[28:29], off
	v_accvgpr_write_b32 a25, v31
	global_load_dwordx2 v[30:31], v[30:31], off
	v_accvgpr_write_b32 a27, v33
	global_load_dwordx2 v[32:33], v[32:33], off
	v_accvgpr_write_b32 a29, v35
	global_load_dwordx2 v[34:35], v[34:35], off
	v_accvgpr_write_b32 a31, v37
	global_load_dwordx2 v[36:37], v[36:37], off
	v_accvgpr_write_b32 a33, v39
	global_load_dwordx2 v[38:39], v[38:39], off
	v_accvgpr_write_b32 a35, v41
	global_load_dwordx2 v[40:41], v[40:41], off
	v_accvgpr_write_b32 a37, v43
	global_load_dwordx2 v[42:43], v[42:43], off
	v_accvgpr_write_b32 a39, v45
	global_load_dwordx2 v[44:45], v[44:45], off
	v_accvgpr_write_b32 a41, v47
	global_load_dwordx2 v[46:47], v[46:47], off
	v_accvgpr_write_b32 a43, v49
	global_load_dwordx2 v[48:49], v[48:49], off
	v_accvgpr_write_b32 a45, v51
	global_load_dwordx2 v[50:51], v[50:51], off
	s_nop 0
	global_load_dwordx2 v[52:53], v[186:187], off
	global_load_dwordx2 v[54:55], v[188:189], off
	;; [unrolled: 1-line block ×26, first 2 shown]
	v_lshl_add_u64 v[242:243], v[8:9], 3, s[0:1]
	global_load_dwordx2 v[104:105], v[238:239], off
	global_load_dwordx2 v[106:107], v[240:241], off
	;; [unrolled: 1-line block ×3, first 2 shown]
	s_bitcmp0_b32 s4, 0
	s_mov_b64 s[4:5], -1
	s_waitcnt vmcnt(50)
	scratch_store_dwordx4 off, v[4:7], off
	s_waitcnt vmcnt(49)
	scratch_store_dwordx4 off, v[10:13], off offset:16
	s_waitcnt vmcnt(48)
	scratch_store_dwordx4 off, v[14:17], off offset:32
	;; [unrolled: 2-line block ×25, first 2 shown]
	s_cbranch_scc1 .LBB51_220
; %bb.4:
	v_cmp_eq_u32_e64 s[0:1], 0, v0
	s_and_saveexec_b64 s[4:5], s[0:1]
; %bb.5:
	v_mov_b32_e32 v1, 0
	ds_write_b32 v1, v1 offset:832
; %bb.6:
	s_or_b64 exec, exec, s[4:5]
	s_waitcnt lgkmcnt(0)
	; wave barrier
	scratch_load_dwordx2 v[4:5], v2, off
	s_waitcnt vmcnt(0)
	v_cmp_eq_f32_e32 vcc, 0, v4
	v_cmp_eq_f32_e64 s[4:5], 0, v5
	s_and_b64 s[4:5], vcc, s[4:5]
	s_and_saveexec_b64 s[8:9], s[4:5]
	s_cbranch_execz .LBB51_10
; %bb.7:
	v_mov_b32_e32 v1, 0
	ds_read_b32 v4, v1 offset:832
	v_add_u32_e32 v3, 1, v0
	s_waitcnt lgkmcnt(0)
	v_readfirstlane_b32 s4, v4
	s_cmp_eq_u32 s4, 0
	s_cselect_b64 s[10:11], -1, 0
	v_cmp_gt_i32_e32 vcc, s4, v3
	s_or_b64 s[10:11], s[10:11], vcc
	s_and_b64 exec, exec, s[10:11]
	s_cbranch_execz .LBB51_10
; %bb.8:
	s_mov_b64 s[10:11], 0
	v_mov_b32_e32 v4, s4
.LBB51_9:                               ; =>This Inner Loop Header: Depth=1
	ds_cmpst_rtn_b32 v4, v1, v4, v3 offset:832
	s_waitcnt lgkmcnt(0)
	v_cmp_ne_u32_e32 vcc, 0, v4
	v_cmp_le_i32_e64 s[4:5], v4, v3
	s_and_b64 s[4:5], vcc, s[4:5]
	s_and_b64 s[4:5], exec, s[4:5]
	s_or_b64 s[10:11], s[4:5], s[10:11]
	s_andn2_b64 exec, exec, s[10:11]
	s_cbranch_execnz .LBB51_9
.LBB51_10:
	s_or_b64 exec, exec, s[8:9]
	v_mov_b32_e32 v3, 0
	; wave barrier
	ds_read_b32 v1, v3 offset:832
	s_and_saveexec_b64 s[4:5], s[0:1]
	s_cbranch_execz .LBB51_12
; %bb.11:
	s_lshl_b64 s[8:9], s[2:3], 2
	s_add_u32 s8, s6, s8
	s_addc_u32 s9, s7, s9
	s_waitcnt lgkmcnt(0)
	global_store_dword v3, v1, s[8:9]
.LBB51_12:
	s_or_b64 exec, exec, s[4:5]
	s_waitcnt lgkmcnt(0)
	v_cmp_ne_u32_e32 vcc, 0, v1
	s_mov_b64 s[4:5], 0
	s_cbranch_vccnz .LBB51_220
; %bb.13:
	v_mov_b32_e32 v3, v2
	scratch_load_dwordx2 v[4:5], v3, off
                                        ; implicit-def: $vgpr7
                                        ; implicit-def: $vgpr8
	s_waitcnt vmcnt(0)
	v_cmp_ngt_f32_e64 s[4:5], |v4|, |v5|
	s_and_saveexec_b64 s[8:9], s[4:5]
	s_xor_b64 s[4:5], exec, s[8:9]
	s_cbranch_execz .LBB51_15
; %bb.14:
	v_div_scale_f32 v1, s[8:9], v5, v5, v4
	v_rcp_f32_e32 v6, v1
	v_div_scale_f32 v7, vcc, v4, v5, v4
	v_fma_f32 v8, -v1, v6, 1.0
	v_fmac_f32_e32 v6, v8, v6
	v_mul_f32_e32 v8, v7, v6
	v_fma_f32 v9, -v1, v8, v7
	v_fmac_f32_e32 v8, v9, v6
	v_fma_f32 v1, -v1, v8, v7
	v_div_fmas_f32 v1, v1, v6, v8
	v_div_fixup_f32 v1, v1, v5, v4
	v_fmac_f32_e32 v5, v4, v1
	v_div_scale_f32 v4, s[8:9], v5, v5, -1.0
	v_rcp_f32_e32 v6, v4
	s_nop 0
	v_fma_f32 v7, -v4, v6, 1.0
	v_fmac_f32_e32 v6, v7, v6
	v_div_scale_f32 v7, vcc, -1.0, v5, -1.0
	v_mul_f32_e32 v8, v7, v6
	v_fma_f32 v9, -v4, v8, v7
	v_fmac_f32_e32 v8, v9, v6
	v_fma_f32 v4, -v4, v8, v7
	v_div_fmas_f32 v4, v4, v6, v8
	v_div_fixup_f32 v7, v4, v5, -1.0
	v_mul_f32_e32 v8, v1, v7
	v_xor_b32_e32 v6, 0x80000000, v8
                                        ; implicit-def: $vgpr4_vgpr5
.LBB51_15:
	s_andn2_saveexec_b64 s[4:5], s[4:5]
	s_cbranch_execz .LBB51_17
; %bb.16:
	v_div_scale_f32 v1, s[8:9], v4, v4, v5
	v_rcp_f32_e32 v6, v1
	v_div_scale_f32 v7, vcc, v5, v4, v5
	v_fma_f32 v8, -v1, v6, 1.0
	v_fmac_f32_e32 v6, v8, v6
	v_mul_f32_e32 v8, v7, v6
	v_fma_f32 v9, -v1, v8, v7
	v_fmac_f32_e32 v8, v9, v6
	v_fma_f32 v1, -v1, v8, v7
	v_div_fmas_f32 v1, v1, v6, v8
	v_div_fixup_f32 v1, v1, v4, v5
	v_fmac_f32_e32 v4, v5, v1
	v_div_scale_f32 v5, s[8:9], v4, v4, 1.0
	v_rcp_f32_e32 v6, v5
	s_nop 0
	v_fma_f32 v7, -v5, v6, 1.0
	v_fmac_f32_e32 v6, v7, v6
	v_div_scale_f32 v7, vcc, 1.0, v4, 1.0
	v_mul_f32_e32 v8, v7, v6
	v_fma_f32 v9, -v5, v8, v7
	v_fmac_f32_e32 v8, v9, v6
	v_fma_f32 v5, -v5, v8, v7
	v_div_fmas_f32 v5, v5, v6, v8
	v_div_fixup_f32 v6, v5, v4, 1.0
	v_xor_b32_e32 v8, 0x80000000, v6
	v_mul_f32_e64 v7, v1, -v6
.LBB51_17:
	s_or_b64 exec, exec, s[4:5]
	scratch_store_dwordx2 v3, v[6:7], off
	scratch_load_dwordx2 v[4:5], off, off offset:8
	v_xor_b32_e32 v9, 0x80000000, v7
	v_add_u32_e32 v1, 0x1a0, v2
	s_waitcnt vmcnt(0)
	ds_write2_b64 v2, v[8:9], v[4:5] offset1:52
	s_waitcnt lgkmcnt(0)
	; wave barrier
	s_and_saveexec_b64 s[4:5], s[0:1]
	s_cbranch_execz .LBB51_19
; %bb.18:
	scratch_load_dwordx2 v[4:5], v3, off
	ds_read_b64 v[6:7], v1
	v_mov_b32_e32 v8, 0
	ds_read_b64 v[8:9], v8 offset:8
	s_waitcnt vmcnt(0) lgkmcnt(1)
	v_pk_mul_f32 v[10:11], v[6:7], v[4:5] op_sel:[1,1] op_sel_hi:[0,1]
	v_pk_fma_f32 v[12:13], v[6:7], v[4:5], v[10:11] neg_lo:[0,0,1] neg_hi:[0,0,1]
	v_pk_fma_f32 v[4:5], v[6:7], v[4:5], v[10:11] op_sel_hi:[1,0,1]
	s_nop 0
	v_mov_b32_e32 v13, v5
	v_pk_add_f32 v[4:5], v[12:13], 0 op_sel_hi:[1,0]
	s_waitcnt lgkmcnt(0)
	v_pk_mul_f32 v[6:7], v[4:5], v[8:9] op_sel:[1,1] op_sel_hi:[0,1]
	v_pk_fma_f32 v[10:11], v[4:5], v[8:9], v[6:7] neg_lo:[0,0,1] neg_hi:[0,0,1]
	v_pk_fma_f32 v[4:5], v[4:5], v[8:9], v[6:7] op_sel_hi:[1,0,1]
	s_nop 0
	v_mov_b32_e32 v11, v5
	scratch_store_dwordx2 off, v[10:11], off offset:8
.LBB51_19:
	s_or_b64 exec, exec, s[4:5]
	; wave barrier
	scratch_load_dwordx2 v[4:5], off, off offset:16
	v_cmp_gt_u32_e32 vcc, 2, v0
	s_waitcnt vmcnt(0)
	ds_write_b64 v1, v[4:5]
	s_waitcnt lgkmcnt(0)
	; wave barrier
	s_and_saveexec_b64 s[4:5], vcc
	s_cbranch_execz .LBB51_23
; %bb.20:
	scratch_load_dwordx2 v[4:5], v3, off
	ds_read_b64 v[6:7], v1
	s_waitcnt vmcnt(0) lgkmcnt(0)
	v_pk_mul_f32 v[8:9], v[6:7], v[4:5] op_sel:[1,1] op_sel_hi:[0,1]
	v_pk_fma_f32 v[10:11], v[6:7], v[4:5], v[8:9] neg_lo:[0,0,1] neg_hi:[0,0,1]
	v_pk_fma_f32 v[4:5], v[6:7], v[4:5], v[8:9] op_sel_hi:[1,0,1]
	s_nop 0
	v_mov_b32_e32 v11, v5
	v_pk_add_f32 v[4:5], v[10:11], 0 op_sel_hi:[1,0]
	s_and_saveexec_b64 s[8:9], s[0:1]
	s_cbranch_execz .LBB51_22
; %bb.21:
	scratch_load_dwordx2 v[6:7], off, off offset:8
	v_mov_b32_e32 v3, 0
	ds_read_b64 v[8:9], v3 offset:424
	s_waitcnt vmcnt(0) lgkmcnt(0)
	v_pk_mul_f32 v[10:11], v[8:9], v[6:7] op_sel:[1,1] op_sel_hi:[0,1]
	v_pk_fma_f32 v[12:13], v[8:9], v[6:7], v[10:11] neg_lo:[0,0,1] neg_hi:[0,0,1]
	v_pk_fma_f32 v[6:7], v[8:9], v[6:7], v[10:11] op_sel_hi:[1,0,1]
	s_nop 0
	v_mov_b32_e32 v13, v7
	v_pk_add_f32 v[4:5], v[4:5], v[12:13]
.LBB51_22:
	s_or_b64 exec, exec, s[8:9]
	v_mov_b32_e32 v3, 0
	ds_read_b64 v[6:7], v3 offset:16
	s_waitcnt lgkmcnt(0)
	v_pk_mul_f32 v[8:9], v[4:5], v[6:7] op_sel:[1,1] op_sel_hi:[0,1]
	v_pk_fma_f32 v[10:11], v[4:5], v[6:7], v[8:9] neg_lo:[0,0,1] neg_hi:[0,0,1]
	v_pk_fma_f32 v[4:5], v[4:5], v[6:7], v[8:9] op_sel_hi:[1,0,1]
	s_nop 0
	v_mov_b32_e32 v11, v5
	scratch_store_dwordx2 off, v[10:11], off offset:16
.LBB51_23:
	s_or_b64 exec, exec, s[4:5]
	; wave barrier
	scratch_load_dwordx2 v[4:5], off, off offset:24
	v_cmp_gt_u32_e32 vcc, 3, v0
	v_add_u32_e32 v6, -1, v0
	s_waitcnt vmcnt(0)
	ds_write_b64 v1, v[4:5]
	s_waitcnt lgkmcnt(0)
	; wave barrier
	s_and_saveexec_b64 s[0:1], vcc
	s_cbranch_execz .LBB51_27
; %bb.24:
	v_mov_b32_e32 v4, 0
	v_add_u32_e32 v3, -1, v0
	v_add_u32_e32 v7, 0x1a0, v2
	v_mov_b32_e32 v8, v2
	s_mov_b64 s[4:5], 0
	v_mov_b32_e32 v5, v4
.LBB51_25:                              ; =>This Inner Loop Header: Depth=1
	scratch_load_dwordx2 v[10:11], v8, off
	ds_read_b64 v[12:13], v7
	v_add_u32_e32 v3, 1, v3
	v_cmp_lt_u32_e32 vcc, 1, v3
	v_add_u32_e32 v7, 8, v7
	v_add_u32_e32 v8, 8, v8
	s_or_b64 s[4:5], vcc, s[4:5]
	s_waitcnt vmcnt(0) lgkmcnt(0)
	v_pk_mul_f32 v[14:15], v[12:13], v[10:11] op_sel:[1,1] op_sel_hi:[0,1]
	v_pk_fma_f32 v[16:17], v[12:13], v[10:11], v[14:15] neg_lo:[0,0,1] neg_hi:[0,0,1]
	v_pk_fma_f32 v[10:11], v[12:13], v[10:11], v[14:15] op_sel_hi:[1,0,1]
	s_nop 0
	v_mov_b32_e32 v17, v11
	v_pk_add_f32 v[4:5], v[4:5], v[16:17]
	s_andn2_b64 exec, exec, s[4:5]
	s_cbranch_execnz .LBB51_25
; %bb.26:
	s_or_b64 exec, exec, s[4:5]
	v_mov_b32_e32 v3, 0
	ds_read_b64 v[8:9], v3 offset:24
	s_waitcnt lgkmcnt(0)
	v_pk_mul_f32 v[10:11], v[4:5], v[8:9] op_sel:[1,1] op_sel_hi:[0,1]
	v_pk_fma_f32 v[12:13], v[4:5], v[8:9], v[10:11] neg_lo:[0,0,1] neg_hi:[0,0,1]
	v_pk_fma_f32 v[4:5], v[4:5], v[8:9], v[10:11] op_sel_hi:[1,0,1]
	s_nop 0
	v_mov_b32_e32 v13, v5
	scratch_store_dwordx2 off, v[12:13], off offset:24
.LBB51_27:
	s_or_b64 exec, exec, s[0:1]
	; wave barrier
	scratch_load_dwordx2 v[4:5], off, off offset:32
	v_cmp_gt_u32_e32 vcc, 4, v0
	s_waitcnt vmcnt(0)
	ds_write_b64 v1, v[4:5]
	s_waitcnt lgkmcnt(0)
	; wave barrier
	s_and_saveexec_b64 s[0:1], vcc
	s_cbranch_execz .LBB51_31
; %bb.28:
	v_mov_b32_e32 v4, 0
	v_add_u32_e32 v3, -1, v0
	v_add_u32_e32 v7, 0x1a0, v2
	v_mov_b32_e32 v8, v2
	s_mov_b64 s[4:5], 0
	v_mov_b32_e32 v5, v4
.LBB51_29:                              ; =>This Inner Loop Header: Depth=1
	scratch_load_dwordx2 v[10:11], v8, off
	ds_read_b64 v[12:13], v7
	v_add_u32_e32 v3, 1, v3
	v_cmp_lt_u32_e32 vcc, 2, v3
	v_add_u32_e32 v7, 8, v7
	v_add_u32_e32 v8, 8, v8
	s_or_b64 s[4:5], vcc, s[4:5]
	s_waitcnt vmcnt(0) lgkmcnt(0)
	v_pk_mul_f32 v[14:15], v[12:13], v[10:11] op_sel:[1,1] op_sel_hi:[0,1]
	v_pk_fma_f32 v[16:17], v[12:13], v[10:11], v[14:15] neg_lo:[0,0,1] neg_hi:[0,0,1]
	v_pk_fma_f32 v[10:11], v[12:13], v[10:11], v[14:15] op_sel_hi:[1,0,1]
	s_nop 0
	v_mov_b32_e32 v17, v11
	v_pk_add_f32 v[4:5], v[4:5], v[16:17]
	s_andn2_b64 exec, exec, s[4:5]
	s_cbranch_execnz .LBB51_29
; %bb.30:
	s_or_b64 exec, exec, s[4:5]
	v_mov_b32_e32 v3, 0
	ds_read_b64 v[8:9], v3 offset:32
	s_waitcnt lgkmcnt(0)
	v_pk_mul_f32 v[10:11], v[4:5], v[8:9] op_sel:[1,1] op_sel_hi:[0,1]
	v_pk_fma_f32 v[12:13], v[4:5], v[8:9], v[10:11] neg_lo:[0,0,1] neg_hi:[0,0,1]
	v_pk_fma_f32 v[4:5], v[4:5], v[8:9], v[10:11] op_sel_hi:[1,0,1]
	s_nop 0
	v_mov_b32_e32 v13, v5
	scratch_store_dwordx2 off, v[12:13], off offset:32
.LBB51_31:
	s_or_b64 exec, exec, s[0:1]
	; wave barrier
	scratch_load_dwordx2 v[4:5], off, off offset:40
	v_cmp_gt_u32_e32 vcc, 5, v0
	;; [unrolled: 46-line block ×19, first 2 shown]
	s_waitcnt vmcnt(0)
	ds_write_b64 v1, v[4:5]
	s_waitcnt lgkmcnt(0)
	; wave barrier
	s_and_saveexec_b64 s[0:1], vcc
	s_cbranch_execz .LBB51_103
; %bb.100:
	v_mov_b32_e32 v4, 0
	v_add_u32_e32 v3, -1, v0
	v_add_u32_e32 v7, 0x1a0, v2
	v_mov_b32_e32 v8, v2
	s_mov_b64 s[4:5], 0
	v_mov_b32_e32 v5, v4
.LBB51_101:                             ; =>This Inner Loop Header: Depth=1
	scratch_load_dwordx2 v[10:11], v8, off
	ds_read_b64 v[12:13], v7
	v_add_u32_e32 v3, 1, v3
	v_cmp_lt_u32_e32 vcc, 20, v3
	v_add_u32_e32 v7, 8, v7
	v_add_u32_e32 v8, 8, v8
	s_or_b64 s[4:5], vcc, s[4:5]
	s_waitcnt vmcnt(0) lgkmcnt(0)
	v_pk_mul_f32 v[14:15], v[12:13], v[10:11] op_sel:[1,1] op_sel_hi:[0,1]
	v_pk_fma_f32 v[16:17], v[12:13], v[10:11], v[14:15] neg_lo:[0,0,1] neg_hi:[0,0,1]
	v_pk_fma_f32 v[10:11], v[12:13], v[10:11], v[14:15] op_sel_hi:[1,0,1]
	s_nop 0
	v_mov_b32_e32 v17, v11
	v_pk_add_f32 v[4:5], v[4:5], v[16:17]
	s_andn2_b64 exec, exec, s[4:5]
	s_cbranch_execnz .LBB51_101
; %bb.102:
	s_or_b64 exec, exec, s[4:5]
	v_mov_b32_e32 v3, 0
	ds_read_b64 v[8:9], v3 offset:176
	s_waitcnt lgkmcnt(0)
	v_pk_mul_f32 v[10:11], v[4:5], v[8:9] op_sel:[1,1] op_sel_hi:[0,1]
	v_pk_fma_f32 v[12:13], v[4:5], v[8:9], v[10:11] neg_lo:[0,0,1] neg_hi:[0,0,1]
	v_pk_fma_f32 v[4:5], v[4:5], v[8:9], v[10:11] op_sel_hi:[1,0,1]
	s_nop 0
	v_mov_b32_e32 v13, v5
	scratch_store_dwordx2 off, v[12:13], off offset:176
.LBB51_103:
	s_or_b64 exec, exec, s[0:1]
	; wave barrier
	scratch_load_dwordx2 v[4:5], off, off offset:184
	v_cmp_gt_u32_e32 vcc, 23, v0
	s_waitcnt vmcnt(0)
	ds_write_b64 v1, v[4:5]
	s_waitcnt lgkmcnt(0)
	; wave barrier
	s_and_saveexec_b64 s[0:1], vcc
	s_cbranch_execz .LBB51_107
; %bb.104:
	v_mov_b32_e32 v4, 0
	v_add_u32_e32 v3, -1, v0
	v_add_u32_e32 v7, 0x1a0, v2
	v_mov_b32_e32 v8, v2
	s_mov_b64 s[4:5], 0
	v_mov_b32_e32 v5, v4
.LBB51_105:                             ; =>This Inner Loop Header: Depth=1
	scratch_load_dwordx2 v[10:11], v8, off
	ds_read_b64 v[12:13], v7
	v_add_u32_e32 v3, 1, v3
	v_cmp_lt_u32_e32 vcc, 21, v3
	v_add_u32_e32 v7, 8, v7
	v_add_u32_e32 v8, 8, v8
	s_or_b64 s[4:5], vcc, s[4:5]
	s_waitcnt vmcnt(0) lgkmcnt(0)
	v_pk_mul_f32 v[14:15], v[12:13], v[10:11] op_sel:[1,1] op_sel_hi:[0,1]
	v_pk_fma_f32 v[16:17], v[12:13], v[10:11], v[14:15] neg_lo:[0,0,1] neg_hi:[0,0,1]
	v_pk_fma_f32 v[10:11], v[12:13], v[10:11], v[14:15] op_sel_hi:[1,0,1]
	s_nop 0
	v_mov_b32_e32 v17, v11
	v_pk_add_f32 v[4:5], v[4:5], v[16:17]
	s_andn2_b64 exec, exec, s[4:5]
	s_cbranch_execnz .LBB51_105
; %bb.106:
	s_or_b64 exec, exec, s[4:5]
	v_mov_b32_e32 v3, 0
	ds_read_b64 v[8:9], v3 offset:184
	s_waitcnt lgkmcnt(0)
	v_pk_mul_f32 v[10:11], v[4:5], v[8:9] op_sel:[1,1] op_sel_hi:[0,1]
	v_pk_fma_f32 v[12:13], v[4:5], v[8:9], v[10:11] neg_lo:[0,0,1] neg_hi:[0,0,1]
	v_pk_fma_f32 v[4:5], v[4:5], v[8:9], v[10:11] op_sel_hi:[1,0,1]
	s_nop 0
	v_mov_b32_e32 v13, v5
	scratch_store_dwordx2 off, v[12:13], off offset:184
.LBB51_107:
	s_or_b64 exec, exec, s[0:1]
	; wave barrier
	scratch_load_dwordx2 v[4:5], off, off offset:192
	v_cmp_gt_u32_e32 vcc, 24, v0
	;; [unrolled: 46-line block ×28, first 2 shown]
	s_waitcnt vmcnt(0)
	ds_write_b64 v1, v[4:5]
	s_waitcnt lgkmcnt(0)
	; wave barrier
	s_and_saveexec_b64 s[0:1], vcc
	s_cbranch_execz .LBB51_215
; %bb.212:
	v_mov_b32_e32 v4, 0
	v_add_u32_e32 v3, -1, v0
	v_add_u32_e32 v7, 0x1a0, v2
	v_mov_b32_e32 v8, v2
	s_mov_b64 s[4:5], 0
	v_mov_b32_e32 v5, v4
.LBB51_213:                             ; =>This Inner Loop Header: Depth=1
	scratch_load_dwordx2 v[10:11], v8, off
	ds_read_b64 v[12:13], v7
	v_add_u32_e32 v3, 1, v3
	v_cmp_lt_u32_e32 vcc, 48, v3
	v_add_u32_e32 v7, 8, v7
	v_add_u32_e32 v8, 8, v8
	s_or_b64 s[4:5], vcc, s[4:5]
	s_waitcnt vmcnt(0) lgkmcnt(0)
	v_pk_mul_f32 v[14:15], v[12:13], v[10:11] op_sel:[1,1] op_sel_hi:[0,1]
	v_pk_fma_f32 v[16:17], v[12:13], v[10:11], v[14:15] neg_lo:[0,0,1] neg_hi:[0,0,1]
	v_pk_fma_f32 v[10:11], v[12:13], v[10:11], v[14:15] op_sel_hi:[1,0,1]
	s_nop 0
	v_mov_b32_e32 v17, v11
	v_pk_add_f32 v[4:5], v[4:5], v[16:17]
	s_andn2_b64 exec, exec, s[4:5]
	s_cbranch_execnz .LBB51_213
; %bb.214:
	s_or_b64 exec, exec, s[4:5]
	v_mov_b32_e32 v3, 0
	ds_read_b64 v[8:9], v3 offset:400
	s_waitcnt lgkmcnt(0)
	v_pk_mul_f32 v[10:11], v[4:5], v[8:9] op_sel:[1,1] op_sel_hi:[0,1]
	v_pk_fma_f32 v[12:13], v[4:5], v[8:9], v[10:11] neg_lo:[0,0,1] neg_hi:[0,0,1]
	v_pk_fma_f32 v[4:5], v[4:5], v[8:9], v[10:11] op_sel_hi:[1,0,1]
	s_nop 0
	v_mov_b32_e32 v13, v5
	scratch_store_dwordx2 off, v[12:13], off offset:400
.LBB51_215:
	s_or_b64 exec, exec, s[0:1]
	; wave barrier
	scratch_load_dwordx2 v[4:5], off, off offset:408
	v_cmp_ne_u32_e32 vcc, 51, v0
	s_waitcnt vmcnt(0)
	ds_write_b64 v1, v[4:5]
	s_waitcnt lgkmcnt(0)
	; wave barrier
	s_and_saveexec_b64 s[0:1], vcc
	s_cbranch_execz .LBB51_219
; %bb.216:
	v_add_u32_e32 v1, 0x1a0, v2
	v_mov_b32_e32 v4, v2
	v_mov_b32_e32 v2, 0
	s_mov_b64 s[4:5], 0
	v_mov_b32_e32 v3, v2
.LBB51_217:                             ; =>This Inner Loop Header: Depth=1
	scratch_load_dwordx2 v[8:9], v4, off
	ds_read_b64 v[10:11], v1
	v_add_u32_e32 v6, 1, v6
	v_cmp_lt_u32_e32 vcc, 49, v6
	v_add_u32_e32 v1, 8, v1
	v_add_u32_e32 v4, 8, v4
	s_or_b64 s[4:5], vcc, s[4:5]
	s_waitcnt vmcnt(0) lgkmcnt(0)
	v_pk_mul_f32 v[12:13], v[10:11], v[8:9] op_sel:[1,1] op_sel_hi:[0,1]
	v_pk_fma_f32 v[14:15], v[10:11], v[8:9], v[12:13] neg_lo:[0,0,1] neg_hi:[0,0,1]
	v_pk_fma_f32 v[8:9], v[10:11], v[8:9], v[12:13] op_sel_hi:[1,0,1]
	s_nop 0
	v_mov_b32_e32 v15, v9
	v_pk_add_f32 v[2:3], v[2:3], v[14:15]
	s_andn2_b64 exec, exec, s[4:5]
	s_cbranch_execnz .LBB51_217
; %bb.218:
	s_or_b64 exec, exec, s[4:5]
	v_mov_b32_e32 v1, 0
	ds_read_b64 v[4:5], v1 offset:408
	s_waitcnt lgkmcnt(0)
	v_pk_mul_f32 v[6:7], v[2:3], v[4:5] op_sel:[1,1] op_sel_hi:[0,1]
	v_pk_fma_f32 v[8:9], v[2:3], v[4:5], v[6:7] neg_lo:[0,0,1] neg_hi:[0,0,1]
	v_pk_fma_f32 v[2:3], v[2:3], v[4:5], v[6:7] op_sel_hi:[1,0,1]
	s_nop 0
	v_mov_b32_e32 v9, v3
	scratch_store_dwordx2 off, v[8:9], off offset:408
.LBB51_219:
	s_or_b64 exec, exec, s[0:1]
	s_mov_b64 s[4:5], -1
	; wave barrier
.LBB51_220:
	s_and_b64 vcc, exec, s[4:5]
	s_cbranch_vccz .LBB51_222
; %bb.221:
	s_lshl_b64 s[0:1], s[2:3], 2
	s_add_u32 s0, s6, s0
	s_addc_u32 s1, s7, s1
	v_mov_b32_e32 v1, 0
	global_load_dword v1, v1, s[0:1]
	s_waitcnt vmcnt(0)
	v_cmp_ne_u32_e32 vcc, 0, v1
	s_cbranch_vccz .LBB51_223
.LBB51_222:
	s_endpgm
.LBB51_223:
	v_mov_b32_e32 v1, 0x1a0
	v_lshl_add_u32 v1, v0, 3, v1
	v_cmp_eq_u32_e32 vcc, 51, v0
	s_and_saveexec_b64 s[0:1], vcc
	s_cbranch_execz .LBB51_225
; %bb.224:
	scratch_load_dwordx2 v[2:3], off, off offset:400
	v_mov_b32_e32 v4, 0
	v_mov_b32_e32 v5, v4
	scratch_store_dwordx2 off, v[4:5], off offset:400
	s_waitcnt vmcnt(1)
	ds_write_b64 v1, v[2:3]
.LBB51_225:
	s_or_b64 exec, exec, s[0:1]
	s_waitcnt lgkmcnt(0)
	; wave barrier
	scratch_load_dwordx2 v[4:5], off, off offset:408
	scratch_load_dwordx2 v[6:7], off, off offset:400
	v_mov_b32_e32 v2, 0
	ds_read_b64 v[8:9], v2 offset:824
	v_cmp_lt_u32_e32 vcc, 49, v0
	s_waitcnt vmcnt(1) lgkmcnt(0)
	v_pk_mul_f32 v[10:11], v[8:9], v[4:5] op_sel:[1,1] op_sel_hi:[0,1]
	v_pk_fma_f32 v[12:13], v[8:9], v[4:5], v[10:11] neg_lo:[0,0,1] neg_hi:[0,0,1]
	v_pk_fma_f32 v[4:5], v[8:9], v[4:5], v[10:11] op_sel_hi:[1,0,1]
	s_nop 0
	v_mov_b32_e32 v13, v5
	v_pk_add_f32 v[4:5], v[12:13], 0 op_sel_hi:[1,0]
	s_waitcnt vmcnt(0)
	v_pk_add_f32 v[4:5], v[6:7], v[4:5] neg_lo:[0,1] neg_hi:[0,1]
	scratch_store_dwordx2 off, v[4:5], off offset:400
	s_and_saveexec_b64 s[0:1], vcc
	s_cbranch_execz .LBB51_227
; %bb.226:
	scratch_load_dwordx2 v[4:5], off, off offset:392
	v_mov_b32_e32 v3, v2
	scratch_store_dwordx2 off, v[2:3], off offset:392
	s_waitcnt vmcnt(1)
	ds_write_b64 v1, v[4:5]
.LBB51_227:
	s_or_b64 exec, exec, s[0:1]
	s_waitcnt lgkmcnt(0)
	; wave barrier
	scratch_load_dwordx4 v[4:7], off, off offset:400
	scratch_load_dwordx2 v[12:13], off, off offset:392
	ds_read_b128 v[8:11], v2 offset:816
	v_cmp_lt_u32_e32 vcc, 48, v0
	s_waitcnt vmcnt(1) lgkmcnt(0)
	v_pk_mul_f32 v[2:3], v[8:9], v[4:5] op_sel:[1,1] op_sel_hi:[0,1]
	v_mov_b32_e32 v14, v7
	v_pk_fma_f32 v[16:17], v[8:9], v[4:5], v[2:3] neg_lo:[0,0,1] neg_hi:[0,0,1]
	v_pk_fma_f32 v[2:3], v[8:9], v[4:5], v[2:3] op_sel_hi:[1,0,1]
	v_pk_mul_f32 v[4:5], v[10:11], v[14:15] op_sel:[1,0] op_sel_hi:[0,0]
	v_mov_b32_e32 v17, v3
	v_pk_fma_f32 v[2:3], v[10:11], v[6:7], v[4:5] neg_lo:[0,0,1] neg_hi:[0,0,1]
	v_pk_fma_f32 v[4:5], v[10:11], v[6:7], v[4:5] op_sel_hi:[1,0,1]
	v_pk_add_f32 v[6:7], v[16:17], 0 op_sel_hi:[1,0]
	v_mov_b32_e32 v3, v5
	v_pk_add_f32 v[2:3], v[6:7], v[2:3]
	s_waitcnt vmcnt(0)
	v_pk_add_f32 v[2:3], v[12:13], v[2:3] neg_lo:[0,1] neg_hi:[0,1]
	scratch_store_dwordx2 off, v[2:3], off offset:392
	s_and_saveexec_b64 s[0:1], vcc
	s_cbranch_execz .LBB51_229
; %bb.228:
	scratch_load_dwordx2 v[2:3], off, off offset:384
	v_mov_b32_e32 v4, 0
	v_mov_b32_e32 v5, v4
	scratch_store_dwordx2 off, v[4:5], off offset:384
	s_waitcnt vmcnt(1)
	ds_write_b64 v1, v[2:3]
.LBB51_229:
	s_or_b64 exec, exec, s[0:1]
	s_waitcnt lgkmcnt(0)
	; wave barrier
	scratch_load_dwordx4 v[4:7], off, off offset:392
	scratch_load_dwordx2 v[12:13], off, off offset:408
	v_mov_b32_e32 v2, 0
	ds_read2_b64 v[8:11], v2 offset0:101 offset1:102
	ds_read_b64 v[14:15], v2 offset:824
	v_cmp_lt_u32_e32 vcc, 47, v0
	s_waitcnt vmcnt(1) lgkmcnt(1)
	v_pk_mul_f32 v[16:17], v[8:9], v[4:5] op_sel:[1,1] op_sel_hi:[0,1]
	v_pk_fma_f32 v[18:19], v[8:9], v[4:5], v[16:17] neg_lo:[0,0,1] neg_hi:[0,0,1]
	v_pk_fma_f32 v[4:5], v[8:9], v[4:5], v[16:17] op_sel_hi:[1,0,1]
	v_mov_b32_e32 v8, v7
	v_pk_mul_f32 v[8:9], v[10:11], v[8:9] op_sel:[1,0] op_sel_hi:[0,0]
	v_pk_fma_f32 v[16:17], v[10:11], v[6:7], v[8:9] neg_lo:[0,0,1] neg_hi:[0,0,1]
	v_pk_fma_f32 v[6:7], v[10:11], v[6:7], v[8:9] op_sel_hi:[1,0,1]
	v_mov_b32_e32 v19, v5
	v_mov_b32_e32 v17, v7
	s_waitcnt vmcnt(0) lgkmcnt(0)
	v_pk_mul_f32 v[6:7], v[14:15], v[12:13] op_sel:[1,1] op_sel_hi:[0,1]
	v_pk_fma_f32 v[8:9], v[14:15], v[12:13], v[6:7] neg_lo:[0,0,1] neg_hi:[0,0,1]
	v_pk_fma_f32 v[6:7], v[14:15], v[12:13], v[6:7] op_sel_hi:[1,0,1]
	v_pk_add_f32 v[4:5], v[18:19], 0 op_sel_hi:[1,0]
	v_mov_b32_e32 v9, v7
	scratch_load_dwordx2 v[6:7], off, off offset:384
	v_pk_add_f32 v[4:5], v[4:5], v[16:17]
	s_nop 0
	v_pk_add_f32 v[4:5], v[4:5], v[8:9]
	s_waitcnt vmcnt(0)
	v_pk_add_f32 v[4:5], v[6:7], v[4:5] neg_lo:[0,1] neg_hi:[0,1]
	scratch_store_dwordx2 off, v[4:5], off offset:384
	s_and_saveexec_b64 s[0:1], vcc
	s_cbranch_execz .LBB51_231
; %bb.230:
	scratch_load_dwordx2 v[4:5], off, off offset:376
	v_mov_b32_e32 v3, v2
	scratch_store_dwordx2 off, v[2:3], off offset:376
	s_waitcnt vmcnt(1)
	ds_write_b64 v1, v[4:5]
.LBB51_231:
	s_or_b64 exec, exec, s[0:1]
	s_waitcnt lgkmcnt(0)
	; wave barrier
	scratch_load_dwordx4 v[4:7], off, off offset:384
	scratch_load_dwordx4 v[8:11], off, off offset:400
	ds_read_b128 v[12:15], v2 offset:800
	ds_read_b128 v[16:19], v2 offset:816
	v_cmp_lt_u32_e32 vcc, 46, v0
	s_waitcnt vmcnt(1) lgkmcnt(1)
	v_pk_mul_f32 v[2:3], v[12:13], v[4:5] op_sel:[1,1] op_sel_hi:[0,1]
	v_pk_fma_f32 v[20:21], v[12:13], v[4:5], v[2:3] neg_lo:[0,0,1] neg_hi:[0,0,1]
	v_pk_fma_f32 v[2:3], v[12:13], v[4:5], v[2:3] op_sel_hi:[1,0,1]
	v_mov_b32_e32 v4, v7
	v_pk_mul_f32 v[4:5], v[14:15], v[4:5] op_sel:[1,0] op_sel_hi:[0,0]
	v_pk_fma_f32 v[12:13], v[14:15], v[6:7], v[4:5] neg_lo:[0,0,1] neg_hi:[0,0,1]
	v_pk_fma_f32 v[4:5], v[14:15], v[6:7], v[4:5] op_sel_hi:[1,0,1]
	v_mov_b32_e32 v21, v3
	v_mov_b32_e32 v13, v5
	s_waitcnt vmcnt(0) lgkmcnt(0)
	v_pk_mul_f32 v[4:5], v[16:17], v[8:9] op_sel:[1,1] op_sel_hi:[0,1]
	v_pk_fma_f32 v[6:7], v[16:17], v[8:9], v[4:5] neg_lo:[0,0,1] neg_hi:[0,0,1]
	v_pk_fma_f32 v[4:5], v[16:17], v[8:9], v[4:5] op_sel_hi:[1,0,1]
	v_pk_add_f32 v[2:3], v[20:21], 0 op_sel_hi:[1,0]
	v_mov_b32_e32 v4, v11
	v_pk_add_f32 v[2:3], v[2:3], v[12:13]
	v_mov_b32_e32 v7, v5
	v_pk_mul_f32 v[4:5], v[18:19], v[4:5] op_sel:[1,0] op_sel_hi:[0,0]
	v_pk_add_f32 v[2:3], v[2:3], v[6:7]
	v_pk_fma_f32 v[6:7], v[18:19], v[10:11], v[4:5] neg_lo:[0,0,1] neg_hi:[0,0,1]
	v_pk_fma_f32 v[4:5], v[18:19], v[10:11], v[4:5] op_sel_hi:[1,0,1]
	s_nop 0
	v_mov_b32_e32 v7, v5
	scratch_load_dwordx2 v[4:5], off, off offset:376
	v_pk_add_f32 v[2:3], v[2:3], v[6:7]
	s_waitcnt vmcnt(0)
	v_pk_add_f32 v[2:3], v[4:5], v[2:3] neg_lo:[0,1] neg_hi:[0,1]
	scratch_store_dwordx2 off, v[2:3], off offset:376
	s_and_saveexec_b64 s[0:1], vcc
	s_cbranch_execz .LBB51_233
; %bb.232:
	scratch_load_dwordx2 v[2:3], off, off offset:368
	v_mov_b32_e32 v4, 0
	v_mov_b32_e32 v5, v4
	scratch_store_dwordx2 off, v[4:5], off offset:368
	s_waitcnt vmcnt(1)
	ds_write_b64 v1, v[2:3]
.LBB51_233:
	s_or_b64 exec, exec, s[0:1]
	s_waitcnt lgkmcnt(0)
	; wave barrier
	scratch_load_dwordx4 v[4:7], off, off offset:376
	scratch_load_dwordx4 v[8:11], off, off offset:392
	scratch_load_dwordx2 v[20:21], off, off offset:408
	scratch_load_dwordx2 v[22:23], off, off offset:368
	v_mov_b32_e32 v2, 0
	ds_read2_b64 v[12:15], v2 offset0:99 offset1:100
	ds_read2_b64 v[16:19], v2 offset0:101 offset1:102
	ds_read_b64 v[24:25], v2 offset:824
	v_cmp_lt_u32_e32 vcc, 45, v0
	s_waitcnt vmcnt(3) lgkmcnt(2)
	v_pk_mul_f32 v[26:27], v[12:13], v[4:5] op_sel:[1,1] op_sel_hi:[0,1]
	v_mov_b32_e32 v28, v7
	v_pk_fma_f32 v[36:37], v[12:13], v[4:5], v[26:27] neg_lo:[0,0,1] neg_hi:[0,0,1]
	v_pk_fma_f32 v[4:5], v[12:13], v[4:5], v[26:27] op_sel_hi:[1,0,1]
	v_pk_mul_f32 v[12:13], v[14:15], v[28:29] op_sel:[1,0] op_sel_hi:[0,0]
	s_waitcnt vmcnt(2) lgkmcnt(1)
	v_pk_mul_f32 v[30:31], v[16:17], v[8:9] op_sel:[1,1] op_sel_hi:[0,1]
	v_mov_b32_e32 v32, v11
	v_mov_b32_e32 v37, v5
	v_pk_fma_f32 v[4:5], v[14:15], v[6:7], v[12:13] neg_lo:[0,0,1] neg_hi:[0,0,1]
	v_pk_fma_f32 v[6:7], v[14:15], v[6:7], v[12:13] op_sel_hi:[1,0,1]
	v_pk_fma_f32 v[26:27], v[16:17], v[8:9], v[30:31] neg_lo:[0,0,1] neg_hi:[0,0,1]
	v_pk_fma_f32 v[8:9], v[16:17], v[8:9], v[30:31] op_sel_hi:[1,0,1]
	v_pk_mul_f32 v[16:17], v[18:19], v[32:33] op_sel:[1,0] op_sel_hi:[0,0]
	v_pk_add_f32 v[12:13], v[36:37], 0 op_sel_hi:[1,0]
	v_mov_b32_e32 v5, v7
	s_waitcnt vmcnt(1) lgkmcnt(0)
	v_pk_mul_f32 v[34:35], v[24:25], v[20:21] op_sel:[1,1] op_sel_hi:[0,1]
	v_mov_b32_e32 v27, v9
	v_pk_fma_f32 v[8:9], v[18:19], v[10:11], v[16:17] neg_lo:[0,0,1] neg_hi:[0,0,1]
	v_pk_fma_f32 v[10:11], v[18:19], v[10:11], v[16:17] op_sel_hi:[1,0,1]
	v_pk_add_f32 v[4:5], v[12:13], v[4:5]
	v_pk_fma_f32 v[28:29], v[24:25], v[20:21], v[34:35] neg_lo:[0,0,1] neg_hi:[0,0,1]
	v_pk_fma_f32 v[20:21], v[24:25], v[20:21], v[34:35] op_sel_hi:[1,0,1]
	v_mov_b32_e32 v9, v11
	v_pk_add_f32 v[4:5], v[4:5], v[26:27]
	v_mov_b32_e32 v29, v21
	v_pk_add_f32 v[4:5], v[4:5], v[8:9]
	s_nop 0
	v_pk_add_f32 v[4:5], v[4:5], v[28:29]
	s_waitcnt vmcnt(0)
	v_pk_add_f32 v[4:5], v[22:23], v[4:5] neg_lo:[0,1] neg_hi:[0,1]
	scratch_store_dwordx2 off, v[4:5], off offset:368
	s_and_saveexec_b64 s[0:1], vcc
	s_cbranch_execz .LBB51_235
; %bb.234:
	scratch_load_dwordx2 v[4:5], off, off offset:360
	v_mov_b32_e32 v3, v2
	scratch_store_dwordx2 off, v[2:3], off offset:360
	s_waitcnt vmcnt(1)
	ds_write_b64 v1, v[4:5]
.LBB51_235:
	s_or_b64 exec, exec, s[0:1]
	s_waitcnt lgkmcnt(0)
	; wave barrier
	scratch_load_dwordx4 v[4:7], off, off offset:368
	scratch_load_dwordx4 v[8:11], off, off offset:384
	;; [unrolled: 1-line block ×3, first 2 shown]
	scratch_load_dwordx2 v[28:29], off, off offset:360
	ds_read_b128 v[16:19], v2 offset:784
	ds_read_b128 v[20:23], v2 offset:800
	;; [unrolled: 1-line block ×3, first 2 shown]
	v_cmp_lt_u32_e32 vcc, 44, v0
	s_waitcnt vmcnt(3) lgkmcnt(2)
	v_pk_mul_f32 v[2:3], v[16:17], v[4:5] op_sel:[1,1] op_sel_hi:[0,1]
	v_mov_b32_e32 v30, v7
	s_waitcnt vmcnt(2) lgkmcnt(1)
	v_pk_mul_f32 v[32:33], v[20:21], v[8:9] op_sel:[1,1] op_sel_hi:[0,1]
	v_mov_b32_e32 v34, v11
	;; [unrolled: 3-line block ×3, first 2 shown]
	v_pk_fma_f32 v[40:41], v[16:17], v[4:5], v[2:3] neg_lo:[0,0,1] neg_hi:[0,0,1]
	v_pk_fma_f32 v[2:3], v[16:17], v[4:5], v[2:3] op_sel_hi:[1,0,1]
	v_pk_mul_f32 v[4:5], v[18:19], v[30:31] op_sel:[1,0] op_sel_hi:[0,0]
	v_pk_fma_f32 v[16:17], v[20:21], v[8:9], v[32:33] neg_lo:[0,0,1] neg_hi:[0,0,1]
	v_pk_fma_f32 v[8:9], v[20:21], v[8:9], v[32:33] op_sel_hi:[1,0,1]
	v_pk_mul_f32 v[20:21], v[22:23], v[34:35] op_sel:[1,0] op_sel_hi:[0,0]
	v_pk_fma_f32 v[30:31], v[24:25], v[12:13], v[36:37] neg_lo:[0,0,1] neg_hi:[0,0,1]
	v_pk_fma_f32 v[12:13], v[24:25], v[12:13], v[36:37] op_sel_hi:[1,0,1]
	v_pk_mul_f32 v[24:25], v[26:27], v[38:39] op_sel:[1,0] op_sel_hi:[0,0]
	v_mov_b32_e32 v41, v3
	v_pk_fma_f32 v[2:3], v[18:19], v[6:7], v[4:5] neg_lo:[0,0,1] neg_hi:[0,0,1]
	v_pk_fma_f32 v[4:5], v[18:19], v[6:7], v[4:5] op_sel_hi:[1,0,1]
	v_mov_b32_e32 v17, v9
	v_pk_fma_f32 v[6:7], v[22:23], v[10:11], v[20:21] neg_lo:[0,0,1] neg_hi:[0,0,1]
	v_pk_fma_f32 v[8:9], v[22:23], v[10:11], v[20:21] op_sel_hi:[1,0,1]
	;; [unrolled: 3-line block ×3, first 2 shown]
	v_pk_add_f32 v[14:15], v[40:41], 0 op_sel_hi:[1,0]
	v_mov_b32_e32 v3, v5
	v_pk_add_f32 v[2:3], v[14:15], v[2:3]
	v_mov_b32_e32 v7, v9
	v_pk_add_f32 v[2:3], v[2:3], v[16:17]
	;; [unrolled: 2-line block ×3, first 2 shown]
	s_nop 0
	v_pk_add_f32 v[2:3], v[2:3], v[30:31]
	s_nop 0
	v_pk_add_f32 v[2:3], v[2:3], v[10:11]
	s_waitcnt vmcnt(0)
	v_pk_add_f32 v[2:3], v[28:29], v[2:3] neg_lo:[0,1] neg_hi:[0,1]
	scratch_store_dwordx2 off, v[2:3], off offset:360
	s_and_saveexec_b64 s[0:1], vcc
	s_cbranch_execz .LBB51_237
; %bb.236:
	scratch_load_dwordx2 v[2:3], off, off offset:352
	v_mov_b32_e32 v4, 0
	v_mov_b32_e32 v5, v4
	scratch_store_dwordx2 off, v[4:5], off offset:352
	s_waitcnt vmcnt(1)
	ds_write_b64 v1, v[2:3]
.LBB51_237:
	s_or_b64 exec, exec, s[0:1]
	s_waitcnt lgkmcnt(0)
	; wave barrier
	scratch_load_dwordx4 v[4:7], off, off offset:360
	scratch_load_dwordx4 v[8:11], off, off offset:376
	;; [unrolled: 1-line block ×3, first 2 shown]
	scratch_load_dwordx2 v[28:29], off, off offset:408
	scratch_load_dwordx2 v[30:31], off, off offset:352
	v_mov_b32_e32 v2, 0
	ds_read2_b64 v[16:19], v2 offset0:97 offset1:98
	ds_read2_b64 v[20:23], v2 offset0:99 offset1:100
	;; [unrolled: 1-line block ×3, first 2 shown]
	ds_read_b64 v[32:33], v2 offset:824
	v_cmp_lt_u32_e32 vcc, 43, v0
	s_waitcnt vmcnt(4) lgkmcnt(3)
	v_pk_mul_f32 v[34:35], v[16:17], v[4:5] op_sel:[1,1] op_sel_hi:[0,1]
	v_mov_b32_e32 v36, v7
	v_pk_fma_f32 v[48:49], v[16:17], v[4:5], v[34:35] neg_lo:[0,0,1] neg_hi:[0,0,1]
	v_pk_fma_f32 v[4:5], v[16:17], v[4:5], v[34:35] op_sel_hi:[1,0,1]
	v_pk_mul_f32 v[16:17], v[18:19], v[36:37] op_sel:[1,0] op_sel_hi:[0,0]
	s_waitcnt vmcnt(3) lgkmcnt(2)
	v_pk_mul_f32 v[38:39], v[20:21], v[8:9] op_sel:[1,1] op_sel_hi:[0,1]
	v_mov_b32_e32 v40, v11
	v_mov_b32_e32 v49, v5
	v_pk_fma_f32 v[4:5], v[18:19], v[6:7], v[16:17] neg_lo:[0,0,1] neg_hi:[0,0,1]
	v_pk_fma_f32 v[6:7], v[18:19], v[6:7], v[16:17] op_sel_hi:[1,0,1]
	v_pk_fma_f32 v[34:35], v[20:21], v[8:9], v[38:39] neg_lo:[0,0,1] neg_hi:[0,0,1]
	v_pk_fma_f32 v[8:9], v[20:21], v[8:9], v[38:39] op_sel_hi:[1,0,1]
	v_pk_mul_f32 v[20:21], v[22:23], v[40:41] op_sel:[1,0] op_sel_hi:[0,0]
	v_pk_add_f32 v[16:17], v[48:49], 0 op_sel_hi:[1,0]
	v_mov_b32_e32 v5, v7
	s_waitcnt vmcnt(2) lgkmcnt(1)
	v_pk_mul_f32 v[42:43], v[24:25], v[12:13] op_sel:[1,1] op_sel_hi:[0,1]
	v_mov_b32_e32 v44, v15
	v_mov_b32_e32 v35, v9
	v_pk_fma_f32 v[8:9], v[22:23], v[10:11], v[20:21] neg_lo:[0,0,1] neg_hi:[0,0,1]
	v_pk_fma_f32 v[10:11], v[22:23], v[10:11], v[20:21] op_sel_hi:[1,0,1]
	v_pk_add_f32 v[4:5], v[16:17], v[4:5]
	v_pk_fma_f32 v[36:37], v[24:25], v[12:13], v[42:43] neg_lo:[0,0,1] neg_hi:[0,0,1]
	v_pk_fma_f32 v[12:13], v[24:25], v[12:13], v[42:43] op_sel_hi:[1,0,1]
	v_pk_mul_f32 v[24:25], v[26:27], v[44:45] op_sel:[1,0] op_sel_hi:[0,0]
	v_mov_b32_e32 v9, v11
	v_pk_add_f32 v[4:5], v[4:5], v[34:35]
	s_waitcnt vmcnt(1) lgkmcnt(0)
	v_pk_mul_f32 v[46:47], v[32:33], v[28:29] op_sel:[1,1] op_sel_hi:[0,1]
	v_mov_b32_e32 v37, v13
	v_pk_fma_f32 v[12:13], v[26:27], v[14:15], v[24:25] neg_lo:[0,0,1] neg_hi:[0,0,1]
	v_pk_fma_f32 v[14:15], v[26:27], v[14:15], v[24:25] op_sel_hi:[1,0,1]
	v_pk_add_f32 v[4:5], v[4:5], v[8:9]
	v_pk_fma_f32 v[38:39], v[32:33], v[28:29], v[46:47] neg_lo:[0,0,1] neg_hi:[0,0,1]
	v_pk_fma_f32 v[28:29], v[32:33], v[28:29], v[46:47] op_sel_hi:[1,0,1]
	v_mov_b32_e32 v13, v15
	v_pk_add_f32 v[4:5], v[4:5], v[36:37]
	v_mov_b32_e32 v39, v29
	v_pk_add_f32 v[4:5], v[4:5], v[12:13]
	s_nop 0
	v_pk_add_f32 v[4:5], v[4:5], v[38:39]
	s_waitcnt vmcnt(0)
	v_pk_add_f32 v[4:5], v[30:31], v[4:5] neg_lo:[0,1] neg_hi:[0,1]
	scratch_store_dwordx2 off, v[4:5], off offset:352
	s_and_saveexec_b64 s[0:1], vcc
	s_cbranch_execz .LBB51_239
; %bb.238:
	scratch_load_dwordx2 v[4:5], off, off offset:344
	v_mov_b32_e32 v3, v2
	scratch_store_dwordx2 off, v[2:3], off offset:344
	s_waitcnt vmcnt(1)
	ds_write_b64 v1, v[4:5]
.LBB51_239:
	s_or_b64 exec, exec, s[0:1]
	s_waitcnt lgkmcnt(0)
	; wave barrier
	scratch_load_dwordx4 v[4:7], off, off offset:352
	scratch_load_dwordx4 v[8:11], off, off offset:368
	;; [unrolled: 1-line block ×4, first 2 shown]
	scratch_load_dwordx2 v[36:37], off, off offset:344
	ds_read_b128 v[20:23], v2 offset:768
	ds_read_b128 v[24:27], v2 offset:784
	;; [unrolled: 1-line block ×4, first 2 shown]
	v_cmp_lt_u32_e32 vcc, 42, v0
	s_waitcnt vmcnt(4) lgkmcnt(3)
	v_pk_mul_f32 v[2:3], v[20:21], v[4:5] op_sel:[1,1] op_sel_hi:[0,1]
	v_mov_b32_e32 v38, v7
	s_waitcnt vmcnt(3) lgkmcnt(2)
	v_pk_mul_f32 v[40:41], v[24:25], v[8:9] op_sel:[1,1] op_sel_hi:[0,1]
	v_mov_b32_e32 v42, v11
	;; [unrolled: 3-line block ×4, first 2 shown]
	v_pk_fma_f32 v[52:53], v[20:21], v[4:5], v[2:3] neg_lo:[0,0,1] neg_hi:[0,0,1]
	v_pk_fma_f32 v[2:3], v[20:21], v[4:5], v[2:3] op_sel_hi:[1,0,1]
	v_pk_mul_f32 v[4:5], v[22:23], v[38:39] op_sel:[1,0] op_sel_hi:[0,0]
	v_pk_fma_f32 v[20:21], v[24:25], v[8:9], v[40:41] neg_lo:[0,0,1] neg_hi:[0,0,1]
	v_pk_fma_f32 v[8:9], v[24:25], v[8:9], v[40:41] op_sel_hi:[1,0,1]
	v_pk_mul_f32 v[24:25], v[26:27], v[42:43] op_sel:[1,0] op_sel_hi:[0,0]
	;; [unrolled: 3-line block ×4, first 2 shown]
	v_mov_b32_e32 v53, v3
	v_pk_fma_f32 v[2:3], v[22:23], v[6:7], v[4:5] neg_lo:[0,0,1] neg_hi:[0,0,1]
	v_pk_fma_f32 v[4:5], v[22:23], v[6:7], v[4:5] op_sel_hi:[1,0,1]
	v_mov_b32_e32 v21, v9
	v_pk_fma_f32 v[6:7], v[26:27], v[10:11], v[24:25] neg_lo:[0,0,1] neg_hi:[0,0,1]
	v_pk_fma_f32 v[8:9], v[26:27], v[10:11], v[24:25] op_sel_hi:[1,0,1]
	;; [unrolled: 3-line block ×4, first 2 shown]
	v_pk_add_f32 v[18:19], v[52:53], 0 op_sel_hi:[1,0]
	v_mov_b32_e32 v3, v5
	v_pk_add_f32 v[2:3], v[18:19], v[2:3]
	v_mov_b32_e32 v7, v9
	v_pk_add_f32 v[2:3], v[2:3], v[20:21]
	;; [unrolled: 2-line block ×4, first 2 shown]
	s_nop 0
	v_pk_add_f32 v[2:3], v[2:3], v[10:11]
	s_nop 0
	v_pk_add_f32 v[2:3], v[2:3], v[40:41]
	;; [unrolled: 2-line block ×3, first 2 shown]
	s_waitcnt vmcnt(0)
	v_pk_add_f32 v[2:3], v[36:37], v[2:3] neg_lo:[0,1] neg_hi:[0,1]
	scratch_store_dwordx2 off, v[2:3], off offset:344
	s_and_saveexec_b64 s[0:1], vcc
	s_cbranch_execz .LBB51_241
; %bb.240:
	scratch_load_dwordx2 v[2:3], off, off offset:336
	v_mov_b32_e32 v4, 0
	v_mov_b32_e32 v5, v4
	scratch_store_dwordx2 off, v[4:5], off offset:336
	s_waitcnt vmcnt(1)
	ds_write_b64 v1, v[2:3]
.LBB51_241:
	s_or_b64 exec, exec, s[0:1]
	s_waitcnt lgkmcnt(0)
	; wave barrier
	scratch_load_dwordx4 v[4:7], off, off offset:344
	scratch_load_dwordx4 v[8:11], off, off offset:360
	;; [unrolled: 1-line block ×4, first 2 shown]
	scratch_load_dwordx2 v[36:37], off, off offset:408
	scratch_load_dwordx2 v[38:39], off, off offset:336
	v_mov_b32_e32 v2, 0
	ds_read2_b64 v[20:23], v2 offset0:95 offset1:96
	ds_read2_b64 v[24:27], v2 offset0:97 offset1:98
	;; [unrolled: 1-line block ×4, first 2 shown]
	ds_read_b64 v[40:41], v2 offset:824
	v_cmp_lt_u32_e32 vcc, 41, v0
	s_waitcnt vmcnt(5) lgkmcnt(4)
	v_mul_f32_e32 v43, v20, v5
	v_mul_f32_e32 v3, v21, v5
	v_mov_b32_e32 v44, v7
	s_waitcnt vmcnt(4) lgkmcnt(3)
	v_pk_mul_f32 v[46:47], v[24:25], v[8:9] op_sel:[1,1] op_sel_hi:[0,1]
	v_mov_b32_e32 v48, v11
	s_waitcnt vmcnt(1) lgkmcnt(0)
	v_pk_mul_f32 v[58:59], v[40:41], v[36:37] op_sel:[1,1] op_sel_hi:[0,1]
	v_fmac_f32_e32 v43, v21, v4
	v_fma_f32 v42, v20, v4, -v3
	v_pk_mul_f32 v[4:5], v[22:23], v[44:45] op_sel:[1,0] op_sel_hi:[0,0]
	v_pk_fma_f32 v[20:21], v[24:25], v[8:9], v[46:47] neg_lo:[0,0,1] neg_hi:[0,0,1]
	v_pk_fma_f32 v[8:9], v[24:25], v[8:9], v[46:47] op_sel_hi:[1,0,1]
	v_pk_mul_f32 v[24:25], v[26:27], v[48:49] op_sel:[1,0] op_sel_hi:[0,0]
	v_pk_fma_f32 v[48:49], v[40:41], v[36:37], v[58:59] neg_lo:[0,0,1] neg_hi:[0,0,1]
	v_pk_fma_f32 v[36:37], v[40:41], v[36:37], v[58:59] op_sel_hi:[1,0,1]
	v_pk_add_f32 v[40:41], v[42:43], 0 op_sel_hi:[1,0]
	v_pk_fma_f32 v[42:43], v[22:23], v[6:7], v[4:5] neg_lo:[0,0,1] neg_hi:[0,0,1]
	v_pk_fma_f32 v[4:5], v[22:23], v[6:7], v[4:5] op_sel_hi:[1,0,1]
	v_pk_mul_f32 v[50:51], v[28:29], v[12:13] op_sel:[1,1] op_sel_hi:[0,1]
	v_mov_b32_e32 v43, v5
	v_mov_b32_e32 v52, v15
	;; [unrolled: 1-line block ×3, first 2 shown]
	v_pk_fma_f32 v[6:7], v[26:27], v[10:11], v[24:25] neg_lo:[0,0,1] neg_hi:[0,0,1]
	v_pk_fma_f32 v[8:9], v[26:27], v[10:11], v[24:25] op_sel_hi:[1,0,1]
	v_pk_add_f32 v[4:5], v[40:41], v[42:43]
	v_pk_fma_f32 v[44:45], v[28:29], v[12:13], v[50:51] neg_lo:[0,0,1] neg_hi:[0,0,1]
	v_pk_fma_f32 v[12:13], v[28:29], v[12:13], v[50:51] op_sel_hi:[1,0,1]
	v_pk_mul_f32 v[28:29], v[30:31], v[52:53] op_sel:[1,0] op_sel_hi:[0,0]
	v_mov_b32_e32 v7, v9
	v_pk_add_f32 v[4:5], v[4:5], v[20:21]
	v_pk_mul_f32 v[54:55], v[32:33], v[16:17] op_sel:[1,1] op_sel_hi:[0,1]
	v_mov_b32_e32 v56, v19
	v_mov_b32_e32 v45, v13
	v_pk_fma_f32 v[10:11], v[30:31], v[14:15], v[28:29] neg_lo:[0,0,1] neg_hi:[0,0,1]
	v_pk_fma_f32 v[12:13], v[30:31], v[14:15], v[28:29] op_sel_hi:[1,0,1]
	v_pk_add_f32 v[4:5], v[4:5], v[6:7]
	v_pk_fma_f32 v[46:47], v[32:33], v[16:17], v[54:55] neg_lo:[0,0,1] neg_hi:[0,0,1]
	v_pk_fma_f32 v[16:17], v[32:33], v[16:17], v[54:55] op_sel_hi:[1,0,1]
	v_pk_mul_f32 v[32:33], v[34:35], v[56:57] op_sel:[1,0] op_sel_hi:[0,0]
	v_mov_b32_e32 v11, v13
	v_pk_add_f32 v[4:5], v[4:5], v[44:45]
	v_mov_b32_e32 v47, v17
	v_pk_fma_f32 v[14:15], v[34:35], v[18:19], v[32:33] neg_lo:[0,0,1] neg_hi:[0,0,1]
	v_pk_fma_f32 v[16:17], v[34:35], v[18:19], v[32:33] op_sel_hi:[1,0,1]
	v_pk_add_f32 v[4:5], v[4:5], v[10:11]
	v_mov_b32_e32 v15, v17
	v_pk_add_f32 v[4:5], v[4:5], v[46:47]
	v_mov_b32_e32 v49, v37
	v_pk_add_f32 v[4:5], v[4:5], v[14:15]
	s_nop 0
	v_pk_add_f32 v[4:5], v[4:5], v[48:49]
	s_waitcnt vmcnt(0)
	v_pk_add_f32 v[4:5], v[38:39], v[4:5] neg_lo:[0,1] neg_hi:[0,1]
	scratch_store_dwordx2 off, v[4:5], off offset:336
	s_and_saveexec_b64 s[0:1], vcc
	s_cbranch_execz .LBB51_243
; %bb.242:
	scratch_load_dwordx2 v[4:5], off, off offset:328
	v_mov_b32_e32 v3, v2
	scratch_store_dwordx2 off, v[2:3], off offset:328
	s_waitcnt vmcnt(1)
	ds_write_b64 v1, v[4:5]
.LBB51_243:
	s_or_b64 exec, exec, s[0:1]
	s_waitcnt lgkmcnt(0)
	; wave barrier
	scratch_load_dwordx4 v[4:7], off, off offset:336
	scratch_load_dwordx4 v[8:11], off, off offset:352
	;; [unrolled: 1-line block ×5, first 2 shown]
	scratch_load_dwordx2 v[44:45], off, off offset:328
	ds_read_b128 v[24:27], v2 offset:752
	ds_read_b128 v[28:31], v2 offset:768
	;; [unrolled: 1-line block ×5, first 2 shown]
	v_cmp_lt_u32_e32 vcc, 40, v0
	s_waitcnt vmcnt(5) lgkmcnt(4)
	v_mul_f32_e32 v3, v24, v5
	v_mul_f32_e32 v2, v25, v5
	;; [unrolled: 1-line block ×4, first 2 shown]
	s_waitcnt vmcnt(4) lgkmcnt(3)
	v_pk_mul_f32 v[48:49], v[28:29], v[8:9] op_sel:[1,1] op_sel_hi:[0,1]
	v_mov_b32_e32 v50, v11
	v_fmac_f32_e32 v3, v25, v4
	v_fma_f32 v2, v24, v4, -v2
	v_fmac_f32_e32 v47, v27, v6
	v_fma_f32 v46, v26, v6, -v5
	v_pk_fma_f32 v[4:5], v[28:29], v[8:9], v[48:49] neg_lo:[0,0,1] neg_hi:[0,0,1]
	v_pk_fma_f32 v[6:7], v[28:29], v[8:9], v[48:49] op_sel_hi:[1,0,1]
	v_pk_mul_f32 v[8:9], v[30:31], v[50:51] op_sel:[1,0] op_sel_hi:[0,0]
	v_pk_add_f32 v[2:3], v[2:3], 0 op_sel_hi:[1,0]
	s_waitcnt vmcnt(3) lgkmcnt(2)
	v_pk_mul_f32 v[52:53], v[32:33], v[12:13] op_sel:[1,1] op_sel_hi:[0,1]
	v_mov_b32_e32 v54, v15
	v_mov_b32_e32 v5, v7
	v_pk_fma_f32 v[6:7], v[30:31], v[10:11], v[8:9] neg_lo:[0,0,1] neg_hi:[0,0,1]
	v_pk_fma_f32 v[8:9], v[30:31], v[10:11], v[8:9] op_sel_hi:[1,0,1]
	v_pk_add_f32 v[2:3], v[2:3], v[46:47]
	v_pk_fma_f32 v[24:25], v[32:33], v[12:13], v[52:53] neg_lo:[0,0,1] neg_hi:[0,0,1]
	v_pk_fma_f32 v[12:13], v[32:33], v[12:13], v[52:53] op_sel_hi:[1,0,1]
	v_pk_mul_f32 v[26:27], v[34:35], v[54:55] op_sel:[1,0] op_sel_hi:[0,0]
	v_mov_b32_e32 v7, v9
	v_pk_add_f32 v[2:3], v[2:3], v[4:5]
	s_waitcnt vmcnt(2) lgkmcnt(1)
	v_pk_mul_f32 v[56:57], v[36:37], v[16:17] op_sel:[1,1] op_sel_hi:[0,1]
	v_mov_b32_e32 v58, v19
	v_mov_b32_e32 v25, v13
	v_pk_fma_f32 v[10:11], v[34:35], v[14:15], v[26:27] neg_lo:[0,0,1] neg_hi:[0,0,1]
	v_pk_fma_f32 v[12:13], v[34:35], v[14:15], v[26:27] op_sel_hi:[1,0,1]
	v_pk_add_f32 v[2:3], v[2:3], v[6:7]
	v_pk_fma_f32 v[28:29], v[36:37], v[16:17], v[56:57] neg_lo:[0,0,1] neg_hi:[0,0,1]
	v_pk_fma_f32 v[16:17], v[36:37], v[16:17], v[56:57] op_sel_hi:[1,0,1]
	v_pk_mul_f32 v[32:33], v[38:39], v[58:59] op_sel:[1,0] op_sel_hi:[0,0]
	v_mov_b32_e32 v11, v13
	v_pk_add_f32 v[2:3], v[2:3], v[24:25]
	;; [unrolled: 12-line block ×3, first 2 shown]
	v_mov_b32_e32 v37, v21
	v_pk_fma_f32 v[18:19], v[42:43], v[22:23], v[40:41] neg_lo:[0,0,1] neg_hi:[0,0,1]
	v_pk_fma_f32 v[20:21], v[42:43], v[22:23], v[40:41] op_sel_hi:[1,0,1]
	v_pk_add_f32 v[2:3], v[2:3], v[14:15]
	v_mov_b32_e32 v19, v21
	v_pk_add_f32 v[2:3], v[2:3], v[36:37]
	s_nop 0
	v_pk_add_f32 v[2:3], v[2:3], v[18:19]
	s_waitcnt vmcnt(0)
	v_pk_add_f32 v[2:3], v[44:45], v[2:3] neg_lo:[0,1] neg_hi:[0,1]
	scratch_store_dwordx2 off, v[2:3], off offset:328
	s_and_saveexec_b64 s[0:1], vcc
	s_cbranch_execz .LBB51_245
; %bb.244:
	scratch_load_dwordx2 v[2:3], off, off offset:320
	v_mov_b32_e32 v4, 0
	v_mov_b32_e32 v5, v4
	scratch_store_dwordx2 off, v[4:5], off offset:320
	s_waitcnt vmcnt(1)
	ds_write_b64 v1, v[2:3]
.LBB51_245:
	s_or_b64 exec, exec, s[0:1]
	s_waitcnt lgkmcnt(0)
	; wave barrier
	scratch_load_dwordx4 v[4:7], off, off offset:328
	scratch_load_dwordx4 v[8:11], off, off offset:344
	;; [unrolled: 1-line block ×5, first 2 shown]
	scratch_load_dwordx2 v[44:45], off, off offset:408
	scratch_load_dwordx2 v[46:47], off, off offset:320
	v_mov_b32_e32 v2, 0
	ds_read2_b64 v[24:27], v2 offset0:93 offset1:94
	ds_read2_b64 v[28:31], v2 offset0:95 offset1:96
	;; [unrolled: 1-line block ×5, first 2 shown]
	ds_read_b64 v[48:49], v2 offset:824
	v_cmp_lt_u32_e32 vcc, 39, v0
	s_waitcnt vmcnt(6) lgkmcnt(5)
	v_mul_f32_e32 v3, v24, v5
	v_mul_f32_e32 v5, v25, v5
	;; [unrolled: 1-line block ×3, first 2 shown]
	s_waitcnt vmcnt(5) lgkmcnt(4)
	v_mul_f32_e32 v53, v28, v9
	v_mul_f32_e32 v7, v27, v7
	v_mul_f32_e32 v9, v29, v9
	v_mov_b32_e32 v54, v11
	s_waitcnt vmcnt(3) lgkmcnt(2)
	v_pk_mul_f32 v[60:61], v[36:37], v[16:17] op_sel:[1,1] op_sel_hi:[0,1]
	s_waitcnt vmcnt(2) lgkmcnt(1)
	v_pk_mul_f32 v[64:65], v[40:41], v[20:21] op_sel:[1,1] op_sel_hi:[0,1]
	;; [unrolled: 2-line block ×3, first 2 shown]
	v_fmac_f32_e32 v3, v25, v4
	v_fma_f32 v55, v24, v4, -v5
	v_fmac_f32_e32 v51, v27, v6
	v_fmac_f32_e32 v53, v29, v8
	v_fma_f32 v50, v26, v6, -v7
	v_fma_f32 v52, v28, v8, -v9
	v_pk_mul_f32 v[4:5], v[30:31], v[54:55] op_sel:[1,0] op_sel_hi:[0,0]
	v_pk_fma_f32 v[24:25], v[36:37], v[16:17], v[60:61] neg_lo:[0,0,1] neg_hi:[0,0,1]
	v_pk_fma_f32 v[16:17], v[36:37], v[16:17], v[60:61] op_sel_hi:[1,0,1]
	v_pk_fma_f32 v[28:29], v[40:41], v[20:21], v[64:65] neg_lo:[0,0,1] neg_hi:[0,0,1]
	v_pk_fma_f32 v[20:21], v[40:41], v[20:21], v[64:65] op_sel_hi:[1,0,1]
	;; [unrolled: 2-line block ×3, first 2 shown]
	v_add_f32_e32 v45, 0, v3
	v_add_f32_e32 v44, 0, v55
	v_pk_mul_f32 v[56:57], v[32:33], v[12:13] op_sel:[1,1] op_sel_hi:[0,1]
	v_mov_b32_e32 v58, v15
	v_pk_fma_f32 v[48:49], v[30:31], v[10:11], v[4:5] neg_lo:[0,0,1] neg_hi:[0,0,1]
	v_pk_fma_f32 v[4:5], v[30:31], v[10:11], v[4:5] op_sel_hi:[1,0,1]
	v_mov_b32_e32 v29, v21
	v_pk_add_f32 v[20:21], v[44:45], v[50:51]
	v_pk_fma_f32 v[6:7], v[32:33], v[12:13], v[56:57] neg_lo:[0,0,1] neg_hi:[0,0,1]
	v_pk_fma_f32 v[8:9], v[32:33], v[12:13], v[56:57] op_sel_hi:[1,0,1]
	v_pk_mul_f32 v[12:13], v[34:35], v[58:59] op_sel:[1,0] op_sel_hi:[0,0]
	v_mov_b32_e32 v49, v5
	v_pk_add_f32 v[4:5], v[20:21], v[52:53]
	v_mov_b32_e32 v62, v19
	v_mov_b32_e32 v7, v9
	v_pk_fma_f32 v[8:9], v[34:35], v[14:15], v[12:13] neg_lo:[0,0,1] neg_hi:[0,0,1]
	v_pk_fma_f32 v[10:11], v[34:35], v[14:15], v[12:13] op_sel_hi:[1,0,1]
	v_pk_add_f32 v[4:5], v[4:5], v[48:49]
	v_pk_mul_f32 v[26:27], v[38:39], v[62:63] op_sel:[1,0] op_sel_hi:[0,0]
	v_mov_b32_e32 v9, v11
	v_pk_add_f32 v[4:5], v[4:5], v[6:7]
	v_mov_b32_e32 v66, v23
	v_mov_b32_e32 v25, v17
	v_pk_fma_f32 v[12:13], v[38:39], v[18:19], v[26:27] neg_lo:[0,0,1] neg_hi:[0,0,1]
	v_pk_fma_f32 v[14:15], v[38:39], v[18:19], v[26:27] op_sel_hi:[1,0,1]
	v_pk_add_f32 v[4:5], v[4:5], v[8:9]
	v_pk_mul_f32 v[32:33], v[42:43], v[66:67] op_sel:[1,0] op_sel_hi:[0,0]
	v_mov_b32_e32 v13, v15
	v_pk_add_f32 v[4:5], v[4:5], v[24:25]
	v_pk_fma_f32 v[16:17], v[42:43], v[22:23], v[32:33] neg_lo:[0,0,1] neg_hi:[0,0,1]
	v_pk_fma_f32 v[18:19], v[42:43], v[22:23], v[32:33] op_sel_hi:[1,0,1]
	v_pk_add_f32 v[4:5], v[4:5], v[12:13]
	v_mov_b32_e32 v17, v19
	v_pk_add_f32 v[4:5], v[4:5], v[28:29]
	v_mov_b32_e32 v37, v41
	v_pk_add_f32 v[4:5], v[4:5], v[16:17]
	s_nop 0
	v_pk_add_f32 v[4:5], v[4:5], v[36:37]
	s_waitcnt vmcnt(0)
	v_pk_add_f32 v[4:5], v[46:47], v[4:5] neg_lo:[0,1] neg_hi:[0,1]
	scratch_store_dwordx2 off, v[4:5], off offset:320
	s_and_saveexec_b64 s[0:1], vcc
	s_cbranch_execz .LBB51_247
; %bb.246:
	scratch_load_dwordx2 v[4:5], off, off offset:312
	v_mov_b32_e32 v3, v2
	scratch_store_dwordx2 off, v[2:3], off offset:312
	s_waitcnt vmcnt(1)
	ds_write_b64 v1, v[4:5]
.LBB51_247:
	s_or_b64 exec, exec, s[0:1]
	s_waitcnt lgkmcnt(0)
	; wave barrier
	ds_read_b128 v[4:7], v2 offset:736
	ds_read_b128 v[8:11], v2 offset:752
	;; [unrolled: 1-line block ×4, first 2 shown]
	scratch_load_dwordx4 v[20:23], off, off offset:320
	v_cmp_lt_u32_e32 vcc, 38, v0
	s_waitcnt vmcnt(0) lgkmcnt(3)
	v_mul_f32_e32 v3, v4, v21
	v_fmac_f32_e32 v3, v5, v20
	v_mul_f32_e32 v24, v6, v23
	v_add_f32_e32 v3, 0, v3
	v_fmac_f32_e32 v24, v7, v22
	v_add_f32_e32 v45, v3, v24
	scratch_load_dwordx4 v[24:27], off, off offset:336
	scratch_load_dwordx4 v[28:31], off, off offset:352
	;; [unrolled: 1-line block ×5, first 2 shown]
	v_mul_f32_e32 v3, v5, v21
	v_fma_f32 v3, v4, v20, -v3
	v_mul_f32_e32 v4, v7, v23
	v_fma_f32 v4, v6, v22, -v4
	v_add_f32_e32 v3, 0, v3
	v_add_f32_e32 v44, v3, v4
	s_waitcnt vmcnt(3) lgkmcnt(1)
	v_pk_mul_f32 v[20:21], v[12:13], v[28:29] op_sel:[1,1] op_sel_hi:[0,1]
	v_pk_fma_f32 v[22:23], v[12:13], v[28:29], v[20:21] neg_lo:[0,0,1] neg_hi:[0,0,1]
	v_pk_fma_f32 v[12:13], v[12:13], v[28:29], v[20:21] op_sel_hi:[1,0,1]
	v_mul_f32_e32 v47, v8, v25
	v_mov_b32_e32 v12, v31
	v_mul_f32_e32 v3, v9, v25
	v_mov_b32_e32 v23, v13
	v_pk_mul_f32 v[12:13], v[14:15], v[12:13] op_sel:[1,0] op_sel_hi:[0,0]
	v_fmac_f32_e32 v47, v9, v24
	v_mul_f32_e32 v49, v10, v27
	v_fma_f32 v46, v8, v24, -v3
	v_mul_f32_e32 v3, v11, v27
	v_pk_fma_f32 v[20:21], v[14:15], v[30:31], v[12:13] neg_lo:[0,0,1] neg_hi:[0,0,1]
	v_pk_fma_f32 v[12:13], v[14:15], v[30:31], v[12:13] op_sel_hi:[1,0,1]
	v_fmac_f32_e32 v49, v11, v26
	v_fma_f32 v48, v10, v26, -v3
	ds_read_b128 v[4:7], v2 offset:800
	ds_read_b128 v[8:11], v2 offset:816
	v_pk_add_f32 v[2:3], v[44:45], v[46:47]
	v_mov_b32_e32 v21, v13
	s_waitcnt vmcnt(2) lgkmcnt(2)
	v_pk_mul_f32 v[12:13], v[16:17], v[32:33] op_sel:[1,1] op_sel_hi:[0,1]
	v_pk_add_f32 v[2:3], v[2:3], v[48:49]
	v_pk_fma_f32 v[14:15], v[16:17], v[32:33], v[12:13] neg_lo:[0,0,1] neg_hi:[0,0,1]
	v_pk_fma_f32 v[12:13], v[16:17], v[32:33], v[12:13] op_sel_hi:[1,0,1]
	v_pk_add_f32 v[2:3], v[2:3], v[22:23]
	v_mov_b32_e32 v12, v35
	v_pk_add_f32 v[2:3], v[2:3], v[20:21]
	v_mov_b32_e32 v15, v13
	v_pk_mul_f32 v[12:13], v[18:19], v[12:13] op_sel:[1,0] op_sel_hi:[0,0]
	v_pk_add_f32 v[2:3], v[2:3], v[14:15]
	v_pk_fma_f32 v[14:15], v[18:19], v[34:35], v[12:13] neg_lo:[0,0,1] neg_hi:[0,0,1]
	v_pk_fma_f32 v[12:13], v[18:19], v[34:35], v[12:13] op_sel_hi:[1,0,1]
	s_nop 0
	v_mov_b32_e32 v15, v13
	s_waitcnt vmcnt(1) lgkmcnt(1)
	v_pk_mul_f32 v[12:13], v[4:5], v[36:37] op_sel:[1,1] op_sel_hi:[0,1]
	v_pk_add_f32 v[2:3], v[2:3], v[14:15]
	v_pk_fma_f32 v[14:15], v[4:5], v[36:37], v[12:13] neg_lo:[0,0,1] neg_hi:[0,0,1]
	v_pk_fma_f32 v[4:5], v[4:5], v[36:37], v[12:13] op_sel_hi:[1,0,1]
	s_nop 0
	v_mov_b32_e32 v4, v39
	v_mov_b32_e32 v15, v5
	v_pk_mul_f32 v[4:5], v[6:7], v[4:5] op_sel:[1,0] op_sel_hi:[0,0]
	v_pk_fma_f32 v[12:13], v[6:7], v[38:39], v[4:5] neg_lo:[0,0,1] neg_hi:[0,0,1]
	v_pk_fma_f32 v[4:5], v[6:7], v[38:39], v[4:5] op_sel_hi:[1,0,1]
	v_pk_add_f32 v[2:3], v[2:3], v[14:15]
	v_mov_b32_e32 v13, v5
	s_waitcnt vmcnt(0) lgkmcnt(0)
	v_pk_mul_f32 v[4:5], v[8:9], v[40:41] op_sel:[1,1] op_sel_hi:[0,1]
	v_pk_fma_f32 v[6:7], v[8:9], v[40:41], v[4:5] neg_lo:[0,0,1] neg_hi:[0,0,1]
	v_pk_fma_f32 v[4:5], v[8:9], v[40:41], v[4:5] op_sel_hi:[1,0,1]
	v_pk_add_f32 v[2:3], v[2:3], v[12:13]
	v_mov_b32_e32 v4, v43
	v_mov_b32_e32 v7, v5
	v_pk_mul_f32 v[4:5], v[10:11], v[4:5] op_sel:[1,0] op_sel_hi:[0,0]
	v_pk_add_f32 v[2:3], v[2:3], v[6:7]
	v_pk_fma_f32 v[6:7], v[10:11], v[42:43], v[4:5] neg_lo:[0,0,1] neg_hi:[0,0,1]
	v_pk_fma_f32 v[4:5], v[10:11], v[42:43], v[4:5] op_sel_hi:[1,0,1]
	s_nop 0
	v_mov_b32_e32 v7, v5
	scratch_load_dwordx2 v[4:5], off, off offset:312
	v_pk_add_f32 v[2:3], v[2:3], v[6:7]
	s_waitcnt vmcnt(0)
	v_pk_add_f32 v[2:3], v[4:5], v[2:3] neg_lo:[0,1] neg_hi:[0,1]
	scratch_store_dwordx2 off, v[2:3], off offset:312
	s_and_saveexec_b64 s[0:1], vcc
	s_cbranch_execz .LBB51_249
; %bb.248:
	scratch_load_dwordx2 v[2:3], off, off offset:304
	v_mov_b32_e32 v4, 0
	v_mov_b32_e32 v5, v4
	scratch_store_dwordx2 off, v[4:5], off offset:304
	s_waitcnt vmcnt(1)
	ds_write_b64 v1, v[2:3]
.LBB51_249:
	s_or_b64 exec, exec, s[0:1]
	s_waitcnt lgkmcnt(0)
	; wave barrier
	scratch_load_dwordx4 v[8:11], off, off offset:312
	scratch_load_dwordx4 v[16:19], off, off offset:328
	v_mov_b32_e32 v2, 0
	ds_read2_b64 v[4:7], v2 offset0:91 offset1:92
	scratch_load_dwordx4 v[24:27], off, off offset:344
	v_cmp_lt_u32_e32 vcc, 37, v0
	s_waitcnt vmcnt(2) lgkmcnt(0)
	v_mul_f32_e32 v3, v4, v9
	v_fmac_f32_e32 v3, v5, v8
	v_mul_f32_e32 v12, v6, v11
	v_add_f32_e32 v3, 0, v3
	v_fmac_f32_e32 v12, v7, v10
	v_add_f32_e32 v3, v3, v12
	ds_read2_b64 v[12:15], v2 offset0:93 offset1:94
	s_waitcnt vmcnt(1) lgkmcnt(0)
	v_mul_f32_e32 v20, v12, v17
	v_fmac_f32_e32 v20, v13, v16
	v_add_f32_e32 v41, v3, v20
	ds_read2_b64 v[20:23], v2 offset0:95 offset1:96
	scratch_load_dwordx4 v[28:31], off, off offset:360
	scratch_load_dwordx4 v[32:35], off, off offset:376
	;; [unrolled: 1-line block ×3, first 2 shown]
	scratch_load_dwordx2 v[46:47], off, off offset:408
	v_mul_f32_e32 v3, v5, v9
	v_fma_f32 v3, v4, v8, -v3
	v_mul_f32_e32 v4, v7, v11
	v_add_f32_e32 v3, 0, v3
	v_fma_f32 v4, v6, v10, -v4
	v_add_f32_e32 v3, v3, v4
	v_mul_f32_e32 v4, v13, v17
	v_fma_f32 v4, v12, v16, -v4
	v_add_f32_e32 v40, v3, v4
	v_mul_f32_e32 v3, v15, v19
	v_fma_f32 v42, v14, v18, -v3
	s_waitcnt vmcnt(4) lgkmcnt(0)
	v_mul_f32_e32 v3, v21, v25
	v_mul_f32_e32 v43, v14, v19
	;; [unrolled: 1-line block ×3, first 2 shown]
	v_fma_f32 v44, v20, v24, -v3
	v_mov_b32_e32 v20, v27
	v_fmac_f32_e32 v43, v15, v18
	v_fmac_f32_e32 v45, v21, v24
	ds_read2_b64 v[4:7], v2 offset0:97 offset1:98
	ds_read2_b64 v[8:11], v2 offset0:99 offset1:100
	;; [unrolled: 1-line block ×3, first 2 shown]
	ds_read_b64 v[16:17], v2 offset:824
	v_pk_mul_f32 v[20:21], v[22:23], v[20:21] op_sel:[1,0] op_sel_hi:[0,0]
	v_pk_fma_f32 v[24:25], v[22:23], v[26:27], v[20:21] neg_lo:[0,0,1] neg_hi:[0,0,1]
	v_pk_fma_f32 v[20:21], v[22:23], v[26:27], v[20:21] op_sel_hi:[1,0,1]
	v_pk_add_f32 v[18:19], v[40:41], v[42:43]
	v_mov_b32_e32 v25, v21
	v_pk_add_f32 v[18:19], v[18:19], v[44:45]
	s_waitcnt vmcnt(3) lgkmcnt(3)
	v_pk_mul_f32 v[20:21], v[4:5], v[28:29] op_sel:[1,1] op_sel_hi:[0,1]
	v_pk_fma_f32 v[22:23], v[4:5], v[28:29], v[20:21] neg_lo:[0,0,1] neg_hi:[0,0,1]
	v_pk_fma_f32 v[4:5], v[4:5], v[28:29], v[20:21] op_sel_hi:[1,0,1]
	v_pk_add_f32 v[18:19], v[18:19], v[24:25]
	v_mov_b32_e32 v23, v5
	v_pk_add_f32 v[4:5], v[18:19], v[22:23]
	v_mov_b32_e32 v18, v31
	v_pk_mul_f32 v[18:19], v[6:7], v[18:19] op_sel:[1,0] op_sel_hi:[0,0]
	v_pk_fma_f32 v[20:21], v[6:7], v[30:31], v[18:19] neg_lo:[0,0,1] neg_hi:[0,0,1]
	v_pk_fma_f32 v[6:7], v[6:7], v[30:31], v[18:19] op_sel_hi:[1,0,1]
	s_nop 0
	v_mov_b32_e32 v21, v7
	s_waitcnt vmcnt(2) lgkmcnt(2)
	v_pk_mul_f32 v[6:7], v[8:9], v[32:33] op_sel:[1,1] op_sel_hi:[0,1]
	v_pk_fma_f32 v[18:19], v[8:9], v[32:33], v[6:7] neg_lo:[0,0,1] neg_hi:[0,0,1]
	v_pk_fma_f32 v[6:7], v[8:9], v[32:33], v[6:7] op_sel_hi:[1,0,1]
	v_pk_add_f32 v[4:5], v[4:5], v[20:21]
	v_mov_b32_e32 v6, v35
	v_mov_b32_e32 v19, v7
	v_pk_mul_f32 v[6:7], v[10:11], v[6:7] op_sel:[1,0] op_sel_hi:[0,0]
	v_pk_fma_f32 v[8:9], v[10:11], v[34:35], v[6:7] neg_lo:[0,0,1] neg_hi:[0,0,1]
	v_pk_fma_f32 v[6:7], v[10:11], v[34:35], v[6:7] op_sel_hi:[1,0,1]
	v_pk_add_f32 v[4:5], v[4:5], v[18:19]
	v_mov_b32_e32 v9, v7
	s_waitcnt vmcnt(1) lgkmcnt(1)
	v_pk_mul_f32 v[6:7], v[12:13], v[36:37] op_sel:[1,1] op_sel_hi:[0,1]
	v_pk_add_f32 v[4:5], v[4:5], v[8:9]
	v_pk_fma_f32 v[8:9], v[12:13], v[36:37], v[6:7] neg_lo:[0,0,1] neg_hi:[0,0,1]
	v_pk_fma_f32 v[6:7], v[12:13], v[36:37], v[6:7] op_sel_hi:[1,0,1]
	s_nop 0
	v_mov_b32_e32 v6, v39
	v_mov_b32_e32 v9, v7
	v_pk_mul_f32 v[6:7], v[14:15], v[6:7] op_sel:[1,0] op_sel_hi:[0,0]
	v_pk_add_f32 v[4:5], v[4:5], v[8:9]
	v_pk_fma_f32 v[8:9], v[14:15], v[38:39], v[6:7] neg_lo:[0,0,1] neg_hi:[0,0,1]
	v_pk_fma_f32 v[6:7], v[14:15], v[38:39], v[6:7] op_sel_hi:[1,0,1]
	s_nop 0
	v_mov_b32_e32 v9, v7
	s_waitcnt vmcnt(0) lgkmcnt(0)
	v_pk_mul_f32 v[6:7], v[16:17], v[46:47] op_sel:[1,1] op_sel_hi:[0,1]
	v_pk_add_f32 v[4:5], v[4:5], v[8:9]
	v_pk_fma_f32 v[8:9], v[16:17], v[46:47], v[6:7] neg_lo:[0,0,1] neg_hi:[0,0,1]
	v_pk_fma_f32 v[6:7], v[16:17], v[46:47], v[6:7] op_sel_hi:[1,0,1]
	s_nop 0
	v_mov_b32_e32 v9, v7
	scratch_load_dwordx2 v[6:7], off, off offset:304
	v_pk_add_f32 v[4:5], v[4:5], v[8:9]
	s_waitcnt vmcnt(0)
	v_pk_add_f32 v[4:5], v[6:7], v[4:5] neg_lo:[0,1] neg_hi:[0,1]
	scratch_store_dwordx2 off, v[4:5], off offset:304
	s_and_saveexec_b64 s[0:1], vcc
	s_cbranch_execz .LBB51_251
; %bb.250:
	scratch_load_dwordx2 v[4:5], off, off offset:296
	v_mov_b32_e32 v3, v2
	scratch_store_dwordx2 off, v[2:3], off offset:296
	s_waitcnt vmcnt(1)
	ds_write_b64 v1, v[4:5]
.LBB51_251:
	s_or_b64 exec, exec, s[0:1]
	s_waitcnt lgkmcnt(0)
	; wave barrier
	ds_read_b128 v[4:7], v2 offset:720
	ds_read_b128 v[8:11], v2 offset:736
	;; [unrolled: 1-line block ×4, first 2 shown]
	scratch_load_dwordx4 v[20:23], off, off offset:304
	v_cmp_lt_u32_e32 vcc, 36, v0
	s_waitcnt vmcnt(0) lgkmcnt(3)
	v_mul_f32_e32 v3, v4, v21
	v_fmac_f32_e32 v3, v5, v20
	v_mul_f32_e32 v24, v6, v23
	v_add_f32_e32 v3, 0, v3
	v_fmac_f32_e32 v24, v7, v22
	v_add_f32_e32 v3, v3, v24
	scratch_load_dwordx4 v[24:27], off, off offset:320
	s_waitcnt vmcnt(0) lgkmcnt(2)
	v_mul_f32_e32 v28, v8, v25
	v_fmac_f32_e32 v28, v9, v24
	v_add_f32_e32 v3, v3, v28
	v_mul_f32_e32 v28, v10, v27
	v_fmac_f32_e32 v28, v11, v26
	v_add_f32_e32 v49, v3, v28
	scratch_load_dwordx4 v[28:31], off, off offset:336
	scratch_load_dwordx4 v[32:35], off, off offset:352
	;; [unrolled: 1-line block ×5, first 2 shown]
	v_mul_f32_e32 v3, v5, v21
	v_fma_f32 v3, v4, v20, -v3
	v_mul_f32_e32 v4, v7, v23
	v_add_f32_e32 v3, 0, v3
	v_fma_f32 v4, v6, v22, -v4
	v_add_f32_e32 v3, v3, v4
	v_mul_f32_e32 v4, v9, v25
	v_fma_f32 v4, v8, v24, -v4
	v_add_f32_e32 v3, v3, v4
	v_mul_f32_e32 v4, v11, v27
	v_fma_f32 v4, v10, v26, -v4
	v_add_f32_e32 v48, v3, v4
	s_waitcnt vmcnt(3) lgkmcnt(0)
	v_pk_mul_f32 v[20:21], v[16:17], v[32:33] op_sel:[1,1] op_sel_hi:[0,1]
	v_pk_fma_f32 v[22:23], v[16:17], v[32:33], v[20:21] neg_lo:[0,0,1] neg_hi:[0,0,1]
	v_mul_f32_e32 v3, v13, v29
	v_mul_f32_e32 v51, v12, v29
	v_mul_f32_e32 v53, v14, v31
	v_fma_f32 v50, v12, v28, -v3
	v_mul_f32_e32 v3, v15, v31
	v_pk_fma_f32 v[16:17], v[16:17], v[32:33], v[20:21] op_sel_hi:[1,0,1]
	v_fmac_f32_e32 v51, v13, v28
	v_fmac_f32_e32 v53, v15, v30
	v_fma_f32 v52, v14, v30, -v3
	ds_read_b128 v[4:7], v2 offset:784
	ds_read_b128 v[8:11], v2 offset:800
	ds_read_b128 v[12:15], v2 offset:816
	v_mov_b32_e32 v16, v35
	v_mov_b32_e32 v23, v17
	v_pk_mul_f32 v[16:17], v[18:19], v[16:17] op_sel:[1,0] op_sel_hi:[0,0]
	v_pk_fma_f32 v[20:21], v[18:19], v[34:35], v[16:17] neg_lo:[0,0,1] neg_hi:[0,0,1]
	v_pk_fma_f32 v[16:17], v[18:19], v[34:35], v[16:17] op_sel_hi:[1,0,1]
	v_pk_add_f32 v[2:3], v[48:49], v[50:51]
	v_mov_b32_e32 v21, v17
	s_waitcnt vmcnt(2) lgkmcnt(2)
	v_pk_mul_f32 v[16:17], v[4:5], v[36:37] op_sel:[1,1] op_sel_hi:[0,1]
	v_pk_fma_f32 v[18:19], v[4:5], v[36:37], v[16:17] neg_lo:[0,0,1] neg_hi:[0,0,1]
	v_pk_fma_f32 v[4:5], v[4:5], v[36:37], v[16:17] op_sel_hi:[1,0,1]
	v_pk_add_f32 v[2:3], v[2:3], v[52:53]
	v_mov_b32_e32 v4, v39
	v_mov_b32_e32 v19, v5
	v_pk_mul_f32 v[4:5], v[6:7], v[4:5] op_sel:[1,0] op_sel_hi:[0,0]
	v_pk_fma_f32 v[16:17], v[6:7], v[38:39], v[4:5] neg_lo:[0,0,1] neg_hi:[0,0,1]
	v_pk_fma_f32 v[4:5], v[6:7], v[38:39], v[4:5] op_sel_hi:[1,0,1]
	v_pk_add_f32 v[2:3], v[2:3], v[22:23]
	v_mov_b32_e32 v17, v5
	s_waitcnt vmcnt(1) lgkmcnt(1)
	v_pk_mul_f32 v[4:5], v[8:9], v[40:41] op_sel:[1,1] op_sel_hi:[0,1]
	v_pk_add_f32 v[2:3], v[2:3], v[20:21]
	v_pk_fma_f32 v[6:7], v[8:9], v[40:41], v[4:5] neg_lo:[0,0,1] neg_hi:[0,0,1]
	v_pk_fma_f32 v[4:5], v[8:9], v[40:41], v[4:5] op_sel_hi:[1,0,1]
	v_pk_add_f32 v[2:3], v[2:3], v[18:19]
	v_mov_b32_e32 v4, v43
	v_pk_add_f32 v[2:3], v[2:3], v[16:17]
	v_mov_b32_e32 v7, v5
	v_pk_mul_f32 v[4:5], v[10:11], v[4:5] op_sel:[1,0] op_sel_hi:[0,0]
	v_pk_add_f32 v[2:3], v[2:3], v[6:7]
	v_pk_fma_f32 v[6:7], v[10:11], v[42:43], v[4:5] neg_lo:[0,0,1] neg_hi:[0,0,1]
	v_pk_fma_f32 v[4:5], v[10:11], v[42:43], v[4:5] op_sel_hi:[1,0,1]
	s_nop 0
	v_mov_b32_e32 v7, v5
	s_waitcnt vmcnt(0) lgkmcnt(0)
	v_pk_mul_f32 v[4:5], v[12:13], v[44:45] op_sel:[1,1] op_sel_hi:[0,1]
	v_pk_add_f32 v[2:3], v[2:3], v[6:7]
	v_pk_fma_f32 v[6:7], v[12:13], v[44:45], v[4:5] neg_lo:[0,0,1] neg_hi:[0,0,1]
	v_pk_fma_f32 v[4:5], v[12:13], v[44:45], v[4:5] op_sel_hi:[1,0,1]
	s_nop 0
	v_mov_b32_e32 v4, v47
	v_mov_b32_e32 v7, v5
	v_pk_mul_f32 v[4:5], v[14:15], v[4:5] op_sel:[1,0] op_sel_hi:[0,0]
	v_pk_add_f32 v[2:3], v[2:3], v[6:7]
	v_pk_fma_f32 v[6:7], v[14:15], v[46:47], v[4:5] neg_lo:[0,0,1] neg_hi:[0,0,1]
	v_pk_fma_f32 v[4:5], v[14:15], v[46:47], v[4:5] op_sel_hi:[1,0,1]
	s_nop 0
	v_mov_b32_e32 v7, v5
	scratch_load_dwordx2 v[4:5], off, off offset:296
	v_pk_add_f32 v[2:3], v[2:3], v[6:7]
	s_waitcnt vmcnt(0)
	v_pk_add_f32 v[2:3], v[4:5], v[2:3] neg_lo:[0,1] neg_hi:[0,1]
	scratch_store_dwordx2 off, v[2:3], off offset:296
	s_and_saveexec_b64 s[0:1], vcc
	s_cbranch_execz .LBB51_253
; %bb.252:
	scratch_load_dwordx2 v[2:3], off, off offset:288
	v_mov_b32_e32 v4, 0
	v_mov_b32_e32 v5, v4
	scratch_store_dwordx2 off, v[4:5], off offset:288
	s_waitcnt vmcnt(1)
	ds_write_b64 v1, v[2:3]
.LBB51_253:
	s_or_b64 exec, exec, s[0:1]
	s_waitcnt lgkmcnt(0)
	; wave barrier
	scratch_load_dwordx4 v[8:11], off, off offset:296
	scratch_load_dwordx4 v[16:19], off, off offset:312
	;; [unrolled: 1-line block ×4, first 2 shown]
	v_mov_b32_e32 v2, 0
	ds_read2_b64 v[4:7], v2 offset0:89 offset1:90
	v_cmp_lt_u32_e32 vcc, 35, v0
	s_waitcnt vmcnt(3) lgkmcnt(0)
	v_mul_f32_e32 v3, v4, v9
	v_fmac_f32_e32 v3, v5, v8
	v_mul_f32_e32 v12, v6, v11
	v_add_f32_e32 v3, 0, v3
	v_fmac_f32_e32 v12, v7, v10
	v_add_f32_e32 v3, v3, v12
	ds_read2_b64 v[12:15], v2 offset0:91 offset1:92
	s_waitcnt vmcnt(2) lgkmcnt(0)
	v_mul_f32_e32 v20, v12, v17
	v_fmac_f32_e32 v20, v13, v16
	v_add_f32_e32 v3, v3, v20
	v_mul_f32_e32 v20, v14, v19
	v_fmac_f32_e32 v20, v15, v18
	v_add_f32_e32 v3, v3, v20
	ds_read2_b64 v[20:23], v2 offset0:93 offset1:94
	s_waitcnt vmcnt(1) lgkmcnt(0)
	v_mul_f32_e32 v28, v20, v25
	v_fmac_f32_e32 v28, v21, v24
	v_add_f32_e32 v49, v3, v28
	ds_read2_b64 v[28:31], v2 offset0:95 offset1:96
	scratch_load_dwordx4 v[36:39], off, off offset:360
	scratch_load_dwordx4 v[40:43], off, off offset:376
	scratch_load_dwordx4 v[44:47], off, off offset:392
	scratch_load_dwordx2 v[54:55], off, off offset:408
	v_mul_f32_e32 v3, v5, v9
	v_fma_f32 v3, v4, v8, -v3
	v_mul_f32_e32 v4, v7, v11
	v_add_f32_e32 v3, 0, v3
	v_fma_f32 v4, v6, v10, -v4
	v_add_f32_e32 v3, v3, v4
	v_mul_f32_e32 v4, v13, v17
	v_fma_f32 v4, v12, v16, -v4
	v_add_f32_e32 v3, v3, v4
	v_mul_f32_e32 v4, v15, v19
	;; [unrolled: 3-line block ×3, first 2 shown]
	v_fma_f32 v4, v20, v24, -v4
	v_mul_f32_e32 v51, v22, v27
	v_add_f32_e32 v48, v3, v4
	v_mul_f32_e32 v3, v23, v27
	s_waitcnt vmcnt(4)
	v_mov_b32_e32 v20, v35
	v_fmac_f32_e32 v51, v23, v26
	s_waitcnt lgkmcnt(0)
	v_mul_f32_e32 v53, v28, v33
	v_fma_f32 v50, v22, v26, -v3
	v_mul_f32_e32 v3, v29, v33
	ds_read2_b64 v[4:7], v2 offset0:97 offset1:98
	ds_read2_b64 v[8:11], v2 offset0:99 offset1:100
	;; [unrolled: 1-line block ×3, first 2 shown]
	ds_read_b64 v[16:17], v2 offset:824
	v_pk_mul_f32 v[20:21], v[30:31], v[20:21] op_sel:[1,0] op_sel_hi:[0,0]
	v_fmac_f32_e32 v53, v29, v32
	v_fma_f32 v52, v28, v32, -v3
	v_pk_add_f32 v[18:19], v[48:49], v[50:51]
	v_pk_fma_f32 v[22:23], v[30:31], v[34:35], v[20:21] neg_lo:[0,0,1] neg_hi:[0,0,1]
	v_pk_fma_f32 v[20:21], v[30:31], v[34:35], v[20:21] op_sel_hi:[1,0,1]
	v_pk_add_f32 v[18:19], v[18:19], v[52:53]
	v_mov_b32_e32 v23, v21
	v_pk_add_f32 v[18:19], v[18:19], v[22:23]
	s_waitcnt vmcnt(3) lgkmcnt(3)
	v_pk_mul_f32 v[20:21], v[4:5], v[36:37] op_sel:[1,1] op_sel_hi:[0,1]
	v_pk_fma_f32 v[22:23], v[4:5], v[36:37], v[20:21] neg_lo:[0,0,1] neg_hi:[0,0,1]
	v_pk_fma_f32 v[4:5], v[4:5], v[36:37], v[20:21] op_sel_hi:[1,0,1]
	s_nop 0
	v_mov_b32_e32 v23, v5
	v_pk_add_f32 v[4:5], v[18:19], v[22:23]
	v_mov_b32_e32 v18, v39
	v_pk_mul_f32 v[18:19], v[6:7], v[18:19] op_sel:[1,0] op_sel_hi:[0,0]
	v_pk_fma_f32 v[20:21], v[6:7], v[38:39], v[18:19] neg_lo:[0,0,1] neg_hi:[0,0,1]
	v_pk_fma_f32 v[6:7], v[6:7], v[38:39], v[18:19] op_sel_hi:[1,0,1]
	s_nop 0
	v_mov_b32_e32 v21, v7
	s_waitcnt vmcnt(2) lgkmcnt(2)
	v_pk_mul_f32 v[6:7], v[8:9], v[40:41] op_sel:[1,1] op_sel_hi:[0,1]
	v_pk_fma_f32 v[18:19], v[8:9], v[40:41], v[6:7] neg_lo:[0,0,1] neg_hi:[0,0,1]
	v_pk_fma_f32 v[6:7], v[8:9], v[40:41], v[6:7] op_sel_hi:[1,0,1]
	v_pk_add_f32 v[4:5], v[4:5], v[20:21]
	v_mov_b32_e32 v6, v43
	v_mov_b32_e32 v19, v7
	v_pk_mul_f32 v[6:7], v[10:11], v[6:7] op_sel:[1,0] op_sel_hi:[0,0]
	v_pk_fma_f32 v[8:9], v[10:11], v[42:43], v[6:7] neg_lo:[0,0,1] neg_hi:[0,0,1]
	v_pk_fma_f32 v[6:7], v[10:11], v[42:43], v[6:7] op_sel_hi:[1,0,1]
	v_pk_add_f32 v[4:5], v[4:5], v[18:19]
	v_mov_b32_e32 v9, v7
	s_waitcnt vmcnt(1) lgkmcnt(1)
	v_pk_mul_f32 v[6:7], v[12:13], v[44:45] op_sel:[1,1] op_sel_hi:[0,1]
	v_pk_add_f32 v[4:5], v[4:5], v[8:9]
	v_pk_fma_f32 v[8:9], v[12:13], v[44:45], v[6:7] neg_lo:[0,0,1] neg_hi:[0,0,1]
	v_pk_fma_f32 v[6:7], v[12:13], v[44:45], v[6:7] op_sel_hi:[1,0,1]
	s_nop 0
	v_mov_b32_e32 v6, v47
	v_mov_b32_e32 v9, v7
	v_pk_mul_f32 v[6:7], v[14:15], v[6:7] op_sel:[1,0] op_sel_hi:[0,0]
	v_pk_add_f32 v[4:5], v[4:5], v[8:9]
	v_pk_fma_f32 v[8:9], v[14:15], v[46:47], v[6:7] neg_lo:[0,0,1] neg_hi:[0,0,1]
	v_pk_fma_f32 v[6:7], v[14:15], v[46:47], v[6:7] op_sel_hi:[1,0,1]
	s_nop 0
	v_mov_b32_e32 v9, v7
	s_waitcnt vmcnt(0) lgkmcnt(0)
	v_pk_mul_f32 v[6:7], v[16:17], v[54:55] op_sel:[1,1] op_sel_hi:[0,1]
	v_pk_add_f32 v[4:5], v[4:5], v[8:9]
	v_pk_fma_f32 v[8:9], v[16:17], v[54:55], v[6:7] neg_lo:[0,0,1] neg_hi:[0,0,1]
	v_pk_fma_f32 v[6:7], v[16:17], v[54:55], v[6:7] op_sel_hi:[1,0,1]
	s_nop 0
	v_mov_b32_e32 v9, v7
	scratch_load_dwordx2 v[6:7], off, off offset:288
	v_pk_add_f32 v[4:5], v[4:5], v[8:9]
	s_waitcnt vmcnt(0)
	v_pk_add_f32 v[4:5], v[6:7], v[4:5] neg_lo:[0,1] neg_hi:[0,1]
	scratch_store_dwordx2 off, v[4:5], off offset:288
	s_and_saveexec_b64 s[0:1], vcc
	s_cbranch_execz .LBB51_255
; %bb.254:
	scratch_load_dwordx2 v[4:5], off, off offset:280
	v_mov_b32_e32 v3, v2
	scratch_store_dwordx2 off, v[2:3], off offset:280
	s_waitcnt vmcnt(1)
	ds_write_b64 v1, v[4:5]
.LBB51_255:
	s_or_b64 exec, exec, s[0:1]
	s_waitcnt lgkmcnt(0)
	; wave barrier
	ds_read_b128 v[4:7], v2 offset:704
	ds_read_b128 v[8:11], v2 offset:720
	;; [unrolled: 1-line block ×4, first 2 shown]
	scratch_load_dwordx4 v[20:23], off, off offset:288
	v_cmp_lt_u32_e32 vcc, 34, v0
	s_waitcnt vmcnt(0) lgkmcnt(3)
	v_mul_f32_e32 v3, v4, v21
	v_fmac_f32_e32 v3, v5, v20
	v_mul_f32_e32 v24, v6, v23
	v_add_f32_e32 v3, 0, v3
	v_fmac_f32_e32 v24, v7, v22
	v_add_f32_e32 v3, v3, v24
	scratch_load_dwordx4 v[24:27], off, off offset:304
	s_waitcnt vmcnt(0) lgkmcnt(2)
	v_mul_f32_e32 v28, v8, v25
	v_fmac_f32_e32 v28, v9, v24
	v_add_f32_e32 v3, v3, v28
	v_mul_f32_e32 v28, v10, v27
	v_fmac_f32_e32 v28, v11, v26
	v_add_f32_e32 v3, v3, v28
	scratch_load_dwordx4 v[28:31], off, off offset:320
	s_waitcnt vmcnt(0) lgkmcnt(1)
	v_mul_f32_e32 v32, v12, v29
	v_fmac_f32_e32 v32, v13, v28
	v_add_f32_e32 v3, v3, v32
	v_mul_f32_e32 v32, v14, v31
	v_fmac_f32_e32 v32, v15, v30
	v_add_f32_e32 v53, v3, v32
	scratch_load_dwordx4 v[32:35], off, off offset:336
	scratch_load_dwordx4 v[36:39], off, off offset:352
	;; [unrolled: 1-line block ×5, first 2 shown]
	v_mul_f32_e32 v3, v5, v21
	v_fma_f32 v3, v4, v20, -v3
	v_mul_f32_e32 v4, v7, v23
	v_add_f32_e32 v3, 0, v3
	v_fma_f32 v4, v6, v22, -v4
	v_add_f32_e32 v3, v3, v4
	v_mul_f32_e32 v4, v9, v25
	v_fma_f32 v4, v8, v24, -v4
	v_add_f32_e32 v3, v3, v4
	v_mul_f32_e32 v4, v11, v27
	v_fma_f32 v4, v10, v26, -v4
	v_add_f32_e32 v3, v3, v4
	v_mul_f32_e32 v4, v13, v29
	v_fma_f32 v4, v12, v28, -v4
	v_add_f32_e32 v3, v3, v4
	v_mul_f32_e32 v4, v15, v31
	v_fma_f32 v4, v14, v30, -v4
	v_add_f32_e32 v52, v3, v4
	s_waitcnt vmcnt(4) lgkmcnt(0)
	v_mul_f32_e32 v3, v17, v33
	v_mul_f32_e32 v55, v16, v33
	v_mul_f32_e32 v57, v18, v35
	v_fma_f32 v54, v16, v32, -v3
	v_mul_f32_e32 v3, v19, v35
	v_fmac_f32_e32 v55, v17, v32
	v_fmac_f32_e32 v57, v19, v34
	v_fma_f32 v56, v18, v34, -v3
	ds_read_b128 v[4:7], v2 offset:768
	ds_read_b128 v[8:11], v2 offset:784
	;; [unrolled: 1-line block ×4, first 2 shown]
	v_pk_add_f32 v[2:3], v[52:53], v[54:55]
	s_waitcnt vmcnt(3) lgkmcnt(3)
	v_pk_mul_f32 v[20:21], v[4:5], v[36:37] op_sel:[1,1] op_sel_hi:[0,1]
	v_pk_fma_f32 v[22:23], v[4:5], v[36:37], v[20:21] neg_lo:[0,0,1] neg_hi:[0,0,1]
	v_pk_fma_f32 v[4:5], v[4:5], v[36:37], v[20:21] op_sel_hi:[1,0,1]
	v_pk_add_f32 v[2:3], v[2:3], v[56:57]
	v_mov_b32_e32 v4, v39
	v_mov_b32_e32 v23, v5
	v_pk_mul_f32 v[4:5], v[6:7], v[4:5] op_sel:[1,0] op_sel_hi:[0,0]
	v_pk_fma_f32 v[20:21], v[6:7], v[38:39], v[4:5] neg_lo:[0,0,1] neg_hi:[0,0,1]
	v_pk_fma_f32 v[4:5], v[6:7], v[38:39], v[4:5] op_sel_hi:[1,0,1]
	v_pk_add_f32 v[2:3], v[2:3], v[22:23]
	v_mov_b32_e32 v21, v5
	s_waitcnt vmcnt(2) lgkmcnt(2)
	v_pk_mul_f32 v[4:5], v[8:9], v[40:41] op_sel:[1,1] op_sel_hi:[0,1]
	v_pk_fma_f32 v[6:7], v[8:9], v[40:41], v[4:5] neg_lo:[0,0,1] neg_hi:[0,0,1]
	v_pk_fma_f32 v[4:5], v[8:9], v[40:41], v[4:5] op_sel_hi:[1,0,1]
	v_pk_add_f32 v[2:3], v[2:3], v[20:21]
	v_mov_b32_e32 v4, v43
	v_mov_b32_e32 v7, v5
	v_pk_mul_f32 v[4:5], v[10:11], v[4:5] op_sel:[1,0] op_sel_hi:[0,0]
	v_pk_add_f32 v[2:3], v[2:3], v[6:7]
	v_pk_fma_f32 v[6:7], v[10:11], v[42:43], v[4:5] neg_lo:[0,0,1] neg_hi:[0,0,1]
	v_pk_fma_f32 v[4:5], v[10:11], v[42:43], v[4:5] op_sel_hi:[1,0,1]
	s_nop 0
	v_mov_b32_e32 v7, v5
	s_waitcnt vmcnt(1) lgkmcnt(1)
	v_pk_mul_f32 v[4:5], v[12:13], v[44:45] op_sel:[1,1] op_sel_hi:[0,1]
	v_pk_add_f32 v[2:3], v[2:3], v[6:7]
	v_pk_fma_f32 v[6:7], v[12:13], v[44:45], v[4:5] neg_lo:[0,0,1] neg_hi:[0,0,1]
	v_pk_fma_f32 v[4:5], v[12:13], v[44:45], v[4:5] op_sel_hi:[1,0,1]
	s_nop 0
	v_mov_b32_e32 v4, v47
	v_mov_b32_e32 v7, v5
	v_pk_mul_f32 v[4:5], v[14:15], v[4:5] op_sel:[1,0] op_sel_hi:[0,0]
	v_pk_add_f32 v[2:3], v[2:3], v[6:7]
	v_pk_fma_f32 v[6:7], v[14:15], v[46:47], v[4:5] neg_lo:[0,0,1] neg_hi:[0,0,1]
	v_pk_fma_f32 v[4:5], v[14:15], v[46:47], v[4:5] op_sel_hi:[1,0,1]
	s_nop 0
	v_mov_b32_e32 v7, v5
	s_waitcnt vmcnt(0) lgkmcnt(0)
	v_pk_mul_f32 v[4:5], v[16:17], v[48:49] op_sel:[1,1] op_sel_hi:[0,1]
	v_pk_add_f32 v[2:3], v[2:3], v[6:7]
	v_pk_fma_f32 v[6:7], v[16:17], v[48:49], v[4:5] neg_lo:[0,0,1] neg_hi:[0,0,1]
	v_pk_fma_f32 v[4:5], v[16:17], v[48:49], v[4:5] op_sel_hi:[1,0,1]
	s_nop 0
	v_mov_b32_e32 v4, v51
	v_mov_b32_e32 v7, v5
	v_pk_mul_f32 v[4:5], v[18:19], v[4:5] op_sel:[1,0] op_sel_hi:[0,0]
	v_pk_add_f32 v[2:3], v[2:3], v[6:7]
	v_pk_fma_f32 v[6:7], v[18:19], v[50:51], v[4:5] neg_lo:[0,0,1] neg_hi:[0,0,1]
	v_pk_fma_f32 v[4:5], v[18:19], v[50:51], v[4:5] op_sel_hi:[1,0,1]
	s_nop 0
	v_mov_b32_e32 v7, v5
	scratch_load_dwordx2 v[4:5], off, off offset:280
	v_pk_add_f32 v[2:3], v[2:3], v[6:7]
	s_waitcnt vmcnt(0)
	v_pk_add_f32 v[2:3], v[4:5], v[2:3] neg_lo:[0,1] neg_hi:[0,1]
	scratch_store_dwordx2 off, v[2:3], off offset:280
	s_and_saveexec_b64 s[0:1], vcc
	s_cbranch_execz .LBB51_257
; %bb.256:
	scratch_load_dwordx2 v[2:3], off, off offset:272
	v_mov_b32_e32 v4, 0
	v_mov_b32_e32 v5, v4
	scratch_store_dwordx2 off, v[4:5], off offset:272
	s_waitcnt vmcnt(1)
	ds_write_b64 v1, v[2:3]
.LBB51_257:
	s_or_b64 exec, exec, s[0:1]
	s_waitcnt lgkmcnt(0)
	; wave barrier
	scratch_load_dwordx4 v[8:11], off, off offset:280
	scratch_load_dwordx4 v[16:19], off, off offset:296
	;; [unrolled: 1-line block ×4, first 2 shown]
	v_mov_b32_e32 v2, 0
	ds_read2_b64 v[4:7], v2 offset0:87 offset1:88
	scratch_load_dwordx4 v[40:43], off, off offset:344
	v_cmp_lt_u32_e32 vcc, 33, v0
	s_waitcnt vmcnt(4) lgkmcnt(0)
	v_mul_f32_e32 v3, v4, v9
	v_fmac_f32_e32 v3, v5, v8
	v_mul_f32_e32 v12, v6, v11
	v_add_f32_e32 v3, 0, v3
	v_fmac_f32_e32 v12, v7, v10
	v_add_f32_e32 v3, v3, v12
	ds_read2_b64 v[12:15], v2 offset0:89 offset1:90
	s_waitcnt vmcnt(3) lgkmcnt(0)
	v_mul_f32_e32 v20, v12, v17
	v_fmac_f32_e32 v20, v13, v16
	v_add_f32_e32 v3, v3, v20
	v_mul_f32_e32 v20, v14, v19
	v_fmac_f32_e32 v20, v15, v18
	v_add_f32_e32 v3, v3, v20
	ds_read2_b64 v[20:23], v2 offset0:91 offset1:92
	s_waitcnt vmcnt(2) lgkmcnt(0)
	v_mul_f32_e32 v28, v20, v25
	v_fmac_f32_e32 v28, v21, v24
	v_add_f32_e32 v3, v3, v28
	v_mul_f32_e32 v28, v22, v27
	v_fmac_f32_e32 v28, v23, v26
	v_add_f32_e32 v3, v3, v28
	ds_read2_b64 v[28:31], v2 offset0:93 offset1:94
	s_waitcnt vmcnt(1) lgkmcnt(0)
	v_mul_f32_e32 v36, v28, v33
	v_fmac_f32_e32 v36, v29, v32
	v_add_f32_e32 v57, v3, v36
	ds_read2_b64 v[36:39], v2 offset0:95 offset1:96
	scratch_load_dwordx4 v[44:47], off, off offset:360
	scratch_load_dwordx4 v[48:51], off, off offset:376
	scratch_load_dwordx4 v[52:55], off, off offset:392
	scratch_load_dwordx2 v[62:63], off, off offset:408
	v_mul_f32_e32 v3, v5, v9
	v_fma_f32 v3, v4, v8, -v3
	v_mul_f32_e32 v4, v7, v11
	v_add_f32_e32 v3, 0, v3
	v_fma_f32 v4, v6, v10, -v4
	v_add_f32_e32 v3, v3, v4
	v_mul_f32_e32 v4, v13, v17
	v_fma_f32 v4, v12, v16, -v4
	v_add_f32_e32 v3, v3, v4
	v_mul_f32_e32 v4, v15, v19
	;; [unrolled: 3-line block ×5, first 2 shown]
	v_fma_f32 v4, v28, v32, -v4
	v_mul_f32_e32 v59, v30, v35
	v_add_f32_e32 v56, v3, v4
	v_mul_f32_e32 v3, v31, v35
	s_waitcnt vmcnt(4)
	v_mov_b32_e32 v20, v43
	v_fmac_f32_e32 v59, v31, v34
	s_waitcnt lgkmcnt(0)
	v_mul_f32_e32 v61, v36, v41
	v_fma_f32 v58, v30, v34, -v3
	v_mul_f32_e32 v3, v37, v41
	ds_read2_b64 v[4:7], v2 offset0:97 offset1:98
	ds_read2_b64 v[8:11], v2 offset0:99 offset1:100
	;; [unrolled: 1-line block ×3, first 2 shown]
	ds_read_b64 v[16:17], v2 offset:824
	v_pk_mul_f32 v[20:21], v[38:39], v[20:21] op_sel:[1,0] op_sel_hi:[0,0]
	v_fmac_f32_e32 v61, v37, v40
	v_fma_f32 v60, v36, v40, -v3
	v_pk_add_f32 v[18:19], v[56:57], v[58:59]
	v_pk_fma_f32 v[22:23], v[38:39], v[42:43], v[20:21] neg_lo:[0,0,1] neg_hi:[0,0,1]
	v_pk_fma_f32 v[20:21], v[38:39], v[42:43], v[20:21] op_sel_hi:[1,0,1]
	v_pk_add_f32 v[18:19], v[18:19], v[60:61]
	v_mov_b32_e32 v23, v21
	v_pk_add_f32 v[18:19], v[18:19], v[22:23]
	s_waitcnt vmcnt(3) lgkmcnt(3)
	v_pk_mul_f32 v[20:21], v[4:5], v[44:45] op_sel:[1,1] op_sel_hi:[0,1]
	v_pk_fma_f32 v[22:23], v[4:5], v[44:45], v[20:21] neg_lo:[0,0,1] neg_hi:[0,0,1]
	v_pk_fma_f32 v[4:5], v[4:5], v[44:45], v[20:21] op_sel_hi:[1,0,1]
	s_nop 0
	v_mov_b32_e32 v23, v5
	v_pk_add_f32 v[4:5], v[18:19], v[22:23]
	v_mov_b32_e32 v18, v47
	v_pk_mul_f32 v[18:19], v[6:7], v[18:19] op_sel:[1,0] op_sel_hi:[0,0]
	v_pk_fma_f32 v[20:21], v[6:7], v[46:47], v[18:19] neg_lo:[0,0,1] neg_hi:[0,0,1]
	v_pk_fma_f32 v[6:7], v[6:7], v[46:47], v[18:19] op_sel_hi:[1,0,1]
	s_nop 0
	v_mov_b32_e32 v21, v7
	s_waitcnt vmcnt(2) lgkmcnt(2)
	v_pk_mul_f32 v[6:7], v[8:9], v[48:49] op_sel:[1,1] op_sel_hi:[0,1]
	v_pk_fma_f32 v[18:19], v[8:9], v[48:49], v[6:7] neg_lo:[0,0,1] neg_hi:[0,0,1]
	v_pk_fma_f32 v[6:7], v[8:9], v[48:49], v[6:7] op_sel_hi:[1,0,1]
	v_pk_add_f32 v[4:5], v[4:5], v[20:21]
	v_mov_b32_e32 v6, v51
	v_mov_b32_e32 v19, v7
	v_pk_mul_f32 v[6:7], v[10:11], v[6:7] op_sel:[1,0] op_sel_hi:[0,0]
	v_pk_fma_f32 v[8:9], v[10:11], v[50:51], v[6:7] neg_lo:[0,0,1] neg_hi:[0,0,1]
	v_pk_fma_f32 v[6:7], v[10:11], v[50:51], v[6:7] op_sel_hi:[1,0,1]
	v_pk_add_f32 v[4:5], v[4:5], v[18:19]
	v_mov_b32_e32 v9, v7
	s_waitcnt vmcnt(1) lgkmcnt(1)
	v_pk_mul_f32 v[6:7], v[12:13], v[52:53] op_sel:[1,1] op_sel_hi:[0,1]
	v_pk_add_f32 v[4:5], v[4:5], v[8:9]
	v_pk_fma_f32 v[8:9], v[12:13], v[52:53], v[6:7] neg_lo:[0,0,1] neg_hi:[0,0,1]
	v_pk_fma_f32 v[6:7], v[12:13], v[52:53], v[6:7] op_sel_hi:[1,0,1]
	s_nop 0
	v_mov_b32_e32 v6, v55
	v_mov_b32_e32 v9, v7
	v_pk_mul_f32 v[6:7], v[14:15], v[6:7] op_sel:[1,0] op_sel_hi:[0,0]
	v_pk_add_f32 v[4:5], v[4:5], v[8:9]
	v_pk_fma_f32 v[8:9], v[14:15], v[54:55], v[6:7] neg_lo:[0,0,1] neg_hi:[0,0,1]
	v_pk_fma_f32 v[6:7], v[14:15], v[54:55], v[6:7] op_sel_hi:[1,0,1]
	s_nop 0
	v_mov_b32_e32 v9, v7
	s_waitcnt vmcnt(0) lgkmcnt(0)
	v_pk_mul_f32 v[6:7], v[16:17], v[62:63] op_sel:[1,1] op_sel_hi:[0,1]
	v_pk_add_f32 v[4:5], v[4:5], v[8:9]
	v_pk_fma_f32 v[8:9], v[16:17], v[62:63], v[6:7] neg_lo:[0,0,1] neg_hi:[0,0,1]
	v_pk_fma_f32 v[6:7], v[16:17], v[62:63], v[6:7] op_sel_hi:[1,0,1]
	s_nop 0
	v_mov_b32_e32 v9, v7
	scratch_load_dwordx2 v[6:7], off, off offset:272
	v_pk_add_f32 v[4:5], v[4:5], v[8:9]
	s_waitcnt vmcnt(0)
	v_pk_add_f32 v[4:5], v[6:7], v[4:5] neg_lo:[0,1] neg_hi:[0,1]
	scratch_store_dwordx2 off, v[4:5], off offset:272
	s_and_saveexec_b64 s[0:1], vcc
	s_cbranch_execz .LBB51_259
; %bb.258:
	scratch_load_dwordx2 v[4:5], off, off offset:264
	v_mov_b32_e32 v3, v2
	scratch_store_dwordx2 off, v[2:3], off offset:264
	s_waitcnt vmcnt(1)
	ds_write_b64 v1, v[4:5]
.LBB51_259:
	s_or_b64 exec, exec, s[0:1]
	s_waitcnt lgkmcnt(0)
	; wave barrier
	ds_read_b128 v[4:7], v2 offset:688
	ds_read_b128 v[8:11], v2 offset:704
	;; [unrolled: 1-line block ×4, first 2 shown]
	scratch_load_dwordx4 v[20:23], off, off offset:272
	scratch_load_dwordx4 v[40:43], off, off offset:336
	v_cmp_lt_u32_e32 vcc, 32, v0
	s_waitcnt vmcnt(1) lgkmcnt(3)
	v_mul_f32_e32 v3, v4, v21
	v_fmac_f32_e32 v3, v5, v20
	v_mul_f32_e32 v24, v6, v23
	v_add_f32_e32 v3, 0, v3
	v_fmac_f32_e32 v24, v7, v22
	v_add_f32_e32 v3, v3, v24
	scratch_load_dwordx4 v[24:27], off, off offset:288
	s_waitcnt vmcnt(0) lgkmcnt(2)
	v_mul_f32_e32 v28, v8, v25
	v_fmac_f32_e32 v28, v9, v24
	v_add_f32_e32 v3, v3, v28
	v_mul_f32_e32 v28, v10, v27
	v_fmac_f32_e32 v28, v11, v26
	v_add_f32_e32 v3, v3, v28
	scratch_load_dwordx4 v[28:31], off, off offset:304
	s_waitcnt vmcnt(0) lgkmcnt(1)
	v_mul_f32_e32 v32, v12, v29
	v_fmac_f32_e32 v32, v13, v28
	v_add_f32_e32 v3, v3, v32
	v_mul_f32_e32 v32, v14, v31
	;; [unrolled: 8-line block ×3, first 2 shown]
	v_fmac_f32_e32 v36, v19, v34
	v_add_f32_e32 v61, v3, v36
	ds_read_b128 v[36:39], v2 offset:752
	scratch_load_dwordx4 v[44:47], off, off offset:352
	scratch_load_dwordx4 v[48:51], off, off offset:368
	scratch_load_dwordx4 v[52:55], off, off offset:384
	scratch_load_dwordx4 v[56:59], off, off offset:400
	v_mul_f32_e32 v3, v5, v21
	v_fma_f32 v3, v4, v20, -v3
	v_mul_f32_e32 v4, v7, v23
	v_add_f32_e32 v3, 0, v3
	v_fma_f32 v4, v6, v22, -v4
	v_add_f32_e32 v3, v3, v4
	v_mul_f32_e32 v4, v9, v25
	v_fma_f32 v4, v8, v24, -v4
	v_add_f32_e32 v3, v3, v4
	v_mul_f32_e32 v4, v11, v27
	;; [unrolled: 3-line block ×6, first 2 shown]
	v_fma_f32 v4, v18, v34, -v4
	v_add_f32_e32 v60, v3, v4
	ds_read_b128 v[4:7], v2 offset:768
	ds_read_b128 v[8:11], v2 offset:784
	;; [unrolled: 1-line block ×4, first 2 shown]
	s_waitcnt lgkmcnt(4)
	v_mul_f32_e32 v63, v36, v41
	v_mul_f32_e32 v3, v37, v41
	v_fmac_f32_e32 v63, v37, v40
	v_mul_f32_e32 v65, v38, v43
	v_fma_f32 v62, v36, v40, -v3
	v_mul_f32_e32 v3, v39, v43
	v_fmac_f32_e32 v65, v39, v42
	v_fma_f32 v64, v38, v42, -v3
	v_pk_add_f32 v[2:3], v[60:61], v[62:63]
	s_waitcnt vmcnt(3) lgkmcnt(3)
	v_pk_mul_f32 v[20:21], v[4:5], v[44:45] op_sel:[1,1] op_sel_hi:[0,1]
	v_pk_fma_f32 v[22:23], v[4:5], v[44:45], v[20:21] neg_lo:[0,0,1] neg_hi:[0,0,1]
	v_pk_fma_f32 v[4:5], v[4:5], v[44:45], v[20:21] op_sel_hi:[1,0,1]
	v_pk_add_f32 v[2:3], v[2:3], v[64:65]
	v_mov_b32_e32 v4, v47
	v_mov_b32_e32 v23, v5
	v_pk_mul_f32 v[4:5], v[6:7], v[4:5] op_sel:[1,0] op_sel_hi:[0,0]
	v_pk_fma_f32 v[20:21], v[6:7], v[46:47], v[4:5] neg_lo:[0,0,1] neg_hi:[0,0,1]
	v_pk_fma_f32 v[4:5], v[6:7], v[46:47], v[4:5] op_sel_hi:[1,0,1]
	v_pk_add_f32 v[2:3], v[2:3], v[22:23]
	v_mov_b32_e32 v21, v5
	s_waitcnt vmcnt(2) lgkmcnt(2)
	v_pk_mul_f32 v[4:5], v[8:9], v[48:49] op_sel:[1,1] op_sel_hi:[0,1]
	v_pk_fma_f32 v[6:7], v[8:9], v[48:49], v[4:5] neg_lo:[0,0,1] neg_hi:[0,0,1]
	v_pk_fma_f32 v[4:5], v[8:9], v[48:49], v[4:5] op_sel_hi:[1,0,1]
	v_pk_add_f32 v[2:3], v[2:3], v[20:21]
	v_mov_b32_e32 v4, v51
	v_mov_b32_e32 v7, v5
	v_pk_mul_f32 v[4:5], v[10:11], v[4:5] op_sel:[1,0] op_sel_hi:[0,0]
	v_pk_add_f32 v[2:3], v[2:3], v[6:7]
	v_pk_fma_f32 v[6:7], v[10:11], v[50:51], v[4:5] neg_lo:[0,0,1] neg_hi:[0,0,1]
	v_pk_fma_f32 v[4:5], v[10:11], v[50:51], v[4:5] op_sel_hi:[1,0,1]
	s_nop 0
	v_mov_b32_e32 v7, v5
	s_waitcnt vmcnt(1) lgkmcnt(1)
	v_pk_mul_f32 v[4:5], v[12:13], v[52:53] op_sel:[1,1] op_sel_hi:[0,1]
	v_pk_add_f32 v[2:3], v[2:3], v[6:7]
	v_pk_fma_f32 v[6:7], v[12:13], v[52:53], v[4:5] neg_lo:[0,0,1] neg_hi:[0,0,1]
	v_pk_fma_f32 v[4:5], v[12:13], v[52:53], v[4:5] op_sel_hi:[1,0,1]
	s_nop 0
	v_mov_b32_e32 v4, v55
	v_mov_b32_e32 v7, v5
	v_pk_mul_f32 v[4:5], v[14:15], v[4:5] op_sel:[1,0] op_sel_hi:[0,0]
	v_pk_add_f32 v[2:3], v[2:3], v[6:7]
	v_pk_fma_f32 v[6:7], v[14:15], v[54:55], v[4:5] neg_lo:[0,0,1] neg_hi:[0,0,1]
	v_pk_fma_f32 v[4:5], v[14:15], v[54:55], v[4:5] op_sel_hi:[1,0,1]
	s_nop 0
	v_mov_b32_e32 v7, v5
	s_waitcnt vmcnt(0) lgkmcnt(0)
	v_pk_mul_f32 v[4:5], v[16:17], v[56:57] op_sel:[1,1] op_sel_hi:[0,1]
	v_pk_add_f32 v[2:3], v[2:3], v[6:7]
	v_pk_fma_f32 v[6:7], v[16:17], v[56:57], v[4:5] neg_lo:[0,0,1] neg_hi:[0,0,1]
	v_pk_fma_f32 v[4:5], v[16:17], v[56:57], v[4:5] op_sel_hi:[1,0,1]
	s_nop 0
	v_mov_b32_e32 v4, v59
	v_mov_b32_e32 v7, v5
	v_pk_mul_f32 v[4:5], v[18:19], v[4:5] op_sel:[1,0] op_sel_hi:[0,0]
	v_pk_add_f32 v[2:3], v[2:3], v[6:7]
	v_pk_fma_f32 v[6:7], v[18:19], v[58:59], v[4:5] neg_lo:[0,0,1] neg_hi:[0,0,1]
	v_pk_fma_f32 v[4:5], v[18:19], v[58:59], v[4:5] op_sel_hi:[1,0,1]
	s_nop 0
	v_mov_b32_e32 v7, v5
	scratch_load_dwordx2 v[4:5], off, off offset:264
	v_pk_add_f32 v[2:3], v[2:3], v[6:7]
	s_waitcnt vmcnt(0)
	v_pk_add_f32 v[2:3], v[4:5], v[2:3] neg_lo:[0,1] neg_hi:[0,1]
	scratch_store_dwordx2 off, v[2:3], off offset:264
	s_and_saveexec_b64 s[0:1], vcc
	s_cbranch_execz .LBB51_261
; %bb.260:
	scratch_load_dwordx2 v[2:3], off, off offset:256
	v_mov_b32_e32 v4, 0
	v_mov_b32_e32 v5, v4
	scratch_store_dwordx2 off, v[4:5], off offset:256
	s_waitcnt vmcnt(1)
	ds_write_b64 v1, v[2:3]
.LBB51_261:
	s_or_b64 exec, exec, s[0:1]
	s_waitcnt lgkmcnt(0)
	; wave barrier
	scratch_load_dwordx4 v[4:7], off, off offset:264
	scratch_load_dwordx4 v[8:11], off, off offset:280
	;; [unrolled: 1-line block ×9, first 2 shown]
	scratch_load_dwordx2 v[76:77], off, off offset:408
	scratch_load_dwordx2 v[78:79], off, off offset:256
	v_mov_b32_e32 v2, 0
	ds_read2_b64 v[40:43], v2 offset0:85 offset1:86
	ds_read2_b64 v[44:47], v2 offset0:87 offset1:88
	;; [unrolled: 1-line block ×9, first 2 shown]
	ds_read_b64 v[80:81], v2 offset:824
	v_cmp_lt_u32_e32 vcc, 31, v0
	s_waitcnt vmcnt(10) lgkmcnt(9)
	v_mul_f32_e32 v87, v42, v7
	v_mul_f32_e32 v3, v40, v5
	;; [unrolled: 1-line block ×3, first 2 shown]
	v_fmac_f32_e32 v87, v43, v6
	s_waitcnt vmcnt(9) lgkmcnt(8)
	v_mul_f32_e32 v88, v44, v9
	s_waitcnt vmcnt(5)
	v_mov_b32_e32 v86, v27
	v_mul_f32_e32 v89, v46, v11
	s_waitcnt lgkmcnt(7)
	v_mul_f32_e32 v91, v50, v15
	v_mul_f32_e32 v7, v43, v7
	;; [unrolled: 1-line block ×5, first 2 shown]
	v_fmac_f32_e32 v3, v41, v4
	v_fma_f32 v40, v40, v4, -v5
	s_waitcnt lgkmcnt(4)
	v_pk_mul_f32 v[4:5], v[62:63], v[86:87] op_sel:[1,0] op_sel_hi:[0,0]
	v_fmac_f32_e32 v88, v45, v8
	v_fma_f32 v41, v42, v6, -v7
	v_fma_f32 v8, v44, v8, -v9
	;; [unrolled: 1-line block ×4, first 2 shown]
	v_add_f32_e32 v3, 0, v3
	v_add_f32_e32 v15, 0, v40
	v_pk_fma_f32 v[6:7], v[62:63], v[26:27], v[4:5] neg_lo:[0,0,1] neg_hi:[0,0,1]
	v_pk_fma_f32 v[4:5], v[62:63], v[26:27], v[4:5] op_sel_hi:[1,0,1]
	v_add_f32_e32 v3, v3, v87
	v_add_f32_e32 v4, v15, v41
	v_mul_f32_e32 v90, v48, v13
	v_mul_f32_e32 v13, v49, v13
	v_fmac_f32_e32 v89, v47, v10
	v_add_f32_e32 v3, v3, v88
	v_add_f32_e32 v4, v4, v8
	v_fmac_f32_e32 v90, v49, v12
	v_fma_f32 v10, v48, v12, -v13
	v_add_f32_e32 v3, v3, v89
	v_add_f32_e32 v4, v4, v9
	v_mul_f32_e32 v92, v52, v17
	v_mul_f32_e32 v17, v53, v17
	v_fmac_f32_e32 v91, v51, v14
	v_add_f32_e32 v3, v3, v90
	v_add_f32_e32 v4, v4, v10
	v_mul_f32_e32 v93, v54, v19
	v_mul_f32_e32 v19, v55, v19
	v_fmac_f32_e32 v92, v53, v16
	v_fma_f32 v12, v52, v16, -v17
	v_add_f32_e32 v3, v3, v91
	v_add_f32_e32 v4, v4, v11
	v_mul_f32_e32 v94, v56, v21
	v_mul_f32_e32 v21, v57, v21
	v_fmac_f32_e32 v93, v55, v18
	v_fma_f32 v13, v54, v18, -v19
	;; [unrolled: 6-line block ×4, first 2 shown]
	v_mov_b32_e32 v7, v5
	v_add_f32_e32 v5, v3, v94
	v_add_f32_e32 v4, v4, v14
	v_fmac_f32_e32 v85, v61, v24
	v_fma_f32 v84, v60, v24, -v25
	v_pk_add_f32 v[4:5], v[4:5], v[82:83]
	s_nop 0
	v_pk_add_f32 v[4:5], v[4:5], v[84:85]
	s_nop 0
	v_pk_add_f32 v[4:5], v[4:5], v[6:7]
	s_waitcnt vmcnt(4) lgkmcnt(3)
	v_pk_mul_f32 v[6:7], v[64:65], v[28:29] op_sel:[1,1] op_sel_hi:[0,1]
	v_pk_fma_f32 v[8:9], v[64:65], v[28:29], v[6:7] neg_lo:[0,0,1] neg_hi:[0,0,1]
	v_pk_fma_f32 v[6:7], v[64:65], v[28:29], v[6:7] op_sel_hi:[1,0,1]
	s_nop 0
	v_mov_b32_e32 v6, v31
	v_mov_b32_e32 v9, v7
	v_pk_mul_f32 v[6:7], v[66:67], v[6:7] op_sel:[1,0] op_sel_hi:[0,0]
	v_pk_add_f32 v[4:5], v[4:5], v[8:9]
	v_pk_fma_f32 v[8:9], v[66:67], v[30:31], v[6:7] neg_lo:[0,0,1] neg_hi:[0,0,1]
	v_pk_fma_f32 v[6:7], v[66:67], v[30:31], v[6:7] op_sel_hi:[1,0,1]
	s_nop 0
	v_mov_b32_e32 v9, v7
	s_waitcnt vmcnt(3) lgkmcnt(2)
	v_pk_mul_f32 v[6:7], v[68:69], v[32:33] op_sel:[1,1] op_sel_hi:[0,1]
	v_pk_add_f32 v[4:5], v[4:5], v[8:9]
	v_pk_fma_f32 v[8:9], v[68:69], v[32:33], v[6:7] neg_lo:[0,0,1] neg_hi:[0,0,1]
	v_pk_fma_f32 v[6:7], v[68:69], v[32:33], v[6:7] op_sel_hi:[1,0,1]
	s_nop 0
	v_mov_b32_e32 v6, v35
	v_mov_b32_e32 v9, v7
	v_pk_mul_f32 v[6:7], v[70:71], v[6:7] op_sel:[1,0] op_sel_hi:[0,0]
	v_pk_add_f32 v[4:5], v[4:5], v[8:9]
	v_pk_fma_f32 v[8:9], v[70:71], v[34:35], v[6:7] neg_lo:[0,0,1] neg_hi:[0,0,1]
	v_pk_fma_f32 v[6:7], v[70:71], v[34:35], v[6:7] op_sel_hi:[1,0,1]
	s_nop 0
	v_mov_b32_e32 v9, v7
	s_waitcnt vmcnt(2) lgkmcnt(1)
	v_pk_mul_f32 v[6:7], v[72:73], v[36:37] op_sel:[1,1] op_sel_hi:[0,1]
	v_pk_add_f32 v[4:5], v[4:5], v[8:9]
	;; [unrolled: 14-line block ×3, first 2 shown]
	v_pk_fma_f32 v[8:9], v[80:81], v[76:77], v[6:7] neg_lo:[0,0,1] neg_hi:[0,0,1]
	v_pk_fma_f32 v[6:7], v[80:81], v[76:77], v[6:7] op_sel_hi:[1,0,1]
	s_nop 0
	v_mov_b32_e32 v9, v7
	v_pk_add_f32 v[4:5], v[4:5], v[8:9]
	s_waitcnt vmcnt(0)
	v_pk_add_f32 v[4:5], v[78:79], v[4:5] neg_lo:[0,1] neg_hi:[0,1]
	scratch_store_dwordx2 off, v[4:5], off offset:256
	s_and_saveexec_b64 s[0:1], vcc
	s_cbranch_execz .LBB51_263
; %bb.262:
	scratch_load_dwordx2 v[4:5], off, off offset:248
	v_mov_b32_e32 v3, v2
	scratch_store_dwordx2 off, v[2:3], off offset:248
	s_waitcnt vmcnt(1)
	ds_write_b64 v1, v[4:5]
.LBB51_263:
	s_or_b64 exec, exec, s[0:1]
	s_waitcnt lgkmcnt(0)
	; wave barrier
	scratch_load_dwordx4 v[4:7], off, off offset:256
	scratch_load_dwordx4 v[8:11], off, off offset:272
	;; [unrolled: 1-line block ×7, first 2 shown]
	ds_read_b128 v[32:35], v2 offset:672
	ds_read_b128 v[36:39], v2 offset:688
	;; [unrolled: 1-line block ×6, first 2 shown]
	scratch_load_dwordx4 v[56:59], off, off offset:368
	scratch_load_dwordx4 v[60:63], off, off offset:384
	;; [unrolled: 1-line block ×3, first 2 shown]
	ds_read_b128 v[68:71], v2 offset:768
	ds_read_b128 v[72:75], v2 offset:784
	ds_read_b128 v[76:79], v2 offset:800
	ds_read_b128 v[80:83], v2 offset:816
	scratch_load_dwordx2 v[2:3], off, off offset:248
	v_cmp_lt_u32_e32 vcc, 30, v0
	s_waitcnt vmcnt(10) lgkmcnt(9)
	v_mul_f32_e32 v90, v32, v5
	v_mul_f32_e32 v5, v33, v5
	;; [unrolled: 1-line block ×3, first 2 shown]
	s_waitcnt vmcnt(9) lgkmcnt(8)
	v_mul_f32_e32 v92, v36, v9
	s_waitcnt vmcnt(8) lgkmcnt(7)
	v_mul_f32_e32 v95, v42, v15
	v_mul_f32_e32 v7, v35, v7
	;; [unrolled: 1-line block ×4, first 2 shown]
	v_fmac_f32_e32 v90, v33, v4
	v_fma_f32 v4, v32, v4, -v5
	v_fmac_f32_e32 v91, v35, v6
	v_fmac_f32_e32 v95, v43, v14
	v_fma_f32 v5, v34, v6, -v7
	v_fma_f32 v6, v36, v8, -v9
	;; [unrolled: 1-line block ×3, first 2 shown]
	v_add_f32_e32 v14, 0, v90
	v_add_f32_e32 v4, 0, v4
	v_mul_f32_e32 v93, v38, v11
	v_mul_f32_e32 v11, v39, v11
	v_fmac_f32_e32 v92, v37, v8
	v_add_f32_e32 v14, v14, v91
	v_add_f32_e32 v4, v4, v5
	v_mul_f32_e32 v94, v40, v13
	v_mul_f32_e32 v13, v41, v13
	v_fmac_f32_e32 v93, v39, v10
	v_fma_f32 v7, v38, v10, -v11
	v_add_f32_e32 v5, v14, v92
	v_add_f32_e32 v4, v4, v6
	v_fmac_f32_e32 v94, v41, v12
	v_fma_f32 v8, v40, v12, -v13
	v_add_f32_e32 v5, v5, v93
	v_add_f32_e32 v4, v4, v7
	s_waitcnt vmcnt(7) lgkmcnt(6)
	v_mul_f32_e32 v96, v44, v17
	v_mul_f32_e32 v17, v45, v17
	v_add_f32_e32 v5, v5, v94
	v_add_f32_e32 v4, v4, v8
	v_mul_f32_e32 v97, v46, v19
	v_mul_f32_e32 v19, v47, v19
	v_fmac_f32_e32 v96, v45, v16
	v_fma_f32 v10, v44, v16, -v17
	v_add_f32_e32 v5, v5, v95
	v_add_f32_e32 v4, v4, v9
	s_waitcnt vmcnt(6) lgkmcnt(5)
	v_mul_f32_e32 v98, v48, v21
	v_mul_f32_e32 v21, v49, v21
	v_fmac_f32_e32 v97, v47, v18
	v_fma_f32 v11, v46, v18, -v19
	v_add_f32_e32 v5, v5, v96
	v_add_f32_e32 v4, v4, v10
	v_mul_f32_e32 v99, v50, v23
	v_mul_f32_e32 v23, v51, v23
	v_fmac_f32_e32 v98, v49, v20
	v_fma_f32 v12, v48, v20, -v21
	v_add_f32_e32 v5, v5, v97
	v_add_f32_e32 v4, v4, v11
	s_waitcnt vmcnt(5) lgkmcnt(4)
	v_mul_f32_e32 v85, v52, v25
	v_mul_f32_e32 v25, v53, v25
	v_fmac_f32_e32 v99, v51, v22
	v_fma_f32 v13, v50, v22, -v23
	v_add_f32_e32 v5, v5, v98
	v_add_f32_e32 v4, v4, v12
	v_mul_f32_e32 v87, v54, v27
	v_mul_f32_e32 v27, v55, v27
	s_waitcnt vmcnt(4) lgkmcnt(3)
	v_pk_mul_f32 v[88:89], v[68:69], v[28:29] op_sel:[1,1] op_sel_hi:[0,1]
	v_fmac_f32_e32 v85, v53, v24
	v_fma_f32 v84, v52, v24, -v25
	v_add_f32_e32 v5, v5, v99
	v_add_f32_e32 v4, v4, v13
	v_fmac_f32_e32 v87, v55, v26
	v_fma_f32 v86, v54, v26, -v27
	v_pk_add_f32 v[4:5], v[4:5], v[84:85]
	v_pk_fma_f32 v[6:7], v[68:69], v[28:29], v[88:89] neg_lo:[0,0,1] neg_hi:[0,0,1]
	v_pk_fma_f32 v[8:9], v[68:69], v[28:29], v[88:89] op_sel_hi:[1,0,1]
	v_pk_add_f32 v[4:5], v[4:5], v[86:87]
	v_mov_b32_e32 v7, v9
	v_pk_add_f32 v[4:5], v[4:5], v[6:7]
	v_mov_b32_e32 v6, v31
	v_pk_mul_f32 v[6:7], v[70:71], v[6:7] op_sel:[1,0] op_sel_hi:[0,0]
	v_pk_fma_f32 v[8:9], v[70:71], v[30:31], v[6:7] neg_lo:[0,0,1] neg_hi:[0,0,1]
	v_pk_fma_f32 v[6:7], v[70:71], v[30:31], v[6:7] op_sel_hi:[1,0,1]
	s_nop 0
	v_mov_b32_e32 v9, v7
	s_waitcnt vmcnt(3) lgkmcnt(2)
	v_pk_mul_f32 v[6:7], v[72:73], v[56:57] op_sel:[1,1] op_sel_hi:[0,1]
	v_pk_add_f32 v[4:5], v[4:5], v[8:9]
	v_pk_fma_f32 v[8:9], v[72:73], v[56:57], v[6:7] neg_lo:[0,0,1] neg_hi:[0,0,1]
	v_pk_fma_f32 v[6:7], v[72:73], v[56:57], v[6:7] op_sel_hi:[1,0,1]
	s_nop 0
	v_mov_b32_e32 v6, v59
	v_mov_b32_e32 v9, v7
	v_pk_mul_f32 v[6:7], v[74:75], v[6:7] op_sel:[1,0] op_sel_hi:[0,0]
	v_pk_add_f32 v[4:5], v[4:5], v[8:9]
	v_pk_fma_f32 v[8:9], v[74:75], v[58:59], v[6:7] neg_lo:[0,0,1] neg_hi:[0,0,1]
	v_pk_fma_f32 v[6:7], v[74:75], v[58:59], v[6:7] op_sel_hi:[1,0,1]
	s_nop 0
	v_mov_b32_e32 v9, v7
	s_waitcnt vmcnt(2) lgkmcnt(1)
	v_pk_mul_f32 v[6:7], v[76:77], v[60:61] op_sel:[1,1] op_sel_hi:[0,1]
	v_pk_add_f32 v[4:5], v[4:5], v[8:9]
	v_pk_fma_f32 v[8:9], v[76:77], v[60:61], v[6:7] neg_lo:[0,0,1] neg_hi:[0,0,1]
	v_pk_fma_f32 v[6:7], v[76:77], v[60:61], v[6:7] op_sel_hi:[1,0,1]
	s_nop 0
	v_mov_b32_e32 v6, v63
	v_mov_b32_e32 v9, v7
	v_pk_mul_f32 v[6:7], v[78:79], v[6:7] op_sel:[1,0] op_sel_hi:[0,0]
	v_pk_add_f32 v[4:5], v[4:5], v[8:9]
	;; [unrolled: 14-line block ×3, first 2 shown]
	v_pk_fma_f32 v[8:9], v[82:83], v[66:67], v[6:7] neg_lo:[0,0,1] neg_hi:[0,0,1]
	v_pk_fma_f32 v[6:7], v[82:83], v[66:67], v[6:7] op_sel_hi:[1,0,1]
	s_nop 0
	v_mov_b32_e32 v9, v7
	v_pk_add_f32 v[4:5], v[4:5], v[8:9]
	s_waitcnt vmcnt(0)
	v_pk_add_f32 v[2:3], v[2:3], v[4:5] neg_lo:[0,1] neg_hi:[0,1]
	scratch_store_dwordx2 off, v[2:3], off offset:248
	s_and_saveexec_b64 s[0:1], vcc
	s_cbranch_execz .LBB51_265
; %bb.264:
	scratch_load_dwordx2 v[2:3], off, off offset:240
	v_mov_b32_e32 v4, 0
	v_mov_b32_e32 v5, v4
	scratch_store_dwordx2 off, v[4:5], off offset:240
	s_waitcnt vmcnt(1)
	ds_write_b64 v1, v[2:3]
.LBB51_265:
	s_or_b64 exec, exec, s[0:1]
	s_waitcnt lgkmcnt(0)
	; wave barrier
	scratch_load_dwordx4 v[2:5], off, off offset:248
	scratch_load_dwordx4 v[8:11], off, off offset:264
	;; [unrolled: 1-line block ×10, first 2 shown]
	scratch_load_dwordx2 v[76:77], off, off offset:408
	scratch_load_dwordx2 v[78:79], off, off offset:240
	v_mov_b32_e32 v6, 0
	ds_read2_b64 v[44:47], v6 offset0:83 offset1:84
	ds_read2_b64 v[48:51], v6 offset0:85 offset1:86
	ds_read2_b64 v[52:55], v6 offset0:87 offset1:88
	ds_read2_b64 v[56:59], v6 offset0:89 offset1:90
	ds_read2_b64 v[60:63], v6 offset0:91 offset1:92
	ds_read2_b64 v[64:67], v6 offset0:93 offset1:94
	ds_read2_b64 v[68:71], v6 offset0:95 offset1:96
	ds_read2_b64 v[72:75], v6 offset0:97 offset1:98
	v_cmp_lt_u32_e32 vcc, 29, v0
	s_waitcnt vmcnt(11) lgkmcnt(7)
	v_mul_f32_e32 v7, v44, v3
	v_mul_f32_e32 v3, v45, v3
	;; [unrolled: 1-line block ×4, first 2 shown]
	v_fmac_f32_e32 v7, v45, v2
	v_fma_f32 v2, v44, v2, -v3
	s_waitcnt vmcnt(10) lgkmcnt(6)
	v_mul_f32_e32 v82, v48, v9
	v_mul_f32_e32 v9, v49, v9
	v_fma_f32 v3, v46, v4, -v5
	v_add_f32_e32 v2, 0, v2
	v_mul_f32_e32 v84, v50, v11
	v_mul_f32_e32 v11, v51, v11
	v_fmac_f32_e32 v80, v47, v4
	v_fma_f32 v4, v48, v8, -v9
	v_add_f32_e32 v7, 0, v7
	v_add_f32_e32 v2, v2, v3
	s_waitcnt vmcnt(9) lgkmcnt(5)
	v_mul_f32_e32 v85, v52, v13
	v_mul_f32_e32 v13, v53, v13
	v_fmac_f32_e32 v82, v49, v8
	v_fma_f32 v5, v50, v10, -v11
	v_add_f32_e32 v7, v7, v80
	v_add_f32_e32 v2, v2, v4
	v_mul_f32_e32 v86, v54, v15
	v_mul_f32_e32 v15, v55, v15
	v_fmac_f32_e32 v84, v51, v10
	v_fma_f32 v8, v52, v12, -v13
	v_add_f32_e32 v3, v7, v82
	v_add_f32_e32 v2, v2, v5
	s_waitcnt vmcnt(8) lgkmcnt(4)
	v_mul_f32_e32 v87, v56, v17
	v_mul_f32_e32 v17, v57, v17
	v_fmac_f32_e32 v85, v53, v12
	v_fma_f32 v9, v54, v14, -v15
	v_add_f32_e32 v3, v3, v84
	;; [unrolled: 13-line block ×4, first 2 shown]
	v_add_f32_e32 v2, v2, v12
	v_fmac_f32_e32 v90, v63, v22
	v_fma_f32 v14, v64, v24, -v25
	v_add_f32_e32 v3, v3, v89
	v_add_f32_e32 v2, v2, v13
	v_mul_f32_e32 v81, v66, v27
	v_fmac_f32_e32 v91, v65, v24
	v_add_f32_e32 v3, v3, v90
	v_add_f32_e32 v12, v2, v14
	v_mul_f32_e32 v2, v67, v27
	s_waitcnt vmcnt(5)
	v_mov_b32_e32 v16, v31
	s_waitcnt lgkmcnt(1)
	v_mul_f32_e32 v83, v68, v29
	v_fmac_f32_e32 v81, v67, v26
	v_add_f32_e32 v13, v3, v91
	v_fma_f32 v80, v66, v26, -v2
	v_mul_f32_e32 v2, v69, v29
	v_pk_mul_f32 v[16:17], v[70:71], v[16:17] op_sel:[1,0] op_sel_hi:[0,0]
	v_fmac_f32_e32 v83, v69, v28
	v_fma_f32 v82, v68, v28, -v2
	v_pk_add_f32 v[12:13], v[12:13], v[80:81]
	v_pk_fma_f32 v[18:19], v[70:71], v[30:31], v[16:17] neg_lo:[0,0,1] neg_hi:[0,0,1]
	v_pk_fma_f32 v[16:17], v[70:71], v[30:31], v[16:17] op_sel_hi:[1,0,1]
	v_pk_add_f32 v[12:13], v[12:13], v[82:83]
	v_mov_b32_e32 v19, v17
	s_waitcnt vmcnt(4) lgkmcnt(0)
	v_pk_mul_f32 v[16:17], v[72:73], v[32:33] op_sel:[1,1] op_sel_hi:[0,1]
	v_pk_add_f32 v[12:13], v[12:13], v[18:19]
	v_pk_fma_f32 v[18:19], v[72:73], v[32:33], v[16:17] neg_lo:[0,0,1] neg_hi:[0,0,1]
	v_pk_fma_f32 v[16:17], v[72:73], v[32:33], v[16:17] op_sel_hi:[1,0,1]
	ds_read2_b64 v[2:5], v6 offset0:99 offset1:100
	ds_read2_b64 v[8:11], v6 offset0:101 offset1:102
	ds_read_b64 v[14:15], v6 offset:824
	v_mov_b32_e32 v16, v35
	v_mov_b32_e32 v19, v17
	v_pk_mul_f32 v[16:17], v[74:75], v[16:17] op_sel:[1,0] op_sel_hi:[0,0]
	v_pk_add_f32 v[12:13], v[12:13], v[18:19]
	v_pk_fma_f32 v[18:19], v[74:75], v[34:35], v[16:17] neg_lo:[0,0,1] neg_hi:[0,0,1]
	v_pk_fma_f32 v[16:17], v[74:75], v[34:35], v[16:17] op_sel_hi:[1,0,1]
	s_nop 0
	v_mov_b32_e32 v19, v17
	s_waitcnt vmcnt(3) lgkmcnt(2)
	v_pk_mul_f32 v[16:17], v[2:3], v[36:37] op_sel:[1,1] op_sel_hi:[0,1]
	v_pk_add_f32 v[12:13], v[12:13], v[18:19]
	v_pk_fma_f32 v[18:19], v[2:3], v[36:37], v[16:17] neg_lo:[0,0,1] neg_hi:[0,0,1]
	v_pk_fma_f32 v[2:3], v[2:3], v[36:37], v[16:17] op_sel_hi:[1,0,1]
	s_nop 0
	v_mov_b32_e32 v19, v3
	v_pk_add_f32 v[2:3], v[12:13], v[18:19]
	v_mov_b32_e32 v12, v39
	v_pk_mul_f32 v[12:13], v[4:5], v[12:13] op_sel:[1,0] op_sel_hi:[0,0]
	v_pk_fma_f32 v[16:17], v[4:5], v[38:39], v[12:13] neg_lo:[0,0,1] neg_hi:[0,0,1]
	v_pk_fma_f32 v[4:5], v[4:5], v[38:39], v[12:13] op_sel_hi:[1,0,1]
	s_nop 0
	v_mov_b32_e32 v17, v5
	s_waitcnt vmcnt(2) lgkmcnt(1)
	v_pk_mul_f32 v[4:5], v[8:9], v[40:41] op_sel:[1,1] op_sel_hi:[0,1]
	v_pk_fma_f32 v[12:13], v[8:9], v[40:41], v[4:5] neg_lo:[0,0,1] neg_hi:[0,0,1]
	v_pk_fma_f32 v[4:5], v[8:9], v[40:41], v[4:5] op_sel_hi:[1,0,1]
	v_pk_add_f32 v[2:3], v[2:3], v[16:17]
	v_mov_b32_e32 v4, v43
	v_mov_b32_e32 v13, v5
	v_pk_mul_f32 v[4:5], v[10:11], v[4:5] op_sel:[1,0] op_sel_hi:[0,0]
	v_pk_fma_f32 v[8:9], v[10:11], v[42:43], v[4:5] neg_lo:[0,0,1] neg_hi:[0,0,1]
	v_pk_fma_f32 v[4:5], v[10:11], v[42:43], v[4:5] op_sel_hi:[1,0,1]
	v_pk_add_f32 v[2:3], v[2:3], v[12:13]
	v_mov_b32_e32 v9, v5
	s_waitcnt vmcnt(1) lgkmcnt(0)
	v_pk_mul_f32 v[4:5], v[14:15], v[76:77] op_sel:[1,1] op_sel_hi:[0,1]
	v_pk_add_f32 v[2:3], v[2:3], v[8:9]
	v_pk_fma_f32 v[8:9], v[14:15], v[76:77], v[4:5] neg_lo:[0,0,1] neg_hi:[0,0,1]
	v_pk_fma_f32 v[4:5], v[14:15], v[76:77], v[4:5] op_sel_hi:[1,0,1]
	s_nop 0
	v_mov_b32_e32 v9, v5
	v_pk_add_f32 v[2:3], v[2:3], v[8:9]
	s_waitcnt vmcnt(0)
	v_pk_add_f32 v[2:3], v[78:79], v[2:3] neg_lo:[0,1] neg_hi:[0,1]
	scratch_store_dwordx2 off, v[2:3], off offset:240
	s_and_saveexec_b64 s[0:1], vcc
	s_cbranch_execz .LBB51_267
; %bb.266:
	scratch_load_dwordx2 v[2:3], off, off offset:232
	v_mov_b32_e32 v7, v6
	scratch_store_dwordx2 off, v[6:7], off offset:232
	s_waitcnt vmcnt(1)
	ds_write_b64 v1, v[2:3]
.LBB51_267:
	s_or_b64 exec, exec, s[0:1]
	s_waitcnt lgkmcnt(0)
	; wave barrier
	scratch_load_dwordx4 v[8:11], off, off offset:240
	scratch_load_dwordx4 v[12:15], off, off offset:256
	;; [unrolled: 1-line block ×7, first 2 shown]
	ds_read_b128 v[36:39], v6 offset:656
	ds_read_b128 v[40:43], v6 offset:672
	;; [unrolled: 1-line block ×6, first 2 shown]
	scratch_load_dwordx4 v[60:63], off, off offset:352
	scratch_load_dwordx4 v[64:67], off, off offset:368
	scratch_load_dwordx4 v[68:71], off, off offset:384
	scratch_load_dwordx4 v[2:5], off, off offset:400
	ds_read_b128 v[72:75], v6 offset:752
	ds_read_b128 v[76:79], v6 offset:768
	scratch_load_dwordx2 v[80:81], off, off offset:232
	v_cmp_lt_u32_e32 vcc, 28, v0
	s_waitcnt vmcnt(11) lgkmcnt(7)
	v_mul_f32_e32 v7, v36, v9
	v_mul_f32_e32 v82, v38, v11
	;; [unrolled: 1-line block ×3, first 2 shown]
	v_fmac_f32_e32 v7, v37, v8
	s_waitcnt vmcnt(10) lgkmcnt(6)
	v_mul_f32_e32 v84, v40, v13
	v_mul_f32_e32 v11, v39, v11
	v_fmac_f32_e32 v82, v39, v10
	v_fma_f32 v8, v36, v8, -v9
	v_add_f32_e32 v7, 0, v7
	v_mul_f32_e32 v86, v42, v15
	v_mul_f32_e32 v13, v41, v13
	v_fmac_f32_e32 v84, v41, v12
	v_fma_f32 v9, v38, v10, -v11
	v_add_f32_e32 v8, 0, v8
	v_add_f32_e32 v7, v7, v82
	s_waitcnt vmcnt(9) lgkmcnt(5)
	v_mul_f32_e32 v87, v44, v17
	v_mul_f32_e32 v15, v43, v15
	v_fmac_f32_e32 v86, v43, v14
	v_fma_f32 v10, v40, v12, -v13
	v_add_f32_e32 v8, v8, v9
	v_add_f32_e32 v7, v7, v84
	v_mul_f32_e32 v88, v46, v19
	v_mul_f32_e32 v17, v45, v17
	v_fmac_f32_e32 v87, v45, v16
	v_fma_f32 v11, v42, v14, -v15
	v_add_f32_e32 v8, v8, v10
	v_add_f32_e32 v7, v7, v86
	s_waitcnt vmcnt(8) lgkmcnt(4)
	v_mul_f32_e32 v89, v48, v21
	v_mul_f32_e32 v19, v47, v19
	v_fmac_f32_e32 v88, v47, v18
	v_fma_f32 v12, v44, v16, -v17
	v_add_f32_e32 v8, v8, v11
	;; [unrolled: 13-line block ×4, first 2 shown]
	v_add_f32_e32 v7, v7, v91
	v_mul_f32_e32 v94, v58, v31
	v_mul_f32_e32 v29, v57, v29
	v_fmac_f32_e32 v93, v57, v28
	v_fma_f32 v17, v54, v26, -v27
	v_add_f32_e32 v8, v8, v16
	v_add_f32_e32 v7, v7, v92
	v_fmac_f32_e32 v94, v59, v30
	v_fma_f32 v18, v56, v28, -v29
	v_add_f32_e32 v8, v8, v17
	v_add_f32_e32 v7, v7, v93
	;; [unrolled: 1-line block ×4, first 2 shown]
	v_mul_f32_e32 v8, v59, v31
	v_fma_f32 v8, v58, v30, -v8
	s_waitcnt vmcnt(5) lgkmcnt(1)
	v_mul_f32_e32 v83, v72, v33
	v_add_f32_e32 v20, v7, v8
	v_mul_f32_e32 v7, v73, v33
	v_fmac_f32_e32 v83, v73, v32
	v_fma_f32 v82, v72, v32, -v7
	v_mul_f32_e32 v7, v75, v35
	v_fma_f32 v84, v74, v34, -v7
	ds_read_b128 v[8:11], v6 offset:784
	ds_read_b128 v[12:15], v6 offset:800
	;; [unrolled: 1-line block ×3, first 2 shown]
	v_pk_add_f32 v[6:7], v[20:21], v[82:83]
	s_waitcnt vmcnt(4) lgkmcnt(3)
	v_pk_mul_f32 v[20:21], v[76:77], v[60:61] op_sel:[1,1] op_sel_hi:[0,1]
	v_mul_f32_e32 v85, v74, v35
	v_pk_fma_f32 v[22:23], v[76:77], v[60:61], v[20:21] neg_lo:[0,0,1] neg_hi:[0,0,1]
	v_pk_fma_f32 v[20:21], v[76:77], v[60:61], v[20:21] op_sel_hi:[1,0,1]
	v_fmac_f32_e32 v85, v75, v34
	v_mov_b32_e32 v20, v63
	v_pk_add_f32 v[6:7], v[6:7], v[84:85]
	v_mov_b32_e32 v23, v21
	v_pk_mul_f32 v[20:21], v[78:79], v[20:21] op_sel:[1,0] op_sel_hi:[0,0]
	v_pk_add_f32 v[6:7], v[6:7], v[22:23]
	v_pk_fma_f32 v[22:23], v[78:79], v[62:63], v[20:21] neg_lo:[0,0,1] neg_hi:[0,0,1]
	v_pk_fma_f32 v[20:21], v[78:79], v[62:63], v[20:21] op_sel_hi:[1,0,1]
	s_nop 0
	v_mov_b32_e32 v23, v21
	s_waitcnt vmcnt(3) lgkmcnt(2)
	v_pk_mul_f32 v[20:21], v[8:9], v[64:65] op_sel:[1,1] op_sel_hi:[0,1]
	v_pk_add_f32 v[6:7], v[6:7], v[22:23]
	v_pk_fma_f32 v[22:23], v[8:9], v[64:65], v[20:21] neg_lo:[0,0,1] neg_hi:[0,0,1]
	v_pk_fma_f32 v[8:9], v[8:9], v[64:65], v[20:21] op_sel_hi:[1,0,1]
	s_nop 0
	v_mov_b32_e32 v8, v67
	v_mov_b32_e32 v23, v9
	v_pk_mul_f32 v[8:9], v[10:11], v[8:9] op_sel:[1,0] op_sel_hi:[0,0]
	v_pk_fma_f32 v[20:21], v[10:11], v[66:67], v[8:9] neg_lo:[0,0,1] neg_hi:[0,0,1]
	v_pk_fma_f32 v[8:9], v[10:11], v[66:67], v[8:9] op_sel_hi:[1,0,1]
	v_pk_add_f32 v[6:7], v[6:7], v[22:23]
	v_mov_b32_e32 v21, v9
	s_waitcnt vmcnt(2) lgkmcnt(1)
	v_pk_mul_f32 v[8:9], v[12:13], v[68:69] op_sel:[1,1] op_sel_hi:[0,1]
	v_pk_fma_f32 v[10:11], v[12:13], v[68:69], v[8:9] neg_lo:[0,0,1] neg_hi:[0,0,1]
	v_pk_fma_f32 v[8:9], v[12:13], v[68:69], v[8:9] op_sel_hi:[1,0,1]
	v_pk_add_f32 v[6:7], v[6:7], v[20:21]
	v_mov_b32_e32 v8, v71
	v_mov_b32_e32 v11, v9
	v_pk_mul_f32 v[8:9], v[14:15], v[8:9] op_sel:[1,0] op_sel_hi:[0,0]
	v_pk_add_f32 v[6:7], v[6:7], v[10:11]
	v_pk_fma_f32 v[10:11], v[14:15], v[70:71], v[8:9] neg_lo:[0,0,1] neg_hi:[0,0,1]
	v_pk_fma_f32 v[8:9], v[14:15], v[70:71], v[8:9] op_sel_hi:[1,0,1]
	s_nop 0
	v_mov_b32_e32 v11, v9
	s_waitcnt vmcnt(1) lgkmcnt(0)
	v_pk_mul_f32 v[8:9], v[16:17], v[2:3] op_sel:[1,1] op_sel_hi:[0,1]
	v_pk_add_f32 v[6:7], v[6:7], v[10:11]
	v_pk_fma_f32 v[10:11], v[16:17], v[2:3], v[8:9] neg_lo:[0,0,1] neg_hi:[0,0,1]
	v_pk_fma_f32 v[2:3], v[16:17], v[2:3], v[8:9] op_sel_hi:[1,0,1]
	s_nop 0
	v_mov_b32_e32 v11, v3
	v_pk_add_f32 v[2:3], v[6:7], v[10:11]
	v_mov_b32_e32 v6, v5
	v_pk_mul_f32 v[6:7], v[18:19], v[6:7] op_sel:[1,0] op_sel_hi:[0,0]
	v_pk_fma_f32 v[8:9], v[18:19], v[4:5], v[6:7] neg_lo:[0,0,1] neg_hi:[0,0,1]
	v_pk_fma_f32 v[4:5], v[18:19], v[4:5], v[6:7] op_sel_hi:[1,0,1]
	s_nop 0
	v_mov_b32_e32 v9, v5
	v_pk_add_f32 v[2:3], v[2:3], v[8:9]
	s_waitcnt vmcnt(0)
	v_pk_add_f32 v[2:3], v[80:81], v[2:3] neg_lo:[0,1] neg_hi:[0,1]
	scratch_store_dwordx2 off, v[2:3], off offset:232
	s_and_saveexec_b64 s[0:1], vcc
	s_cbranch_execz .LBB51_269
; %bb.268:
	scratch_load_dwordx2 v[2:3], off, off offset:224
	v_mov_b32_e32 v4, 0
	v_mov_b32_e32 v5, v4
	scratch_store_dwordx2 off, v[4:5], off offset:224
	s_waitcnt vmcnt(1)
	ds_write_b64 v1, v[2:3]
.LBB51_269:
	s_or_b64 exec, exec, s[0:1]
	s_waitcnt lgkmcnt(0)
	; wave barrier
	scratch_load_dwordx4 v[2:5], off, off offset:232
	scratch_load_dwordx4 v[14:17], off, off offset:248
	;; [unrolled: 1-line block ×11, first 2 shown]
	scratch_load_dwordx2 v[22:23], off, off offset:408
	scratch_load_dwordx2 v[36:37], off, off offset:224
	v_mov_b32_e32 v38, 0
	ds_read2_b64 v[52:55], v38 offset0:81 offset1:82
	ds_read2_b64 v[56:59], v38 offset0:83 offset1:84
	;; [unrolled: 1-line block ×8, first 2 shown]
	v_cmp_lt_u32_e32 vcc, 27, v0
	s_waitcnt vmcnt(12) lgkmcnt(7)
	v_mul_f32_e32 v39, v52, v3
	v_mul_f32_e32 v84, v54, v5
	;; [unrolled: 1-line block ×3, first 2 shown]
	v_fmac_f32_e32 v39, v53, v2
	s_waitcnt vmcnt(8) lgkmcnt(3)
	v_mul_f32_e32 v93, v68, v19
	v_mul_f32_e32 v19, v69, v19
	;; [unrolled: 1-line block ×4, first 2 shown]
	v_fmac_f32_e32 v84, v55, v4
	v_fmac_f32_e32 v93, v69, v18
	v_fma_f32 v2, v52, v2, -v3
	v_fma_f32 v18, v68, v18, -v19
	v_add_f32_e32 v19, 0, v39
	v_mul_f32_e32 v88, v58, v17
	v_fmac_f32_e32 v86, v57, v14
	v_fma_f32 v3, v54, v4, -v5
	v_add_f32_e32 v2, 0, v2
	v_add_f32_e32 v19, v19, v84
	v_mul_f32_e32 v89, v60, v25
	v_fmac_f32_e32 v88, v59, v16
	v_add_f32_e32 v2, v2, v3
	v_add_f32_e32 v3, v19, v86
	v_mul_f32_e32 v90, v62, v27
	v_fmac_f32_e32 v89, v61, v24
	v_add_f32_e32 v3, v3, v88
	v_mul_f32_e32 v91, v64, v29
	v_mul_f32_e32 v15, v57, v15
	v_fmac_f32_e32 v90, v63, v26
	v_add_f32_e32 v3, v3, v89
	v_mul_f32_e32 v92, v66, v31
	v_mul_f32_e32 v17, v59, v17
	v_fmac_f32_e32 v91, v65, v28
	v_fma_f32 v4, v56, v14, -v15
	v_add_f32_e32 v3, v3, v90
	v_mul_f32_e32 v25, v61, v25
	v_fmac_f32_e32 v92, v67, v30
	v_fma_f32 v5, v58, v16, -v17
	v_add_f32_e32 v2, v2, v4
	v_add_f32_e32 v3, v3, v91
	v_mul_f32_e32 v94, v70, v21
	v_mul_f32_e32 v27, v63, v27
	v_fma_f32 v14, v60, v24, -v25
	v_add_f32_e32 v2, v2, v5
	v_add_f32_e32 v3, v3, v92
	s_waitcnt vmcnt(7) lgkmcnt(2)
	v_mul_f32_e32 v95, v72, v33
	v_mul_f32_e32 v29, v65, v29
	v_fmac_f32_e32 v94, v71, v20
	v_fma_f32 v15, v62, v26, -v27
	v_add_f32_e32 v2, v2, v14
	v_add_f32_e32 v3, v3, v93
	v_mul_f32_e32 v96, v74, v35
	v_mul_f32_e32 v31, v67, v31
	v_fmac_f32_e32 v95, v73, v32
	v_fma_f32 v16, v64, v28, -v29
	v_add_f32_e32 v2, v2, v15
	v_add_f32_e32 v3, v3, v94
	s_waitcnt vmcnt(6) lgkmcnt(1)
	v_mul_f32_e32 v97, v76, v41
	v_fmac_f32_e32 v96, v75, v34
	v_fma_f32 v17, v66, v30, -v31
	v_add_f32_e32 v2, v2, v16
	v_add_f32_e32 v3, v3, v95
	v_mul_f32_e32 v21, v71, v21
	v_fmac_f32_e32 v97, v77, v40
	v_add_f32_e32 v2, v2, v17
	v_add_f32_e32 v3, v3, v96
	;; [unrolled: 1-line block ×4, first 2 shown]
	v_fma_f32 v3, v70, v20, -v21
	v_add_f32_e32 v2, v2, v3
	v_mul_f32_e32 v3, v73, v33
	v_fma_f32 v3, v72, v32, -v3
	v_add_f32_e32 v2, v2, v3
	v_mul_f32_e32 v3, v75, v35
	;; [unrolled: 3-line block ×4, first 2 shown]
	v_mul_f32_e32 v85, v78, v43
	v_fma_f32 v84, v78, v42, -v2
	s_waitcnt vmcnt(5) lgkmcnt(0)
	v_mul_f32_e32 v2, v81, v45
	v_mov_b32_e32 v28, v47
	v_mul_f32_e32 v87, v80, v45
	v_fmac_f32_e32 v85, v79, v42
	v_fma_f32 v86, v80, v44, -v2
	ds_read2_b64 v[2:5], v38 offset0:97 offset1:98
	ds_read2_b64 v[14:17], v38 offset0:99 offset1:100
	;; [unrolled: 1-line block ×3, first 2 shown]
	ds_read_b64 v[26:27], v38 offset:824
	v_pk_mul_f32 v[28:29], v[82:83], v[28:29] op_sel:[1,0] op_sel_hi:[0,0]
	v_fmac_f32_e32 v87, v81, v44
	v_pk_add_f32 v[24:25], v[24:25], v[84:85]
	v_pk_fma_f32 v[30:31], v[82:83], v[46:47], v[28:29] neg_lo:[0,0,1] neg_hi:[0,0,1]
	v_pk_fma_f32 v[28:29], v[82:83], v[46:47], v[28:29] op_sel_hi:[1,0,1]
	v_pk_add_f32 v[24:25], v[24:25], v[86:87]
	v_mov_b32_e32 v31, v29
	s_waitcnt vmcnt(4) lgkmcnt(3)
	v_pk_mul_f32 v[28:29], v[2:3], v[48:49] op_sel:[1,1] op_sel_hi:[0,1]
	v_pk_add_f32 v[24:25], v[24:25], v[30:31]
	v_pk_fma_f32 v[30:31], v[2:3], v[48:49], v[28:29] neg_lo:[0,0,1] neg_hi:[0,0,1]
	v_pk_fma_f32 v[2:3], v[2:3], v[48:49], v[28:29] op_sel_hi:[1,0,1]
	s_nop 0
	v_mov_b32_e32 v31, v3
	v_pk_add_f32 v[2:3], v[24:25], v[30:31]
	v_mov_b32_e32 v24, v51
	v_pk_mul_f32 v[24:25], v[4:5], v[24:25] op_sel:[1,0] op_sel_hi:[0,0]
	v_pk_fma_f32 v[28:29], v[4:5], v[50:51], v[24:25] neg_lo:[0,0,1] neg_hi:[0,0,1]
	v_pk_fma_f32 v[4:5], v[4:5], v[50:51], v[24:25] op_sel_hi:[1,0,1]
	s_nop 0
	v_mov_b32_e32 v29, v5
	s_waitcnt vmcnt(3) lgkmcnt(2)
	v_pk_mul_f32 v[4:5], v[14:15], v[10:11] op_sel:[1,1] op_sel_hi:[0,1]
	v_pk_fma_f32 v[24:25], v[14:15], v[10:11], v[4:5] neg_lo:[0,0,1] neg_hi:[0,0,1]
	v_pk_fma_f32 v[4:5], v[14:15], v[10:11], v[4:5] op_sel_hi:[1,0,1]
	v_pk_add_f32 v[2:3], v[2:3], v[28:29]
	v_mov_b32_e32 v4, v13
	v_mov_b32_e32 v25, v5
	v_pk_mul_f32 v[4:5], v[16:17], v[4:5] op_sel:[1,0] op_sel_hi:[0,0]
	v_pk_fma_f32 v[10:11], v[16:17], v[12:13], v[4:5] neg_lo:[0,0,1] neg_hi:[0,0,1]
	v_pk_fma_f32 v[4:5], v[16:17], v[12:13], v[4:5] op_sel_hi:[1,0,1]
	v_pk_add_f32 v[2:3], v[2:3], v[24:25]
	v_mov_b32_e32 v11, v5
	s_waitcnt vmcnt(2) lgkmcnt(1)
	v_pk_mul_f32 v[4:5], v[18:19], v[6:7] op_sel:[1,1] op_sel_hi:[0,1]
	v_pk_add_f32 v[2:3], v[2:3], v[10:11]
	v_pk_fma_f32 v[10:11], v[18:19], v[6:7], v[4:5] neg_lo:[0,0,1] neg_hi:[0,0,1]
	v_pk_fma_f32 v[4:5], v[18:19], v[6:7], v[4:5] op_sel_hi:[1,0,1]
	s_nop 0
	v_mov_b32_e32 v4, v9
	v_mov_b32_e32 v11, v5
	v_pk_mul_f32 v[4:5], v[20:21], v[4:5] op_sel:[1,0] op_sel_hi:[0,0]
	v_pk_fma_f32 v[6:7], v[20:21], v[8:9], v[4:5] neg_lo:[0,0,1] neg_hi:[0,0,1]
	v_pk_fma_f32 v[4:5], v[20:21], v[8:9], v[4:5] op_sel_hi:[1,0,1]
	v_pk_add_f32 v[2:3], v[2:3], v[10:11]
	v_mov_b32_e32 v7, v5
	s_waitcnt vmcnt(1) lgkmcnt(0)
	v_pk_mul_f32 v[4:5], v[26:27], v[22:23] op_sel:[1,1] op_sel_hi:[0,1]
	v_pk_add_f32 v[2:3], v[2:3], v[6:7]
	v_pk_fma_f32 v[6:7], v[26:27], v[22:23], v[4:5] neg_lo:[0,0,1] neg_hi:[0,0,1]
	v_pk_fma_f32 v[4:5], v[26:27], v[22:23], v[4:5] op_sel_hi:[1,0,1]
	s_nop 0
	v_mov_b32_e32 v7, v5
	v_pk_add_f32 v[2:3], v[2:3], v[6:7]
	s_waitcnt vmcnt(0)
	v_pk_add_f32 v[2:3], v[36:37], v[2:3] neg_lo:[0,1] neg_hi:[0,1]
	scratch_store_dwordx2 off, v[2:3], off offset:224
	s_and_saveexec_b64 s[0:1], vcc
	s_cbranch_execz .LBB51_271
; %bb.270:
	scratch_load_dwordx2 v[2:3], off, off offset:216
	v_mov_b32_e32 v39, v38
	scratch_store_dwordx2 off, v[38:39], off offset:216
	s_waitcnt vmcnt(1)
	ds_write_b64 v1, v[2:3]
.LBB51_271:
	s_or_b64 exec, exec, s[0:1]
	s_waitcnt lgkmcnt(0)
	; wave barrier
	scratch_load_dwordx4 v[6:9], off, off offset:224
	scratch_load_dwordx4 v[18:21], off, off offset:240
	;; [unrolled: 1-line block ×8, first 2 shown]
	ds_read_b128 v[48:51], v38 offset:640
	ds_read_b128 v[52:55], v38 offset:656
	ds_read_b128 v[56:59], v38 offset:672
	ds_read_b128 v[60:63], v38 offset:688
	ds_read_b128 v[64:67], v38 offset:704
	ds_read_b128 v[68:71], v38 offset:720
	ds_read_b128 v[72:75], v38 offset:736
	ds_read_b128 v[76:79], v38 offset:752
	scratch_load_dwordx4 v[80:83], off, off offset:352
	scratch_load_dwordx4 v[26:29], off, off offset:368
	;; [unrolled: 1-line block ×4, first 2 shown]
	scratch_load_dwordx2 v[84:85], off, off offset:216
	v_cmp_lt_u32_e32 vcc, 26, v0
	s_waitcnt vmcnt(12) lgkmcnt(7)
	v_mul_f32_e32 v39, v48, v7
	v_mul_f32_e32 v86, v50, v9
	;; [unrolled: 1-line block ×3, first 2 shown]
	v_fmac_f32_e32 v39, v49, v6
	s_waitcnt vmcnt(8) lgkmcnt(3)
	v_mul_f32_e32 v95, v64, v15
	v_mul_f32_e32 v15, v65, v15
	;; [unrolled: 1-line block ×4, first 2 shown]
	v_fmac_f32_e32 v86, v51, v8
	v_fmac_f32_e32 v95, v65, v14
	v_fma_f32 v6, v48, v6, -v7
	v_fma_f32 v14, v64, v14, -v15
	v_add_f32_e32 v15, 0, v39
	v_mul_f32_e32 v90, v54, v21
	v_fmac_f32_e32 v88, v53, v18
	v_fma_f32 v7, v50, v8, -v9
	v_add_f32_e32 v6, 0, v6
	v_add_f32_e32 v15, v15, v86
	v_mul_f32_e32 v91, v56, v35
	v_fmac_f32_e32 v90, v55, v20
	v_add_f32_e32 v6, v6, v7
	v_add_f32_e32 v7, v15, v88
	v_mul_f32_e32 v92, v58, v37
	v_fmac_f32_e32 v91, v57, v34
	v_add_f32_e32 v7, v7, v90
	v_mul_f32_e32 v93, v60, v41
	v_fmac_f32_e32 v92, v59, v36
	;; [unrolled: 3-line block ×4, first 2 shown]
	v_add_f32_e32 v7, v7, v93
	v_mul_f32_e32 v96, v66, v17
	v_mul_f32_e32 v21, v55, v21
	v_fma_f32 v8, v52, v18, -v19
	v_add_f32_e32 v7, v7, v94
	s_waitcnt vmcnt(7) lgkmcnt(2)
	v_mul_f32_e32 v97, v68, v23
	v_mul_f32_e32 v35, v57, v35
	v_fmac_f32_e32 v96, v67, v16
	v_fma_f32 v9, v54, v20, -v21
	v_add_f32_e32 v6, v6, v8
	v_add_f32_e32 v7, v7, v95
	v_mul_f32_e32 v98, v70, v25
	v_mul_f32_e32 v37, v59, v37
	v_fmac_f32_e32 v97, v69, v22
	v_fma_f32 v18, v56, v34, -v35
	v_add_f32_e32 v6, v6, v9
	v_add_f32_e32 v7, v7, v96
	s_waitcnt vmcnt(6) lgkmcnt(1)
	v_mul_f32_e32 v99, v72, v31
	v_mul_f32_e32 v41, v61, v41
	v_fmac_f32_e32 v98, v71, v24
	v_fma_f32 v19, v58, v36, -v37
	v_add_f32_e32 v6, v6, v18
	v_add_f32_e32 v7, v7, v97
	v_mul_f32_e32 v100, v74, v33
	v_mul_f32_e32 v43, v63, v43
	v_fmac_f32_e32 v99, v73, v30
	v_fma_f32 v20, v60, v40, -v41
	v_add_f32_e32 v6, v6, v19
	v_add_f32_e32 v7, v7, v98
	v_fmac_f32_e32 v100, v75, v32
	v_fma_f32 v21, v62, v42, -v43
	v_add_f32_e32 v6, v6, v20
	v_add_f32_e32 v7, v7, v99
	;; [unrolled: 1-line block ×4, first 2 shown]
	v_mul_f32_e32 v7, v67, v17
	v_add_f32_e32 v6, v6, v14
	v_fma_f32 v7, v66, v16, -v7
	v_add_f32_e32 v6, v6, v7
	v_mul_f32_e32 v7, v69, v23
	v_fma_f32 v7, v68, v22, -v7
	v_add_f32_e32 v6, v6, v7
	v_mul_f32_e32 v7, v71, v25
	v_fma_f32 v7, v70, v24, -v7
	v_add_f32_e32 v6, v6, v7
	v_mul_f32_e32 v7, v73, v31
	v_fma_f32 v7, v72, v30, -v7
	v_add_f32_e32 v6, v6, v7
	v_mul_f32_e32 v7, v75, v33
	v_fma_f32 v7, v74, v32, -v7
	v_add_f32_e32 v34, v6, v7
	s_waitcnt vmcnt(5) lgkmcnt(0)
	v_mul_f32_e32 v6, v77, v45
	v_fma_f32 v86, v76, v44, -v6
	v_mul_f32_e32 v6, v79, v47
	v_fma_f32 v88, v78, v46, -v6
	ds_read_b128 v[6:9], v38 offset:768
	ds_read_b128 v[14:17], v38 offset:784
	;; [unrolled: 1-line block ×4, first 2 shown]
	v_mul_f32_e32 v87, v76, v45
	v_mul_f32_e32 v89, v78, v47
	v_fmac_f32_e32 v87, v77, v44
	s_waitcnt vmcnt(4) lgkmcnt(3)
	v_pk_mul_f32 v[32:33], v[6:7], v[80:81] op_sel:[1,1] op_sel_hi:[0,1]
	v_fmac_f32_e32 v89, v79, v46
	v_pk_add_f32 v[30:31], v[34:35], v[86:87]
	v_pk_fma_f32 v[34:35], v[6:7], v[80:81], v[32:33] neg_lo:[0,0,1] neg_hi:[0,0,1]
	v_pk_fma_f32 v[6:7], v[6:7], v[80:81], v[32:33] op_sel_hi:[1,0,1]
	v_pk_add_f32 v[30:31], v[30:31], v[88:89]
	v_mov_b32_e32 v35, v7
	v_pk_add_f32 v[6:7], v[30:31], v[34:35]
	v_mov_b32_e32 v30, v83
	v_pk_mul_f32 v[30:31], v[8:9], v[30:31] op_sel:[1,0] op_sel_hi:[0,0]
	v_pk_fma_f32 v[32:33], v[8:9], v[82:83], v[30:31] neg_lo:[0,0,1] neg_hi:[0,0,1]
	v_pk_fma_f32 v[8:9], v[8:9], v[82:83], v[30:31] op_sel_hi:[1,0,1]
	s_nop 0
	v_mov_b32_e32 v33, v9
	s_waitcnt vmcnt(3) lgkmcnt(2)
	v_pk_mul_f32 v[8:9], v[14:15], v[26:27] op_sel:[1,1] op_sel_hi:[0,1]
	v_pk_fma_f32 v[30:31], v[14:15], v[26:27], v[8:9] neg_lo:[0,0,1] neg_hi:[0,0,1]
	v_pk_fma_f32 v[8:9], v[14:15], v[26:27], v[8:9] op_sel_hi:[1,0,1]
	v_pk_add_f32 v[6:7], v[6:7], v[32:33]
	v_mov_b32_e32 v8, v29
	v_mov_b32_e32 v31, v9
	v_pk_mul_f32 v[8:9], v[16:17], v[8:9] op_sel:[1,0] op_sel_hi:[0,0]
	v_pk_fma_f32 v[14:15], v[16:17], v[28:29], v[8:9] neg_lo:[0,0,1] neg_hi:[0,0,1]
	v_pk_fma_f32 v[8:9], v[16:17], v[28:29], v[8:9] op_sel_hi:[1,0,1]
	v_pk_add_f32 v[6:7], v[6:7], v[30:31]
	v_mov_b32_e32 v15, v9
	s_waitcnt vmcnt(2) lgkmcnt(1)
	v_pk_mul_f32 v[8:9], v[18:19], v[10:11] op_sel:[1,1] op_sel_hi:[0,1]
	v_pk_add_f32 v[6:7], v[6:7], v[14:15]
	v_pk_fma_f32 v[14:15], v[18:19], v[10:11], v[8:9] neg_lo:[0,0,1] neg_hi:[0,0,1]
	v_pk_fma_f32 v[8:9], v[18:19], v[10:11], v[8:9] op_sel_hi:[1,0,1]
	s_nop 0
	v_mov_b32_e32 v8, v13
	v_mov_b32_e32 v15, v9
	v_pk_mul_f32 v[8:9], v[20:21], v[8:9] op_sel:[1,0] op_sel_hi:[0,0]
	v_pk_fma_f32 v[10:11], v[20:21], v[12:13], v[8:9] neg_lo:[0,0,1] neg_hi:[0,0,1]
	v_pk_fma_f32 v[8:9], v[20:21], v[12:13], v[8:9] op_sel_hi:[1,0,1]
	v_pk_add_f32 v[6:7], v[6:7], v[14:15]
	v_mov_b32_e32 v11, v9
	s_waitcnt vmcnt(1) lgkmcnt(0)
	v_pk_mul_f32 v[8:9], v[22:23], v[2:3] op_sel:[1,1] op_sel_hi:[0,1]
	v_pk_add_f32 v[6:7], v[6:7], v[10:11]
	v_pk_fma_f32 v[10:11], v[22:23], v[2:3], v[8:9] neg_lo:[0,0,1] neg_hi:[0,0,1]
	v_pk_fma_f32 v[2:3], v[22:23], v[2:3], v[8:9] op_sel_hi:[1,0,1]
	s_nop 0
	v_mov_b32_e32 v11, v3
	v_pk_add_f32 v[2:3], v[6:7], v[10:11]
	v_mov_b32_e32 v6, v5
	v_pk_mul_f32 v[6:7], v[24:25], v[6:7] op_sel:[1,0] op_sel_hi:[0,0]
	v_pk_fma_f32 v[8:9], v[24:25], v[4:5], v[6:7] neg_lo:[0,0,1] neg_hi:[0,0,1]
	v_pk_fma_f32 v[4:5], v[24:25], v[4:5], v[6:7] op_sel_hi:[1,0,1]
	s_nop 0
	v_mov_b32_e32 v9, v5
	v_pk_add_f32 v[2:3], v[2:3], v[8:9]
	s_waitcnt vmcnt(0)
	v_pk_add_f32 v[2:3], v[84:85], v[2:3] neg_lo:[0,1] neg_hi:[0,1]
	scratch_store_dwordx2 off, v[2:3], off offset:216
	s_and_saveexec_b64 s[0:1], vcc
	s_cbranch_execz .LBB51_273
; %bb.272:
	scratch_load_dwordx2 v[2:3], off, off offset:208
	v_mov_b32_e32 v4, 0
	v_mov_b32_e32 v5, v4
	scratch_store_dwordx2 off, v[4:5], off offset:208
	s_waitcnt vmcnt(1)
	ds_write_b64 v1, v[2:3]
.LBB51_273:
	s_or_b64 exec, exec, s[0:1]
	s_waitcnt lgkmcnt(0)
	; wave barrier
	scratch_load_dwordx4 v[2:5], off, off offset:216
	scratch_load_dwordx4 v[22:25], off, off offset:232
	;; [unrolled: 1-line block ×12, first 2 shown]
	scratch_load_dwordx2 v[50:51], off, off offset:408
	scratch_load_dwordx2 v[56:57], off, off offset:208
	v_mov_b32_e32 v58, 0
	ds_read2_b64 v[52:55], v58 offset0:79 offset1:80
	ds_read2_b64 v[60:63], v58 offset0:81 offset1:82
	ds_read2_b64 v[64:67], v58 offset0:83 offset1:84
	ds_read2_b64 v[68:71], v58 offset0:85 offset1:86
	ds_read2_b64 v[72:75], v58 offset0:87 offset1:88
	ds_read2_b64 v[76:79], v58 offset0:89 offset1:90
	ds_read2_b64 v[80:83], v58 offset0:91 offset1:92
	ds_read2_b64 v[84:87], v58 offset0:93 offset1:94
	ds_read2_b64 v[88:91], v58 offset0:95 offset1:96
	ds_read2_b64 v[92:95], v58 offset0:97 offset1:98
	v_cmp_lt_u32_e32 vcc, 25, v0
	s_waitcnt vmcnt(13) lgkmcnt(9)
	v_mul_f32_e32 v59, v52, v3
	v_mul_f32_e32 v96, v54, v5
	;; [unrolled: 1-line block ×3, first 2 shown]
	s_waitcnt vmcnt(10) lgkmcnt(6)
	v_mul_f32_e32 v103, v68, v11
	v_mul_f32_e32 v11, v69, v11
	v_fmac_f32_e32 v59, v53, v2
	v_mul_f32_e32 v98, v60, v23
	v_mul_f32_e32 v5, v55, v5
	v_fmac_f32_e32 v96, v55, v4
	v_fmac_f32_e32 v103, v69, v10
	v_fma_f32 v2, v52, v2, -v3
	v_fma_f32 v10, v68, v10, -v11
	v_add_f32_e32 v11, 0, v59
	v_mul_f32_e32 v100, v62, v25
	v_fmac_f32_e32 v98, v61, v22
	v_fma_f32 v3, v54, v4, -v5
	v_add_f32_e32 v2, 0, v2
	v_add_f32_e32 v11, v11, v96
	v_mul_f32_e32 v101, v64, v39
	v_fmac_f32_e32 v100, v63, v24
	v_add_f32_e32 v2, v2, v3
	v_add_f32_e32 v3, v11, v98
	v_mul_f32_e32 v102, v66, v41
	v_fmac_f32_e32 v101, v65, v38
	v_add_f32_e32 v3, v3, v100
	v_fmac_f32_e32 v102, v67, v40
	v_add_f32_e32 v3, v3, v101
	v_mul_f32_e32 v104, v70, v13
	v_add_f32_e32 v3, v3, v102
	s_waitcnt vmcnt(9) lgkmcnt(5)
	v_mul_f32_e32 v105, v72, v15
	v_fmac_f32_e32 v104, v71, v12
	v_add_f32_e32 v3, v3, v103
	v_mul_f32_e32 v106, v74, v17
	v_fmac_f32_e32 v105, v73, v14
	v_add_f32_e32 v3, v3, v104
	s_waitcnt vmcnt(8) lgkmcnt(4)
	v_mul_f32_e32 v107, v76, v27
	v_fmac_f32_e32 v106, v75, v16
	v_add_f32_e32 v3, v3, v105
	v_mul_f32_e32 v108, v78, v29
	v_mul_f32_e32 v23, v61, v23
	v_fmac_f32_e32 v107, v77, v26
	v_add_f32_e32 v3, v3, v106
	s_waitcnt vmcnt(7) lgkmcnt(3)
	v_mul_f32_e32 v109, v80, v31
	v_mul_f32_e32 v25, v63, v25
	v_fmac_f32_e32 v108, v79, v28
	v_fma_f32 v4, v60, v22, -v23
	v_add_f32_e32 v3, v3, v107
	v_mul_f32_e32 v110, v82, v33
	v_mul_f32_e32 v39, v65, v39
	v_fmac_f32_e32 v109, v81, v30
	v_fma_f32 v5, v62, v24, -v25
	v_add_f32_e32 v2, v2, v4
	v_add_f32_e32 v3, v3, v108
	s_waitcnt vmcnt(6) lgkmcnt(2)
	v_mul_f32_e32 v111, v84, v43
	v_mul_f32_e32 v41, v67, v41
	v_fmac_f32_e32 v110, v83, v32
	v_fma_f32 v22, v64, v38, -v39
	v_add_f32_e32 v2, v2, v5
	v_add_f32_e32 v3, v3, v109
	v_fmac_f32_e32 v111, v85, v42
	v_fma_f32 v23, v66, v40, -v41
	v_add_f32_e32 v2, v2, v22
	v_add_f32_e32 v3, v3, v110
	;; [unrolled: 1-line block ×4, first 2 shown]
	v_mul_f32_e32 v3, v71, v13
	v_add_f32_e32 v2, v2, v10
	v_fma_f32 v3, v70, v12, -v3
	v_add_f32_e32 v2, v2, v3
	v_mul_f32_e32 v3, v73, v15
	v_fma_f32 v3, v72, v14, -v3
	v_add_f32_e32 v2, v2, v3
	v_mul_f32_e32 v3, v75, v17
	;; [unrolled: 3-line block ×7, first 2 shown]
	v_fma_f32 v3, v84, v42, -v3
	v_mul_f32_e32 v97, v86, v45
	v_add_f32_e32 v22, v2, v3
	v_mul_f32_e32 v2, v87, v45
	v_fmac_f32_e32 v97, v87, v44
	v_fma_f32 v96, v86, v44, -v2
	v_pk_add_f32 v[16:17], v[22:23], v[96:97]
	s_waitcnt vmcnt(5)
	v_mov_b32_e32 v22, v49
	s_waitcnt lgkmcnt(1)
	v_mul_f32_e32 v99, v88, v47
	v_mul_f32_e32 v2, v89, v47
	v_pk_mul_f32 v[22:23], v[90:91], v[22:23] op_sel:[1,0] op_sel_hi:[0,0]
	v_fmac_f32_e32 v99, v89, v46
	v_fma_f32 v98, v88, v46, -v2
	v_pk_fma_f32 v[24:25], v[90:91], v[48:49], v[22:23] neg_lo:[0,0,1] neg_hi:[0,0,1]
	v_pk_fma_f32 v[22:23], v[90:91], v[48:49], v[22:23] op_sel_hi:[1,0,1]
	v_pk_add_f32 v[16:17], v[16:17], v[98:99]
	v_mov_b32_e32 v25, v23
	s_waitcnt vmcnt(4) lgkmcnt(0)
	v_pk_mul_f32 v[22:23], v[92:93], v[34:35] op_sel:[1,1] op_sel_hi:[0,1]
	v_pk_add_f32 v[16:17], v[16:17], v[24:25]
	v_pk_fma_f32 v[24:25], v[92:93], v[34:35], v[22:23] neg_lo:[0,0,1] neg_hi:[0,0,1]
	v_pk_fma_f32 v[22:23], v[92:93], v[34:35], v[22:23] op_sel_hi:[1,0,1]
	ds_read2_b64 v[2:5], v58 offset0:99 offset1:100
	ds_read2_b64 v[10:13], v58 offset0:101 offset1:102
	ds_read_b64 v[14:15], v58 offset:824
	v_mov_b32_e32 v22, v37
	v_mov_b32_e32 v25, v23
	v_pk_mul_f32 v[22:23], v[94:95], v[22:23] op_sel:[1,0] op_sel_hi:[0,0]
	v_pk_add_f32 v[16:17], v[16:17], v[24:25]
	v_pk_fma_f32 v[24:25], v[94:95], v[36:37], v[22:23] neg_lo:[0,0,1] neg_hi:[0,0,1]
	v_pk_fma_f32 v[22:23], v[94:95], v[36:37], v[22:23] op_sel_hi:[1,0,1]
	s_nop 0
	v_mov_b32_e32 v25, v23
	s_waitcnt vmcnt(3) lgkmcnt(2)
	v_pk_mul_f32 v[22:23], v[2:3], v[18:19] op_sel:[1,1] op_sel_hi:[0,1]
	v_pk_add_f32 v[16:17], v[16:17], v[24:25]
	v_pk_fma_f32 v[24:25], v[2:3], v[18:19], v[22:23] neg_lo:[0,0,1] neg_hi:[0,0,1]
	v_pk_fma_f32 v[2:3], v[2:3], v[18:19], v[22:23] op_sel_hi:[1,0,1]
	s_nop 0
	v_mov_b32_e32 v25, v3
	v_pk_add_f32 v[2:3], v[16:17], v[24:25]
	v_mov_b32_e32 v16, v21
	v_pk_mul_f32 v[16:17], v[4:5], v[16:17] op_sel:[1,0] op_sel_hi:[0,0]
	v_pk_fma_f32 v[18:19], v[4:5], v[20:21], v[16:17] neg_lo:[0,0,1] neg_hi:[0,0,1]
	v_pk_fma_f32 v[4:5], v[4:5], v[20:21], v[16:17] op_sel_hi:[1,0,1]
	s_nop 0
	v_mov_b32_e32 v19, v5
	s_waitcnt vmcnt(2) lgkmcnt(1)
	v_pk_mul_f32 v[4:5], v[10:11], v[6:7] op_sel:[1,1] op_sel_hi:[0,1]
	v_pk_fma_f32 v[16:17], v[10:11], v[6:7], v[4:5] neg_lo:[0,0,1] neg_hi:[0,0,1]
	v_pk_fma_f32 v[4:5], v[10:11], v[6:7], v[4:5] op_sel_hi:[1,0,1]
	v_pk_add_f32 v[2:3], v[2:3], v[18:19]
	v_mov_b32_e32 v4, v9
	v_mov_b32_e32 v17, v5
	v_pk_mul_f32 v[4:5], v[12:13], v[4:5] op_sel:[1,0] op_sel_hi:[0,0]
	v_pk_fma_f32 v[6:7], v[12:13], v[8:9], v[4:5] neg_lo:[0,0,1] neg_hi:[0,0,1]
	v_pk_fma_f32 v[4:5], v[12:13], v[8:9], v[4:5] op_sel_hi:[1,0,1]
	v_pk_add_f32 v[2:3], v[2:3], v[16:17]
	v_mov_b32_e32 v7, v5
	s_waitcnt vmcnt(1) lgkmcnt(0)
	v_pk_mul_f32 v[4:5], v[14:15], v[50:51] op_sel:[1,1] op_sel_hi:[0,1]
	v_pk_add_f32 v[2:3], v[2:3], v[6:7]
	v_pk_fma_f32 v[6:7], v[14:15], v[50:51], v[4:5] neg_lo:[0,0,1] neg_hi:[0,0,1]
	v_pk_fma_f32 v[4:5], v[14:15], v[50:51], v[4:5] op_sel_hi:[1,0,1]
	s_nop 0
	v_mov_b32_e32 v7, v5
	v_pk_add_f32 v[2:3], v[2:3], v[6:7]
	s_waitcnt vmcnt(0)
	v_pk_add_f32 v[2:3], v[56:57], v[2:3] neg_lo:[0,1] neg_hi:[0,1]
	scratch_store_dwordx2 off, v[2:3], off offset:208
	s_and_saveexec_b64 s[0:1], vcc
	s_cbranch_execz .LBB51_275
; %bb.274:
	scratch_load_dwordx2 v[2:3], off, off offset:200
	v_mov_b32_e32 v59, v58
	scratch_store_dwordx2 off, v[58:59], off offset:200
	s_waitcnt vmcnt(1)
	ds_write_b64 v1, v[2:3]
.LBB51_275:
	s_or_b64 exec, exec, s[0:1]
	s_waitcnt lgkmcnt(0)
	; wave barrier
	scratch_load_dwordx4 v[10:13], off, off offset:208
	scratch_load_dwordx4 v[26:29], off, off offset:224
	;; [unrolled: 1-line block ×9, first 2 shown]
	ds_read_b128 v[60:63], v58 offset:624
	ds_read_b128 v[64:67], v58 offset:640
	;; [unrolled: 1-line block ×8, first 2 shown]
	scratch_load_dwordx4 v[50:53], off, off offset:352
	scratch_load_dwordx4 v[34:37], off, off offset:368
	scratch_load_dwordx4 v[22:25], off, off offset:384
	scratch_load_dwordx4 v[6:9], off, off offset:400
	ds_read_b128 v[88:91], v58 offset:752
	ds_read_b128 v[92:95], v58 offset:768
	scratch_load_dwordx2 v[96:97], off, off offset:200
	v_cmp_lt_u32_e32 vcc, 24, v0
	s_waitcnt vmcnt(13) lgkmcnt(9)
	v_mul_f32_e32 v59, v60, v11
	v_mul_f32_e32 v98, v62, v13
	v_fmac_f32_e32 v59, v61, v10
	s_waitcnt vmcnt(10) lgkmcnt(6)
	v_mul_f32_e32 v105, v72, v3
	v_mul_f32_e32 v3, v73, v3
	;; [unrolled: 1-line block ×3, first 2 shown]
	v_fmac_f32_e32 v98, v63, v12
	v_fmac_f32_e32 v105, v73, v2
	v_fma_f32 v2, v72, v2, -v3
	v_add_f32_e32 v3, 0, v59
	v_mul_f32_e32 v102, v66, v29
	v_fmac_f32_e32 v100, v65, v26
	v_add_f32_e32 v3, v3, v98
	v_mul_f32_e32 v103, v68, v43
	v_fmac_f32_e32 v102, v67, v28
	v_add_f32_e32 v3, v3, v100
	v_mul_f32_e32 v104, v70, v45
	v_fmac_f32_e32 v103, v69, v42
	v_add_f32_e32 v3, v3, v102
	v_fmac_f32_e32 v104, v71, v44
	v_add_f32_e32 v3, v3, v103
	v_mul_f32_e32 v106, v74, v5
	v_add_f32_e32 v3, v3, v104
	s_waitcnt vmcnt(9) lgkmcnt(5)
	v_mul_f32_e32 v107, v76, v15
	v_fmac_f32_e32 v106, v75, v4
	v_add_f32_e32 v3, v3, v105
	v_mul_f32_e32 v108, v78, v17
	v_fmac_f32_e32 v107, v77, v14
	v_add_f32_e32 v3, v3, v106
	s_waitcnt vmcnt(8) lgkmcnt(4)
	v_mul_f32_e32 v109, v80, v19
	v_mul_f32_e32 v11, v61, v11
	v_fmac_f32_e32 v108, v79, v16
	v_add_f32_e32 v3, v3, v107
	v_mul_f32_e32 v110, v82, v21
	v_mul_f32_e32 v13, v63, v13
	v_fmac_f32_e32 v109, v81, v18
	v_fma_f32 v10, v60, v10, -v11
	v_add_f32_e32 v3, v3, v108
	s_waitcnt vmcnt(7) lgkmcnt(3)
	v_mul_f32_e32 v111, v84, v31
	v_mul_f32_e32 v27, v65, v27
	v_fmac_f32_e32 v110, v83, v20
	v_fma_f32 v11, v62, v12, -v13
	v_add_f32_e32 v10, 0, v10
	v_add_f32_e32 v3, v3, v109
	v_mul_f32_e32 v112, v86, v33
	v_mul_f32_e32 v29, v67, v29
	v_fmac_f32_e32 v111, v85, v30
	v_fma_f32 v12, v64, v26, -v27
	v_add_f32_e32 v10, v10, v11
	v_add_f32_e32 v3, v3, v110
	s_waitcnt vmcnt(6) lgkmcnt(2)
	v_mul_f32_e32 v113, v54, v39
	v_mul_f32_e32 v43, v69, v43
	v_fmac_f32_e32 v112, v87, v32
	v_fma_f32 v13, v66, v28, -v29
	v_add_f32_e32 v10, v10, v12
	v_add_f32_e32 v3, v3, v111
	v_mul_f32_e32 v114, v56, v41
	v_mul_f32_e32 v45, v71, v45
	v_fmac_f32_e32 v113, v55, v38
	v_fma_f32 v26, v68, v42, -v43
	v_add_f32_e32 v10, v10, v13
	v_add_f32_e32 v3, v3, v112
	v_fmac_f32_e32 v114, v57, v40
	v_fma_f32 v27, v70, v44, -v45
	v_add_f32_e32 v10, v10, v26
	v_add_f32_e32 v3, v3, v113
	;; [unrolled: 1-line block ×4, first 2 shown]
	v_mul_f32_e32 v3, v75, v5
	v_add_f32_e32 v2, v10, v2
	v_fma_f32 v3, v74, v4, -v3
	v_add_f32_e32 v2, v2, v3
	v_mul_f32_e32 v3, v77, v15
	v_fma_f32 v3, v76, v14, -v3
	v_add_f32_e32 v2, v2, v3
	v_mul_f32_e32 v3, v79, v17
	v_fma_f32 v3, v78, v16, -v3
	v_add_f32_e32 v2, v2, v3
	v_mul_f32_e32 v3, v81, v19
	v_fma_f32 v3, v80, v18, -v3
	v_add_f32_e32 v2, v2, v3
	v_mul_f32_e32 v3, v83, v21
	v_fma_f32 v3, v82, v20, -v3
	v_add_f32_e32 v2, v2, v3
	v_mul_f32_e32 v3, v85, v31
	v_fma_f32 v3, v84, v30, -v3
	v_add_f32_e32 v2, v2, v3
	v_mul_f32_e32 v3, v87, v33
	v_fma_f32 v3, v86, v32, -v3
	v_add_f32_e32 v2, v2, v3
	v_mul_f32_e32 v3, v55, v39
	v_fma_f32 v3, v54, v38, -v3
	v_add_f32_e32 v2, v2, v3
	v_mul_f32_e32 v3, v57, v41
	v_fma_f32 v3, v56, v40, -v3
	s_waitcnt vmcnt(5) lgkmcnt(1)
	v_mul_f32_e32 v99, v88, v47
	v_add_f32_e32 v26, v2, v3
	v_mul_f32_e32 v2, v89, v47
	v_fmac_f32_e32 v99, v89, v46
	v_fma_f32 v98, v88, v46, -v2
	s_waitcnt vmcnt(4) lgkmcnt(0)
	v_pk_mul_f32 v[20:21], v[92:93], v[50:51] op_sel:[1,1] op_sel_hi:[0,1]
	v_mul_f32_e32 v101, v90, v49
	v_mul_f32_e32 v2, v91, v49
	v_pk_add_f32 v[18:19], v[26:27], v[98:99]
	v_pk_fma_f32 v[26:27], v[92:93], v[50:51], v[20:21] neg_lo:[0,0,1] neg_hi:[0,0,1]
	v_pk_fma_f32 v[20:21], v[92:93], v[50:51], v[20:21] op_sel_hi:[1,0,1]
	v_fmac_f32_e32 v101, v91, v48
	v_fma_f32 v100, v90, v48, -v2
	ds_read_b128 v[2:5], v58 offset:784
	ds_read_b128 v[10:13], v58 offset:800
	;; [unrolled: 1-line block ×3, first 2 shown]
	v_mov_b32_e32 v20, v53
	v_pk_add_f32 v[18:19], v[18:19], v[100:101]
	v_mov_b32_e32 v27, v21
	v_pk_mul_f32 v[20:21], v[94:95], v[20:21] op_sel:[1,0] op_sel_hi:[0,0]
	v_pk_add_f32 v[18:19], v[18:19], v[26:27]
	v_pk_fma_f32 v[26:27], v[94:95], v[52:53], v[20:21] neg_lo:[0,0,1] neg_hi:[0,0,1]
	v_pk_fma_f32 v[20:21], v[94:95], v[52:53], v[20:21] op_sel_hi:[1,0,1]
	s_nop 0
	v_mov_b32_e32 v27, v21
	s_waitcnt vmcnt(3) lgkmcnt(2)
	v_pk_mul_f32 v[20:21], v[2:3], v[34:35] op_sel:[1,1] op_sel_hi:[0,1]
	v_pk_add_f32 v[18:19], v[18:19], v[26:27]
	v_pk_fma_f32 v[26:27], v[2:3], v[34:35], v[20:21] neg_lo:[0,0,1] neg_hi:[0,0,1]
	v_pk_fma_f32 v[2:3], v[2:3], v[34:35], v[20:21] op_sel_hi:[1,0,1]
	s_nop 0
	v_mov_b32_e32 v27, v3
	v_pk_add_f32 v[2:3], v[18:19], v[26:27]
	v_mov_b32_e32 v18, v37
	v_pk_mul_f32 v[18:19], v[4:5], v[18:19] op_sel:[1,0] op_sel_hi:[0,0]
	v_pk_fma_f32 v[20:21], v[4:5], v[36:37], v[18:19] neg_lo:[0,0,1] neg_hi:[0,0,1]
	v_pk_fma_f32 v[4:5], v[4:5], v[36:37], v[18:19] op_sel_hi:[1,0,1]
	s_nop 0
	v_mov_b32_e32 v21, v5
	s_waitcnt vmcnt(2) lgkmcnt(1)
	v_pk_mul_f32 v[4:5], v[10:11], v[22:23] op_sel:[1,1] op_sel_hi:[0,1]
	v_pk_fma_f32 v[18:19], v[10:11], v[22:23], v[4:5] neg_lo:[0,0,1] neg_hi:[0,0,1]
	v_pk_fma_f32 v[4:5], v[10:11], v[22:23], v[4:5] op_sel_hi:[1,0,1]
	v_pk_add_f32 v[2:3], v[2:3], v[20:21]
	v_mov_b32_e32 v4, v25
	v_mov_b32_e32 v19, v5
	v_pk_mul_f32 v[4:5], v[12:13], v[4:5] op_sel:[1,0] op_sel_hi:[0,0]
	v_pk_fma_f32 v[10:11], v[12:13], v[24:25], v[4:5] neg_lo:[0,0,1] neg_hi:[0,0,1]
	v_pk_fma_f32 v[4:5], v[12:13], v[24:25], v[4:5] op_sel_hi:[1,0,1]
	v_pk_add_f32 v[2:3], v[2:3], v[18:19]
	v_mov_b32_e32 v11, v5
	s_waitcnt vmcnt(1) lgkmcnt(0)
	v_pk_mul_f32 v[4:5], v[14:15], v[6:7] op_sel:[1,1] op_sel_hi:[0,1]
	v_pk_add_f32 v[2:3], v[2:3], v[10:11]
	v_pk_fma_f32 v[10:11], v[14:15], v[6:7], v[4:5] neg_lo:[0,0,1] neg_hi:[0,0,1]
	v_pk_fma_f32 v[4:5], v[14:15], v[6:7], v[4:5] op_sel_hi:[1,0,1]
	s_nop 0
	v_mov_b32_e32 v4, v9
	v_mov_b32_e32 v11, v5
	v_pk_mul_f32 v[4:5], v[16:17], v[4:5] op_sel:[1,0] op_sel_hi:[0,0]
	v_pk_fma_f32 v[6:7], v[16:17], v[8:9], v[4:5] neg_lo:[0,0,1] neg_hi:[0,0,1]
	v_pk_fma_f32 v[4:5], v[16:17], v[8:9], v[4:5] op_sel_hi:[1,0,1]
	v_pk_add_f32 v[2:3], v[2:3], v[10:11]
	v_mov_b32_e32 v7, v5
	v_pk_add_f32 v[2:3], v[2:3], v[6:7]
	s_waitcnt vmcnt(0)
	v_pk_add_f32 v[2:3], v[96:97], v[2:3] neg_lo:[0,1] neg_hi:[0,1]
	scratch_store_dwordx2 off, v[2:3], off offset:200
	s_and_saveexec_b64 s[0:1], vcc
	s_cbranch_execz .LBB51_277
; %bb.276:
	scratch_load_dwordx2 v[2:3], off, off offset:192
	v_mov_b32_e32 v4, 0
	v_mov_b32_e32 v5, v4
	scratch_store_dwordx2 off, v[4:5], off offset:192
	s_waitcnt vmcnt(1)
	ds_write_b64 v1, v[2:3]
.LBB51_277:
	s_or_b64 exec, exec, s[0:1]
	s_waitcnt lgkmcnt(0)
	; wave barrier
	scratch_load_dwordx4 v[10:13], off, off offset:200
	scratch_load_dwordx4 v[30:33], off, off offset:216
	;; [unrolled: 1-line block ×13, first 2 shown]
	scratch_load_dwordx2 v[54:55], off, off offset:408
	scratch_load_dwordx2 v[80:81], off, off offset:192
	v_mov_b32_e32 v82, 0
	ds_read2_b64 v[56:59], v82 offset0:77 offset1:78
	ds_read2_b64 v[60:63], v82 offset0:79 offset1:80
	;; [unrolled: 1-line block ×10, first 2 shown]
	v_cmp_lt_u32_e32 vcc, 23, v0
	s_waitcnt vmcnt(14) lgkmcnt(9)
	v_mul_f32_e32 v83, v56, v11
	v_mul_f32_e32 v100, v58, v13
	s_waitcnt vmcnt(12) lgkmcnt(7)
	v_mul_f32_e32 v105, v64, v3
	v_mul_f32_e32 v3, v65, v3
	v_fmac_f32_e32 v83, v57, v10
	v_mul_f32_e32 v102, v60, v31
	v_fmac_f32_e32 v100, v59, v12
	v_fmac_f32_e32 v105, v65, v2
	v_fma_f32 v2, v64, v2, -v3
	v_add_f32_e32 v3, 0, v83
	v_mul_f32_e32 v104, v62, v33
	v_fmac_f32_e32 v102, v61, v30
	v_add_f32_e32 v3, v3, v100
	v_fmac_f32_e32 v104, v63, v32
	v_add_f32_e32 v3, v3, v102
	v_mul_f32_e32 v106, v66, v5
	v_add_f32_e32 v3, v3, v104
	s_waitcnt vmcnt(11) lgkmcnt(6)
	v_mul_f32_e32 v107, v68, v7
	v_fmac_f32_e32 v106, v67, v4
	v_add_f32_e32 v3, v3, v105
	v_mul_f32_e32 v108, v70, v9
	v_fmac_f32_e32 v107, v69, v6
	v_add_f32_e32 v3, v3, v106
	s_waitcnt vmcnt(10) lgkmcnt(5)
	v_mul_f32_e32 v109, v72, v19
	v_fmac_f32_e32 v108, v71, v8
	v_add_f32_e32 v3, v3, v107
	v_mul_f32_e32 v110, v74, v21
	v_fmac_f32_e32 v109, v73, v18
	;; [unrolled: 7-line block ×3, first 2 shown]
	v_add_f32_e32 v3, v3, v110
	s_waitcnt vmcnt(8) lgkmcnt(3)
	v_mul_f32_e32 v113, v84, v35
	v_mul_f32_e32 v11, v57, v11
	v_fmac_f32_e32 v112, v79, v24
	v_add_f32_e32 v3, v3, v111
	v_mul_f32_e32 v114, v86, v37
	v_mul_f32_e32 v13, v59, v13
	v_fmac_f32_e32 v113, v85, v34
	v_fma_f32 v10, v56, v10, -v11
	v_add_f32_e32 v3, v3, v112
	s_waitcnt vmcnt(7) lgkmcnt(2)
	v_mul_f32_e32 v115, v88, v39
	v_mul_f32_e32 v31, v61, v31
	v_fmac_f32_e32 v114, v87, v36
	v_fma_f32 v11, v58, v12, -v13
	v_add_f32_e32 v10, 0, v10
	v_add_f32_e32 v3, v3, v113
	v_mul_f32_e32 v116, v90, v41
	v_mul_f32_e32 v33, v63, v33
	v_fmac_f32_e32 v115, v89, v38
	v_fma_f32 v12, v60, v30, -v31
	v_add_f32_e32 v10, v10, v11
	v_add_f32_e32 v3, v3, v114
	s_waitcnt vmcnt(6) lgkmcnt(1)
	v_mul_f32_e32 v117, v92, v51
	v_fmac_f32_e32 v116, v91, v40
	v_fma_f32 v13, v62, v32, -v33
	v_add_f32_e32 v10, v10, v12
	v_add_f32_e32 v3, v3, v115
	v_mul_f32_e32 v5, v67, v5
	v_fmac_f32_e32 v117, v93, v50
	v_add_f32_e32 v10, v10, v13
	v_add_f32_e32 v3, v3, v116
	;; [unrolled: 1-line block ×4, first 2 shown]
	v_fma_f32 v3, v66, v4, -v5
	v_add_f32_e32 v2, v2, v3
	v_mul_f32_e32 v3, v69, v7
	v_fma_f32 v3, v68, v6, -v3
	v_add_f32_e32 v2, v2, v3
	v_mul_f32_e32 v3, v71, v9
	v_fma_f32 v3, v70, v8, -v3
	v_add_f32_e32 v2, v2, v3
	v_mul_f32_e32 v3, v73, v19
	v_fma_f32 v3, v72, v18, -v3
	v_add_f32_e32 v2, v2, v3
	v_mul_f32_e32 v3, v75, v21
	v_fma_f32 v3, v74, v20, -v3
	v_add_f32_e32 v2, v2, v3
	v_mul_f32_e32 v3, v77, v23
	v_fma_f32 v3, v76, v22, -v3
	v_add_f32_e32 v2, v2, v3
	v_mul_f32_e32 v3, v79, v25
	v_fma_f32 v3, v78, v24, -v3
	v_add_f32_e32 v2, v2, v3
	v_mul_f32_e32 v3, v85, v35
	v_fma_f32 v3, v84, v34, -v3
	v_add_f32_e32 v2, v2, v3
	v_mul_f32_e32 v3, v87, v37
	v_fma_f32 v3, v86, v36, -v3
	v_add_f32_e32 v2, v2, v3
	v_mul_f32_e32 v3, v89, v39
	v_fma_f32 v3, v88, v38, -v3
	v_add_f32_e32 v2, v2, v3
	v_mul_f32_e32 v3, v91, v41
	v_fma_f32 v3, v90, v40, -v3
	v_add_f32_e32 v2, v2, v3
	v_mul_f32_e32 v3, v93, v51
	v_fma_f32 v3, v92, v50, -v3
	v_add_f32_e32 v30, v2, v3
	v_mul_f32_e32 v2, v95, v53
	v_mul_f32_e32 v101, v94, v53
	v_fma_f32 v100, v94, v52, -v2
	s_waitcnt vmcnt(5) lgkmcnt(0)
	v_mul_f32_e32 v2, v97, v47
	v_mov_b32_e32 v22, v49
	v_mul_f32_e32 v103, v96, v47
	v_fmac_f32_e32 v101, v95, v52
	v_fma_f32 v102, v96, v46, -v2
	ds_read2_b64 v[2:5], v82 offset0:97 offset1:98
	ds_read2_b64 v[6:9], v82 offset0:99 offset1:100
	;; [unrolled: 1-line block ×3, first 2 shown]
	ds_read_b64 v[18:19], v82 offset:824
	v_pk_mul_f32 v[22:23], v[98:99], v[22:23] op_sel:[1,0] op_sel_hi:[0,0]
	v_fmac_f32_e32 v103, v97, v46
	v_pk_add_f32 v[20:21], v[30:31], v[100:101]
	v_pk_fma_f32 v[24:25], v[98:99], v[48:49], v[22:23] neg_lo:[0,0,1] neg_hi:[0,0,1]
	v_pk_fma_f32 v[22:23], v[98:99], v[48:49], v[22:23] op_sel_hi:[1,0,1]
	v_pk_add_f32 v[20:21], v[20:21], v[102:103]
	v_mov_b32_e32 v25, v23
	s_waitcnt vmcnt(4) lgkmcnt(3)
	v_pk_mul_f32 v[22:23], v[2:3], v[42:43] op_sel:[1,1] op_sel_hi:[0,1]
	v_pk_add_f32 v[20:21], v[20:21], v[24:25]
	v_pk_fma_f32 v[24:25], v[2:3], v[42:43], v[22:23] neg_lo:[0,0,1] neg_hi:[0,0,1]
	v_pk_fma_f32 v[2:3], v[2:3], v[42:43], v[22:23] op_sel_hi:[1,0,1]
	s_nop 0
	v_mov_b32_e32 v25, v3
	v_pk_add_f32 v[2:3], v[20:21], v[24:25]
	v_mov_b32_e32 v20, v45
	v_pk_mul_f32 v[20:21], v[4:5], v[20:21] op_sel:[1,0] op_sel_hi:[0,0]
	v_pk_fma_f32 v[22:23], v[4:5], v[44:45], v[20:21] neg_lo:[0,0,1] neg_hi:[0,0,1]
	v_pk_fma_f32 v[4:5], v[4:5], v[44:45], v[20:21] op_sel_hi:[1,0,1]
	s_nop 0
	v_mov_b32_e32 v23, v5
	s_waitcnt vmcnt(3) lgkmcnt(2)
	v_pk_mul_f32 v[4:5], v[6:7], v[26:27] op_sel:[1,1] op_sel_hi:[0,1]
	v_pk_fma_f32 v[20:21], v[6:7], v[26:27], v[4:5] neg_lo:[0,0,1] neg_hi:[0,0,1]
	v_pk_fma_f32 v[4:5], v[6:7], v[26:27], v[4:5] op_sel_hi:[1,0,1]
	v_pk_add_f32 v[2:3], v[2:3], v[22:23]
	v_mov_b32_e32 v4, v29
	v_mov_b32_e32 v21, v5
	v_pk_mul_f32 v[4:5], v[8:9], v[4:5] op_sel:[1,0] op_sel_hi:[0,0]
	v_pk_fma_f32 v[6:7], v[8:9], v[28:29], v[4:5] neg_lo:[0,0,1] neg_hi:[0,0,1]
	v_pk_fma_f32 v[4:5], v[8:9], v[28:29], v[4:5] op_sel_hi:[1,0,1]
	v_pk_add_f32 v[2:3], v[2:3], v[20:21]
	v_mov_b32_e32 v7, v5
	s_waitcnt vmcnt(2) lgkmcnt(1)
	v_pk_mul_f32 v[4:5], v[10:11], v[14:15] op_sel:[1,1] op_sel_hi:[0,1]
	v_pk_add_f32 v[2:3], v[2:3], v[6:7]
	v_pk_fma_f32 v[6:7], v[10:11], v[14:15], v[4:5] neg_lo:[0,0,1] neg_hi:[0,0,1]
	v_pk_fma_f32 v[4:5], v[10:11], v[14:15], v[4:5] op_sel_hi:[1,0,1]
	s_nop 0
	v_mov_b32_e32 v4, v17
	v_mov_b32_e32 v7, v5
	v_pk_mul_f32 v[4:5], v[12:13], v[4:5] op_sel:[1,0] op_sel_hi:[0,0]
	v_pk_add_f32 v[2:3], v[2:3], v[6:7]
	v_pk_fma_f32 v[6:7], v[12:13], v[16:17], v[4:5] neg_lo:[0,0,1] neg_hi:[0,0,1]
	v_pk_fma_f32 v[4:5], v[12:13], v[16:17], v[4:5] op_sel_hi:[1,0,1]
	s_nop 0
	v_mov_b32_e32 v7, v5
	s_waitcnt vmcnt(1) lgkmcnt(0)
	v_pk_mul_f32 v[4:5], v[18:19], v[54:55] op_sel:[1,1] op_sel_hi:[0,1]
	v_pk_add_f32 v[2:3], v[2:3], v[6:7]
	v_pk_fma_f32 v[6:7], v[18:19], v[54:55], v[4:5] neg_lo:[0,0,1] neg_hi:[0,0,1]
	v_pk_fma_f32 v[4:5], v[18:19], v[54:55], v[4:5] op_sel_hi:[1,0,1]
	s_nop 0
	v_mov_b32_e32 v7, v5
	v_pk_add_f32 v[2:3], v[2:3], v[6:7]
	s_waitcnt vmcnt(0)
	v_pk_add_f32 v[2:3], v[80:81], v[2:3] neg_lo:[0,1] neg_hi:[0,1]
	scratch_store_dwordx2 off, v[2:3], off offset:192
	s_and_saveexec_b64 s[0:1], vcc
	s_cbranch_execz .LBB51_279
; %bb.278:
	scratch_load_dwordx2 v[2:3], off, off offset:184
	v_mov_b32_e32 v83, v82
	scratch_store_dwordx2 off, v[82:83], off offset:184
	s_waitcnt vmcnt(1)
	ds_write_b64 v1, v[2:3]
.LBB51_279:
	s_or_b64 exec, exec, s[0:1]
	s_waitcnt lgkmcnt(0)
	; wave barrier
	scratch_load_dwordx4 v[18:21], off, off offset:192
	scratch_load_dwordx4 v[34:37], off, off offset:208
	scratch_load_dwordx4 v[2:5], off, off offset:224
	scratch_load_dwordx4 v[6:9], off, off offset:240
	scratch_load_dwordx4 v[10:13], off, off offset:256
	scratch_load_dwordx4 v[22:25], off, off offset:272
	scratch_load_dwordx4 v[26:29], off, off offset:288
	scratch_load_dwordx4 v[38:41], off, off offset:304
	scratch_load_dwordx4 v[42:45], off, off offset:320
	scratch_load_dwordx4 v[50:53], off, off offset:336
	ds_read_b128 v[84:87], v82 offset:608
	ds_read_b128 v[88:91], v82 offset:624
	;; [unrolled: 1-line block ×10, first 2 shown]
	scratch_load_dwordx4 v[54:57], off, off offset:352
	scratch_load_dwordx4 v[46:49], off, off offset:368
	;; [unrolled: 1-line block ×4, first 2 shown]
	scratch_load_dwordx2 v[100:101], off, off offset:184
	v_cmp_lt_u32_e32 vcc, 22, v0
	s_waitcnt vmcnt(14) lgkmcnt(9)
	v_mul_f32_e32 v83, v84, v19
	v_mul_f32_e32 v102, v86, v21
	s_waitcnt vmcnt(12) lgkmcnt(7)
	v_mul_f32_e32 v107, v92, v3
	v_mul_f32_e32 v3, v93, v3
	v_fmac_f32_e32 v83, v85, v18
	v_mul_f32_e32 v104, v88, v35
	v_fmac_f32_e32 v102, v87, v20
	v_fmac_f32_e32 v107, v93, v2
	v_fma_f32 v2, v92, v2, -v3
	v_add_f32_e32 v3, 0, v83
	v_mul_f32_e32 v106, v90, v37
	v_fmac_f32_e32 v104, v89, v34
	v_add_f32_e32 v3, v3, v102
	v_fmac_f32_e32 v106, v91, v36
	v_add_f32_e32 v3, v3, v104
	v_mul_f32_e32 v108, v94, v5
	v_add_f32_e32 v3, v3, v106
	s_waitcnt vmcnt(11) lgkmcnt(6)
	v_mul_f32_e32 v109, v96, v7
	v_fmac_f32_e32 v108, v95, v4
	v_add_f32_e32 v3, v3, v107
	v_mul_f32_e32 v110, v98, v9
	v_fmac_f32_e32 v109, v97, v6
	v_add_f32_e32 v3, v3, v108
	s_waitcnt vmcnt(10) lgkmcnt(5)
	v_mul_f32_e32 v111, v78, v11
	v_fmac_f32_e32 v110, v99, v8
	v_add_f32_e32 v3, v3, v109
	v_mul_f32_e32 v112, v80, v13
	v_fmac_f32_e32 v111, v79, v10
	;; [unrolled: 7-line block ×4, first 2 shown]
	v_add_f32_e32 v3, v3, v114
	s_waitcnt vmcnt(7) lgkmcnt(2)
	v_mul_f32_e32 v117, v66, v39
	v_mul_f32_e32 v19, v85, v19
	v_fmac_f32_e32 v116, v73, v28
	v_add_f32_e32 v3, v3, v115
	v_mul_f32_e32 v118, v68, v41
	v_mul_f32_e32 v21, v87, v21
	v_fmac_f32_e32 v117, v67, v38
	v_fma_f32 v18, v84, v18, -v19
	v_add_f32_e32 v3, v3, v116
	s_waitcnt vmcnt(6) lgkmcnt(1)
	v_mul_f32_e32 v119, v62, v43
	v_mul_f32_e32 v35, v89, v35
	v_fmac_f32_e32 v118, v69, v40
	v_fma_f32 v19, v86, v20, -v21
	v_add_f32_e32 v18, 0, v18
	v_add_f32_e32 v3, v3, v117
	v_mul_f32_e32 v120, v64, v45
	v_mul_f32_e32 v37, v91, v37
	v_fmac_f32_e32 v119, v63, v42
	v_fma_f32 v20, v88, v34, -v35
	v_add_f32_e32 v18, v18, v19
	v_add_f32_e32 v3, v3, v118
	v_fmac_f32_e32 v120, v65, v44
	v_fma_f32 v21, v90, v36, -v37
	v_add_f32_e32 v18, v18, v20
	v_add_f32_e32 v3, v3, v119
	;; [unrolled: 1-line block ×4, first 2 shown]
	v_mul_f32_e32 v3, v95, v5
	v_add_f32_e32 v2, v18, v2
	v_fma_f32 v3, v94, v4, -v3
	v_add_f32_e32 v2, v2, v3
	v_mul_f32_e32 v3, v97, v7
	v_fma_f32 v3, v96, v6, -v3
	v_add_f32_e32 v2, v2, v3
	v_mul_f32_e32 v3, v99, v9
	;; [unrolled: 3-line block ×12, first 2 shown]
	v_fma_f32 v3, v64, v44, -v3
	v_add_f32_e32 v34, v2, v3
	s_waitcnt vmcnt(5) lgkmcnt(0)
	v_mul_f32_e32 v2, v59, v51
	v_fma_f32 v102, v58, v50, -v2
	v_mul_f32_e32 v2, v61, v53
	v_fma_f32 v104, v60, v52, -v2
	ds_read_b128 v[2:5], v82 offset:768
	ds_read_b128 v[6:9], v82 offset:784
	;; [unrolled: 1-line block ×4, first 2 shown]
	v_mul_f32_e32 v103, v58, v51
	v_mul_f32_e32 v105, v60, v53
	v_fmac_f32_e32 v103, v59, v50
	s_waitcnt vmcnt(4) lgkmcnt(3)
	v_pk_mul_f32 v[24:25], v[2:3], v[54:55] op_sel:[1,1] op_sel_hi:[0,1]
	v_fmac_f32_e32 v105, v61, v52
	v_pk_add_f32 v[22:23], v[34:35], v[102:103]
	v_pk_fma_f32 v[26:27], v[2:3], v[54:55], v[24:25] neg_lo:[0,0,1] neg_hi:[0,0,1]
	v_pk_fma_f32 v[2:3], v[2:3], v[54:55], v[24:25] op_sel_hi:[1,0,1]
	v_pk_add_f32 v[22:23], v[22:23], v[104:105]
	v_mov_b32_e32 v27, v3
	v_pk_add_f32 v[2:3], v[22:23], v[26:27]
	v_mov_b32_e32 v22, v57
	v_pk_mul_f32 v[22:23], v[4:5], v[22:23] op_sel:[1,0] op_sel_hi:[0,0]
	v_pk_fma_f32 v[24:25], v[4:5], v[56:57], v[22:23] neg_lo:[0,0,1] neg_hi:[0,0,1]
	v_pk_fma_f32 v[4:5], v[4:5], v[56:57], v[22:23] op_sel_hi:[1,0,1]
	s_nop 0
	v_mov_b32_e32 v25, v5
	s_waitcnt vmcnt(3) lgkmcnt(2)
	v_pk_mul_f32 v[4:5], v[6:7], v[46:47] op_sel:[1,1] op_sel_hi:[0,1]
	v_pk_fma_f32 v[22:23], v[6:7], v[46:47], v[4:5] neg_lo:[0,0,1] neg_hi:[0,0,1]
	v_pk_fma_f32 v[4:5], v[6:7], v[46:47], v[4:5] op_sel_hi:[1,0,1]
	v_pk_add_f32 v[2:3], v[2:3], v[24:25]
	v_mov_b32_e32 v4, v49
	v_mov_b32_e32 v23, v5
	v_pk_mul_f32 v[4:5], v[8:9], v[4:5] op_sel:[1,0] op_sel_hi:[0,0]
	v_pk_fma_f32 v[6:7], v[8:9], v[48:49], v[4:5] neg_lo:[0,0,1] neg_hi:[0,0,1]
	v_pk_fma_f32 v[4:5], v[8:9], v[48:49], v[4:5] op_sel_hi:[1,0,1]
	v_pk_add_f32 v[2:3], v[2:3], v[22:23]
	v_mov_b32_e32 v7, v5
	s_waitcnt vmcnt(2) lgkmcnt(1)
	v_pk_mul_f32 v[4:5], v[10:11], v[30:31] op_sel:[1,1] op_sel_hi:[0,1]
	v_pk_add_f32 v[2:3], v[2:3], v[6:7]
	v_pk_fma_f32 v[6:7], v[10:11], v[30:31], v[4:5] neg_lo:[0,0,1] neg_hi:[0,0,1]
	v_pk_fma_f32 v[4:5], v[10:11], v[30:31], v[4:5] op_sel_hi:[1,0,1]
	s_nop 0
	v_mov_b32_e32 v4, v33
	v_mov_b32_e32 v7, v5
	v_pk_mul_f32 v[4:5], v[12:13], v[4:5] op_sel:[1,0] op_sel_hi:[0,0]
	v_pk_add_f32 v[2:3], v[2:3], v[6:7]
	v_pk_fma_f32 v[6:7], v[12:13], v[32:33], v[4:5] neg_lo:[0,0,1] neg_hi:[0,0,1]
	v_pk_fma_f32 v[4:5], v[12:13], v[32:33], v[4:5] op_sel_hi:[1,0,1]
	s_nop 0
	v_mov_b32_e32 v7, v5
	s_waitcnt vmcnt(1) lgkmcnt(0)
	v_pk_mul_f32 v[4:5], v[18:19], v[14:15] op_sel:[1,1] op_sel_hi:[0,1]
	v_pk_add_f32 v[2:3], v[2:3], v[6:7]
	v_pk_fma_f32 v[6:7], v[18:19], v[14:15], v[4:5] neg_lo:[0,0,1] neg_hi:[0,0,1]
	v_pk_fma_f32 v[4:5], v[18:19], v[14:15], v[4:5] op_sel_hi:[1,0,1]
	s_nop 0
	v_mov_b32_e32 v4, v17
	v_mov_b32_e32 v7, v5
	v_pk_mul_f32 v[4:5], v[20:21], v[4:5] op_sel:[1,0] op_sel_hi:[0,0]
	v_pk_add_f32 v[2:3], v[2:3], v[6:7]
	v_pk_fma_f32 v[6:7], v[20:21], v[16:17], v[4:5] neg_lo:[0,0,1] neg_hi:[0,0,1]
	v_pk_fma_f32 v[4:5], v[20:21], v[16:17], v[4:5] op_sel_hi:[1,0,1]
	s_nop 0
	v_mov_b32_e32 v7, v5
	v_pk_add_f32 v[2:3], v[2:3], v[6:7]
	s_waitcnt vmcnt(0)
	v_pk_add_f32 v[2:3], v[100:101], v[2:3] neg_lo:[0,1] neg_hi:[0,1]
	scratch_store_dwordx2 off, v[2:3], off offset:184
	s_and_saveexec_b64 s[0:1], vcc
	s_cbranch_execz .LBB51_281
; %bb.280:
	scratch_load_dwordx2 v[2:3], off, off offset:176
	v_mov_b32_e32 v4, 0
	v_mov_b32_e32 v5, v4
	scratch_store_dwordx2 off, v[4:5], off offset:176
	s_waitcnt vmcnt(1)
	ds_write_b64 v1, v[2:3]
.LBB51_281:
	s_or_b64 exec, exec, s[0:1]
	s_waitcnt lgkmcnt(0)
	; wave barrier
	scratch_load_dwordx4 v[18:21], off, off offset:184
	scratch_load_dwordx4 v[2:5], off, off offset:200
	;; [unrolled: 1-line block ×14, first 2 shown]
	scratch_load_dwordx2 v[58:59], off, off offset:408
	scratch_load_dwordx2 v[100:101], off, off offset:176
	v_mov_b32_e32 v102, 0
	ds_read2_b64 v[60:63], v102 offset0:75 offset1:76
	ds_read2_b64 v[64:67], v102 offset0:77 offset1:78
	;; [unrolled: 1-line block ×12, first 2 shown]
	v_cmp_lt_u32_e32 vcc, 21, v0
	s_waitcnt vmcnt(15) lgkmcnt(11)
	v_mul_f32_e32 v103, v60, v19
	v_mul_f32_e32 v112, v62, v21
	s_waitcnt vmcnt(14) lgkmcnt(10)
	v_mul_f32_e32 v114, v64, v3
	v_mul_f32_e32 v3, v65, v3
	v_fmac_f32_e32 v103, v61, v18
	v_fmac_f32_e32 v112, v63, v20
	;; [unrolled: 1-line block ×3, first 2 shown]
	v_fma_f32 v2, v64, v2, -v3
	v_add_f32_e32 v3, 0, v103
	v_mul_f32_e32 v116, v66, v5
	v_add_f32_e32 v3, v3, v112
	s_waitcnt vmcnt(13) lgkmcnt(9)
	v_mul_f32_e32 v117, v68, v7
	v_fmac_f32_e32 v116, v67, v4
	v_add_f32_e32 v3, v3, v114
	v_mul_f32_e32 v118, v70, v9
	v_fmac_f32_e32 v117, v69, v6
	v_add_f32_e32 v3, v3, v116
	s_waitcnt vmcnt(12) lgkmcnt(8)
	v_mul_f32_e32 v119, v72, v11
	v_fmac_f32_e32 v118, v71, v8
	v_add_f32_e32 v3, v3, v117
	v_mul_f32_e32 v120, v74, v13
	v_fmac_f32_e32 v119, v73, v10
	;; [unrolled: 7-line block ×6, first 2 shown]
	v_add_f32_e32 v3, v3, v126
	s_waitcnt vmcnt(7) lgkmcnt(3)
	v_mul_f32_e32 v129, v92, v43
	v_fmac_f32_e32 v128, v91, v40
	v_add_f32_e32 v3, v3, v127
	v_mul_f32_e32 v130, v94, v45
	v_mul_f32_e32 v19, v61, v19
	v_fmac_f32_e32 v129, v93, v42
	v_add_f32_e32 v3, v3, v128
	s_waitcnt vmcnt(6) lgkmcnt(2)
	v_mul_f32_e32 v131, v96, v51
	v_mul_f32_e32 v21, v63, v21
	v_fmac_f32_e32 v130, v95, v44
	v_fma_f32 v18, v60, v18, -v19
	v_add_f32_e32 v3, v3, v129
	v_fmac_f32_e32 v131, v97, v50
	v_fma_f32 v19, v62, v20, -v21
	v_add_f32_e32 v18, 0, v18
	v_add_f32_e32 v3, v3, v130
	;; [unrolled: 1-line block ×4, first 2 shown]
	v_mul_f32_e32 v3, v67, v5
	v_add_f32_e32 v2, v18, v2
	v_fma_f32 v3, v66, v4, -v3
	v_add_f32_e32 v2, v2, v3
	v_mul_f32_e32 v3, v69, v7
	v_fma_f32 v3, v68, v6, -v3
	v_add_f32_e32 v2, v2, v3
	v_mul_f32_e32 v3, v71, v9
	;; [unrolled: 3-line block ×15, first 2 shown]
	v_fma_f32 v3, v96, v50, -v3
	v_mul_f32_e32 v113, v98, v53
	v_add_f32_e32 v18, v2, v3
	v_mul_f32_e32 v2, v99, v53
	s_waitcnt vmcnt(5)
	v_mov_b32_e32 v14, v57
	s_waitcnt lgkmcnt(1)
	v_mul_f32_e32 v115, v104, v55
	v_fmac_f32_e32 v113, v99, v52
	v_fma_f32 v112, v98, v52, -v2
	v_mul_f32_e32 v2, v105, v55
	v_pk_mul_f32 v[14:15], v[106:107], v[14:15] op_sel:[1,0] op_sel_hi:[0,0]
	v_fmac_f32_e32 v115, v105, v54
	v_fma_f32 v114, v104, v54, -v2
	v_pk_add_f32 v[12:13], v[18:19], v[112:113]
	v_pk_fma_f32 v[16:17], v[106:107], v[56:57], v[14:15] neg_lo:[0,0,1] neg_hi:[0,0,1]
	v_pk_fma_f32 v[14:15], v[106:107], v[56:57], v[14:15] op_sel_hi:[1,0,1]
	v_pk_add_f32 v[12:13], v[12:13], v[114:115]
	v_mov_b32_e32 v17, v15
	s_waitcnt vmcnt(4) lgkmcnt(0)
	v_pk_mul_f32 v[14:15], v[108:109], v[46:47] op_sel:[1,1] op_sel_hi:[0,1]
	v_pk_add_f32 v[12:13], v[12:13], v[16:17]
	v_pk_fma_f32 v[16:17], v[108:109], v[46:47], v[14:15] neg_lo:[0,0,1] neg_hi:[0,0,1]
	v_pk_fma_f32 v[14:15], v[108:109], v[46:47], v[14:15] op_sel_hi:[1,0,1]
	ds_read2_b64 v[2:5], v102 offset0:99 offset1:100
	ds_read2_b64 v[6:9], v102 offset0:101 offset1:102
	ds_read_b64 v[10:11], v102 offset:824
	v_mov_b32_e32 v14, v49
	v_mov_b32_e32 v17, v15
	v_pk_mul_f32 v[14:15], v[110:111], v[14:15] op_sel:[1,0] op_sel_hi:[0,0]
	v_pk_add_f32 v[12:13], v[12:13], v[16:17]
	v_pk_fma_f32 v[16:17], v[110:111], v[48:49], v[14:15] neg_lo:[0,0,1] neg_hi:[0,0,1]
	v_pk_fma_f32 v[14:15], v[110:111], v[48:49], v[14:15] op_sel_hi:[1,0,1]
	s_nop 0
	v_mov_b32_e32 v17, v15
	s_waitcnt vmcnt(3) lgkmcnt(2)
	v_pk_mul_f32 v[14:15], v[2:3], v[34:35] op_sel:[1,1] op_sel_hi:[0,1]
	v_pk_add_f32 v[12:13], v[12:13], v[16:17]
	v_pk_fma_f32 v[16:17], v[2:3], v[34:35], v[14:15] neg_lo:[0,0,1] neg_hi:[0,0,1]
	v_pk_fma_f32 v[2:3], v[2:3], v[34:35], v[14:15] op_sel_hi:[1,0,1]
	s_nop 0
	v_mov_b32_e32 v17, v3
	v_pk_add_f32 v[2:3], v[12:13], v[16:17]
	v_mov_b32_e32 v12, v37
	v_pk_mul_f32 v[12:13], v[4:5], v[12:13] op_sel:[1,0] op_sel_hi:[0,0]
	v_pk_fma_f32 v[14:15], v[4:5], v[36:37], v[12:13] neg_lo:[0,0,1] neg_hi:[0,0,1]
	v_pk_fma_f32 v[4:5], v[4:5], v[36:37], v[12:13] op_sel_hi:[1,0,1]
	s_nop 0
	v_mov_b32_e32 v15, v5
	s_waitcnt vmcnt(2) lgkmcnt(1)
	v_pk_mul_f32 v[4:5], v[6:7], v[22:23] op_sel:[1,1] op_sel_hi:[0,1]
	v_pk_fma_f32 v[12:13], v[6:7], v[22:23], v[4:5] neg_lo:[0,0,1] neg_hi:[0,0,1]
	v_pk_fma_f32 v[4:5], v[6:7], v[22:23], v[4:5] op_sel_hi:[1,0,1]
	v_pk_add_f32 v[2:3], v[2:3], v[14:15]
	v_mov_b32_e32 v4, v25
	v_mov_b32_e32 v13, v5
	v_pk_mul_f32 v[4:5], v[8:9], v[4:5] op_sel:[1,0] op_sel_hi:[0,0]
	v_pk_fma_f32 v[6:7], v[8:9], v[24:25], v[4:5] neg_lo:[0,0,1] neg_hi:[0,0,1]
	v_pk_fma_f32 v[4:5], v[8:9], v[24:25], v[4:5] op_sel_hi:[1,0,1]
	v_pk_add_f32 v[2:3], v[2:3], v[12:13]
	v_mov_b32_e32 v7, v5
	s_waitcnt vmcnt(1) lgkmcnt(0)
	v_pk_mul_f32 v[4:5], v[10:11], v[58:59] op_sel:[1,1] op_sel_hi:[0,1]
	v_pk_add_f32 v[2:3], v[2:3], v[6:7]
	v_pk_fma_f32 v[6:7], v[10:11], v[58:59], v[4:5] neg_lo:[0,0,1] neg_hi:[0,0,1]
	v_pk_fma_f32 v[4:5], v[10:11], v[58:59], v[4:5] op_sel_hi:[1,0,1]
	s_nop 0
	v_mov_b32_e32 v7, v5
	v_pk_add_f32 v[2:3], v[2:3], v[6:7]
	s_waitcnt vmcnt(0)
	v_pk_add_f32 v[2:3], v[100:101], v[2:3] neg_lo:[0,1] neg_hi:[0,1]
	scratch_store_dwordx2 off, v[2:3], off offset:176
	s_and_saveexec_b64 s[0:1], vcc
	s_cbranch_execz .LBB51_283
; %bb.282:
	scratch_load_dwordx2 v[2:3], off, off offset:168
	v_mov_b32_e32 v103, v102
	scratch_store_dwordx2 off, v[102:103], off offset:168
	s_waitcnt vmcnt(1)
	ds_write_b64 v1, v[2:3]
.LBB51_283:
	s_or_b64 exec, exec, s[0:1]
	s_waitcnt lgkmcnt(0)
	; wave barrier
	scratch_load_dwordx4 v[22:25], off, off offset:176
	scratch_load_dwordx4 v[2:5], off, off offset:192
	scratch_load_dwordx4 v[6:9], off, off offset:208
	scratch_load_dwordx4 v[10:13], off, off offset:224
	scratch_load_dwordx4 v[14:17], off, off offset:240
	scratch_load_dwordx4 v[18:21], off, off offset:256
	scratch_load_dwordx4 v[30:33], off, off offset:272
	scratch_load_dwordx4 v[34:37], off, off offset:288
	scratch_load_dwordx4 v[42:45], off, off offset:304
	scratch_load_dwordx4 v[46:49], off, off offset:320
	scratch_load_dwordx4 v[54:57], off, off offset:336
	ds_read_b128 v[104:107], v102 offset:592
	ds_read_b128 v[98:101], v102 offset:608
	;; [unrolled: 1-line block ×10, first 2 shown]
	scratch_load_dwordx4 v[58:61], off, off offset:352
	scratch_load_dwordx4 v[50:53], off, off offset:368
	;; [unrolled: 1-line block ×4, first 2 shown]
	ds_read_b128 v[78:81], v102 offset:752
	ds_read_b128 v[108:111], v102 offset:768
	scratch_load_dwordx2 v[112:113], off, off offset:168
	v_cmp_lt_u32_e32 vcc, 20, v0
	s_waitcnt vmcnt(15) lgkmcnt(11)
	v_mul_f32_e32 v103, v104, v23
	v_mul_f32_e32 v114, v106, v25
	s_waitcnt vmcnt(14) lgkmcnt(10)
	v_mul_f32_e32 v116, v98, v3
	v_mul_f32_e32 v3, v99, v3
	v_fmac_f32_e32 v103, v105, v22
	v_fmac_f32_e32 v114, v107, v24
	;; [unrolled: 1-line block ×3, first 2 shown]
	v_fma_f32 v2, v98, v2, -v3
	v_add_f32_e32 v3, 0, v103
	v_mul_f32_e32 v118, v100, v5
	v_add_f32_e32 v3, v3, v114
	s_waitcnt vmcnt(13) lgkmcnt(9)
	v_mul_f32_e32 v119, v94, v7
	v_fmac_f32_e32 v118, v101, v4
	v_add_f32_e32 v3, v3, v116
	v_mul_f32_e32 v120, v96, v9
	v_fmac_f32_e32 v119, v95, v6
	v_add_f32_e32 v3, v3, v118
	s_waitcnt vmcnt(12) lgkmcnt(8)
	v_mul_f32_e32 v121, v90, v11
	v_fmac_f32_e32 v120, v97, v8
	v_add_f32_e32 v3, v3, v119
	v_mul_f32_e32 v122, v92, v13
	v_fmac_f32_e32 v121, v91, v10
	;; [unrolled: 7-line block ×7, first 2 shown]
	v_add_f32_e32 v3, v3, v130
	s_waitcnt vmcnt(6) lgkmcnt(2)
	v_mul_f32_e32 v133, v62, v47
	v_mul_f32_e32 v23, v105, v23
	v_fmac_f32_e32 v132, v69, v44
	v_add_f32_e32 v3, v3, v131
	v_mul_f32_e32 v134, v64, v49
	v_mul_f32_e32 v25, v107, v25
	v_fmac_f32_e32 v133, v63, v46
	v_fma_f32 v22, v104, v22, -v23
	v_add_f32_e32 v3, v3, v132
	v_fmac_f32_e32 v134, v65, v48
	v_fma_f32 v23, v106, v24, -v25
	v_add_f32_e32 v22, 0, v22
	v_add_f32_e32 v3, v3, v133
	;; [unrolled: 1-line block ×4, first 2 shown]
	v_mul_f32_e32 v3, v101, v5
	v_add_f32_e32 v2, v22, v2
	v_fma_f32 v3, v100, v4, -v3
	v_add_f32_e32 v2, v2, v3
	v_mul_f32_e32 v3, v95, v7
	v_fma_f32 v3, v94, v6, -v3
	v_add_f32_e32 v2, v2, v3
	v_mul_f32_e32 v3, v97, v9
	;; [unrolled: 3-line block ×16, first 2 shown]
	v_fma_f32 v3, v64, v48, -v3
	s_waitcnt vmcnt(5) lgkmcnt(1)
	v_mul_f32_e32 v115, v78, v55
	v_add_f32_e32 v22, v2, v3
	v_mul_f32_e32 v2, v79, v55
	s_waitcnt vmcnt(4) lgkmcnt(0)
	v_pk_mul_f32 v[16:17], v[108:109], v[58:59] op_sel:[1,1] op_sel_hi:[0,1]
	v_mul_f32_e32 v117, v80, v57
	v_fmac_f32_e32 v115, v79, v54
	v_fma_f32 v114, v78, v54, -v2
	v_mul_f32_e32 v2, v81, v57
	v_pk_fma_f32 v[18:19], v[108:109], v[58:59], v[16:17] neg_lo:[0,0,1] neg_hi:[0,0,1]
	v_pk_fma_f32 v[16:17], v[108:109], v[58:59], v[16:17] op_sel_hi:[1,0,1]
	v_fmac_f32_e32 v117, v81, v56
	v_fma_f32 v116, v80, v56, -v2
	ds_read_b128 v[2:5], v102 offset:784
	ds_read_b128 v[6:9], v102 offset:800
	;; [unrolled: 1-line block ×3, first 2 shown]
	v_pk_add_f32 v[14:15], v[22:23], v[114:115]
	v_mov_b32_e32 v16, v61
	v_pk_add_f32 v[14:15], v[14:15], v[116:117]
	v_mov_b32_e32 v19, v17
	v_pk_mul_f32 v[16:17], v[110:111], v[16:17] op_sel:[1,0] op_sel_hi:[0,0]
	v_pk_add_f32 v[14:15], v[14:15], v[18:19]
	v_pk_fma_f32 v[18:19], v[110:111], v[60:61], v[16:17] neg_lo:[0,0,1] neg_hi:[0,0,1]
	v_pk_fma_f32 v[16:17], v[110:111], v[60:61], v[16:17] op_sel_hi:[1,0,1]
	s_nop 0
	v_mov_b32_e32 v19, v17
	s_waitcnt vmcnt(3) lgkmcnt(2)
	v_pk_mul_f32 v[16:17], v[2:3], v[50:51] op_sel:[1,1] op_sel_hi:[0,1]
	v_pk_add_f32 v[14:15], v[14:15], v[18:19]
	v_pk_fma_f32 v[18:19], v[2:3], v[50:51], v[16:17] neg_lo:[0,0,1] neg_hi:[0,0,1]
	v_pk_fma_f32 v[2:3], v[2:3], v[50:51], v[16:17] op_sel_hi:[1,0,1]
	s_nop 0
	v_mov_b32_e32 v19, v3
	v_pk_add_f32 v[2:3], v[14:15], v[18:19]
	v_mov_b32_e32 v14, v53
	v_pk_mul_f32 v[14:15], v[4:5], v[14:15] op_sel:[1,0] op_sel_hi:[0,0]
	v_pk_fma_f32 v[16:17], v[4:5], v[52:53], v[14:15] neg_lo:[0,0,1] neg_hi:[0,0,1]
	v_pk_fma_f32 v[4:5], v[4:5], v[52:53], v[14:15] op_sel_hi:[1,0,1]
	s_nop 0
	v_mov_b32_e32 v17, v5
	s_waitcnt vmcnt(2) lgkmcnt(1)
	v_pk_mul_f32 v[4:5], v[6:7], v[38:39] op_sel:[1,1] op_sel_hi:[0,1]
	v_pk_fma_f32 v[14:15], v[6:7], v[38:39], v[4:5] neg_lo:[0,0,1] neg_hi:[0,0,1]
	v_pk_fma_f32 v[4:5], v[6:7], v[38:39], v[4:5] op_sel_hi:[1,0,1]
	v_pk_add_f32 v[2:3], v[2:3], v[16:17]
	v_mov_b32_e32 v4, v41
	v_mov_b32_e32 v15, v5
	v_pk_mul_f32 v[4:5], v[8:9], v[4:5] op_sel:[1,0] op_sel_hi:[0,0]
	v_pk_fma_f32 v[6:7], v[8:9], v[40:41], v[4:5] neg_lo:[0,0,1] neg_hi:[0,0,1]
	v_pk_fma_f32 v[4:5], v[8:9], v[40:41], v[4:5] op_sel_hi:[1,0,1]
	v_pk_add_f32 v[2:3], v[2:3], v[14:15]
	v_mov_b32_e32 v7, v5
	s_waitcnt vmcnt(1) lgkmcnt(0)
	v_pk_mul_f32 v[4:5], v[10:11], v[26:27] op_sel:[1,1] op_sel_hi:[0,1]
	v_pk_add_f32 v[2:3], v[2:3], v[6:7]
	v_pk_fma_f32 v[6:7], v[10:11], v[26:27], v[4:5] neg_lo:[0,0,1] neg_hi:[0,0,1]
	v_pk_fma_f32 v[4:5], v[10:11], v[26:27], v[4:5] op_sel_hi:[1,0,1]
	s_nop 0
	v_mov_b32_e32 v4, v29
	v_mov_b32_e32 v7, v5
	v_pk_mul_f32 v[4:5], v[12:13], v[4:5] op_sel:[1,0] op_sel_hi:[0,0]
	v_pk_add_f32 v[2:3], v[2:3], v[6:7]
	v_pk_fma_f32 v[6:7], v[12:13], v[28:29], v[4:5] neg_lo:[0,0,1] neg_hi:[0,0,1]
	v_pk_fma_f32 v[4:5], v[12:13], v[28:29], v[4:5] op_sel_hi:[1,0,1]
	s_nop 0
	v_mov_b32_e32 v7, v5
	v_pk_add_f32 v[2:3], v[2:3], v[6:7]
	s_waitcnt vmcnt(0)
	v_pk_add_f32 v[2:3], v[112:113], v[2:3] neg_lo:[0,1] neg_hi:[0,1]
	scratch_store_dwordx2 off, v[2:3], off offset:168
	s_and_saveexec_b64 s[0:1], vcc
	s_cbranch_execz .LBB51_285
; %bb.284:
	scratch_load_dwordx2 v[2:3], off, off offset:160
	v_mov_b32_e32 v4, 0
	v_mov_b32_e32 v5, v4
	scratch_store_dwordx2 off, v[4:5], off offset:160
	s_waitcnt vmcnt(1)
	ds_write_b64 v1, v[2:3]
.LBB51_285:
	s_or_b64 exec, exec, s[0:1]
	s_waitcnt lgkmcnt(0)
	; wave barrier
	scratch_load_dwordx4 v[2:5], off, off offset:168
	scratch_load_dwordx4 v[6:9], off, off offset:184
	;; [unrolled: 1-line block ×15, first 2 shown]
	scratch_load_dwordx2 v[62:63], off, off offset:408
	scratch_load_dwordx2 v[112:113], off, off offset:160
	v_mov_b32_e32 v114, 0
	ds_read2_b64 v[64:67], v114 offset0:73 offset1:74
	ds_read2_b64 v[68:71], v114 offset0:75 offset1:76
	;; [unrolled: 1-line block ×12, first 2 shown]
	v_cmp_lt_u32_e32 vcc, 19, v0
	s_waitcnt vmcnt(16) lgkmcnt(11)
	v_mul_f32_e32 v115, v64, v3
	v_mul_f32_e32 v116, v66, v5
	;; [unrolled: 1-line block ×3, first 2 shown]
	v_fmac_f32_e32 v115, v65, v2
	s_waitcnt vmcnt(15) lgkmcnt(10)
	v_mul_f32_e32 v118, v68, v7
	v_fmac_f32_e32 v116, v67, v4
	v_fma_f32 v2, v64, v2, -v3
	v_add_f32_e32 v3, 0, v115
	v_mul_f32_e32 v120, v70, v9
	v_fmac_f32_e32 v118, v69, v6
	v_add_f32_e32 v3, v3, v116
	s_waitcnt vmcnt(14) lgkmcnt(9)
	v_mul_f32_e32 v121, v72, v11
	v_fmac_f32_e32 v120, v71, v8
	v_add_f32_e32 v3, v3, v118
	v_mul_f32_e32 v122, v74, v13
	v_fmac_f32_e32 v121, v73, v10
	v_add_f32_e32 v3, v3, v120
	s_waitcnt vmcnt(13) lgkmcnt(8)
	v_mul_f32_e32 v123, v76, v15
	v_fmac_f32_e32 v122, v75, v12
	;; [unrolled: 7-line block ×9, first 2 shown]
	v_add_f32_e32 v3, v3, v135
	v_mul_f32_e32 v5, v67, v5
	v_fmac_f32_e32 v137, v105, v58
	v_add_f32_e32 v3, v3, v136
	v_add_f32_e32 v2, 0, v2
	;; [unrolled: 1-line block ×3, first 2 shown]
	v_fma_f32 v3, v66, v4, -v5
	v_add_f32_e32 v2, v2, v3
	v_mul_f32_e32 v3, v69, v7
	v_fma_f32 v3, v68, v6, -v3
	v_add_f32_e32 v2, v2, v3
	v_mul_f32_e32 v3, v71, v9
	;; [unrolled: 3-line block ×20, first 2 shown]
	v_mul_f32_e32 v117, v106, v61
	v_fma_f32 v116, v106, v60, -v2
	s_waitcnt vmcnt(5) lgkmcnt(0)
	v_mul_f32_e32 v2, v109, v55
	v_mov_b32_e32 v18, v57
	v_mul_f32_e32 v119, v108, v55
	v_fmac_f32_e32 v117, v107, v60
	v_fma_f32 v118, v108, v54, -v2
	ds_read2_b64 v[2:5], v114 offset0:97 offset1:98
	ds_read2_b64 v[6:9], v114 offset0:99 offset1:100
	;; [unrolled: 1-line block ×3, first 2 shown]
	ds_read_b64 v[14:15], v114 offset:824
	v_pk_mul_f32 v[18:19], v[110:111], v[18:19] op_sel:[1,0] op_sel_hi:[0,0]
	v_fmac_f32_e32 v119, v109, v54
	v_pk_add_f32 v[16:17], v[64:65], v[116:117]
	v_pk_fma_f32 v[20:21], v[110:111], v[56:57], v[18:19] neg_lo:[0,0,1] neg_hi:[0,0,1]
	v_pk_fma_f32 v[18:19], v[110:111], v[56:57], v[18:19] op_sel_hi:[1,0,1]
	v_pk_add_f32 v[16:17], v[16:17], v[118:119]
	v_mov_b32_e32 v21, v19
	s_waitcnt vmcnt(4) lgkmcnt(3)
	v_pk_mul_f32 v[18:19], v[2:3], v[50:51] op_sel:[1,1] op_sel_hi:[0,1]
	v_pk_add_f32 v[16:17], v[16:17], v[20:21]
	v_pk_fma_f32 v[20:21], v[2:3], v[50:51], v[18:19] neg_lo:[0,0,1] neg_hi:[0,0,1]
	v_pk_fma_f32 v[2:3], v[2:3], v[50:51], v[18:19] op_sel_hi:[1,0,1]
	s_nop 0
	v_mov_b32_e32 v21, v3
	v_pk_add_f32 v[2:3], v[16:17], v[20:21]
	v_mov_b32_e32 v16, v53
	v_pk_mul_f32 v[16:17], v[4:5], v[16:17] op_sel:[1,0] op_sel_hi:[0,0]
	v_pk_fma_f32 v[18:19], v[4:5], v[52:53], v[16:17] neg_lo:[0,0,1] neg_hi:[0,0,1]
	v_pk_fma_f32 v[4:5], v[4:5], v[52:53], v[16:17] op_sel_hi:[1,0,1]
	s_nop 0
	v_mov_b32_e32 v19, v5
	s_waitcnt vmcnt(3) lgkmcnt(2)
	v_pk_mul_f32 v[4:5], v[6:7], v[38:39] op_sel:[1,1] op_sel_hi:[0,1]
	v_pk_fma_f32 v[16:17], v[6:7], v[38:39], v[4:5] neg_lo:[0,0,1] neg_hi:[0,0,1]
	v_pk_fma_f32 v[4:5], v[6:7], v[38:39], v[4:5] op_sel_hi:[1,0,1]
	v_pk_add_f32 v[2:3], v[2:3], v[18:19]
	v_mov_b32_e32 v4, v41
	v_mov_b32_e32 v17, v5
	v_pk_mul_f32 v[4:5], v[8:9], v[4:5] op_sel:[1,0] op_sel_hi:[0,0]
	v_pk_fma_f32 v[6:7], v[8:9], v[40:41], v[4:5] neg_lo:[0,0,1] neg_hi:[0,0,1]
	v_pk_fma_f32 v[4:5], v[8:9], v[40:41], v[4:5] op_sel_hi:[1,0,1]
	v_pk_add_f32 v[2:3], v[2:3], v[16:17]
	v_mov_b32_e32 v7, v5
	s_waitcnt vmcnt(2) lgkmcnt(1)
	v_pk_mul_f32 v[4:5], v[10:11], v[26:27] op_sel:[1,1] op_sel_hi:[0,1]
	v_pk_add_f32 v[2:3], v[2:3], v[6:7]
	v_pk_fma_f32 v[6:7], v[10:11], v[26:27], v[4:5] neg_lo:[0,0,1] neg_hi:[0,0,1]
	v_pk_fma_f32 v[4:5], v[10:11], v[26:27], v[4:5] op_sel_hi:[1,0,1]
	s_nop 0
	v_mov_b32_e32 v4, v29
	v_mov_b32_e32 v7, v5
	v_pk_mul_f32 v[4:5], v[12:13], v[4:5] op_sel:[1,0] op_sel_hi:[0,0]
	v_pk_add_f32 v[2:3], v[2:3], v[6:7]
	v_pk_fma_f32 v[6:7], v[12:13], v[28:29], v[4:5] neg_lo:[0,0,1] neg_hi:[0,0,1]
	v_pk_fma_f32 v[4:5], v[12:13], v[28:29], v[4:5] op_sel_hi:[1,0,1]
	s_nop 0
	v_mov_b32_e32 v7, v5
	s_waitcnt vmcnt(1) lgkmcnt(0)
	v_pk_mul_f32 v[4:5], v[14:15], v[62:63] op_sel:[1,1] op_sel_hi:[0,1]
	v_pk_add_f32 v[2:3], v[2:3], v[6:7]
	v_pk_fma_f32 v[6:7], v[14:15], v[62:63], v[4:5] neg_lo:[0,0,1] neg_hi:[0,0,1]
	v_pk_fma_f32 v[4:5], v[14:15], v[62:63], v[4:5] op_sel_hi:[1,0,1]
	s_nop 0
	v_mov_b32_e32 v7, v5
	v_pk_add_f32 v[2:3], v[2:3], v[6:7]
	s_waitcnt vmcnt(0)
	v_pk_add_f32 v[2:3], v[112:113], v[2:3] neg_lo:[0,1] neg_hi:[0,1]
	scratch_store_dwordx2 off, v[2:3], off offset:160
	s_and_saveexec_b64 s[0:1], vcc
	s_cbranch_execz .LBB51_287
; %bb.286:
	scratch_load_dwordx2 v[2:3], off, off offset:152
	v_mov_b32_e32 v115, v114
	scratch_store_dwordx2 off, v[114:115], off offset:152
	s_waitcnt vmcnt(1)
	ds_write_b64 v1, v[2:3]
.LBB51_287:
	s_or_b64 exec, exec, s[0:1]
	s_waitcnt lgkmcnt(0)
	; wave barrier
	scratch_load_dwordx4 v[2:5], off, off offset:160
	scratch_load_dwordx4 v[6:9], off, off offset:176
	;; [unrolled: 1-line block ×12, first 2 shown]
	ds_read_b128 v[110:113], v114 offset:576
	ds_read_b128 v[106:109], v114 offset:592
	;; [unrolled: 1-line block ×12, first 2 shown]
	scratch_load_dwordx4 v[62:65], off, off offset:352
	scratch_load_dwordx4 v[54:57], off, off offset:368
	;; [unrolled: 1-line block ×4, first 2 shown]
	scratch_load_dwordx2 v[116:117], off, off offset:152
	v_cmp_lt_u32_e32 vcc, 18, v0
	s_waitcnt vmcnt(16) lgkmcnt(11)
	v_mul_f32_e32 v115, v110, v3
	v_mul_f32_e32 v118, v112, v5
	;; [unrolled: 1-line block ×3, first 2 shown]
	v_fmac_f32_e32 v115, v111, v2
	s_waitcnt vmcnt(15) lgkmcnt(10)
	v_mul_f32_e32 v120, v106, v7
	v_fmac_f32_e32 v118, v113, v4
	v_fma_f32 v2, v110, v2, -v3
	v_add_f32_e32 v3, 0, v115
	v_mul_f32_e32 v122, v108, v9
	v_fmac_f32_e32 v120, v107, v6
	v_add_f32_e32 v3, v3, v118
	s_waitcnt vmcnt(14) lgkmcnt(9)
	v_mul_f32_e32 v123, v102, v11
	v_fmac_f32_e32 v122, v109, v8
	v_add_f32_e32 v3, v3, v120
	v_mul_f32_e32 v124, v104, v13
	v_fmac_f32_e32 v123, v103, v10
	v_add_f32_e32 v3, v3, v122
	s_waitcnt vmcnt(13) lgkmcnt(8)
	v_mul_f32_e32 v125, v98, v15
	v_fmac_f32_e32 v124, v105, v12
	;; [unrolled: 7-line block ×9, first 2 shown]
	v_add_f32_e32 v3, v3, v137
	v_mul_f32_e32 v140, v72, v53
	v_fmac_f32_e32 v139, v71, v50
	v_add_f32_e32 v3, v3, v138
	v_fmac_f32_e32 v140, v73, v52
	v_add_f32_e32 v3, v3, v139
	v_add_f32_e32 v111, v3, v140
	v_mul_f32_e32 v3, v113, v5
	v_add_f32_e32 v2, 0, v2
	v_fma_f32 v3, v112, v4, -v3
	v_add_f32_e32 v2, v2, v3
	v_mul_f32_e32 v3, v107, v7
	v_fma_f32 v3, v106, v6, -v3
	v_add_f32_e32 v2, v2, v3
	v_mul_f32_e32 v3, v109, v9
	;; [unrolled: 3-line block ×20, first 2 shown]
	v_fma_f32 v3, v72, v52, -v3
	v_add_f32_e32 v110, v2, v3
	s_waitcnt vmcnt(5) lgkmcnt(0)
	v_mul_f32_e32 v2, v67, v59
	v_fma_f32 v118, v66, v58, -v2
	v_mul_f32_e32 v2, v69, v61
	v_fma_f32 v120, v68, v60, -v2
	ds_read_b128 v[2:5], v114 offset:768
	ds_read_b128 v[6:9], v114 offset:784
	;; [unrolled: 1-line block ×4, first 2 shown]
	v_mul_f32_e32 v119, v66, v59
	v_mul_f32_e32 v121, v68, v61
	v_fmac_f32_e32 v119, v67, v58
	s_waitcnt vmcnt(4) lgkmcnt(3)
	v_pk_mul_f32 v[20:21], v[2:3], v[62:63] op_sel:[1,1] op_sel_hi:[0,1]
	v_fmac_f32_e32 v121, v69, v60
	v_pk_add_f32 v[18:19], v[110:111], v[118:119]
	v_pk_fma_f32 v[22:23], v[2:3], v[62:63], v[20:21] neg_lo:[0,0,1] neg_hi:[0,0,1]
	v_pk_fma_f32 v[2:3], v[2:3], v[62:63], v[20:21] op_sel_hi:[1,0,1]
	v_pk_add_f32 v[18:19], v[18:19], v[120:121]
	v_mov_b32_e32 v23, v3
	v_pk_add_f32 v[2:3], v[18:19], v[22:23]
	v_mov_b32_e32 v18, v65
	v_pk_mul_f32 v[18:19], v[4:5], v[18:19] op_sel:[1,0] op_sel_hi:[0,0]
	v_pk_fma_f32 v[20:21], v[4:5], v[64:65], v[18:19] neg_lo:[0,0,1] neg_hi:[0,0,1]
	v_pk_fma_f32 v[4:5], v[4:5], v[64:65], v[18:19] op_sel_hi:[1,0,1]
	s_nop 0
	v_mov_b32_e32 v21, v5
	s_waitcnt vmcnt(3) lgkmcnt(2)
	v_pk_mul_f32 v[4:5], v[6:7], v[54:55] op_sel:[1,1] op_sel_hi:[0,1]
	v_pk_fma_f32 v[18:19], v[6:7], v[54:55], v[4:5] neg_lo:[0,0,1] neg_hi:[0,0,1]
	v_pk_fma_f32 v[4:5], v[6:7], v[54:55], v[4:5] op_sel_hi:[1,0,1]
	v_pk_add_f32 v[2:3], v[2:3], v[20:21]
	v_mov_b32_e32 v4, v57
	v_mov_b32_e32 v19, v5
	v_pk_mul_f32 v[4:5], v[8:9], v[4:5] op_sel:[1,0] op_sel_hi:[0,0]
	v_pk_fma_f32 v[6:7], v[8:9], v[56:57], v[4:5] neg_lo:[0,0,1] neg_hi:[0,0,1]
	v_pk_fma_f32 v[4:5], v[8:9], v[56:57], v[4:5] op_sel_hi:[1,0,1]
	v_pk_add_f32 v[2:3], v[2:3], v[18:19]
	v_mov_b32_e32 v7, v5
	s_waitcnt vmcnt(2) lgkmcnt(1)
	v_pk_mul_f32 v[4:5], v[10:11], v[42:43] op_sel:[1,1] op_sel_hi:[0,1]
	v_pk_add_f32 v[2:3], v[2:3], v[6:7]
	v_pk_fma_f32 v[6:7], v[10:11], v[42:43], v[4:5] neg_lo:[0,0,1] neg_hi:[0,0,1]
	v_pk_fma_f32 v[4:5], v[10:11], v[42:43], v[4:5] op_sel_hi:[1,0,1]
	s_nop 0
	v_mov_b32_e32 v4, v45
	v_mov_b32_e32 v7, v5
	v_pk_mul_f32 v[4:5], v[12:13], v[4:5] op_sel:[1,0] op_sel_hi:[0,0]
	v_pk_add_f32 v[2:3], v[2:3], v[6:7]
	v_pk_fma_f32 v[6:7], v[12:13], v[44:45], v[4:5] neg_lo:[0,0,1] neg_hi:[0,0,1]
	v_pk_fma_f32 v[4:5], v[12:13], v[44:45], v[4:5] op_sel_hi:[1,0,1]
	s_nop 0
	v_mov_b32_e32 v7, v5
	s_waitcnt vmcnt(1) lgkmcnt(0)
	v_pk_mul_f32 v[4:5], v[14:15], v[34:35] op_sel:[1,1] op_sel_hi:[0,1]
	v_pk_add_f32 v[2:3], v[2:3], v[6:7]
	v_pk_fma_f32 v[6:7], v[14:15], v[34:35], v[4:5] neg_lo:[0,0,1] neg_hi:[0,0,1]
	v_pk_fma_f32 v[4:5], v[14:15], v[34:35], v[4:5] op_sel_hi:[1,0,1]
	s_nop 0
	v_mov_b32_e32 v4, v37
	v_mov_b32_e32 v7, v5
	v_pk_mul_f32 v[4:5], v[16:17], v[4:5] op_sel:[1,0] op_sel_hi:[0,0]
	v_pk_add_f32 v[2:3], v[2:3], v[6:7]
	v_pk_fma_f32 v[6:7], v[16:17], v[36:37], v[4:5] neg_lo:[0,0,1] neg_hi:[0,0,1]
	v_pk_fma_f32 v[4:5], v[16:17], v[36:37], v[4:5] op_sel_hi:[1,0,1]
	s_nop 0
	v_mov_b32_e32 v7, v5
	v_pk_add_f32 v[2:3], v[2:3], v[6:7]
	s_waitcnt vmcnt(0)
	v_pk_add_f32 v[2:3], v[116:117], v[2:3] neg_lo:[0,1] neg_hi:[0,1]
	scratch_store_dwordx2 off, v[2:3], off offset:152
	s_and_saveexec_b64 s[0:1], vcc
	s_cbranch_execz .LBB51_289
; %bb.288:
	scratch_load_dwordx2 v[2:3], off, off offset:144
	v_mov_b32_e32 v4, 0
	v_mov_b32_e32 v5, v4
	scratch_store_dwordx2 off, v[4:5], off offset:144
	s_waitcnt vmcnt(1)
	ds_write_b64 v1, v[2:3]
.LBB51_289:
	s_or_b64 exec, exec, s[0:1]
	s_waitcnt lgkmcnt(0)
	; wave barrier
	scratch_load_dwordx4 v[2:5], off, off offset:152
	scratch_load_dwordx4 v[6:9], off, off offset:168
	scratch_load_dwordx4 v[10:13], off, off offset:184
	scratch_load_dwordx4 v[14:17], off, off offset:200
	scratch_load_dwordx4 v[18:21], off, off offset:216
	scratch_load_dwordx4 v[22:25], off, off offset:232
	scratch_load_dwordx4 v[26:29], off, off offset:248
	scratch_load_dwordx4 v[30:33], off, off offset:264
	scratch_load_dwordx4 v[34:37], off, off offset:280
	scratch_load_dwordx4 v[38:41], off, off offset:296
	scratch_load_dwordx4 v[42:45], off, off offset:312
	scratch_load_dwordx4 v[46:49], off, off offset:328
	scratch_load_dwordx4 v[50:53], off, off offset:344
	v_mov_b32_e32 v106, 0
	scratch_load_dwordx2 v[124:125], off, off offset:144
	ds_read2_b64 v[54:57], v106 offset0:71 offset1:72
	ds_read2_b64 v[58:61], v106 offset0:73 offset1:74
	;; [unrolled: 1-line block ×14, first 2 shown]
	v_cmp_lt_u32_e32 vcc, 17, v0
	s_waitcnt vmcnt(13) lgkmcnt(13)
	v_mul_f32_e32 v107, v54, v3
	v_mul_f32_e32 v112, v56, v5
	v_fmac_f32_e32 v107, v55, v2
	s_waitcnt vmcnt(12) lgkmcnt(12)
	v_mul_f32_e32 v113, v58, v7
	v_fmac_f32_e32 v112, v57, v4
	v_add_f32_e32 v107, 0, v107
	v_mul_f32_e32 v114, v60, v9
	v_fmac_f32_e32 v113, v59, v6
	v_add_f32_e32 v107, v107, v112
	s_waitcnt vmcnt(11) lgkmcnt(11)
	v_mul_f32_e32 v115, v62, v11
	v_fmac_f32_e32 v114, v61, v8
	v_add_f32_e32 v107, v107, v113
	v_mul_f32_e32 v116, v64, v13
	v_fmac_f32_e32 v115, v63, v10
	v_add_f32_e32 v107, v107, v114
	;; [unrolled: 7-line block ×8, first 2 shown]
	s_waitcnt vmcnt(4) lgkmcnt(4)
	v_mul_f32_e32 v133, v90, v39
	v_fmac_f32_e32 v132, v89, v36
	v_add_f32_e32 v107, v107, v131
	v_fmac_f32_e32 v133, v91, v38
	v_add_f32_e32 v107, v107, v132
	v_add_f32_e32 v107, v107, v133
	scratch_load_dwordx4 v[112:115], off, off offset:360
	scratch_load_dwordx4 v[116:119], off, off offset:376
	;; [unrolled: 1-line block ×3, first 2 shown]
	scratch_load_dwordx2 v[132:133], off, off offset:408
	v_mul_f32_e32 v3, v55, v3
	v_fma_f32 v2, v54, v2, -v3
	v_mul_f32_e32 v3, v57, v5
	v_add_f32_e32 v2, 0, v2
	v_fma_f32 v3, v56, v4, -v3
	v_add_f32_e32 v2, v2, v3
	v_mul_f32_e32 v3, v59, v7
	v_fma_f32 v3, v58, v6, -v3
	v_add_f32_e32 v2, v2, v3
	v_mul_f32_e32 v3, v61, v9
	;; [unrolled: 3-line block ×18, first 2 shown]
	v_fma_f32 v3, v92, v40, -v3
	v_add_f32_e32 v2, v2, v3
	s_waitcnt vmcnt(7) lgkmcnt(3)
	v_mul_f32_e32 v3, v95, v43
	v_fma_f32 v3, v94, v42, -v3
	v_mul_f32_e32 v134, v92, v41
	v_add_f32_e32 v2, v2, v3
	v_mul_f32_e32 v3, v97, v45
	v_mul_f32_e32 v135, v94, v43
	v_fmac_f32_e32 v134, v93, v40
	v_fma_f32 v3, v96, v44, -v3
	v_mul_f32_e32 v136, v96, v45
	v_fmac_f32_e32 v135, v95, v42
	v_add_f32_e32 v107, v107, v134
	v_add_f32_e32 v2, v2, v3
	s_waitcnt vmcnt(6) lgkmcnt(2)
	v_mul_f32_e32 v3, v99, v47
	v_mul_f32_e32 v137, v98, v47
	v_fmac_f32_e32 v136, v97, v44
	v_add_f32_e32 v107, v107, v135
	v_fma_f32 v3, v98, v46, -v3
	v_mul_f32_e32 v127, v100, v49
	v_fmac_f32_e32 v137, v99, v46
	v_add_f32_e32 v107, v107, v136
	v_add_f32_e32 v130, v2, v3
	v_mul_f32_e32 v2, v101, v49
	s_waitcnt vmcnt(5)
	v_mov_b32_e32 v14, v53
	s_waitcnt lgkmcnt(1)
	v_mul_f32_e32 v129, v102, v51
	v_fmac_f32_e32 v127, v101, v48
	v_add_f32_e32 v131, v107, v137
	v_fma_f32 v126, v100, v48, -v2
	v_mul_f32_e32 v2, v103, v51
	v_pk_mul_f32 v[14:15], v[104:105], v[14:15] op_sel:[1,0] op_sel_hi:[0,0]
	v_fmac_f32_e32 v129, v103, v50
	v_fma_f32 v128, v102, v50, -v2
	v_pk_add_f32 v[12:13], v[130:131], v[126:127]
	v_pk_fma_f32 v[16:17], v[104:105], v[52:53], v[14:15] neg_lo:[0,0,1] neg_hi:[0,0,1]
	v_pk_fma_f32 v[14:15], v[104:105], v[52:53], v[14:15] op_sel_hi:[1,0,1]
	v_pk_add_f32 v[12:13], v[12:13], v[128:129]
	v_mov_b32_e32 v17, v15
	s_waitcnt vmcnt(3) lgkmcnt(0)
	v_pk_mul_f32 v[14:15], v[108:109], v[112:113] op_sel:[1,1] op_sel_hi:[0,1]
	v_pk_add_f32 v[12:13], v[12:13], v[16:17]
	v_pk_fma_f32 v[16:17], v[108:109], v[112:113], v[14:15] neg_lo:[0,0,1] neg_hi:[0,0,1]
	v_pk_fma_f32 v[14:15], v[108:109], v[112:113], v[14:15] op_sel_hi:[1,0,1]
	ds_read2_b64 v[2:5], v106 offset0:99 offset1:100
	ds_read2_b64 v[6:9], v106 offset0:101 offset1:102
	ds_read_b64 v[10:11], v106 offset:824
	v_mov_b32_e32 v14, v115
	v_mov_b32_e32 v17, v15
	v_pk_mul_f32 v[14:15], v[110:111], v[14:15] op_sel:[1,0] op_sel_hi:[0,0]
	v_pk_add_f32 v[12:13], v[12:13], v[16:17]
	v_pk_fma_f32 v[16:17], v[110:111], v[114:115], v[14:15] neg_lo:[0,0,1] neg_hi:[0,0,1]
	v_pk_fma_f32 v[14:15], v[110:111], v[114:115], v[14:15] op_sel_hi:[1,0,1]
	s_nop 0
	v_mov_b32_e32 v17, v15
	s_waitcnt vmcnt(2) lgkmcnt(2)
	v_pk_mul_f32 v[14:15], v[2:3], v[116:117] op_sel:[1,1] op_sel_hi:[0,1]
	v_pk_add_f32 v[12:13], v[12:13], v[16:17]
	v_pk_fma_f32 v[16:17], v[2:3], v[116:117], v[14:15] neg_lo:[0,0,1] neg_hi:[0,0,1]
	v_pk_fma_f32 v[2:3], v[2:3], v[116:117], v[14:15] op_sel_hi:[1,0,1]
	s_nop 0
	v_mov_b32_e32 v17, v3
	v_pk_add_f32 v[2:3], v[12:13], v[16:17]
	v_mov_b32_e32 v12, v119
	v_pk_mul_f32 v[12:13], v[4:5], v[12:13] op_sel:[1,0] op_sel_hi:[0,0]
	v_pk_fma_f32 v[14:15], v[4:5], v[118:119], v[12:13] neg_lo:[0,0,1] neg_hi:[0,0,1]
	v_pk_fma_f32 v[4:5], v[4:5], v[118:119], v[12:13] op_sel_hi:[1,0,1]
	s_nop 0
	v_mov_b32_e32 v15, v5
	s_waitcnt vmcnt(1) lgkmcnt(1)
	v_pk_mul_f32 v[4:5], v[6:7], v[120:121] op_sel:[1,1] op_sel_hi:[0,1]
	v_pk_fma_f32 v[12:13], v[6:7], v[120:121], v[4:5] neg_lo:[0,0,1] neg_hi:[0,0,1]
	v_pk_fma_f32 v[4:5], v[6:7], v[120:121], v[4:5] op_sel_hi:[1,0,1]
	v_pk_add_f32 v[2:3], v[2:3], v[14:15]
	v_mov_b32_e32 v4, v123
	v_mov_b32_e32 v13, v5
	v_pk_mul_f32 v[4:5], v[8:9], v[4:5] op_sel:[1,0] op_sel_hi:[0,0]
	v_pk_fma_f32 v[6:7], v[8:9], v[122:123], v[4:5] neg_lo:[0,0,1] neg_hi:[0,0,1]
	v_pk_fma_f32 v[4:5], v[8:9], v[122:123], v[4:5] op_sel_hi:[1,0,1]
	v_pk_add_f32 v[2:3], v[2:3], v[12:13]
	v_mov_b32_e32 v7, v5
	s_waitcnt vmcnt(0) lgkmcnt(0)
	v_pk_mul_f32 v[4:5], v[10:11], v[132:133] op_sel:[1,1] op_sel_hi:[0,1]
	v_pk_add_f32 v[2:3], v[2:3], v[6:7]
	v_pk_fma_f32 v[6:7], v[10:11], v[132:133], v[4:5] neg_lo:[0,0,1] neg_hi:[0,0,1]
	v_pk_fma_f32 v[4:5], v[10:11], v[132:133], v[4:5] op_sel_hi:[1,0,1]
	s_nop 0
	v_mov_b32_e32 v7, v5
	v_pk_add_f32 v[2:3], v[2:3], v[6:7]
	s_nop 0
	v_pk_add_f32 v[2:3], v[124:125], v[2:3] neg_lo:[0,1] neg_hi:[0,1]
	scratch_store_dwordx2 off, v[2:3], off offset:144
	s_and_saveexec_b64 s[0:1], vcc
	s_cbranch_execz .LBB51_291
; %bb.290:
	scratch_load_dwordx2 v[2:3], off, off offset:136
	v_mov_b32_e32 v107, v106
	scratch_store_dwordx2 off, v[106:107], off offset:136
	s_waitcnt vmcnt(1)
	ds_write_b64 v1, v[2:3]
.LBB51_291:
	s_or_b64 exec, exec, s[0:1]
	s_waitcnt lgkmcnt(0)
	; wave barrier
	scratch_load_dwordx4 v[2:5], off, off offset:144
	scratch_load_dwordx4 v[6:9], off, off offset:160
	;; [unrolled: 1-line block ×13, first 2 shown]
	ds_read_b128 v[102:105], v106 offset:560
	ds_read_b128 v[98:101], v106 offset:576
	;; [unrolled: 1-line block ×14, first 2 shown]
	scratch_load_dwordx2 v[128:129], off, off offset:136
	v_cmp_lt_u32_e32 vcc, 16, v0
	s_waitcnt vmcnt(13) lgkmcnt(13)
	v_mul_f32_e32 v107, v102, v3
	v_mul_f32_e32 v112, v104, v5
	v_fmac_f32_e32 v107, v103, v2
	s_waitcnt vmcnt(12) lgkmcnt(12)
	v_mul_f32_e32 v113, v98, v7
	v_fmac_f32_e32 v112, v105, v4
	v_add_f32_e32 v107, 0, v107
	v_mul_f32_e32 v114, v100, v9
	v_fmac_f32_e32 v113, v99, v6
	v_add_f32_e32 v107, v107, v112
	s_waitcnt vmcnt(11) lgkmcnt(11)
	v_mul_f32_e32 v115, v94, v11
	v_fmac_f32_e32 v114, v101, v8
	v_add_f32_e32 v107, v107, v113
	v_mul_f32_e32 v116, v96, v13
	v_fmac_f32_e32 v115, v95, v10
	v_add_f32_e32 v107, v107, v114
	;; [unrolled: 7-line block ×7, first 2 shown]
	s_waitcnt vmcnt(5) lgkmcnt(5)
	v_mul_f32_e32 v127, v70, v35
	v_fmac_f32_e32 v126, v77, v32
	v_add_f32_e32 v107, v107, v125
	v_fmac_f32_e32 v127, v71, v34
	v_add_f32_e32 v107, v107, v126
	v_add_f32_e32 v107, v107, v127
	scratch_load_dwordx4 v[112:115], off, off offset:352
	scratch_load_dwordx4 v[116:119], off, off offset:368
	;; [unrolled: 1-line block ×4, first 2 shown]
	v_mul_f32_e32 v3, v103, v3
	v_fma_f32 v2, v102, v2, -v3
	v_mul_f32_e32 v3, v105, v5
	v_add_f32_e32 v2, 0, v2
	v_fma_f32 v3, v104, v4, -v3
	v_add_f32_e32 v2, v2, v3
	v_mul_f32_e32 v3, v99, v7
	v_fma_f32 v3, v98, v6, -v3
	v_add_f32_e32 v2, v2, v3
	v_mul_f32_e32 v3, v101, v9
	;; [unrolled: 3-line block ×16, first 2 shown]
	v_fma_f32 v3, v72, v36, -v3
	v_add_f32_e32 v2, v2, v3
	s_waitcnt vmcnt(8) lgkmcnt(4)
	v_mul_f32_e32 v3, v67, v39
	v_fma_f32 v3, v66, v38, -v3
	v_add_f32_e32 v2, v2, v3
	v_mul_f32_e32 v3, v69, v41
	v_fma_f32 v3, v68, v40, -v3
	v_add_f32_e32 v2, v2, v3
	s_waitcnt vmcnt(7) lgkmcnt(3)
	v_mul_f32_e32 v3, v63, v43
	v_mul_f32_e32 v130, v72, v37
	v_fma_f32 v3, v62, v42, -v3
	v_mul_f32_e32 v132, v66, v39
	v_fmac_f32_e32 v130, v73, v36
	v_add_f32_e32 v2, v2, v3
	v_mul_f32_e32 v3, v65, v45
	v_mul_f32_e32 v134, v68, v41
	v_fmac_f32_e32 v132, v67, v38
	v_add_f32_e32 v107, v107, v130
	v_fma_f32 v3, v64, v44, -v3
	v_mul_f32_e32 v135, v62, v43
	v_fmac_f32_e32 v134, v69, v40
	v_add_f32_e32 v107, v107, v132
	v_add_f32_e32 v2, v2, v3
	s_waitcnt vmcnt(6) lgkmcnt(2)
	v_mul_f32_e32 v3, v59, v47
	v_mul_f32_e32 v136, v64, v45
	v_fmac_f32_e32 v135, v63, v42
	v_add_f32_e32 v107, v107, v134
	v_fma_f32 v3, v58, v46, -v3
	v_mul_f32_e32 v137, v58, v47
	v_fmac_f32_e32 v136, v65, v44
	v_add_f32_e32 v107, v107, v135
	v_add_f32_e32 v2, v2, v3
	v_mul_f32_e32 v3, v61, v49
	v_mul_f32_e32 v138, v60, v49
	v_fmac_f32_e32 v137, v59, v46
	v_add_f32_e32 v107, v107, v136
	v_fma_f32 v3, v60, v48, -v3
	s_waitcnt vmcnt(5) lgkmcnt(1)
	v_mul_f32_e32 v131, v54, v51
	v_fmac_f32_e32 v138, v61, v48
	v_add_f32_e32 v107, v107, v137
	v_add_f32_e32 v134, v2, v3
	v_mul_f32_e32 v2, v55, v51
	s_waitcnt vmcnt(3) lgkmcnt(0)
	v_pk_mul_f32 v[16:17], v[108:109], v[112:113] op_sel:[1,1] op_sel_hi:[0,1]
	v_mul_f32_e32 v133, v56, v53
	v_fmac_f32_e32 v131, v55, v50
	v_add_f32_e32 v135, v107, v138
	v_fma_f32 v130, v54, v50, -v2
	v_mul_f32_e32 v2, v57, v53
	v_pk_fma_f32 v[18:19], v[108:109], v[112:113], v[16:17] neg_lo:[0,0,1] neg_hi:[0,0,1]
	v_pk_fma_f32 v[16:17], v[108:109], v[112:113], v[16:17] op_sel_hi:[1,0,1]
	v_fmac_f32_e32 v133, v57, v52
	v_fma_f32 v132, v56, v52, -v2
	ds_read_b128 v[2:5], v106 offset:784
	ds_read_b128 v[6:9], v106 offset:800
	;; [unrolled: 1-line block ×3, first 2 shown]
	v_pk_add_f32 v[14:15], v[134:135], v[130:131]
	v_mov_b32_e32 v16, v115
	v_pk_add_f32 v[14:15], v[14:15], v[132:133]
	v_mov_b32_e32 v19, v17
	v_pk_mul_f32 v[16:17], v[110:111], v[16:17] op_sel:[1,0] op_sel_hi:[0,0]
	v_pk_add_f32 v[14:15], v[14:15], v[18:19]
	v_pk_fma_f32 v[18:19], v[110:111], v[114:115], v[16:17] neg_lo:[0,0,1] neg_hi:[0,0,1]
	v_pk_fma_f32 v[16:17], v[110:111], v[114:115], v[16:17] op_sel_hi:[1,0,1]
	s_nop 0
	v_mov_b32_e32 v19, v17
	s_waitcnt vmcnt(2) lgkmcnt(2)
	v_pk_mul_f32 v[16:17], v[2:3], v[116:117] op_sel:[1,1] op_sel_hi:[0,1]
	v_pk_add_f32 v[14:15], v[14:15], v[18:19]
	v_pk_fma_f32 v[18:19], v[2:3], v[116:117], v[16:17] neg_lo:[0,0,1] neg_hi:[0,0,1]
	v_pk_fma_f32 v[2:3], v[2:3], v[116:117], v[16:17] op_sel_hi:[1,0,1]
	s_nop 0
	v_mov_b32_e32 v19, v3
	v_pk_add_f32 v[2:3], v[14:15], v[18:19]
	v_mov_b32_e32 v14, v119
	v_pk_mul_f32 v[14:15], v[4:5], v[14:15] op_sel:[1,0] op_sel_hi:[0,0]
	v_pk_fma_f32 v[16:17], v[4:5], v[118:119], v[14:15] neg_lo:[0,0,1] neg_hi:[0,0,1]
	v_pk_fma_f32 v[4:5], v[4:5], v[118:119], v[14:15] op_sel_hi:[1,0,1]
	s_nop 0
	v_mov_b32_e32 v17, v5
	s_waitcnt vmcnt(1) lgkmcnt(1)
	v_pk_mul_f32 v[4:5], v[6:7], v[120:121] op_sel:[1,1] op_sel_hi:[0,1]
	v_pk_fma_f32 v[14:15], v[6:7], v[120:121], v[4:5] neg_lo:[0,0,1] neg_hi:[0,0,1]
	v_pk_fma_f32 v[4:5], v[6:7], v[120:121], v[4:5] op_sel_hi:[1,0,1]
	v_pk_add_f32 v[2:3], v[2:3], v[16:17]
	v_mov_b32_e32 v4, v123
	v_mov_b32_e32 v15, v5
	v_pk_mul_f32 v[4:5], v[8:9], v[4:5] op_sel:[1,0] op_sel_hi:[0,0]
	v_pk_fma_f32 v[6:7], v[8:9], v[122:123], v[4:5] neg_lo:[0,0,1] neg_hi:[0,0,1]
	v_pk_fma_f32 v[4:5], v[8:9], v[122:123], v[4:5] op_sel_hi:[1,0,1]
	v_pk_add_f32 v[2:3], v[2:3], v[14:15]
	v_mov_b32_e32 v7, v5
	s_waitcnt vmcnt(0) lgkmcnt(0)
	v_pk_mul_f32 v[4:5], v[10:11], v[124:125] op_sel:[1,1] op_sel_hi:[0,1]
	v_pk_add_f32 v[2:3], v[2:3], v[6:7]
	v_pk_fma_f32 v[6:7], v[10:11], v[124:125], v[4:5] neg_lo:[0,0,1] neg_hi:[0,0,1]
	v_pk_fma_f32 v[4:5], v[10:11], v[124:125], v[4:5] op_sel_hi:[1,0,1]
	s_nop 0
	v_mov_b32_e32 v4, v127
	v_mov_b32_e32 v7, v5
	v_pk_mul_f32 v[4:5], v[12:13], v[4:5] op_sel:[1,0] op_sel_hi:[0,0]
	v_pk_add_f32 v[2:3], v[2:3], v[6:7]
	v_pk_fma_f32 v[6:7], v[12:13], v[126:127], v[4:5] neg_lo:[0,0,1] neg_hi:[0,0,1]
	v_pk_fma_f32 v[4:5], v[12:13], v[126:127], v[4:5] op_sel_hi:[1,0,1]
	s_nop 0
	v_mov_b32_e32 v7, v5
	v_pk_add_f32 v[2:3], v[2:3], v[6:7]
	s_nop 0
	v_pk_add_f32 v[2:3], v[128:129], v[2:3] neg_lo:[0,1] neg_hi:[0,1]
	scratch_store_dwordx2 off, v[2:3], off offset:136
	s_and_saveexec_b64 s[0:1], vcc
	s_cbranch_execz .LBB51_293
; %bb.292:
	scratch_load_dwordx2 v[2:3], off, off offset:128
	v_mov_b32_e32 v4, 0
	v_mov_b32_e32 v5, v4
	scratch_store_dwordx2 off, v[4:5], off offset:128
	s_waitcnt vmcnt(1)
	ds_write_b64 v1, v[2:3]
.LBB51_293:
	s_or_b64 exec, exec, s[0:1]
	s_waitcnt lgkmcnt(0)
	; wave barrier
	scratch_load_dwordx4 v[2:5], off, off offset:136
	scratch_load_dwordx4 v[6:9], off, off offset:152
	;; [unrolled: 1-line block ×13, first 2 shown]
	v_mov_b32_e32 v114, 0
	scratch_load_dwordx4 v[54:57], off, off offset:344
	scratch_load_dwordx2 v[128:129], off, off offset:128
	ds_read2_b64 v[58:61], v114 offset0:69 offset1:70
	ds_read2_b64 v[62:65], v114 offset0:71 offset1:72
	;; [unrolled: 1-line block ×14, first 2 shown]
	v_cmp_lt_u32_e32 vcc, 15, v0
	s_waitcnt vmcnt(14) lgkmcnt(13)
	v_mul_f32_e32 v115, v58, v3
	v_mul_f32_e32 v116, v60, v5
	v_fmac_f32_e32 v115, v59, v2
	s_waitcnt vmcnt(13) lgkmcnt(12)
	v_mul_f32_e32 v117, v62, v7
	v_fmac_f32_e32 v116, v61, v4
	v_add_f32_e32 v115, 0, v115
	v_mul_f32_e32 v118, v64, v9
	v_fmac_f32_e32 v117, v63, v6
	v_add_f32_e32 v115, v115, v116
	s_waitcnt vmcnt(12) lgkmcnt(11)
	v_mul_f32_e32 v119, v66, v11
	v_fmac_f32_e32 v118, v65, v8
	v_add_f32_e32 v115, v115, v117
	v_mul_f32_e32 v120, v68, v13
	v_fmac_f32_e32 v119, v67, v10
	v_add_f32_e32 v115, v115, v118
	;; [unrolled: 7-line block ×6, first 2 shown]
	s_waitcnt vmcnt(7) lgkmcnt(6)
	v_mul_f32_e32 v131, v86, v31
	v_fmac_f32_e32 v130, v85, v28
	v_add_f32_e32 v115, v115, v127
	scratch_load_dwordx4 v[116:119], off, off offset:360
	v_mul_f32_e32 v132, v88, v33
	v_fmac_f32_e32 v131, v87, v30
	v_add_f32_e32 v115, v115, v130
	s_waitcnt vmcnt(7) lgkmcnt(5)
	v_mul_f32_e32 v133, v90, v35
	v_fmac_f32_e32 v132, v89, v32
	v_add_f32_e32 v115, v115, v131
	v_mul_f32_e32 v134, v92, v37
	v_fmac_f32_e32 v133, v91, v34
	v_add_f32_e32 v115, v115, v132
	s_waitcnt vmcnt(6) lgkmcnt(4)
	v_mul_f32_e32 v135, v94, v39
	v_fmac_f32_e32 v134, v93, v36
	v_add_f32_e32 v115, v115, v133
	;; [unrolled: 7-line block ×3, first 2 shown]
	v_fmac_f32_e32 v137, v99, v42
	v_add_f32_e32 v115, v115, v136
	v_add_f32_e32 v115, v115, v137
	scratch_load_dwordx4 v[120:123], off, off offset:376
	scratch_load_dwordx4 v[124:127], off, off offset:392
	scratch_load_dwordx2 v[136:137], off, off offset:408
	v_mul_f32_e32 v3, v59, v3
	v_fma_f32 v2, v58, v2, -v3
	v_mul_f32_e32 v3, v61, v5
	v_add_f32_e32 v2, 0, v2
	v_fma_f32 v3, v60, v4, -v3
	v_add_f32_e32 v2, v2, v3
	v_mul_f32_e32 v3, v63, v7
	v_fma_f32 v3, v62, v6, -v3
	v_add_f32_e32 v2, v2, v3
	v_mul_f32_e32 v3, v65, v9
	;; [unrolled: 3-line block ×20, first 2 shown]
	v_fma_f32 v3, v100, v44, -v3
	v_add_f32_e32 v2, v2, v3
	s_waitcnt vmcnt(7) lgkmcnt(2)
	v_mul_f32_e32 v3, v103, v47
	v_fma_f32 v3, v102, v46, -v3
	v_add_f32_e32 v2, v2, v3
	v_mul_f32_e32 v3, v105, v49
	v_mul_f32_e32 v138, v100, v45
	v_fma_f32 v3, v104, v48, -v3
	v_mul_f32_e32 v139, v102, v47
	v_fmac_f32_e32 v138, v101, v44
	v_add_f32_e32 v2, v2, v3
	s_waitcnt vmcnt(6) lgkmcnt(1)
	v_mul_f32_e32 v3, v107, v51
	v_mul_f32_e32 v140, v104, v49
	v_fmac_f32_e32 v139, v103, v46
	v_add_f32_e32 v115, v115, v138
	v_fma_f32 v3, v106, v50, -v3
	v_mul_f32_e32 v141, v106, v51
	v_fmac_f32_e32 v140, v105, v48
	v_add_f32_e32 v115, v115, v139
	v_add_f32_e32 v130, v2, v3
	v_mul_f32_e32 v2, v109, v53
	v_fmac_f32_e32 v141, v107, v50
	v_add_f32_e32 v115, v115, v140
	v_mul_f32_e32 v133, v108, v53
	v_fma_f32 v132, v108, v52, -v2
	s_waitcnt vmcnt(5) lgkmcnt(0)
	v_mul_f32_e32 v2, v111, v55
	v_mov_b32_e32 v18, v57
	v_add_f32_e32 v131, v115, v141
	v_fmac_f32_e32 v133, v109, v52
	v_mul_f32_e32 v135, v110, v55
	v_fma_f32 v134, v110, v54, -v2
	ds_read2_b64 v[2:5], v114 offset0:97 offset1:98
	ds_read2_b64 v[6:9], v114 offset0:99 offset1:100
	;; [unrolled: 1-line block ×3, first 2 shown]
	ds_read_b64 v[14:15], v114 offset:824
	v_pk_mul_f32 v[18:19], v[112:113], v[18:19] op_sel:[1,0] op_sel_hi:[0,0]
	v_fmac_f32_e32 v135, v111, v54
	v_pk_add_f32 v[16:17], v[130:131], v[132:133]
	v_pk_fma_f32 v[20:21], v[112:113], v[56:57], v[18:19] neg_lo:[0,0,1] neg_hi:[0,0,1]
	v_pk_fma_f32 v[18:19], v[112:113], v[56:57], v[18:19] op_sel_hi:[1,0,1]
	v_pk_add_f32 v[16:17], v[16:17], v[134:135]
	v_mov_b32_e32 v21, v19
	s_waitcnt vmcnt(3) lgkmcnt(3)
	v_pk_mul_f32 v[18:19], v[2:3], v[116:117] op_sel:[1,1] op_sel_hi:[0,1]
	v_pk_add_f32 v[16:17], v[16:17], v[20:21]
	v_pk_fma_f32 v[20:21], v[2:3], v[116:117], v[18:19] neg_lo:[0,0,1] neg_hi:[0,0,1]
	v_pk_fma_f32 v[2:3], v[2:3], v[116:117], v[18:19] op_sel_hi:[1,0,1]
	s_nop 0
	v_mov_b32_e32 v21, v3
	v_pk_add_f32 v[2:3], v[16:17], v[20:21]
	v_mov_b32_e32 v16, v119
	v_pk_mul_f32 v[16:17], v[4:5], v[16:17] op_sel:[1,0] op_sel_hi:[0,0]
	v_pk_fma_f32 v[18:19], v[4:5], v[118:119], v[16:17] neg_lo:[0,0,1] neg_hi:[0,0,1]
	v_pk_fma_f32 v[4:5], v[4:5], v[118:119], v[16:17] op_sel_hi:[1,0,1]
	s_nop 0
	v_mov_b32_e32 v19, v5
	s_waitcnt vmcnt(2) lgkmcnt(2)
	v_pk_mul_f32 v[4:5], v[6:7], v[120:121] op_sel:[1,1] op_sel_hi:[0,1]
	v_pk_fma_f32 v[16:17], v[6:7], v[120:121], v[4:5] neg_lo:[0,0,1] neg_hi:[0,0,1]
	v_pk_fma_f32 v[4:5], v[6:7], v[120:121], v[4:5] op_sel_hi:[1,0,1]
	v_pk_add_f32 v[2:3], v[2:3], v[18:19]
	v_mov_b32_e32 v4, v123
	v_mov_b32_e32 v17, v5
	v_pk_mul_f32 v[4:5], v[8:9], v[4:5] op_sel:[1,0] op_sel_hi:[0,0]
	v_pk_fma_f32 v[6:7], v[8:9], v[122:123], v[4:5] neg_lo:[0,0,1] neg_hi:[0,0,1]
	v_pk_fma_f32 v[4:5], v[8:9], v[122:123], v[4:5] op_sel_hi:[1,0,1]
	v_pk_add_f32 v[2:3], v[2:3], v[16:17]
	v_mov_b32_e32 v7, v5
	s_waitcnt vmcnt(1) lgkmcnt(1)
	v_pk_mul_f32 v[4:5], v[10:11], v[124:125] op_sel:[1,1] op_sel_hi:[0,1]
	v_pk_add_f32 v[2:3], v[2:3], v[6:7]
	v_pk_fma_f32 v[6:7], v[10:11], v[124:125], v[4:5] neg_lo:[0,0,1] neg_hi:[0,0,1]
	v_pk_fma_f32 v[4:5], v[10:11], v[124:125], v[4:5] op_sel_hi:[1,0,1]
	s_nop 0
	v_mov_b32_e32 v4, v127
	v_mov_b32_e32 v7, v5
	v_pk_mul_f32 v[4:5], v[12:13], v[4:5] op_sel:[1,0] op_sel_hi:[0,0]
	v_pk_add_f32 v[2:3], v[2:3], v[6:7]
	v_pk_fma_f32 v[6:7], v[12:13], v[126:127], v[4:5] neg_lo:[0,0,1] neg_hi:[0,0,1]
	v_pk_fma_f32 v[4:5], v[12:13], v[126:127], v[4:5] op_sel_hi:[1,0,1]
	s_nop 0
	v_mov_b32_e32 v7, v5
	s_waitcnt vmcnt(0) lgkmcnt(0)
	v_pk_mul_f32 v[4:5], v[14:15], v[136:137] op_sel:[1,1] op_sel_hi:[0,1]
	v_pk_add_f32 v[2:3], v[2:3], v[6:7]
	v_pk_fma_f32 v[6:7], v[14:15], v[136:137], v[4:5] neg_lo:[0,0,1] neg_hi:[0,0,1]
	v_pk_fma_f32 v[4:5], v[14:15], v[136:137], v[4:5] op_sel_hi:[1,0,1]
	s_nop 0
	v_mov_b32_e32 v7, v5
	v_pk_add_f32 v[2:3], v[2:3], v[6:7]
	s_nop 0
	v_pk_add_f32 v[2:3], v[128:129], v[2:3] neg_lo:[0,1] neg_hi:[0,1]
	scratch_store_dwordx2 off, v[2:3], off offset:128
	s_and_saveexec_b64 s[0:1], vcc
	s_cbranch_execz .LBB51_295
; %bb.294:
	scratch_load_dwordx2 v[2:3], off, off offset:120
	v_mov_b32_e32 v115, v114
	scratch_store_dwordx2 off, v[114:115], off offset:120
	s_waitcnt vmcnt(1)
	ds_write_b64 v1, v[2:3]
.LBB51_295:
	s_or_b64 exec, exec, s[0:1]
	s_waitcnt lgkmcnt(0)
	; wave barrier
	scratch_load_dwordx4 v[2:5], off, off offset:128
	scratch_load_dwordx4 v[6:9], off, off offset:144
	;; [unrolled: 1-line block ×13, first 2 shown]
	ds_read_b128 v[110:113], v114 offset:544
	ds_read_b128 v[106:109], v114 offset:560
	;; [unrolled: 1-line block ×14, first 2 shown]
	scratch_load_dwordx4 v[66:69], off, off offset:336
	scratch_load_dwordx2 v[132:133], off, off offset:120
	v_cmp_lt_u32_e32 vcc, 14, v0
	s_waitcnt vmcnt(14) lgkmcnt(13)
	v_mul_f32_e32 v115, v110, v3
	v_mul_f32_e32 v116, v112, v5
	v_fmac_f32_e32 v115, v111, v2
	s_waitcnt vmcnt(13) lgkmcnt(12)
	v_mul_f32_e32 v117, v106, v7
	v_fmac_f32_e32 v116, v113, v4
	v_add_f32_e32 v115, 0, v115
	v_mul_f32_e32 v118, v108, v9
	v_fmac_f32_e32 v117, v107, v6
	v_add_f32_e32 v115, v115, v116
	s_waitcnt vmcnt(12) lgkmcnt(11)
	v_mul_f32_e32 v119, v102, v11
	v_fmac_f32_e32 v118, v109, v8
	v_add_f32_e32 v115, v115, v117
	v_mul_f32_e32 v120, v104, v13
	v_fmac_f32_e32 v119, v103, v10
	v_add_f32_e32 v115, v115, v118
	;; [unrolled: 7-line block ×4, first 2 shown]
	s_waitcnt vmcnt(9) lgkmcnt(8)
	v_mul_f32_e32 v125, v90, v23
	v_fmac_f32_e32 v124, v97, v20
	v_add_f32_e32 v115, v115, v123
	scratch_load_dwordx4 v[116:119], off, off offset:352
	v_mul_f32_e32 v126, v92, v25
	v_fmac_f32_e32 v125, v91, v22
	v_add_f32_e32 v115, v115, v124
	s_waitcnt vmcnt(9) lgkmcnt(7)
	v_mul_f32_e32 v127, v86, v27
	v_fmac_f32_e32 v126, v93, v24
	v_add_f32_e32 v115, v115, v125
	v_mul_f32_e32 v128, v88, v29
	v_fmac_f32_e32 v127, v87, v26
	v_add_f32_e32 v115, v115, v126
	s_waitcnt vmcnt(8) lgkmcnt(6)
	v_mul_f32_e32 v129, v82, v31
	v_fmac_f32_e32 v128, v89, v28
	v_add_f32_e32 v115, v115, v127
	;; [unrolled: 7-line block ×3, first 2 shown]
	v_fmac_f32_e32 v131, v79, v34
	v_add_f32_e32 v115, v115, v130
	v_add_f32_e32 v115, v115, v131
	scratch_load_dwordx4 v[120:123], off, off offset:368
	scratch_load_dwordx4 v[124:127], off, off offset:384
	;; [unrolled: 1-line block ×3, first 2 shown]
	v_mul_f32_e32 v3, v111, v3
	v_fma_f32 v2, v110, v2, -v3
	v_mul_f32_e32 v3, v113, v5
	v_add_f32_e32 v2, 0, v2
	v_fma_f32 v3, v112, v4, -v3
	v_add_f32_e32 v2, v2, v3
	v_mul_f32_e32 v3, v107, v7
	v_fma_f32 v3, v106, v6, -v3
	v_add_f32_e32 v2, v2, v3
	v_mul_f32_e32 v3, v109, v9
	;; [unrolled: 3-line block ×16, first 2 shown]
	v_fma_f32 v3, v80, v36, -v3
	v_add_f32_e32 v2, v2, v3
	s_waitcnt vmcnt(9) lgkmcnt(4)
	v_mul_f32_e32 v3, v75, v39
	v_fma_f32 v3, v74, v38, -v3
	v_add_f32_e32 v2, v2, v3
	v_mul_f32_e32 v3, v77, v41
	v_fma_f32 v3, v76, v40, -v3
	v_add_f32_e32 v2, v2, v3
	s_waitcnt vmcnt(8) lgkmcnt(3)
	v_mul_f32_e32 v3, v71, v43
	v_fma_f32 v3, v70, v42, -v3
	v_add_f32_e32 v2, v2, v3
	v_mul_f32_e32 v3, v73, v45
	v_fma_f32 v3, v72, v44, -v3
	v_add_f32_e32 v2, v2, v3
	s_waitcnt vmcnt(7) lgkmcnt(2)
	v_mul_f32_e32 v3, v63, v47
	v_fma_f32 v3, v62, v46, -v3
	v_mul_f32_e32 v134, v80, v37
	v_add_f32_e32 v2, v2, v3
	v_mul_f32_e32 v3, v65, v49
	v_mul_f32_e32 v135, v74, v39
	v_fmac_f32_e32 v134, v81, v36
	v_fma_f32 v3, v64, v48, -v3
	v_mul_f32_e32 v136, v76, v41
	v_fmac_f32_e32 v135, v75, v38
	v_add_f32_e32 v115, v115, v134
	v_add_f32_e32 v2, v2, v3
	s_waitcnt vmcnt(6) lgkmcnt(1)
	v_mul_f32_e32 v3, v55, v51
	v_mul_f32_e32 v137, v70, v43
	v_fmac_f32_e32 v136, v77, v40
	v_add_f32_e32 v115, v115, v135
	v_fma_f32 v3, v54, v50, -v3
	v_mul_f32_e32 v138, v72, v45
	v_fmac_f32_e32 v137, v71, v42
	v_add_f32_e32 v115, v115, v136
	v_add_f32_e32 v2, v2, v3
	v_mul_f32_e32 v3, v57, v53
	v_mul_f32_e32 v139, v62, v47
	v_fmac_f32_e32 v138, v73, v44
	v_add_f32_e32 v115, v115, v137
	v_fma_f32 v3, v56, v52, -v3
	v_mul_f32_e32 v140, v64, v49
	v_fmac_f32_e32 v139, v63, v46
	v_add_f32_e32 v115, v115, v138
	v_add_f32_e32 v134, v2, v3
	s_waitcnt vmcnt(5) lgkmcnt(0)
	v_mul_f32_e32 v2, v59, v67
	v_mul_f32_e32 v141, v54, v51
	v_fmac_f32_e32 v140, v65, v48
	v_add_f32_e32 v115, v115, v139
	v_fma_f32 v136, v58, v66, -v2
	v_mul_f32_e32 v2, v61, v69
	v_mul_f32_e32 v142, v56, v53
	v_fmac_f32_e32 v141, v55, v50
	v_add_f32_e32 v115, v115, v140
	v_fma_f32 v138, v60, v68, -v2
	ds_read_b128 v[2:5], v114 offset:768
	ds_read_b128 v[6:9], v114 offset:784
	;; [unrolled: 1-line block ×4, first 2 shown]
	v_add_f32_e32 v115, v115, v141
	v_fmac_f32_e32 v142, v57, v52
	v_mul_f32_e32 v137, v58, v67
	v_add_f32_e32 v135, v115, v142
	v_fmac_f32_e32 v137, v59, v66
	v_mul_f32_e32 v139, v60, v69
	s_waitcnt vmcnt(3) lgkmcnt(3)
	v_pk_mul_f32 v[20:21], v[2:3], v[116:117] op_sel:[1,1] op_sel_hi:[0,1]
	v_fmac_f32_e32 v139, v61, v68
	v_pk_add_f32 v[18:19], v[134:135], v[136:137]
	v_pk_fma_f32 v[22:23], v[2:3], v[116:117], v[20:21] neg_lo:[0,0,1] neg_hi:[0,0,1]
	v_pk_fma_f32 v[2:3], v[2:3], v[116:117], v[20:21] op_sel_hi:[1,0,1]
	v_pk_add_f32 v[18:19], v[18:19], v[138:139]
	v_mov_b32_e32 v23, v3
	v_pk_add_f32 v[2:3], v[18:19], v[22:23]
	v_mov_b32_e32 v18, v119
	v_pk_mul_f32 v[18:19], v[4:5], v[18:19] op_sel:[1,0] op_sel_hi:[0,0]
	v_pk_fma_f32 v[20:21], v[4:5], v[118:119], v[18:19] neg_lo:[0,0,1] neg_hi:[0,0,1]
	v_pk_fma_f32 v[4:5], v[4:5], v[118:119], v[18:19] op_sel_hi:[1,0,1]
	s_nop 0
	v_mov_b32_e32 v21, v5
	s_waitcnt vmcnt(2) lgkmcnt(2)
	v_pk_mul_f32 v[4:5], v[6:7], v[120:121] op_sel:[1,1] op_sel_hi:[0,1]
	v_pk_fma_f32 v[18:19], v[6:7], v[120:121], v[4:5] neg_lo:[0,0,1] neg_hi:[0,0,1]
	v_pk_fma_f32 v[4:5], v[6:7], v[120:121], v[4:5] op_sel_hi:[1,0,1]
	v_pk_add_f32 v[2:3], v[2:3], v[20:21]
	v_mov_b32_e32 v4, v123
	v_mov_b32_e32 v19, v5
	v_pk_mul_f32 v[4:5], v[8:9], v[4:5] op_sel:[1,0] op_sel_hi:[0,0]
	v_pk_fma_f32 v[6:7], v[8:9], v[122:123], v[4:5] neg_lo:[0,0,1] neg_hi:[0,0,1]
	v_pk_fma_f32 v[4:5], v[8:9], v[122:123], v[4:5] op_sel_hi:[1,0,1]
	v_pk_add_f32 v[2:3], v[2:3], v[18:19]
	v_mov_b32_e32 v7, v5
	s_waitcnt vmcnt(1) lgkmcnt(1)
	v_pk_mul_f32 v[4:5], v[10:11], v[124:125] op_sel:[1,1] op_sel_hi:[0,1]
	v_pk_add_f32 v[2:3], v[2:3], v[6:7]
	v_pk_fma_f32 v[6:7], v[10:11], v[124:125], v[4:5] neg_lo:[0,0,1] neg_hi:[0,0,1]
	v_pk_fma_f32 v[4:5], v[10:11], v[124:125], v[4:5] op_sel_hi:[1,0,1]
	s_nop 0
	v_mov_b32_e32 v4, v127
	v_mov_b32_e32 v7, v5
	v_pk_mul_f32 v[4:5], v[12:13], v[4:5] op_sel:[1,0] op_sel_hi:[0,0]
	v_pk_add_f32 v[2:3], v[2:3], v[6:7]
	v_pk_fma_f32 v[6:7], v[12:13], v[126:127], v[4:5] neg_lo:[0,0,1] neg_hi:[0,0,1]
	v_pk_fma_f32 v[4:5], v[12:13], v[126:127], v[4:5] op_sel_hi:[1,0,1]
	s_nop 0
	v_mov_b32_e32 v7, v5
	s_waitcnt vmcnt(0) lgkmcnt(0)
	v_pk_mul_f32 v[4:5], v[14:15], v[128:129] op_sel:[1,1] op_sel_hi:[0,1]
	v_pk_add_f32 v[2:3], v[2:3], v[6:7]
	v_pk_fma_f32 v[6:7], v[14:15], v[128:129], v[4:5] neg_lo:[0,0,1] neg_hi:[0,0,1]
	v_pk_fma_f32 v[4:5], v[14:15], v[128:129], v[4:5] op_sel_hi:[1,0,1]
	s_nop 0
	v_mov_b32_e32 v4, v131
	v_mov_b32_e32 v7, v5
	v_pk_mul_f32 v[4:5], v[16:17], v[4:5] op_sel:[1,0] op_sel_hi:[0,0]
	v_pk_add_f32 v[2:3], v[2:3], v[6:7]
	v_pk_fma_f32 v[6:7], v[16:17], v[130:131], v[4:5] neg_lo:[0,0,1] neg_hi:[0,0,1]
	v_pk_fma_f32 v[4:5], v[16:17], v[130:131], v[4:5] op_sel_hi:[1,0,1]
	s_nop 0
	v_mov_b32_e32 v7, v5
	v_pk_add_f32 v[2:3], v[2:3], v[6:7]
	s_nop 0
	v_pk_add_f32 v[2:3], v[132:133], v[2:3] neg_lo:[0,1] neg_hi:[0,1]
	scratch_store_dwordx2 off, v[2:3], off offset:120
	s_and_saveexec_b64 s[0:1], vcc
	s_cbranch_execz .LBB51_297
; %bb.296:
	scratch_load_dwordx2 v[2:3], off, off offset:112
	v_mov_b32_e32 v4, 0
	v_mov_b32_e32 v5, v4
	scratch_store_dwordx2 off, v[4:5], off offset:112
	s_waitcnt vmcnt(1)
	ds_write_b64 v1, v[2:3]
.LBB51_297:
	s_or_b64 exec, exec, s[0:1]
	s_waitcnt lgkmcnt(0)
	; wave barrier
	scratch_load_dwordx4 v[2:5], off, off offset:120
	scratch_load_dwordx4 v[6:9], off, off offset:136
	scratch_load_dwordx4 v[10:13], off, off offset:152
	scratch_load_dwordx4 v[14:17], off, off offset:168
	scratch_load_dwordx4 v[18:21], off, off offset:184
	scratch_load_dwordx4 v[22:25], off, off offset:200
	scratch_load_dwordx4 v[26:29], off, off offset:216
	scratch_load_dwordx4 v[30:33], off, off offset:232
	scratch_load_dwordx4 v[34:37], off, off offset:248
	scratch_load_dwordx4 v[38:41], off, off offset:264
	scratch_load_dwordx4 v[42:45], off, off offset:280
	scratch_load_dwordx4 v[46:49], off, off offset:296
	scratch_load_dwordx4 v[50:53], off, off offset:312
	scratch_load_dwordx4 v[54:57], off, off offset:328
	scratch_load_dwordx4 v[58:61], off, off offset:344
	scratch_load_dwordx2 v[140:141], off, off offset:112
	v_mov_b32_e32 v118, 0
	ds_read2_b64 v[62:65], v118 offset0:67 offset1:68
	ds_read2_b64 v[66:69], v118 offset0:69 offset1:70
	;; [unrolled: 1-line block ×14, first 2 shown]
	v_cmp_lt_u32_e32 vcc, 13, v0
	s_waitcnt vmcnt(15) lgkmcnt(13)
	v_mul_f32_e32 v119, v62, v3
	v_mul_f32_e32 v120, v64, v5
	v_fmac_f32_e32 v119, v63, v2
	s_waitcnt vmcnt(14) lgkmcnt(12)
	v_mul_f32_e32 v121, v66, v7
	v_fmac_f32_e32 v120, v65, v4
	v_add_f32_e32 v119, 0, v119
	v_mul_f32_e32 v122, v68, v9
	v_fmac_f32_e32 v121, v67, v6
	v_add_f32_e32 v119, v119, v120
	s_waitcnt vmcnt(13) lgkmcnt(11)
	v_mul_f32_e32 v123, v70, v11
	v_fmac_f32_e32 v122, v69, v8
	v_add_f32_e32 v119, v119, v121
	v_mul_f32_e32 v124, v72, v13
	v_fmac_f32_e32 v123, v71, v10
	v_add_f32_e32 v119, v119, v122
	;; [unrolled: 7-line block ×11, first 2 shown]
	s_waitcnt vmcnt(3) lgkmcnt(1)
	v_mul_f32_e32 v145, v110, v51
	v_fmac_f32_e32 v144, v109, v48
	v_add_f32_e32 v119, v119, v143
	v_add_f32_e32 v119, v119, v144
	v_fmac_f32_e32 v145, v111, v50
	v_mul_f32_e32 v120, v112, v53
	v_add_f32_e32 v119, v119, v145
	v_fmac_f32_e32 v120, v113, v52
	s_waitcnt vmcnt(2) lgkmcnt(0)
	v_mul_f32_e32 v124, v114, v55
	v_add_f32_e32 v119, v119, v120
	v_fmac_f32_e32 v124, v115, v54
	ds_read2_b64 v[120:123], v118 offset0:95 offset1:96
	v_add_f32_e32 v143, v119, v124
	ds_read2_b64 v[124:127], v118 offset0:97 offset1:98
	scratch_load_dwordx4 v[128:131], off, off offset:360
	scratch_load_dwordx4 v[132:135], off, off offset:376
	;; [unrolled: 1-line block ×3, first 2 shown]
	scratch_load_dwordx2 v[148:149], off, off offset:408
	v_mul_f32_e32 v3, v63, v3
	v_fma_f32 v2, v62, v2, -v3
	v_mul_f32_e32 v3, v65, v5
	v_add_f32_e32 v2, 0, v2
	v_fma_f32 v3, v64, v4, -v3
	v_add_f32_e32 v2, v2, v3
	v_mul_f32_e32 v3, v67, v7
	v_fma_f32 v3, v66, v6, -v3
	v_add_f32_e32 v2, v2, v3
	v_mul_f32_e32 v3, v69, v9
	;; [unrolled: 3-line block ×25, first 2 shown]
	v_fma_f32 v3, v114, v54, -v3
	v_mul_f32_e32 v145, v116, v57
	v_add_f32_e32 v142, v2, v3
	v_mul_f32_e32 v2, v117, v57
	s_waitcnt vmcnt(5)
	v_mov_b32_e32 v14, v61
	v_fmac_f32_e32 v145, v117, v56
	s_waitcnt lgkmcnt(1)
	v_mul_f32_e32 v147, v120, v59
	v_fma_f32 v144, v116, v56, -v2
	v_mul_f32_e32 v2, v121, v59
	v_pk_mul_f32 v[14:15], v[122:123], v[14:15] op_sel:[1,0] op_sel_hi:[0,0]
	v_fmac_f32_e32 v147, v121, v58
	v_fma_f32 v146, v120, v58, -v2
	v_pk_add_f32 v[12:13], v[142:143], v[144:145]
	v_pk_fma_f32 v[16:17], v[122:123], v[60:61], v[14:15] neg_lo:[0,0,1] neg_hi:[0,0,1]
	v_pk_fma_f32 v[14:15], v[122:123], v[60:61], v[14:15] op_sel_hi:[1,0,1]
	v_pk_add_f32 v[12:13], v[12:13], v[146:147]
	v_mov_b32_e32 v17, v15
	s_waitcnt vmcnt(3) lgkmcnt(0)
	v_pk_mul_f32 v[14:15], v[124:125], v[128:129] op_sel:[1,1] op_sel_hi:[0,1]
	v_pk_add_f32 v[12:13], v[12:13], v[16:17]
	v_pk_fma_f32 v[16:17], v[124:125], v[128:129], v[14:15] neg_lo:[0,0,1] neg_hi:[0,0,1]
	v_pk_fma_f32 v[14:15], v[124:125], v[128:129], v[14:15] op_sel_hi:[1,0,1]
	ds_read2_b64 v[2:5], v118 offset0:99 offset1:100
	ds_read2_b64 v[6:9], v118 offset0:101 offset1:102
	ds_read_b64 v[10:11], v118 offset:824
	v_mov_b32_e32 v14, v131
	v_mov_b32_e32 v17, v15
	v_pk_mul_f32 v[14:15], v[126:127], v[14:15] op_sel:[1,0] op_sel_hi:[0,0]
	v_pk_add_f32 v[12:13], v[12:13], v[16:17]
	v_pk_fma_f32 v[16:17], v[126:127], v[130:131], v[14:15] neg_lo:[0,0,1] neg_hi:[0,0,1]
	v_pk_fma_f32 v[14:15], v[126:127], v[130:131], v[14:15] op_sel_hi:[1,0,1]
	s_nop 0
	v_mov_b32_e32 v17, v15
	s_waitcnt vmcnt(2) lgkmcnt(2)
	v_pk_mul_f32 v[14:15], v[2:3], v[132:133] op_sel:[1,1] op_sel_hi:[0,1]
	v_pk_add_f32 v[12:13], v[12:13], v[16:17]
	v_pk_fma_f32 v[16:17], v[2:3], v[132:133], v[14:15] neg_lo:[0,0,1] neg_hi:[0,0,1]
	v_pk_fma_f32 v[2:3], v[2:3], v[132:133], v[14:15] op_sel_hi:[1,0,1]
	s_nop 0
	v_mov_b32_e32 v17, v3
	v_pk_add_f32 v[2:3], v[12:13], v[16:17]
	v_mov_b32_e32 v12, v135
	v_pk_mul_f32 v[12:13], v[4:5], v[12:13] op_sel:[1,0] op_sel_hi:[0,0]
	v_pk_fma_f32 v[14:15], v[4:5], v[134:135], v[12:13] neg_lo:[0,0,1] neg_hi:[0,0,1]
	v_pk_fma_f32 v[4:5], v[4:5], v[134:135], v[12:13] op_sel_hi:[1,0,1]
	s_nop 0
	v_mov_b32_e32 v15, v5
	s_waitcnt vmcnt(1) lgkmcnt(1)
	v_pk_mul_f32 v[4:5], v[6:7], v[136:137] op_sel:[1,1] op_sel_hi:[0,1]
	v_pk_fma_f32 v[12:13], v[6:7], v[136:137], v[4:5] neg_lo:[0,0,1] neg_hi:[0,0,1]
	v_pk_fma_f32 v[4:5], v[6:7], v[136:137], v[4:5] op_sel_hi:[1,0,1]
	v_pk_add_f32 v[2:3], v[2:3], v[14:15]
	v_mov_b32_e32 v4, v139
	v_mov_b32_e32 v13, v5
	v_pk_mul_f32 v[4:5], v[8:9], v[4:5] op_sel:[1,0] op_sel_hi:[0,0]
	v_pk_fma_f32 v[6:7], v[8:9], v[138:139], v[4:5] neg_lo:[0,0,1] neg_hi:[0,0,1]
	v_pk_fma_f32 v[4:5], v[8:9], v[138:139], v[4:5] op_sel_hi:[1,0,1]
	v_pk_add_f32 v[2:3], v[2:3], v[12:13]
	v_mov_b32_e32 v7, v5
	s_waitcnt vmcnt(0) lgkmcnt(0)
	v_pk_mul_f32 v[4:5], v[10:11], v[148:149] op_sel:[1,1] op_sel_hi:[0,1]
	v_pk_add_f32 v[2:3], v[2:3], v[6:7]
	v_pk_fma_f32 v[6:7], v[10:11], v[148:149], v[4:5] neg_lo:[0,0,1] neg_hi:[0,0,1]
	v_pk_fma_f32 v[4:5], v[10:11], v[148:149], v[4:5] op_sel_hi:[1,0,1]
	s_nop 0
	v_mov_b32_e32 v7, v5
	v_pk_add_f32 v[2:3], v[2:3], v[6:7]
	s_nop 0
	v_pk_add_f32 v[2:3], v[140:141], v[2:3] neg_lo:[0,1] neg_hi:[0,1]
	scratch_store_dwordx2 off, v[2:3], off offset:112
	s_and_saveexec_b64 s[0:1], vcc
	s_cbranch_execz .LBB51_299
; %bb.298:
	scratch_load_dwordx2 v[2:3], off, off offset:104
	v_mov_b32_e32 v119, v118
	scratch_store_dwordx2 off, v[118:119], off offset:104
	s_waitcnt vmcnt(1)
	ds_write_b64 v1, v[2:3]
.LBB51_299:
	s_or_b64 exec, exec, s[0:1]
	s_waitcnt lgkmcnt(0)
	; wave barrier
	scratch_load_dwordx4 v[2:5], off, off offset:112
	scratch_load_dwordx4 v[6:9], off, off offset:128
	;; [unrolled: 1-line block ×13, first 2 shown]
	ds_read_b128 v[114:117], v118 offset:528
	ds_read_b128 v[110:113], v118 offset:544
	;; [unrolled: 1-line block ×14, first 2 shown]
	scratch_load_dwordx4 v[62:65], off, off offset:320
	scratch_load_dwordx4 v[70:73], off, off offset:336
	scratch_load_dwordx2 v[140:141], off, off offset:104
	v_cmp_lt_u32_e32 vcc, 12, v0
	s_waitcnt vmcnt(15) lgkmcnt(13)
	v_mul_f32_e32 v119, v114, v3
	v_mul_f32_e32 v120, v116, v5
	v_fmac_f32_e32 v119, v115, v2
	s_waitcnt vmcnt(14) lgkmcnt(12)
	v_mul_f32_e32 v121, v110, v7
	v_fmac_f32_e32 v120, v117, v4
	v_add_f32_e32 v119, 0, v119
	v_mul_f32_e32 v122, v112, v9
	v_fmac_f32_e32 v121, v111, v6
	v_add_f32_e32 v119, v119, v120
	s_waitcnt vmcnt(13) lgkmcnt(11)
	v_mul_f32_e32 v123, v106, v11
	v_fmac_f32_e32 v122, v113, v8
	v_add_f32_e32 v119, v119, v121
	v_mul_f32_e32 v124, v108, v13
	v_fmac_f32_e32 v123, v107, v10
	v_add_f32_e32 v119, v119, v122
	;; [unrolled: 7-line block ×11, first 2 shown]
	s_waitcnt vmcnt(3) lgkmcnt(1)
	v_mul_f32_e32 v145, v54, v51
	v_fmac_f32_e32 v144, v69, v48
	v_add_f32_e32 v119, v119, v143
	v_fmac_f32_e32 v145, v55, v50
	v_add_f32_e32 v119, v119, v144
	v_mul_f32_e32 v120, v56, v53
	v_add_f32_e32 v119, v119, v145
	v_fmac_f32_e32 v120, v57, v52
	v_add_f32_e32 v119, v119, v120
	s_waitcnt vmcnt(2) lgkmcnt(0)
	v_mul_f32_e32 v120, v58, v63
	v_fmac_f32_e32 v120, v59, v62
	v_mul_f32_e32 v124, v60, v65
	v_add_f32_e32 v119, v119, v120
	v_fmac_f32_e32 v124, v61, v64
	ds_read_b128 v[120:123], v118 offset:752
	v_add_f32_e32 v143, v119, v124
	ds_read_b128 v[124:127], v118 offset:768
	scratch_load_dwordx4 v[128:131], off, off offset:352
	scratch_load_dwordx4 v[132:135], off, off offset:368
	;; [unrolled: 1-line block ×4, first 2 shown]
	v_mul_f32_e32 v3, v115, v3
	v_fma_f32 v2, v114, v2, -v3
	v_mul_f32_e32 v3, v117, v5
	v_add_f32_e32 v2, 0, v2
	v_fma_f32 v3, v116, v4, -v3
	v_add_f32_e32 v2, v2, v3
	v_mul_f32_e32 v3, v111, v7
	v_fma_f32 v3, v110, v6, -v3
	v_add_f32_e32 v2, v2, v3
	v_mul_f32_e32 v3, v113, v9
	;; [unrolled: 3-line block ×26, first 2 shown]
	v_fma_f32 v3, v60, v64, -v3
	s_waitcnt vmcnt(5) lgkmcnt(1)
	v_mul_f32_e32 v145, v120, v71
	v_add_f32_e32 v142, v2, v3
	v_mul_f32_e32 v2, v121, v71
	s_waitcnt vmcnt(3) lgkmcnt(0)
	v_pk_mul_f32 v[16:17], v[124:125], v[128:129] op_sel:[1,1] op_sel_hi:[0,1]
	v_fmac_f32_e32 v145, v121, v70
	v_mul_f32_e32 v147, v122, v73
	v_fma_f32 v144, v120, v70, -v2
	v_mul_f32_e32 v2, v123, v73
	v_pk_fma_f32 v[18:19], v[124:125], v[128:129], v[16:17] neg_lo:[0,0,1] neg_hi:[0,0,1]
	v_pk_fma_f32 v[16:17], v[124:125], v[128:129], v[16:17] op_sel_hi:[1,0,1]
	v_fmac_f32_e32 v147, v123, v72
	v_fma_f32 v146, v122, v72, -v2
	ds_read_b128 v[2:5], v118 offset:784
	ds_read_b128 v[6:9], v118 offset:800
	;; [unrolled: 1-line block ×3, first 2 shown]
	v_pk_add_f32 v[14:15], v[142:143], v[144:145]
	v_mov_b32_e32 v16, v131
	v_pk_add_f32 v[14:15], v[14:15], v[146:147]
	v_mov_b32_e32 v19, v17
	v_pk_mul_f32 v[16:17], v[126:127], v[16:17] op_sel:[1,0] op_sel_hi:[0,0]
	v_pk_add_f32 v[14:15], v[14:15], v[18:19]
	v_pk_fma_f32 v[18:19], v[126:127], v[130:131], v[16:17] neg_lo:[0,0,1] neg_hi:[0,0,1]
	v_pk_fma_f32 v[16:17], v[126:127], v[130:131], v[16:17] op_sel_hi:[1,0,1]
	s_nop 0
	v_mov_b32_e32 v19, v17
	s_waitcnt vmcnt(2) lgkmcnt(2)
	v_pk_mul_f32 v[16:17], v[2:3], v[132:133] op_sel:[1,1] op_sel_hi:[0,1]
	v_pk_add_f32 v[14:15], v[14:15], v[18:19]
	v_pk_fma_f32 v[18:19], v[2:3], v[132:133], v[16:17] neg_lo:[0,0,1] neg_hi:[0,0,1]
	v_pk_fma_f32 v[2:3], v[2:3], v[132:133], v[16:17] op_sel_hi:[1,0,1]
	s_nop 0
	v_mov_b32_e32 v19, v3
	v_pk_add_f32 v[2:3], v[14:15], v[18:19]
	v_mov_b32_e32 v14, v135
	v_pk_mul_f32 v[14:15], v[4:5], v[14:15] op_sel:[1,0] op_sel_hi:[0,0]
	v_pk_fma_f32 v[16:17], v[4:5], v[134:135], v[14:15] neg_lo:[0,0,1] neg_hi:[0,0,1]
	v_pk_fma_f32 v[4:5], v[4:5], v[134:135], v[14:15] op_sel_hi:[1,0,1]
	s_nop 0
	v_mov_b32_e32 v17, v5
	s_waitcnt vmcnt(1) lgkmcnt(1)
	v_pk_mul_f32 v[4:5], v[6:7], v[136:137] op_sel:[1,1] op_sel_hi:[0,1]
	v_pk_fma_f32 v[14:15], v[6:7], v[136:137], v[4:5] neg_lo:[0,0,1] neg_hi:[0,0,1]
	v_pk_fma_f32 v[4:5], v[6:7], v[136:137], v[4:5] op_sel_hi:[1,0,1]
	v_pk_add_f32 v[2:3], v[2:3], v[16:17]
	v_mov_b32_e32 v4, v139
	v_mov_b32_e32 v15, v5
	v_pk_mul_f32 v[4:5], v[8:9], v[4:5] op_sel:[1,0] op_sel_hi:[0,0]
	v_pk_fma_f32 v[6:7], v[8:9], v[138:139], v[4:5] neg_lo:[0,0,1] neg_hi:[0,0,1]
	v_pk_fma_f32 v[4:5], v[8:9], v[138:139], v[4:5] op_sel_hi:[1,0,1]
	v_pk_add_f32 v[2:3], v[2:3], v[14:15]
	v_mov_b32_e32 v7, v5
	s_waitcnt vmcnt(0) lgkmcnt(0)
	v_pk_mul_f32 v[4:5], v[10:11], v[244:245] op_sel:[1,1] op_sel_hi:[0,1]
	v_pk_add_f32 v[2:3], v[2:3], v[6:7]
	v_pk_fma_f32 v[6:7], v[10:11], v[244:245], v[4:5] neg_lo:[0,0,1] neg_hi:[0,0,1]
	v_pk_fma_f32 v[4:5], v[10:11], v[244:245], v[4:5] op_sel_hi:[1,0,1]
	s_nop 0
	v_mov_b32_e32 v4, v247
	v_mov_b32_e32 v7, v5
	v_pk_mul_f32 v[4:5], v[12:13], v[4:5] op_sel:[1,0] op_sel_hi:[0,0]
	v_pk_add_f32 v[2:3], v[2:3], v[6:7]
	v_pk_fma_f32 v[6:7], v[12:13], v[246:247], v[4:5] neg_lo:[0,0,1] neg_hi:[0,0,1]
	v_pk_fma_f32 v[4:5], v[12:13], v[246:247], v[4:5] op_sel_hi:[1,0,1]
	s_nop 0
	v_mov_b32_e32 v7, v5
	v_pk_add_f32 v[2:3], v[2:3], v[6:7]
	s_nop 0
	v_pk_add_f32 v[2:3], v[140:141], v[2:3] neg_lo:[0,1] neg_hi:[0,1]
	scratch_store_dwordx2 off, v[2:3], off offset:104
	s_and_saveexec_b64 s[0:1], vcc
	s_cbranch_execz .LBB51_301
; %bb.300:
	scratch_load_dwordx2 v[2:3], off, off offset:96
	v_mov_b32_e32 v4, 0
	v_mov_b32_e32 v5, v4
	scratch_store_dwordx2 off, v[4:5], off offset:96
	s_waitcnt vmcnt(1)
	ds_write_b64 v1, v[2:3]
.LBB51_301:
	s_or_b64 exec, exec, s[0:1]
	s_waitcnt lgkmcnt(0)
	; wave barrier
	scratch_load_dwordx4 v[2:5], off, off offset:104
	scratch_load_dwordx4 v[6:9], off, off offset:120
	;; [unrolled: 1-line block ×16, first 2 shown]
	scratch_load_dwordx2 v[140:141], off, off offset:96
	v_mov_b32_e32 v102, 0
	ds_read2_b64 v[66:69], v102 offset0:65 offset1:66
	ds_read2_b64 v[70:73], v102 offset0:67 offset1:68
	;; [unrolled: 1-line block ×14, first 2 shown]
	v_cmp_lt_u32_e32 vcc, 11, v0
	s_waitcnt vmcnt(16) lgkmcnt(13)
	v_mul_f32_e32 v103, v66, v3
	v_mul_f32_e32 v124, v68, v5
	v_fmac_f32_e32 v103, v67, v2
	s_waitcnt vmcnt(15) lgkmcnt(12)
	v_mul_f32_e32 v125, v70, v7
	v_fmac_f32_e32 v124, v69, v4
	v_add_f32_e32 v103, 0, v103
	v_mul_f32_e32 v126, v72, v9
	v_fmac_f32_e32 v125, v71, v6
	v_add_f32_e32 v103, v103, v124
	s_waitcnt vmcnt(14) lgkmcnt(11)
	v_mul_f32_e32 v127, v74, v11
	v_fmac_f32_e32 v126, v73, v8
	v_add_f32_e32 v103, v103, v125
	v_mul_f32_e32 v128, v76, v13
	v_fmac_f32_e32 v127, v75, v10
	v_add_f32_e32 v103, v103, v126
	;; [unrolled: 7-line block ×11, first 2 shown]
	v_fmac_f32_e32 v148, v115, v48
	v_add_f32_e32 v103, v103, v147
	s_waitcnt vmcnt(4) lgkmcnt(1)
	v_mul_f32_e32 v124, v116, v51
	v_add_f32_e32 v103, v103, v148
	v_fmac_f32_e32 v124, v117, v50
	v_add_f32_e32 v103, v103, v124
	v_mul_f32_e32 v124, v118, v53
	v_fmac_f32_e32 v124, v119, v52
	v_add_f32_e32 v103, v103, v124
	s_waitcnt vmcnt(3) lgkmcnt(0)
	v_mul_f32_e32 v124, v120, v55
	v_fmac_f32_e32 v124, v121, v54
	v_add_f32_e32 v103, v103, v124
	ds_read2_b64 v[124:127], v102 offset0:93 offset1:94
	v_mul_f32_e32 v128, v122, v57
	v_fmac_f32_e32 v128, v123, v56
	v_add_f32_e32 v103, v103, v128
	ds_read2_b64 v[128:131], v102 offset0:95 offset1:96
	s_waitcnt vmcnt(2) lgkmcnt(1)
	v_mul_f32_e32 v132, v124, v63
	v_fmac_f32_e32 v132, v125, v62
	v_add_f32_e32 v143, v103, v132
	scratch_load_dwordx4 v[132:135], off, off offset:360
	scratch_load_dwordx4 v[136:139], off, off offset:376
	;; [unrolled: 1-line block ×3, first 2 shown]
	scratch_load_dwordx2 v[148:149], off, off offset:408
	v_mul_f32_e32 v3, v67, v3
	v_fma_f32 v2, v66, v2, -v3
	v_mul_f32_e32 v3, v69, v5
	v_add_f32_e32 v2, 0, v2
	v_fma_f32 v3, v68, v4, -v3
	v_add_f32_e32 v2, v2, v3
	v_mul_f32_e32 v3, v71, v7
	v_fma_f32 v3, v70, v6, -v3
	v_add_f32_e32 v2, v2, v3
	v_mul_f32_e32 v3, v73, v9
	;; [unrolled: 3-line block ×28, first 2 shown]
	v_mul_f32_e32 v145, v126, v65
	v_fma_f32 v144, v126, v64, -v2
	s_waitcnt vmcnt(5) lgkmcnt(0)
	v_mul_f32_e32 v2, v129, v59
	v_mov_b32_e32 v18, v61
	v_fmac_f32_e32 v145, v127, v64
	v_mul_f32_e32 v147, v128, v59
	v_fma_f32 v146, v128, v58, -v2
	ds_read2_b64 v[2:5], v102 offset0:97 offset1:98
	ds_read2_b64 v[6:9], v102 offset0:99 offset1:100
	;; [unrolled: 1-line block ×3, first 2 shown]
	ds_read_b64 v[14:15], v102 offset:824
	v_pk_mul_f32 v[18:19], v[130:131], v[18:19] op_sel:[1,0] op_sel_hi:[0,0]
	v_fmac_f32_e32 v147, v129, v58
	v_pk_add_f32 v[16:17], v[142:143], v[144:145]
	v_pk_fma_f32 v[20:21], v[130:131], v[60:61], v[18:19] neg_lo:[0,0,1] neg_hi:[0,0,1]
	v_pk_fma_f32 v[18:19], v[130:131], v[60:61], v[18:19] op_sel_hi:[1,0,1]
	v_pk_add_f32 v[16:17], v[16:17], v[146:147]
	v_mov_b32_e32 v21, v19
	s_waitcnt vmcnt(3) lgkmcnt(3)
	v_pk_mul_f32 v[18:19], v[2:3], v[132:133] op_sel:[1,1] op_sel_hi:[0,1]
	v_pk_add_f32 v[16:17], v[16:17], v[20:21]
	v_pk_fma_f32 v[20:21], v[2:3], v[132:133], v[18:19] neg_lo:[0,0,1] neg_hi:[0,0,1]
	v_pk_fma_f32 v[2:3], v[2:3], v[132:133], v[18:19] op_sel_hi:[1,0,1]
	s_nop 0
	v_mov_b32_e32 v21, v3
	v_pk_add_f32 v[2:3], v[16:17], v[20:21]
	v_mov_b32_e32 v16, v135
	v_pk_mul_f32 v[16:17], v[4:5], v[16:17] op_sel:[1,0] op_sel_hi:[0,0]
	v_pk_fma_f32 v[18:19], v[4:5], v[134:135], v[16:17] neg_lo:[0,0,1] neg_hi:[0,0,1]
	v_pk_fma_f32 v[4:5], v[4:5], v[134:135], v[16:17] op_sel_hi:[1,0,1]
	s_nop 0
	v_mov_b32_e32 v19, v5
	s_waitcnt vmcnt(2) lgkmcnt(2)
	v_pk_mul_f32 v[4:5], v[6:7], v[136:137] op_sel:[1,1] op_sel_hi:[0,1]
	v_pk_fma_f32 v[16:17], v[6:7], v[136:137], v[4:5] neg_lo:[0,0,1] neg_hi:[0,0,1]
	v_pk_fma_f32 v[4:5], v[6:7], v[136:137], v[4:5] op_sel_hi:[1,0,1]
	v_pk_add_f32 v[2:3], v[2:3], v[18:19]
	v_mov_b32_e32 v4, v139
	v_mov_b32_e32 v17, v5
	v_pk_mul_f32 v[4:5], v[8:9], v[4:5] op_sel:[1,0] op_sel_hi:[0,0]
	v_pk_fma_f32 v[6:7], v[8:9], v[138:139], v[4:5] neg_lo:[0,0,1] neg_hi:[0,0,1]
	v_pk_fma_f32 v[4:5], v[8:9], v[138:139], v[4:5] op_sel_hi:[1,0,1]
	v_pk_add_f32 v[2:3], v[2:3], v[16:17]
	v_mov_b32_e32 v7, v5
	s_waitcnt vmcnt(1) lgkmcnt(1)
	v_pk_mul_f32 v[4:5], v[10:11], v[244:245] op_sel:[1,1] op_sel_hi:[0,1]
	v_pk_add_f32 v[2:3], v[2:3], v[6:7]
	v_pk_fma_f32 v[6:7], v[10:11], v[244:245], v[4:5] neg_lo:[0,0,1] neg_hi:[0,0,1]
	v_pk_fma_f32 v[4:5], v[10:11], v[244:245], v[4:5] op_sel_hi:[1,0,1]
	s_nop 0
	v_mov_b32_e32 v4, v247
	v_mov_b32_e32 v7, v5
	v_pk_mul_f32 v[4:5], v[12:13], v[4:5] op_sel:[1,0] op_sel_hi:[0,0]
	v_pk_add_f32 v[2:3], v[2:3], v[6:7]
	v_pk_fma_f32 v[6:7], v[12:13], v[246:247], v[4:5] neg_lo:[0,0,1] neg_hi:[0,0,1]
	v_pk_fma_f32 v[4:5], v[12:13], v[246:247], v[4:5] op_sel_hi:[1,0,1]
	s_nop 0
	v_mov_b32_e32 v7, v5
	s_waitcnt vmcnt(0) lgkmcnt(0)
	v_pk_mul_f32 v[4:5], v[14:15], v[148:149] op_sel:[1,1] op_sel_hi:[0,1]
	v_pk_add_f32 v[2:3], v[2:3], v[6:7]
	v_pk_fma_f32 v[6:7], v[14:15], v[148:149], v[4:5] neg_lo:[0,0,1] neg_hi:[0,0,1]
	v_pk_fma_f32 v[4:5], v[14:15], v[148:149], v[4:5] op_sel_hi:[1,0,1]
	s_nop 0
	v_mov_b32_e32 v7, v5
	v_pk_add_f32 v[2:3], v[2:3], v[6:7]
	s_nop 0
	v_pk_add_f32 v[2:3], v[140:141], v[2:3] neg_lo:[0,1] neg_hi:[0,1]
	scratch_store_dwordx2 off, v[2:3], off offset:96
	s_and_saveexec_b64 s[0:1], vcc
	s_cbranch_execz .LBB51_303
; %bb.302:
	scratch_load_dwordx2 v[2:3], off, off offset:88
	v_mov_b32_e32 v103, v102
	scratch_store_dwordx2 off, v[102:103], off offset:88
	s_waitcnt vmcnt(1)
	ds_write_b64 v1, v[2:3]
.LBB51_303:
	s_or_b64 exec, exec, s[0:1]
	s_waitcnt lgkmcnt(0)
	; wave barrier
	scratch_load_dwordx4 v[58:61], off, off offset:96
	scratch_load_dwordx4 v[62:65], off, off offset:112
	;; [unrolled: 1-line block ×13, first 2 shown]
	ds_read_b128 v[110:113], v102 offset:512
	ds_read_b128 v[114:117], v102 offset:528
	;; [unrolled: 1-line block ×14, first 2 shown]
	scratch_load_dwordx4 v[22:25], off, off offset:304
	scratch_load_dwordx4 v[26:29], off, off offset:320
	;; [unrolled: 1-line block ×3, first 2 shown]
	v_cmp_lt_u32_e32 vcc, 10, v0
	s_waitcnt vmcnt(15) lgkmcnt(13)
	v_mul_f32_e32 v34, v110, v59
	v_mul_f32_e32 v35, v112, v61
	v_fmac_f32_e32 v34, v111, v58
	s_waitcnt vmcnt(14) lgkmcnt(12)
	v_mul_f32_e32 v36, v114, v63
	v_fmac_f32_e32 v35, v113, v60
	v_add_f32_e32 v34, 0, v34
	v_mul_f32_e32 v37, v116, v65
	v_fmac_f32_e32 v36, v115, v62
	v_add_f32_e32 v34, v34, v35
	s_waitcnt vmcnt(13) lgkmcnt(11)
	v_mul_f32_e32 v38, v118, v67
	v_fmac_f32_e32 v37, v117, v64
	v_add_f32_e32 v34, v34, v36
	v_mul_f32_e32 v39, v120, v69
	v_fmac_f32_e32 v38, v119, v66
	v_add_f32_e32 v34, v34, v37
	;; [unrolled: 7-line block ×6, first 2 shown]
	v_mul_f32_e32 v59, v111, v59
	s_waitcnt vmcnt(8) lgkmcnt(6)
	v_mul_f32_e32 v48, v244, v87
	v_fmac_f32_e32 v47, v137, v84
	v_add_f32_e32 v34, v34, v46
	v_fma_f32 v58, v110, v58, -v59
	v_mul_f32_e32 v59, v113, v61
	v_mul_f32_e32 v49, v246, v89
	v_fmac_f32_e32 v48, v245, v86
	v_add_f32_e32 v34, v34, v47
	v_add_f32_e32 v58, 0, v58
	v_fma_f32 v59, v112, v60, -v59
	s_waitcnt vmcnt(7) lgkmcnt(5)
	v_mul_f32_e32 v50, v248, v91
	v_fmac_f32_e32 v49, v247, v88
	v_add_f32_e32 v34, v34, v48
	v_add_f32_e32 v58, v58, v59
	v_mul_f32_e32 v59, v115, v63
	v_mul_f32_e32 v51, v250, v93
	v_fmac_f32_e32 v50, v249, v90
	v_add_f32_e32 v34, v34, v49
	v_fma_f32 v59, v114, v62, -v59
	s_waitcnt vmcnt(6) lgkmcnt(4)
	v_mul_f32_e32 v52, v252, v95
	v_fmac_f32_e32 v51, v251, v92
	v_add_f32_e32 v34, v34, v50
	v_add_f32_e32 v58, v58, v59
	v_mul_f32_e32 v59, v117, v65
	v_mul_f32_e32 v53, v254, v97
	v_fmac_f32_e32 v52, v253, v94
	v_add_f32_e32 v34, v34, v51
	v_fma_f32 v59, v116, v64, -v59
	s_waitcnt vmcnt(5) lgkmcnt(3)
	v_mul_f32_e32 v54, v138, v99
	v_fmac_f32_e32 v53, v255, v96
	v_add_f32_e32 v34, v34, v52
	v_add_f32_e32 v58, v58, v59
	v_mul_f32_e32 v59, v119, v67
	v_mul_f32_e32 v55, v140, v101
	v_fmac_f32_e32 v54, v139, v98
	v_add_f32_e32 v34, v34, v53
	v_fma_f32 v59, v118, v66, -v59
	s_waitcnt vmcnt(4) lgkmcnt(2)
	v_mul_f32_e32 v56, v14, v3
	v_fmac_f32_e32 v55, v141, v100
	v_add_f32_e32 v34, v34, v54
	v_add_f32_e32 v58, v58, v59
	v_mul_f32_e32 v59, v121, v69
	v_mul_f32_e32 v57, v16, v5
	v_fmac_f32_e32 v56, v15, v2
	v_add_f32_e32 v34, v34, v55
	v_fma_f32 v59, v120, v68, -v59
	s_waitcnt vmcnt(3) lgkmcnt(1)
	v_mul_f32_e32 v103, v10, v7
	v_fmac_f32_e32 v57, v17, v4
	v_add_f32_e32 v34, v34, v56
	v_add_f32_e32 v58, v58, v59
	v_mul_f32_e32 v59, v123, v71
	v_fmac_f32_e32 v103, v11, v6
	v_add_f32_e32 v34, v34, v57
	v_mul_f32_e32 v35, v12, v9
	v_fma_f32 v59, v122, v70, -v59
	v_add_f32_e32 v34, v34, v103
	v_fmac_f32_e32 v35, v13, v8
	ds_read_b128 v[50:53], v102 offset:736
	ds_read_b128 v[54:57], v102 offset:752
	v_add_f32_e32 v58, v58, v59
	v_mul_f32_e32 v59, v125, v73
	v_add_f32_e32 v34, v34, v35
	s_waitcnt vmcnt(2) lgkmcnt(2)
	v_mul_f32_e32 v35, v18, v23
	v_fma_f32 v59, v124, v72, -v59
	v_fmac_f32_e32 v35, v19, v22
	v_add_f32_e32 v58, v58, v59
	v_mul_f32_e32 v59, v127, v75
	v_add_f32_e32 v34, v34, v35
	v_mul_f32_e32 v35, v20, v25
	v_fma_f32 v59, v126, v74, -v59
	v_fmac_f32_e32 v35, v21, v24
	v_add_f32_e32 v58, v58, v59
	v_mul_f32_e32 v59, v129, v77
	v_add_f32_e32 v34, v34, v35
	s_waitcnt vmcnt(1) lgkmcnt(1)
	v_mul_f32_e32 v35, v50, v27
	v_fma_f32 v59, v128, v76, -v59
	v_fmac_f32_e32 v35, v51, v26
	v_add_f32_e32 v58, v58, v59
	v_mul_f32_e32 v59, v131, v79
	v_add_f32_e32 v34, v34, v35
	v_mul_f32_e32 v35, v52, v29
	v_fma_f32 v59, v130, v78, -v59
	v_fmac_f32_e32 v35, v53, v28
	v_add_f32_e32 v58, v58, v59
	v_mul_f32_e32 v59, v133, v81
	v_add_f32_e32 v105, v34, v35
	scratch_load_dwordx4 v[46:49], off, off offset:352
	scratch_load_dwordx4 v[42:45], off, off offset:368
	;; [unrolled: 1-line block ×4, first 2 shown]
	v_fma_f32 v59, v132, v80, -v59
	v_add_f32_e32 v58, v58, v59
	v_mul_f32_e32 v59, v135, v83
	v_fma_f32 v59, v134, v82, -v59
	v_add_f32_e32 v58, v58, v59
	v_mul_f32_e32 v59, v137, v85
	;; [unrolled: 3-line block ×10, first 2 shown]
	v_fma_f32 v61, v140, v100, -v58
	scratch_load_dwordx2 v[58:59], off, off offset:88
	v_mul_f32_e32 v3, v15, v3
	v_add_f32_e32 v60, v60, v61
	v_fma_f32 v2, v14, v2, -v3
	v_mul_f32_e32 v3, v17, v5
	v_add_f32_e32 v2, v60, v2
	v_fma_f32 v3, v16, v4, -v3
	v_add_f32_e32 v2, v2, v3
	v_mul_f32_e32 v3, v11, v7
	v_fma_f32 v3, v10, v6, -v3
	v_add_f32_e32 v2, v2, v3
	v_mul_f32_e32 v3, v13, v9
	v_fma_f32 v3, v12, v8, -v3
	v_add_f32_e32 v2, v2, v3
	v_mul_f32_e32 v3, v19, v23
	v_fma_f32 v3, v18, v22, -v3
	v_add_f32_e32 v2, v2, v3
	v_mul_f32_e32 v3, v21, v25
	v_fma_f32 v3, v20, v24, -v3
	v_add_f32_e32 v2, v2, v3
	v_mul_f32_e32 v3, v51, v27
	v_fma_f32 v3, v50, v26, -v3
	v_add_f32_e32 v2, v2, v3
	v_mul_f32_e32 v3, v53, v29
	v_fma_f32 v3, v52, v28, -v3
	v_add_f32_e32 v104, v2, v3
	s_waitcnt vmcnt(5) lgkmcnt(0)
	v_mul_f32_e32 v2, v55, v31
	v_fma_f32 v106, v54, v30, -v2
	v_mul_f32_e32 v2, v57, v33
	v_fma_f32 v108, v56, v32, -v2
	ds_read_b128 v[2:5], v102 offset:768
	ds_read_b128 v[6:9], v102 offset:784
	;; [unrolled: 1-line block ×4, first 2 shown]
	v_mul_f32_e32 v107, v54, v31
	v_fmac_f32_e32 v107, v55, v30
	v_mul_f32_e32 v109, v56, v33
	v_fmac_f32_e32 v109, v57, v32
	v_pk_add_f32 v[18:19], v[104:105], v[106:107]
	s_waitcnt vmcnt(4) lgkmcnt(3)
	v_pk_mul_f32 v[20:21], v[2:3], v[46:47] op_sel:[1,1] op_sel_hi:[0,1]
	v_pk_fma_f32 v[22:23], v[2:3], v[46:47], v[20:21] neg_lo:[0,0,1] neg_hi:[0,0,1]
	v_pk_fma_f32 v[2:3], v[2:3], v[46:47], v[20:21] op_sel_hi:[1,0,1]
	v_pk_add_f32 v[18:19], v[18:19], v[108:109]
	v_mov_b32_e32 v23, v3
	v_pk_add_f32 v[2:3], v[18:19], v[22:23]
	v_mov_b32_e32 v18, v49
	v_pk_mul_f32 v[18:19], v[4:5], v[18:19] op_sel:[1,0] op_sel_hi:[0,0]
	v_pk_fma_f32 v[20:21], v[4:5], v[48:49], v[18:19] neg_lo:[0,0,1] neg_hi:[0,0,1]
	v_pk_fma_f32 v[4:5], v[4:5], v[48:49], v[18:19] op_sel_hi:[1,0,1]
	s_nop 0
	v_mov_b32_e32 v21, v5
	s_waitcnt vmcnt(3) lgkmcnt(2)
	v_pk_mul_f32 v[4:5], v[6:7], v[42:43] op_sel:[1,1] op_sel_hi:[0,1]
	v_pk_fma_f32 v[18:19], v[6:7], v[42:43], v[4:5] neg_lo:[0,0,1] neg_hi:[0,0,1]
	v_pk_fma_f32 v[4:5], v[6:7], v[42:43], v[4:5] op_sel_hi:[1,0,1]
	v_pk_add_f32 v[2:3], v[2:3], v[20:21]
	v_mov_b32_e32 v4, v45
	v_mov_b32_e32 v19, v5
	v_pk_mul_f32 v[4:5], v[8:9], v[4:5] op_sel:[1,0] op_sel_hi:[0,0]
	v_pk_fma_f32 v[6:7], v[8:9], v[44:45], v[4:5] neg_lo:[0,0,1] neg_hi:[0,0,1]
	v_pk_fma_f32 v[4:5], v[8:9], v[44:45], v[4:5] op_sel_hi:[1,0,1]
	v_pk_add_f32 v[2:3], v[2:3], v[18:19]
	v_mov_b32_e32 v7, v5
	s_waitcnt vmcnt(2) lgkmcnt(1)
	v_pk_mul_f32 v[4:5], v[10:11], v[38:39] op_sel:[1,1] op_sel_hi:[0,1]
	v_pk_add_f32 v[2:3], v[2:3], v[6:7]
	v_pk_fma_f32 v[6:7], v[10:11], v[38:39], v[4:5] neg_lo:[0,0,1] neg_hi:[0,0,1]
	v_pk_fma_f32 v[4:5], v[10:11], v[38:39], v[4:5] op_sel_hi:[1,0,1]
	s_nop 0
	v_mov_b32_e32 v4, v41
	v_mov_b32_e32 v7, v5
	v_pk_mul_f32 v[4:5], v[12:13], v[4:5] op_sel:[1,0] op_sel_hi:[0,0]
	v_pk_add_f32 v[2:3], v[2:3], v[6:7]
	v_pk_fma_f32 v[6:7], v[12:13], v[40:41], v[4:5] neg_lo:[0,0,1] neg_hi:[0,0,1]
	v_pk_fma_f32 v[4:5], v[12:13], v[40:41], v[4:5] op_sel_hi:[1,0,1]
	s_nop 0
	v_mov_b32_e32 v7, v5
	s_waitcnt vmcnt(1) lgkmcnt(0)
	v_pk_mul_f32 v[4:5], v[14:15], v[34:35] op_sel:[1,1] op_sel_hi:[0,1]
	v_pk_add_f32 v[2:3], v[2:3], v[6:7]
	v_pk_fma_f32 v[6:7], v[14:15], v[34:35], v[4:5] neg_lo:[0,0,1] neg_hi:[0,0,1]
	v_pk_fma_f32 v[4:5], v[14:15], v[34:35], v[4:5] op_sel_hi:[1,0,1]
	s_nop 0
	v_mov_b32_e32 v4, v37
	v_mov_b32_e32 v7, v5
	v_pk_mul_f32 v[4:5], v[16:17], v[4:5] op_sel:[1,0] op_sel_hi:[0,0]
	v_pk_add_f32 v[2:3], v[2:3], v[6:7]
	v_pk_fma_f32 v[6:7], v[16:17], v[36:37], v[4:5] neg_lo:[0,0,1] neg_hi:[0,0,1]
	v_pk_fma_f32 v[4:5], v[16:17], v[36:37], v[4:5] op_sel_hi:[1,0,1]
	s_nop 0
	v_mov_b32_e32 v7, v5
	v_pk_add_f32 v[2:3], v[2:3], v[6:7]
	s_waitcnt vmcnt(0)
	v_pk_add_f32 v[2:3], v[58:59], v[2:3] neg_lo:[0,1] neg_hi:[0,1]
	scratch_store_dwordx2 off, v[2:3], off offset:88
	s_and_saveexec_b64 s[0:1], vcc
	s_cbranch_execz .LBB51_305
; %bb.304:
	scratch_load_dwordx2 v[2:3], off, off offset:80
	v_mov_b32_e32 v4, 0
	v_mov_b32_e32 v5, v4
	scratch_store_dwordx2 off, v[4:5], off offset:80
	s_waitcnt vmcnt(1)
	ds_write_b64 v1, v[2:3]
.LBB51_305:
	s_or_b64 exec, exec, s[0:1]
	s_waitcnt lgkmcnt(0)
	; wave barrier
	scratch_load_dwordx4 v[6:9], off, off offset:88
	scratch_load_dwordx4 v[14:17], off, off offset:104
	;; [unrolled: 1-line block ×10, first 2 shown]
	v_mov_b32_e32 v102, 0
	ds_read2_b64 v[2:5], v102 offset0:63 offset1:64
	scratch_load_dwordx4 v[86:89], off, off offset:248
	scratch_load_dwordx4 v[94:97], off, off offset:264
	;; [unrolled: 1-line block ×7, first 2 shown]
	v_cmp_lt_u32_e32 vcc, 9, v0
	s_waitcnt vmcnt(16) lgkmcnt(0)
	v_mul_f32_e32 v10, v2, v7
	v_fmac_f32_e32 v10, v3, v6
	v_mul_f32_e32 v11, v4, v9
	v_add_f32_e32 v10, 0, v10
	v_fmac_f32_e32 v11, v5, v8
	v_add_f32_e32 v18, v10, v11
	ds_read2_b64 v[10:13], v102 offset0:65 offset1:66
	v_mul_f32_e32 v3, v3, v7
	v_fma_f32 v2, v2, v6, -v3
	v_mul_f32_e32 v3, v5, v9
	v_add_f32_e32 v2, 0, v2
	s_waitcnt vmcnt(15) lgkmcnt(0)
	v_mul_f32_e32 v19, v10, v15
	v_fmac_f32_e32 v19, v11, v14
	v_add_f32_e32 v18, v18, v19
	v_mul_f32_e32 v19, v12, v17
	v_fmac_f32_e32 v19, v13, v16
	v_add_f32_e32 v26, v18, v19
	ds_read2_b64 v[18:21], v102 offset0:67 offset1:68
	v_fma_f32 v3, v4, v8, -v3
	v_add_f32_e32 v2, v2, v3
	v_mul_f32_e32 v3, v11, v15
	v_fma_f32 v3, v10, v14, -v3
	s_waitcnt vmcnt(14) lgkmcnt(0)
	v_mul_f32_e32 v27, v18, v23
	v_fmac_f32_e32 v27, v19, v22
	v_add_f32_e32 v26, v26, v27
	v_mul_f32_e32 v27, v20, v25
	v_fmac_f32_e32 v27, v21, v24
	v_add_f32_e32 v34, v26, v27
	ds_read2_b64 v[26:29], v102 offset0:69 offset1:70
	v_add_f32_e32 v2, v2, v3
	v_mul_f32_e32 v3, v13, v17
	v_fma_f32 v3, v12, v16, -v3
	v_add_f32_e32 v2, v2, v3
	s_waitcnt vmcnt(13) lgkmcnt(0)
	v_mul_f32_e32 v35, v26, v31
	v_fmac_f32_e32 v35, v27, v30
	v_add_f32_e32 v34, v34, v35
	v_mul_f32_e32 v35, v28, v33
	v_fmac_f32_e32 v35, v29, v32
	v_add_f32_e32 v42, v34, v35
	ds_read2_b64 v[34:37], v102 offset0:71 offset1:72
	v_mul_f32_e32 v3, v19, v23
	v_fma_f32 v3, v18, v22, -v3
	v_add_f32_e32 v2, v2, v3
	v_mul_f32_e32 v3, v21, v25
	s_waitcnt vmcnt(12) lgkmcnt(0)
	v_mul_f32_e32 v43, v34, v39
	v_fmac_f32_e32 v43, v35, v38
	v_add_f32_e32 v42, v42, v43
	v_mul_f32_e32 v43, v36, v41
	v_fmac_f32_e32 v43, v37, v40
	v_add_f32_e32 v50, v42, v43
	ds_read2_b64 v[42:45], v102 offset0:73 offset1:74
	v_fma_f32 v3, v20, v24, -v3
	v_add_f32_e32 v2, v2, v3
	v_mul_f32_e32 v3, v27, v31
	v_fma_f32 v3, v26, v30, -v3
	s_waitcnt vmcnt(11) lgkmcnt(0)
	v_mul_f32_e32 v51, v42, v47
	v_fmac_f32_e32 v51, v43, v46
	v_add_f32_e32 v50, v50, v51
	v_mul_f32_e32 v51, v44, v49
	v_fmac_f32_e32 v51, v45, v48
	v_add_f32_e32 v58, v50, v51
	ds_read2_b64 v[50:53], v102 offset0:75 offset1:76
	v_add_f32_e32 v2, v2, v3
	v_mul_f32_e32 v3, v29, v33
	v_fma_f32 v3, v28, v32, -v3
	v_add_f32_e32 v2, v2, v3
	s_waitcnt vmcnt(10) lgkmcnt(0)
	v_mul_f32_e32 v59, v50, v55
	v_fmac_f32_e32 v59, v51, v54
	v_add_f32_e32 v58, v58, v59
	v_mul_f32_e32 v59, v52, v57
	v_fmac_f32_e32 v59, v53, v56
	v_add_f32_e32 v66, v58, v59
	ds_read2_b64 v[58:61], v102 offset0:77 offset1:78
	v_mul_f32_e32 v3, v35, v39
	v_fma_f32 v3, v34, v38, -v3
	v_add_f32_e32 v2, v2, v3
	v_mul_f32_e32 v3, v37, v41
	;; [unrolled: 36-line block ×4, first 2 shown]
	s_waitcnt vmcnt(3) lgkmcnt(0)
	v_mul_f32_e32 v116, v108, v113
	v_fmac_f32_e32 v116, v109, v112
	v_add_f32_e32 v103, v103, v116
	v_mul_f32_e32 v116, v110, v115
	v_fmac_f32_e32 v116, v111, v114
	v_add_f32_e32 v103, v103, v116
	ds_read2_b64 v[116:119], v102 offset0:91 offset1:92
	v_fma_f32 v3, v68, v72, -v3
	v_add_f32_e32 v2, v2, v3
	v_mul_f32_e32 v3, v75, v79
	v_fma_f32 v3, v74, v78, -v3
	s_waitcnt vmcnt(2) lgkmcnt(0)
	v_mul_f32_e32 v124, v116, v121
	v_fmac_f32_e32 v124, v117, v120
	v_add_f32_e32 v103, v103, v124
	v_mul_f32_e32 v124, v118, v123
	v_fmac_f32_e32 v124, v119, v122
	v_add_f32_e32 v103, v103, v124
	ds_read2_b64 v[124:127], v102 offset0:93 offset1:94
	v_add_f32_e32 v2, v2, v3
	v_mul_f32_e32 v3, v77, v81
	v_fma_f32 v3, v76, v80, -v3
	v_add_f32_e32 v2, v2, v3
	s_waitcnt vmcnt(1) lgkmcnt(0)
	v_mul_f32_e32 v132, v124, v129
	v_fmac_f32_e32 v132, v125, v128
	v_add_f32_e32 v141, v103, v132
	ds_read2_b64 v[132:135], v102 offset0:95 offset1:96
	scratch_load_dwordx4 v[244:247], off, off offset:360
	scratch_load_dwordx4 v[248:251], off, off offset:376
	;; [unrolled: 1-line block ×3, first 2 shown]
	scratch_load_dwordx2 v[146:147], off, off offset:408
	v_mul_f32_e32 v3, v83, v87
	v_fma_f32 v3, v82, v86, -v3
	v_add_f32_e32 v2, v2, v3
	v_mul_f32_e32 v3, v85, v89
	v_fma_f32 v3, v84, v88, -v3
	v_add_f32_e32 v2, v2, v3
	;; [unrolled: 3-line block ×11, first 2 shown]
	v_mul_f32_e32 v2, v127, v131
	v_mul_f32_e32 v143, v126, v131
	v_fma_f32 v142, v126, v130, -v2
	s_waitcnt vmcnt(4) lgkmcnt(0)
	v_mul_f32_e32 v2, v133, v137
	v_mov_b32_e32 v18, v139
	v_fmac_f32_e32 v143, v127, v130
	v_mul_f32_e32 v145, v132, v137
	v_fma_f32 v144, v132, v136, -v2
	ds_read2_b64 v[2:5], v102 offset0:97 offset1:98
	ds_read2_b64 v[6:9], v102 offset0:99 offset1:100
	;; [unrolled: 1-line block ×3, first 2 shown]
	ds_read_b64 v[14:15], v102 offset:824
	v_pk_mul_f32 v[18:19], v[134:135], v[18:19] op_sel:[1,0] op_sel_hi:[0,0]
	v_fmac_f32_e32 v145, v133, v136
	v_pk_add_f32 v[16:17], v[140:141], v[142:143]
	v_pk_fma_f32 v[20:21], v[134:135], v[138:139], v[18:19] neg_lo:[0,0,1] neg_hi:[0,0,1]
	v_pk_fma_f32 v[18:19], v[134:135], v[138:139], v[18:19] op_sel_hi:[1,0,1]
	v_pk_add_f32 v[16:17], v[16:17], v[144:145]
	v_mov_b32_e32 v21, v19
	v_pk_add_f32 v[16:17], v[16:17], v[20:21]
	s_waitcnt vmcnt(3) lgkmcnt(3)
	v_pk_mul_f32 v[18:19], v[2:3], v[244:245] op_sel:[1,1] op_sel_hi:[0,1]
	v_pk_fma_f32 v[20:21], v[2:3], v[244:245], v[18:19] neg_lo:[0,0,1] neg_hi:[0,0,1]
	v_pk_fma_f32 v[2:3], v[2:3], v[244:245], v[18:19] op_sel_hi:[1,0,1]
	s_nop 0
	v_mov_b32_e32 v21, v3
	v_pk_add_f32 v[2:3], v[16:17], v[20:21]
	v_mov_b32_e32 v16, v247
	v_pk_mul_f32 v[16:17], v[4:5], v[16:17] op_sel:[1,0] op_sel_hi:[0,0]
	v_pk_fma_f32 v[18:19], v[4:5], v[246:247], v[16:17] neg_lo:[0,0,1] neg_hi:[0,0,1]
	v_pk_fma_f32 v[4:5], v[4:5], v[246:247], v[16:17] op_sel_hi:[1,0,1]
	s_nop 0
	v_mov_b32_e32 v19, v5
	s_waitcnt vmcnt(2) lgkmcnt(2)
	v_pk_mul_f32 v[4:5], v[6:7], v[248:249] op_sel:[1,1] op_sel_hi:[0,1]
	v_pk_fma_f32 v[16:17], v[6:7], v[248:249], v[4:5] neg_lo:[0,0,1] neg_hi:[0,0,1]
	v_pk_fma_f32 v[4:5], v[6:7], v[248:249], v[4:5] op_sel_hi:[1,0,1]
	v_pk_add_f32 v[2:3], v[2:3], v[18:19]
	v_mov_b32_e32 v4, v251
	v_mov_b32_e32 v17, v5
	v_pk_mul_f32 v[4:5], v[8:9], v[4:5] op_sel:[1,0] op_sel_hi:[0,0]
	v_pk_fma_f32 v[6:7], v[8:9], v[250:251], v[4:5] neg_lo:[0,0,1] neg_hi:[0,0,1]
	v_pk_fma_f32 v[4:5], v[8:9], v[250:251], v[4:5] op_sel_hi:[1,0,1]
	v_pk_add_f32 v[2:3], v[2:3], v[16:17]
	v_mov_b32_e32 v7, v5
	s_waitcnt vmcnt(1) lgkmcnt(1)
	v_pk_mul_f32 v[4:5], v[10:11], v[252:253] op_sel:[1,1] op_sel_hi:[0,1]
	v_pk_add_f32 v[2:3], v[2:3], v[6:7]
	v_pk_fma_f32 v[6:7], v[10:11], v[252:253], v[4:5] neg_lo:[0,0,1] neg_hi:[0,0,1]
	v_pk_fma_f32 v[4:5], v[10:11], v[252:253], v[4:5] op_sel_hi:[1,0,1]
	s_nop 0
	v_mov_b32_e32 v4, v255
	v_mov_b32_e32 v7, v5
	v_pk_mul_f32 v[4:5], v[12:13], v[4:5] op_sel:[1,0] op_sel_hi:[0,0]
	v_pk_add_f32 v[2:3], v[2:3], v[6:7]
	v_pk_fma_f32 v[6:7], v[12:13], v[254:255], v[4:5] neg_lo:[0,0,1] neg_hi:[0,0,1]
	v_pk_fma_f32 v[4:5], v[12:13], v[254:255], v[4:5] op_sel_hi:[1,0,1]
	s_nop 0
	v_mov_b32_e32 v7, v5
	s_waitcnt vmcnt(0) lgkmcnt(0)
	v_pk_mul_f32 v[4:5], v[14:15], v[146:147] op_sel:[1,1] op_sel_hi:[0,1]
	v_pk_add_f32 v[2:3], v[2:3], v[6:7]
	v_pk_fma_f32 v[6:7], v[14:15], v[146:147], v[4:5] neg_lo:[0,0,1] neg_hi:[0,0,1]
	v_pk_fma_f32 v[4:5], v[14:15], v[146:147], v[4:5] op_sel_hi:[1,0,1]
	s_nop 0
	v_mov_b32_e32 v7, v5
	scratch_load_dwordx2 v[4:5], off, off offset:80
	v_pk_add_f32 v[2:3], v[2:3], v[6:7]
	s_waitcnt vmcnt(0)
	v_pk_add_f32 v[2:3], v[4:5], v[2:3] neg_lo:[0,1] neg_hi:[0,1]
	scratch_store_dwordx2 off, v[2:3], off offset:80
	s_and_saveexec_b64 s[0:1], vcc
	s_cbranch_execz .LBB51_307
; %bb.306:
	scratch_load_dwordx2 v[2:3], off, off offset:72
	v_mov_b32_e32 v103, v102
	scratch_store_dwordx2 off, v[102:103], off offset:72
	s_waitcnt vmcnt(1)
	ds_write_b64 v1, v[2:3]
.LBB51_307:
	s_or_b64 exec, exec, s[0:1]
	s_waitcnt lgkmcnt(0)
	; wave barrier
	ds_read_b128 v[14:17], v102 offset:496
	ds_read_b128 v[10:13], v102 offset:512
	;; [unrolled: 1-line block ×4, first 2 shown]
	scratch_load_dwordx4 v[18:21], off, off offset:80
	scratch_load_dwordx4 v[38:41], off, off offset:144
	;; [unrolled: 1-line block ×11, first 2 shown]
	v_cmp_lt_u32_e32 vcc, 8, v0
	scratch_load_dwordx4 v[46:49], off, off offset:160
	scratch_load_dwordx4 v[54:57], off, off offset:176
	scratch_load_dwordx4 v[62:65], off, off offset:192
	s_waitcnt vmcnt(13) lgkmcnt(3)
	v_mul_f32_e32 v22, v14, v19
	v_fmac_f32_e32 v22, v15, v18
	v_mul_f32_e32 v23, v16, v21
	v_add_f32_e32 v22, 0, v22
	v_fmac_f32_e32 v23, v17, v20
	v_add_f32_e32 v26, v22, v23
	scratch_load_dwordx4 v[22:25], off, off offset:96
	v_mul_f32_e32 v15, v15, v19
	v_fma_f32 v14, v14, v18, -v15
	v_mul_f32_e32 v15, v17, v21
	v_add_f32_e32 v14, 0, v14
	v_fma_f32 v15, v16, v20, -v15
	v_add_f32_e32 v14, v14, v15
	s_waitcnt vmcnt(0) lgkmcnt(2)
	v_mul_f32_e32 v27, v10, v23
	v_fmac_f32_e32 v27, v11, v22
	v_add_f32_e32 v26, v26, v27
	v_mul_f32_e32 v27, v12, v25
	v_fmac_f32_e32 v27, v13, v24
	v_add_f32_e32 v30, v26, v27
	scratch_load_dwordx4 v[26:29], off, off offset:112
	v_mul_f32_e32 v11, v11, v23
	v_fma_f32 v10, v10, v22, -v11
	v_mul_f32_e32 v11, v13, v25
	v_add_f32_e32 v10, v14, v10
	v_fma_f32 v11, v12, v24, -v11
	v_add_f32_e32 v10, v10, v11
	s_waitcnt vmcnt(0) lgkmcnt(1)
	v_mul_f32_e32 v31, v6, v27
	v_fmac_f32_e32 v31, v7, v26
	v_add_f32_e32 v30, v30, v31
	v_mul_f32_e32 v31, v8, v29
	;; [unrolled: 14-line block ×3, first 2 shown]
	v_fmac_f32_e32 v35, v5, v32
	v_add_f32_e32 v42, v34, v35
	ds_read_b128 v[34:37], v102 offset:560
	v_mul_f32_e32 v3, v3, v31
	v_fma_f32 v2, v2, v30, -v3
	v_mul_f32_e32 v3, v5, v33
	v_add_f32_e32 v2, v6, v2
	s_waitcnt lgkmcnt(0)
	v_mul_f32_e32 v43, v34, v39
	v_fmac_f32_e32 v43, v35, v38
	v_add_f32_e32 v42, v42, v43
	v_mul_f32_e32 v43, v36, v41
	v_fmac_f32_e32 v43, v37, v40
	v_add_f32_e32 v50, v42, v43
	ds_read_b128 v[42:45], v102 offset:576
	v_fma_f32 v3, v4, v32, -v3
	v_add_f32_e32 v2, v2, v3
	v_mul_f32_e32 v3, v35, v39
	v_fma_f32 v3, v34, v38, -v3
	s_waitcnt lgkmcnt(0)
	v_mul_f32_e32 v51, v42, v47
	v_fmac_f32_e32 v51, v43, v46
	v_add_f32_e32 v50, v50, v51
	v_mul_f32_e32 v51, v44, v49
	v_fmac_f32_e32 v51, v45, v48
	v_add_f32_e32 v58, v50, v51
	ds_read_b128 v[50:53], v102 offset:592
	v_add_f32_e32 v2, v2, v3
	v_mul_f32_e32 v3, v37, v41
	v_fma_f32 v3, v36, v40, -v3
	v_add_f32_e32 v2, v2, v3
	s_waitcnt lgkmcnt(0)
	v_mul_f32_e32 v59, v50, v55
	v_fmac_f32_e32 v59, v51, v54
	v_add_f32_e32 v58, v58, v59
	v_mul_f32_e32 v59, v52, v57
	v_fmac_f32_e32 v59, v53, v56
	v_add_f32_e32 v66, v58, v59
	ds_read_b128 v[58:61], v102 offset:608
	v_mul_f32_e32 v3, v43, v47
	v_fma_f32 v3, v42, v46, -v3
	v_add_f32_e32 v2, v2, v3
	v_mul_f32_e32 v3, v45, v49
	s_waitcnt lgkmcnt(0)
	v_mul_f32_e32 v67, v58, v63
	v_fmac_f32_e32 v67, v59, v62
	v_add_f32_e32 v66, v66, v67
	v_mul_f32_e32 v67, v60, v65
	v_fmac_f32_e32 v67, v61, v64
	v_add_f32_e32 v74, v66, v67
	ds_read_b128 v[66:69], v102 offset:624
	v_fma_f32 v3, v44, v48, -v3
	v_add_f32_e32 v2, v2, v3
	v_mul_f32_e32 v3, v51, v55
	v_fma_f32 v3, v50, v54, -v3
	s_waitcnt lgkmcnt(0)
	v_mul_f32_e32 v75, v66, v71
	v_fmac_f32_e32 v75, v67, v70
	v_add_f32_e32 v74, v74, v75
	v_mul_f32_e32 v75, v68, v73
	v_fmac_f32_e32 v75, v69, v72
	v_add_f32_e32 v82, v74, v75
	ds_read_b128 v[74:77], v102 offset:640
	v_add_f32_e32 v2, v2, v3
	v_mul_f32_e32 v3, v53, v57
	v_fma_f32 v3, v52, v56, -v3
	v_add_f32_e32 v2, v2, v3
	s_waitcnt lgkmcnt(0)
	v_mul_f32_e32 v83, v74, v79
	v_fmac_f32_e32 v83, v75, v78
	v_add_f32_e32 v82, v82, v83
	v_mul_f32_e32 v83, v76, v81
	v_fmac_f32_e32 v83, v77, v80
	v_add_f32_e32 v90, v82, v83
	ds_read_b128 v[82:85], v102 offset:656
	v_mul_f32_e32 v3, v59, v63
	v_fma_f32 v3, v58, v62, -v3
	v_add_f32_e32 v2, v2, v3
	v_mul_f32_e32 v3, v61, v65
	;; [unrolled: 36-line block ×3, first 2 shown]
	s_waitcnt lgkmcnt(0)
	v_mul_f32_e32 v116, v108, v113
	v_fmac_f32_e32 v116, v109, v112
	v_add_f32_e32 v103, v103, v116
	v_mul_f32_e32 v116, v110, v115
	v_fmac_f32_e32 v116, v111, v114
	v_add_f32_e32 v103, v103, v116
	ds_read_b128 v[116:119], v102 offset:720
	v_fma_f32 v3, v76, v80, -v3
	v_add_f32_e32 v2, v2, v3
	v_mul_f32_e32 v3, v83, v87
	v_fma_f32 v3, v82, v86, -v3
	s_waitcnt lgkmcnt(0)
	v_mul_f32_e32 v124, v116, v121
	v_fmac_f32_e32 v124, v117, v120
	v_add_f32_e32 v103, v103, v124
	v_mul_f32_e32 v124, v118, v123
	v_fmac_f32_e32 v124, v119, v122
	v_add_f32_e32 v103, v103, v124
	ds_read_b128 v[124:127], v102 offset:736
	v_add_f32_e32 v2, v2, v3
	v_mul_f32_e32 v3, v85, v89
	v_fma_f32 v3, v84, v88, -v3
	v_add_f32_e32 v2, v2, v3
	s_waitcnt lgkmcnt(0)
	v_mul_f32_e32 v132, v124, v129
	v_fmac_f32_e32 v132, v125, v128
	v_add_f32_e32 v103, v103, v132
	v_mul_f32_e32 v132, v126, v131
	v_fmac_f32_e32 v132, v127, v130
	v_add_f32_e32 v145, v103, v132
	ds_read_b128 v[132:135], v102 offset:752
	scratch_load_dwordx4 v[244:247], off, off offset:352
	scratch_load_dwordx4 v[248:251], off, off offset:368
	scratch_load_dwordx4 v[252:255], off, off offset:384
	scratch_load_dwordx4 v[140:143], off, off offset:400
	v_mul_f32_e32 v3, v91, v95
	v_fma_f32 v3, v90, v94, -v3
	v_add_f32_e32 v2, v2, v3
	v_mul_f32_e32 v3, v93, v97
	v_fma_f32 v3, v92, v96, -v3
	v_add_f32_e32 v2, v2, v3
	;; [unrolled: 3-line block ×10, first 2 shown]
	s_waitcnt lgkmcnt(0)
	v_mul_f32_e32 v2, v133, v137
	v_fma_f32 v146, v132, v136, -v2
	v_mul_f32_e32 v2, v135, v139
	v_fma_f32 v148, v134, v138, -v2
	ds_read_b128 v[2:5], v102 offset:768
	ds_read_b128 v[6:9], v102 offset:784
	;; [unrolled: 1-line block ×4, first 2 shown]
	v_mul_f32_e32 v147, v132, v137
	v_fmac_f32_e32 v147, v133, v136
	v_mul_f32_e32 v149, v134, v139
	v_fmac_f32_e32 v149, v135, v138
	v_pk_add_f32 v[18:19], v[144:145], v[146:147]
	s_waitcnt vmcnt(3) lgkmcnt(3)
	v_pk_mul_f32 v[20:21], v[2:3], v[244:245] op_sel:[1,1] op_sel_hi:[0,1]
	v_pk_fma_f32 v[22:23], v[2:3], v[244:245], v[20:21] neg_lo:[0,0,1] neg_hi:[0,0,1]
	v_pk_fma_f32 v[2:3], v[2:3], v[244:245], v[20:21] op_sel_hi:[1,0,1]
	v_pk_add_f32 v[18:19], v[18:19], v[148:149]
	v_mov_b32_e32 v23, v3
	v_pk_add_f32 v[2:3], v[18:19], v[22:23]
	v_mov_b32_e32 v18, v247
	v_pk_mul_f32 v[18:19], v[4:5], v[18:19] op_sel:[1,0] op_sel_hi:[0,0]
	v_pk_fma_f32 v[20:21], v[4:5], v[246:247], v[18:19] neg_lo:[0,0,1] neg_hi:[0,0,1]
	v_pk_fma_f32 v[4:5], v[4:5], v[246:247], v[18:19] op_sel_hi:[1,0,1]
	s_nop 0
	v_mov_b32_e32 v21, v5
	s_waitcnt vmcnt(2) lgkmcnt(2)
	v_pk_mul_f32 v[4:5], v[6:7], v[248:249] op_sel:[1,1] op_sel_hi:[0,1]
	v_pk_fma_f32 v[18:19], v[6:7], v[248:249], v[4:5] neg_lo:[0,0,1] neg_hi:[0,0,1]
	v_pk_fma_f32 v[4:5], v[6:7], v[248:249], v[4:5] op_sel_hi:[1,0,1]
	v_pk_add_f32 v[2:3], v[2:3], v[20:21]
	v_mov_b32_e32 v4, v251
	v_mov_b32_e32 v19, v5
	v_pk_mul_f32 v[4:5], v[8:9], v[4:5] op_sel:[1,0] op_sel_hi:[0,0]
	v_pk_fma_f32 v[6:7], v[8:9], v[250:251], v[4:5] neg_lo:[0,0,1] neg_hi:[0,0,1]
	v_pk_fma_f32 v[4:5], v[8:9], v[250:251], v[4:5] op_sel_hi:[1,0,1]
	v_pk_add_f32 v[2:3], v[2:3], v[18:19]
	v_mov_b32_e32 v7, v5
	s_waitcnt vmcnt(1) lgkmcnt(1)
	v_pk_mul_f32 v[4:5], v[10:11], v[252:253] op_sel:[1,1] op_sel_hi:[0,1]
	v_pk_add_f32 v[2:3], v[2:3], v[6:7]
	v_pk_fma_f32 v[6:7], v[10:11], v[252:253], v[4:5] neg_lo:[0,0,1] neg_hi:[0,0,1]
	v_pk_fma_f32 v[4:5], v[10:11], v[252:253], v[4:5] op_sel_hi:[1,0,1]
	s_nop 0
	v_mov_b32_e32 v4, v255
	v_mov_b32_e32 v7, v5
	v_pk_mul_f32 v[4:5], v[12:13], v[4:5] op_sel:[1,0] op_sel_hi:[0,0]
	v_pk_add_f32 v[2:3], v[2:3], v[6:7]
	v_pk_fma_f32 v[6:7], v[12:13], v[254:255], v[4:5] neg_lo:[0,0,1] neg_hi:[0,0,1]
	v_pk_fma_f32 v[4:5], v[12:13], v[254:255], v[4:5] op_sel_hi:[1,0,1]
	s_nop 0
	v_mov_b32_e32 v7, v5
	s_waitcnt vmcnt(0) lgkmcnt(0)
	v_pk_mul_f32 v[4:5], v[14:15], v[140:141] op_sel:[1,1] op_sel_hi:[0,1]
	v_pk_add_f32 v[2:3], v[2:3], v[6:7]
	v_pk_fma_f32 v[6:7], v[14:15], v[140:141], v[4:5] neg_lo:[0,0,1] neg_hi:[0,0,1]
	v_pk_fma_f32 v[4:5], v[14:15], v[140:141], v[4:5] op_sel_hi:[1,0,1]
	s_nop 0
	v_mov_b32_e32 v4, v143
	v_mov_b32_e32 v7, v5
	v_pk_mul_f32 v[4:5], v[16:17], v[4:5] op_sel:[1,0] op_sel_hi:[0,0]
	v_pk_add_f32 v[2:3], v[2:3], v[6:7]
	v_pk_fma_f32 v[6:7], v[16:17], v[142:143], v[4:5] neg_lo:[0,0,1] neg_hi:[0,0,1]
	v_pk_fma_f32 v[4:5], v[16:17], v[142:143], v[4:5] op_sel_hi:[1,0,1]
	s_nop 0
	v_mov_b32_e32 v7, v5
	scratch_load_dwordx2 v[4:5], off, off offset:72
	v_pk_add_f32 v[2:3], v[2:3], v[6:7]
	s_waitcnt vmcnt(0)
	v_pk_add_f32 v[2:3], v[4:5], v[2:3] neg_lo:[0,1] neg_hi:[0,1]
	scratch_store_dwordx2 off, v[2:3], off offset:72
	s_and_saveexec_b64 s[0:1], vcc
	s_cbranch_execz .LBB51_309
; %bb.308:
	scratch_load_dwordx2 v[2:3], off, off offset:64
	v_mov_b32_e32 v4, 0
	v_mov_b32_e32 v5, v4
	scratch_store_dwordx2 off, v[4:5], off offset:64
	s_waitcnt vmcnt(1)
	ds_write_b64 v1, v[2:3]
.LBB51_309:
	s_or_b64 exec, exec, s[0:1]
	s_waitcnt lgkmcnt(0)
	; wave barrier
	scratch_load_dwordx4 v[6:9], off, off offset:72
	scratch_load_dwordx4 v[14:17], off, off offset:88
	;; [unrolled: 1-line block ×10, first 2 shown]
	v_mov_b32_e32 v102, 0
	ds_read2_b64 v[2:5], v102 offset0:61 offset1:62
	scratch_load_dwordx4 v[86:89], off, off offset:232
	scratch_load_dwordx4 v[94:97], off, off offset:248
	;; [unrolled: 1-line block ×8, first 2 shown]
	v_cmp_lt_u32_e32 vcc, 7, v0
	s_waitcnt vmcnt(17) lgkmcnt(0)
	v_mul_f32_e32 v10, v2, v7
	v_fmac_f32_e32 v10, v3, v6
	v_mul_f32_e32 v11, v4, v9
	v_add_f32_e32 v10, 0, v10
	v_fmac_f32_e32 v11, v5, v8
	v_add_f32_e32 v18, v10, v11
	ds_read2_b64 v[10:13], v102 offset0:63 offset1:64
	v_mul_f32_e32 v3, v3, v7
	v_fma_f32 v2, v2, v6, -v3
	v_mul_f32_e32 v3, v5, v9
	v_add_f32_e32 v2, 0, v2
	s_waitcnt vmcnt(16) lgkmcnt(0)
	v_mul_f32_e32 v19, v10, v15
	v_fmac_f32_e32 v19, v11, v14
	v_add_f32_e32 v18, v18, v19
	v_mul_f32_e32 v19, v12, v17
	v_fmac_f32_e32 v19, v13, v16
	v_add_f32_e32 v26, v18, v19
	ds_read2_b64 v[18:21], v102 offset0:65 offset1:66
	v_fma_f32 v3, v4, v8, -v3
	v_add_f32_e32 v2, v2, v3
	v_mul_f32_e32 v3, v11, v15
	v_fma_f32 v3, v10, v14, -v3
	s_waitcnt vmcnt(15) lgkmcnt(0)
	v_mul_f32_e32 v27, v18, v23
	v_fmac_f32_e32 v27, v19, v22
	v_add_f32_e32 v26, v26, v27
	v_mul_f32_e32 v27, v20, v25
	v_fmac_f32_e32 v27, v21, v24
	v_add_f32_e32 v34, v26, v27
	ds_read2_b64 v[26:29], v102 offset0:67 offset1:68
	v_add_f32_e32 v2, v2, v3
	v_mul_f32_e32 v3, v13, v17
	v_fma_f32 v3, v12, v16, -v3
	v_add_f32_e32 v2, v2, v3
	s_waitcnt vmcnt(14) lgkmcnt(0)
	v_mul_f32_e32 v35, v26, v31
	v_fmac_f32_e32 v35, v27, v30
	v_add_f32_e32 v34, v34, v35
	v_mul_f32_e32 v35, v28, v33
	v_fmac_f32_e32 v35, v29, v32
	v_add_f32_e32 v42, v34, v35
	ds_read2_b64 v[34:37], v102 offset0:69 offset1:70
	v_mul_f32_e32 v3, v19, v23
	v_fma_f32 v3, v18, v22, -v3
	v_add_f32_e32 v2, v2, v3
	v_mul_f32_e32 v3, v21, v25
	s_waitcnt vmcnt(13) lgkmcnt(0)
	v_mul_f32_e32 v43, v34, v39
	v_fmac_f32_e32 v43, v35, v38
	v_add_f32_e32 v42, v42, v43
	v_mul_f32_e32 v43, v36, v41
	v_fmac_f32_e32 v43, v37, v40
	v_add_f32_e32 v50, v42, v43
	ds_read2_b64 v[42:45], v102 offset0:71 offset1:72
	v_fma_f32 v3, v20, v24, -v3
	v_add_f32_e32 v2, v2, v3
	v_mul_f32_e32 v3, v27, v31
	v_fma_f32 v3, v26, v30, -v3
	s_waitcnt vmcnt(12) lgkmcnt(0)
	v_mul_f32_e32 v51, v42, v47
	v_fmac_f32_e32 v51, v43, v46
	v_add_f32_e32 v50, v50, v51
	v_mul_f32_e32 v51, v44, v49
	v_fmac_f32_e32 v51, v45, v48
	v_add_f32_e32 v58, v50, v51
	ds_read2_b64 v[50:53], v102 offset0:73 offset1:74
	v_add_f32_e32 v2, v2, v3
	v_mul_f32_e32 v3, v29, v33
	v_fma_f32 v3, v28, v32, -v3
	v_add_f32_e32 v2, v2, v3
	s_waitcnt vmcnt(11) lgkmcnt(0)
	v_mul_f32_e32 v59, v50, v55
	v_fmac_f32_e32 v59, v51, v54
	v_add_f32_e32 v58, v58, v59
	v_mul_f32_e32 v59, v52, v57
	v_fmac_f32_e32 v59, v53, v56
	v_add_f32_e32 v66, v58, v59
	ds_read2_b64 v[58:61], v102 offset0:75 offset1:76
	v_mul_f32_e32 v3, v35, v39
	v_fma_f32 v3, v34, v38, -v3
	v_add_f32_e32 v2, v2, v3
	v_mul_f32_e32 v3, v37, v41
	;; [unrolled: 36-line block ×5, first 2 shown]
	s_waitcnt vmcnt(1) lgkmcnt(0)
	v_mul_f32_e32 v140, v132, v137
	v_fmac_f32_e32 v140, v133, v136
	v_add_f32_e32 v149, v103, v140
	ds_read2_b64 v[140:143], v102 offset0:95 offset1:96
	scratch_load_dwordx4 v[248:251], off, off offset:360
	scratch_load_dwordx4 v[252:255], off, off offset:376
	;; [unrolled: 1-line block ×3, first 2 shown]
	scratch_load_dwordx2 v[154:155], off, off offset:408
	v_fma_f32 v3, v84, v88, -v3
	v_add_f32_e32 v2, v2, v3
	v_mul_f32_e32 v3, v91, v95
	v_fma_f32 v3, v90, v94, -v3
	v_add_f32_e32 v2, v2, v3
	v_mul_f32_e32 v3, v93, v97
	;; [unrolled: 3-line block ×12, first 2 shown]
	v_mul_f32_e32 v151, v134, v139
	v_fma_f32 v150, v134, v138, -v2
	s_waitcnt vmcnt(4) lgkmcnt(0)
	v_mul_f32_e32 v2, v141, v245
	v_mov_b32_e32 v18, v247
	v_fmac_f32_e32 v151, v135, v138
	v_mul_f32_e32 v153, v140, v245
	v_fma_f32 v152, v140, v244, -v2
	ds_read2_b64 v[2:5], v102 offset0:97 offset1:98
	ds_read2_b64 v[6:9], v102 offset0:99 offset1:100
	ds_read2_b64 v[10:13], v102 offset0:101 offset1:102
	ds_read_b64 v[14:15], v102 offset:824
	v_pk_mul_f32 v[18:19], v[142:143], v[18:19] op_sel:[1,0] op_sel_hi:[0,0]
	v_fmac_f32_e32 v153, v141, v244
	v_pk_add_f32 v[16:17], v[148:149], v[150:151]
	v_pk_fma_f32 v[20:21], v[142:143], v[246:247], v[18:19] neg_lo:[0,0,1] neg_hi:[0,0,1]
	v_pk_fma_f32 v[18:19], v[142:143], v[246:247], v[18:19] op_sel_hi:[1,0,1]
	v_pk_add_f32 v[16:17], v[16:17], v[152:153]
	v_mov_b32_e32 v21, v19
	v_pk_add_f32 v[16:17], v[16:17], v[20:21]
	s_waitcnt vmcnt(3) lgkmcnt(3)
	v_pk_mul_f32 v[18:19], v[2:3], v[248:249] op_sel:[1,1] op_sel_hi:[0,1]
	v_pk_fma_f32 v[20:21], v[2:3], v[248:249], v[18:19] neg_lo:[0,0,1] neg_hi:[0,0,1]
	v_pk_fma_f32 v[2:3], v[2:3], v[248:249], v[18:19] op_sel_hi:[1,0,1]
	s_nop 0
	v_mov_b32_e32 v21, v3
	v_pk_add_f32 v[2:3], v[16:17], v[20:21]
	v_mov_b32_e32 v16, v251
	v_pk_mul_f32 v[16:17], v[4:5], v[16:17] op_sel:[1,0] op_sel_hi:[0,0]
	v_pk_fma_f32 v[18:19], v[4:5], v[250:251], v[16:17] neg_lo:[0,0,1] neg_hi:[0,0,1]
	v_pk_fma_f32 v[4:5], v[4:5], v[250:251], v[16:17] op_sel_hi:[1,0,1]
	s_nop 0
	v_mov_b32_e32 v19, v5
	s_waitcnt vmcnt(2) lgkmcnt(2)
	v_pk_mul_f32 v[4:5], v[6:7], v[252:253] op_sel:[1,1] op_sel_hi:[0,1]
	v_pk_fma_f32 v[16:17], v[6:7], v[252:253], v[4:5] neg_lo:[0,0,1] neg_hi:[0,0,1]
	v_pk_fma_f32 v[4:5], v[6:7], v[252:253], v[4:5] op_sel_hi:[1,0,1]
	v_pk_add_f32 v[2:3], v[2:3], v[18:19]
	v_mov_b32_e32 v4, v255
	v_mov_b32_e32 v17, v5
	v_pk_mul_f32 v[4:5], v[8:9], v[4:5] op_sel:[1,0] op_sel_hi:[0,0]
	v_pk_fma_f32 v[6:7], v[8:9], v[254:255], v[4:5] neg_lo:[0,0,1] neg_hi:[0,0,1]
	v_pk_fma_f32 v[4:5], v[8:9], v[254:255], v[4:5] op_sel_hi:[1,0,1]
	v_pk_add_f32 v[2:3], v[2:3], v[16:17]
	v_mov_b32_e32 v7, v5
	s_waitcnt vmcnt(1) lgkmcnt(1)
	v_pk_mul_f32 v[4:5], v[10:11], v[144:145] op_sel:[1,1] op_sel_hi:[0,1]
	v_pk_add_f32 v[2:3], v[2:3], v[6:7]
	v_pk_fma_f32 v[6:7], v[10:11], v[144:145], v[4:5] neg_lo:[0,0,1] neg_hi:[0,0,1]
	v_pk_fma_f32 v[4:5], v[10:11], v[144:145], v[4:5] op_sel_hi:[1,0,1]
	s_nop 0
	v_mov_b32_e32 v4, v147
	v_mov_b32_e32 v7, v5
	v_pk_mul_f32 v[4:5], v[12:13], v[4:5] op_sel:[1,0] op_sel_hi:[0,0]
	v_pk_add_f32 v[2:3], v[2:3], v[6:7]
	v_pk_fma_f32 v[6:7], v[12:13], v[146:147], v[4:5] neg_lo:[0,0,1] neg_hi:[0,0,1]
	v_pk_fma_f32 v[4:5], v[12:13], v[146:147], v[4:5] op_sel_hi:[1,0,1]
	s_nop 0
	v_mov_b32_e32 v7, v5
	s_waitcnt vmcnt(0) lgkmcnt(0)
	v_pk_mul_f32 v[4:5], v[14:15], v[154:155] op_sel:[1,1] op_sel_hi:[0,1]
	v_pk_add_f32 v[2:3], v[2:3], v[6:7]
	v_pk_fma_f32 v[6:7], v[14:15], v[154:155], v[4:5] neg_lo:[0,0,1] neg_hi:[0,0,1]
	v_pk_fma_f32 v[4:5], v[14:15], v[154:155], v[4:5] op_sel_hi:[1,0,1]
	s_nop 0
	v_mov_b32_e32 v7, v5
	scratch_load_dwordx2 v[4:5], off, off offset:64
	v_pk_add_f32 v[2:3], v[2:3], v[6:7]
	s_waitcnt vmcnt(0)
	v_pk_add_f32 v[2:3], v[4:5], v[2:3] neg_lo:[0,1] neg_hi:[0,1]
	scratch_store_dwordx2 off, v[2:3], off offset:64
	s_and_saveexec_b64 s[0:1], vcc
	s_cbranch_execz .LBB51_311
; %bb.310:
	scratch_load_dwordx2 v[2:3], off, off offset:56
	v_mov_b32_e32 v103, v102
	scratch_store_dwordx2 off, v[102:103], off offset:56
	s_waitcnt vmcnt(1)
	ds_write_b64 v1, v[2:3]
.LBB51_311:
	s_or_b64 exec, exec, s[0:1]
	s_waitcnt lgkmcnt(0)
	; wave barrier
	ds_read_b128 v[14:17], v102 offset:480
	ds_read_b128 v[10:13], v102 offset:496
	;; [unrolled: 1-line block ×4, first 2 shown]
	scratch_load_dwordx4 v[18:21], off, off offset:64
	scratch_load_dwordx4 v[38:41], off, off offset:128
	scratch_load_dwordx4 v[70:73], off, off offset:192
	scratch_load_dwordx4 v[78:81], off, off offset:208
	scratch_load_dwordx4 v[86:89], off, off offset:224
	scratch_load_dwordx4 v[94:97], off, off offset:240
	scratch_load_dwordx4 v[104:107], off, off offset:256
	scratch_load_dwordx4 v[112:115], off, off offset:272
	scratch_load_dwordx4 v[120:123], off, off offset:288
	scratch_load_dwordx4 v[128:131], off, off offset:304
	scratch_load_dwordx4 v[136:139], off, off offset:320
	scratch_load_dwordx4 v[144:147], off, off offset:336
	v_cmp_lt_u32_e32 vcc, 6, v0
	scratch_load_dwordx4 v[46:49], off, off offset:144
	scratch_load_dwordx4 v[54:57], off, off offset:160
	;; [unrolled: 1-line block ×3, first 2 shown]
	s_waitcnt vmcnt(14) lgkmcnt(3)
	v_mul_f32_e32 v22, v14, v19
	v_fmac_f32_e32 v22, v15, v18
	v_mul_f32_e32 v23, v16, v21
	v_add_f32_e32 v22, 0, v22
	v_fmac_f32_e32 v23, v17, v20
	v_add_f32_e32 v26, v22, v23
	scratch_load_dwordx4 v[22:25], off, off offset:80
	v_mul_f32_e32 v15, v15, v19
	v_fma_f32 v14, v14, v18, -v15
	v_mul_f32_e32 v15, v17, v21
	v_add_f32_e32 v14, 0, v14
	v_fma_f32 v15, v16, v20, -v15
	v_add_f32_e32 v14, v14, v15
	s_waitcnt vmcnt(0) lgkmcnt(2)
	v_mul_f32_e32 v27, v10, v23
	v_fmac_f32_e32 v27, v11, v22
	v_add_f32_e32 v26, v26, v27
	v_mul_f32_e32 v27, v12, v25
	v_fmac_f32_e32 v27, v13, v24
	v_add_f32_e32 v30, v26, v27
	scratch_load_dwordx4 v[26:29], off, off offset:96
	v_mul_f32_e32 v11, v11, v23
	v_fma_f32 v10, v10, v22, -v11
	v_mul_f32_e32 v11, v13, v25
	v_add_f32_e32 v10, v14, v10
	v_fma_f32 v11, v12, v24, -v11
	v_add_f32_e32 v10, v10, v11
	s_waitcnt vmcnt(0) lgkmcnt(1)
	v_mul_f32_e32 v31, v6, v27
	v_fmac_f32_e32 v31, v7, v26
	v_add_f32_e32 v30, v30, v31
	v_mul_f32_e32 v31, v8, v29
	v_fmac_f32_e32 v31, v9, v28
	v_add_f32_e32 v34, v30, v31
	scratch_load_dwordx4 v[30:33], off, off offset:112
	v_mul_f32_e32 v7, v7, v27
	v_fma_f32 v6, v6, v26, -v7
	v_mul_f32_e32 v7, v9, v29
	v_add_f32_e32 v6, v10, v6
	v_fma_f32 v7, v8, v28, -v7
	v_add_f32_e32 v6, v6, v7
	s_waitcnt vmcnt(0) lgkmcnt(0)
	v_mul_f32_e32 v35, v2, v31
	v_fmac_f32_e32 v35, v3, v30
	v_add_f32_e32 v34, v34, v35
	v_mul_f32_e32 v35, v4, v33
	v_fmac_f32_e32 v35, v5, v32
	v_add_f32_e32 v42, v34, v35
	ds_read_b128 v[34:37], v102 offset:544
	v_mul_f32_e32 v3, v3, v31
	v_fma_f32 v2, v2, v30, -v3
	v_mul_f32_e32 v3, v5, v33
	v_add_f32_e32 v2, v6, v2
	s_waitcnt lgkmcnt(0)
	v_mul_f32_e32 v43, v34, v39
	v_fmac_f32_e32 v43, v35, v38
	v_add_f32_e32 v42, v42, v43
	v_mul_f32_e32 v43, v36, v41
	v_fmac_f32_e32 v43, v37, v40
	v_add_f32_e32 v50, v42, v43
	ds_read_b128 v[42:45], v102 offset:560
	v_fma_f32 v3, v4, v32, -v3
	v_add_f32_e32 v2, v2, v3
	v_mul_f32_e32 v3, v35, v39
	v_fma_f32 v3, v34, v38, -v3
	s_waitcnt lgkmcnt(0)
	v_mul_f32_e32 v51, v42, v47
	v_fmac_f32_e32 v51, v43, v46
	v_add_f32_e32 v50, v50, v51
	v_mul_f32_e32 v51, v44, v49
	v_fmac_f32_e32 v51, v45, v48
	v_add_f32_e32 v58, v50, v51
	ds_read_b128 v[50:53], v102 offset:576
	v_add_f32_e32 v2, v2, v3
	v_mul_f32_e32 v3, v37, v41
	v_fma_f32 v3, v36, v40, -v3
	v_add_f32_e32 v2, v2, v3
	s_waitcnt lgkmcnt(0)
	v_mul_f32_e32 v59, v50, v55
	v_fmac_f32_e32 v59, v51, v54
	v_add_f32_e32 v58, v58, v59
	v_mul_f32_e32 v59, v52, v57
	v_fmac_f32_e32 v59, v53, v56
	v_add_f32_e32 v66, v58, v59
	ds_read_b128 v[58:61], v102 offset:592
	v_mul_f32_e32 v3, v43, v47
	v_fma_f32 v3, v42, v46, -v3
	v_add_f32_e32 v2, v2, v3
	v_mul_f32_e32 v3, v45, v49
	s_waitcnt lgkmcnt(0)
	v_mul_f32_e32 v67, v58, v63
	v_fmac_f32_e32 v67, v59, v62
	v_add_f32_e32 v66, v66, v67
	v_mul_f32_e32 v67, v60, v65
	v_fmac_f32_e32 v67, v61, v64
	v_add_f32_e32 v74, v66, v67
	ds_read_b128 v[66:69], v102 offset:608
	v_fma_f32 v3, v44, v48, -v3
	v_add_f32_e32 v2, v2, v3
	v_mul_f32_e32 v3, v51, v55
	v_fma_f32 v3, v50, v54, -v3
	s_waitcnt lgkmcnt(0)
	v_mul_f32_e32 v75, v66, v71
	v_fmac_f32_e32 v75, v67, v70
	v_add_f32_e32 v74, v74, v75
	v_mul_f32_e32 v75, v68, v73
	v_fmac_f32_e32 v75, v69, v72
	v_add_f32_e32 v82, v74, v75
	ds_read_b128 v[74:77], v102 offset:624
	v_add_f32_e32 v2, v2, v3
	v_mul_f32_e32 v3, v53, v57
	v_fma_f32 v3, v52, v56, -v3
	v_add_f32_e32 v2, v2, v3
	s_waitcnt lgkmcnt(0)
	v_mul_f32_e32 v83, v74, v79
	v_fmac_f32_e32 v83, v75, v78
	v_add_f32_e32 v82, v82, v83
	v_mul_f32_e32 v83, v76, v81
	v_fmac_f32_e32 v83, v77, v80
	v_add_f32_e32 v90, v82, v83
	ds_read_b128 v[82:85], v102 offset:640
	v_mul_f32_e32 v3, v59, v63
	v_fma_f32 v3, v58, v62, -v3
	v_add_f32_e32 v2, v2, v3
	v_mul_f32_e32 v3, v61, v65
	;; [unrolled: 36-line block ×4, first 2 shown]
	s_waitcnt lgkmcnt(0)
	v_mul_f32_e32 v140, v132, v137
	v_fmac_f32_e32 v140, v133, v136
	v_add_f32_e32 v103, v103, v140
	v_mul_f32_e32 v140, v134, v139
	v_fmac_f32_e32 v140, v135, v138
	v_add_f32_e32 v153, v103, v140
	ds_read_b128 v[140:143], v102 offset:752
	scratch_load_dwordx4 v[244:247], off, off offset:352
	scratch_load_dwordx4 v[248:251], off, off offset:368
	;; [unrolled: 1-line block ×4, first 2 shown]
	v_fma_f32 v3, v92, v96, -v3
	v_add_f32_e32 v2, v2, v3
	v_mul_f32_e32 v3, v99, v105
	v_fma_f32 v3, v98, v104, -v3
	v_add_f32_e32 v2, v2, v3
	v_mul_f32_e32 v3, v101, v107
	;; [unrolled: 3-line block ×10, first 2 shown]
	v_fma_f32 v3, v134, v138, -v3
	v_add_f32_e32 v152, v2, v3
	s_waitcnt lgkmcnt(0)
	v_mul_f32_e32 v2, v141, v145
	v_fma_f32 v154, v140, v144, -v2
	v_mul_f32_e32 v2, v143, v147
	v_fma_f32 v156, v142, v146, -v2
	ds_read_b128 v[2:5], v102 offset:768
	ds_read_b128 v[6:9], v102 offset:784
	;; [unrolled: 1-line block ×4, first 2 shown]
	v_mul_f32_e32 v155, v140, v145
	v_fmac_f32_e32 v155, v141, v144
	v_mul_f32_e32 v157, v142, v147
	v_fmac_f32_e32 v157, v143, v146
	v_pk_add_f32 v[18:19], v[152:153], v[154:155]
	s_waitcnt vmcnt(3) lgkmcnt(3)
	v_pk_mul_f32 v[20:21], v[2:3], v[244:245] op_sel:[1,1] op_sel_hi:[0,1]
	v_pk_fma_f32 v[22:23], v[2:3], v[244:245], v[20:21] neg_lo:[0,0,1] neg_hi:[0,0,1]
	v_pk_fma_f32 v[2:3], v[2:3], v[244:245], v[20:21] op_sel_hi:[1,0,1]
	v_pk_add_f32 v[18:19], v[18:19], v[156:157]
	v_mov_b32_e32 v23, v3
	v_pk_add_f32 v[2:3], v[18:19], v[22:23]
	v_mov_b32_e32 v18, v247
	v_pk_mul_f32 v[18:19], v[4:5], v[18:19] op_sel:[1,0] op_sel_hi:[0,0]
	v_pk_fma_f32 v[20:21], v[4:5], v[246:247], v[18:19] neg_lo:[0,0,1] neg_hi:[0,0,1]
	v_pk_fma_f32 v[4:5], v[4:5], v[246:247], v[18:19] op_sel_hi:[1,0,1]
	s_nop 0
	v_mov_b32_e32 v21, v5
	s_waitcnt vmcnt(2) lgkmcnt(2)
	v_pk_mul_f32 v[4:5], v[6:7], v[248:249] op_sel:[1,1] op_sel_hi:[0,1]
	v_pk_fma_f32 v[18:19], v[6:7], v[248:249], v[4:5] neg_lo:[0,0,1] neg_hi:[0,0,1]
	v_pk_fma_f32 v[4:5], v[6:7], v[248:249], v[4:5] op_sel_hi:[1,0,1]
	v_pk_add_f32 v[2:3], v[2:3], v[20:21]
	v_mov_b32_e32 v4, v251
	v_mov_b32_e32 v19, v5
	v_pk_mul_f32 v[4:5], v[8:9], v[4:5] op_sel:[1,0] op_sel_hi:[0,0]
	v_pk_fma_f32 v[6:7], v[8:9], v[250:251], v[4:5] neg_lo:[0,0,1] neg_hi:[0,0,1]
	v_pk_fma_f32 v[4:5], v[8:9], v[250:251], v[4:5] op_sel_hi:[1,0,1]
	v_pk_add_f32 v[2:3], v[2:3], v[18:19]
	v_mov_b32_e32 v7, v5
	s_waitcnt vmcnt(1) lgkmcnt(1)
	v_pk_mul_f32 v[4:5], v[10:11], v[252:253] op_sel:[1,1] op_sel_hi:[0,1]
	v_pk_add_f32 v[2:3], v[2:3], v[6:7]
	v_pk_fma_f32 v[6:7], v[10:11], v[252:253], v[4:5] neg_lo:[0,0,1] neg_hi:[0,0,1]
	v_pk_fma_f32 v[4:5], v[10:11], v[252:253], v[4:5] op_sel_hi:[1,0,1]
	s_nop 0
	v_mov_b32_e32 v4, v255
	v_mov_b32_e32 v7, v5
	v_pk_mul_f32 v[4:5], v[12:13], v[4:5] op_sel:[1,0] op_sel_hi:[0,0]
	v_pk_add_f32 v[2:3], v[2:3], v[6:7]
	v_pk_fma_f32 v[6:7], v[12:13], v[254:255], v[4:5] neg_lo:[0,0,1] neg_hi:[0,0,1]
	v_pk_fma_f32 v[4:5], v[12:13], v[254:255], v[4:5] op_sel_hi:[1,0,1]
	s_nop 0
	v_mov_b32_e32 v7, v5
	s_waitcnt vmcnt(0) lgkmcnt(0)
	v_pk_mul_f32 v[4:5], v[14:15], v[148:149] op_sel:[1,1] op_sel_hi:[0,1]
	v_pk_add_f32 v[2:3], v[2:3], v[6:7]
	v_pk_fma_f32 v[6:7], v[14:15], v[148:149], v[4:5] neg_lo:[0,0,1] neg_hi:[0,0,1]
	v_pk_fma_f32 v[4:5], v[14:15], v[148:149], v[4:5] op_sel_hi:[1,0,1]
	s_nop 0
	v_mov_b32_e32 v4, v151
	v_mov_b32_e32 v7, v5
	v_pk_mul_f32 v[4:5], v[16:17], v[4:5] op_sel:[1,0] op_sel_hi:[0,0]
	v_pk_add_f32 v[2:3], v[2:3], v[6:7]
	v_pk_fma_f32 v[6:7], v[16:17], v[150:151], v[4:5] neg_lo:[0,0,1] neg_hi:[0,0,1]
	v_pk_fma_f32 v[4:5], v[16:17], v[150:151], v[4:5] op_sel_hi:[1,0,1]
	s_nop 0
	v_mov_b32_e32 v7, v5
	scratch_load_dwordx2 v[4:5], off, off offset:56
	v_pk_add_f32 v[2:3], v[2:3], v[6:7]
	s_waitcnt vmcnt(0)
	v_pk_add_f32 v[2:3], v[4:5], v[2:3] neg_lo:[0,1] neg_hi:[0,1]
	scratch_store_dwordx2 off, v[2:3], off offset:56
	s_and_saveexec_b64 s[0:1], vcc
	s_cbranch_execz .LBB51_313
; %bb.312:
	scratch_load_dwordx2 v[2:3], off, off offset:48
	v_mov_b32_e32 v4, 0
	v_mov_b32_e32 v5, v4
	scratch_store_dwordx2 off, v[4:5], off offset:48
	s_waitcnt vmcnt(1)
	ds_write_b64 v1, v[2:3]
.LBB51_313:
	s_or_b64 exec, exec, s[0:1]
	s_waitcnt lgkmcnt(0)
	; wave barrier
	scratch_load_dwordx4 v[6:9], off, off offset:56
	scratch_load_dwordx4 v[14:17], off, off offset:72
	;; [unrolled: 1-line block ×10, first 2 shown]
	v_mov_b32_e32 v110, 0
	ds_read2_b64 v[2:5], v110 offset0:59 offset1:60
	scratch_load_dwordx4 v[86:89], off, off offset:216
	scratch_load_dwordx4 v[94:97], off, off offset:232
	;; [unrolled: 1-line block ×9, first 2 shown]
	v_cmp_lt_u32_e32 vcc, 5, v0
	s_waitcnt vmcnt(18) lgkmcnt(0)
	v_mul_f32_e32 v10, v2, v7
	v_fmac_f32_e32 v10, v3, v6
	v_mul_f32_e32 v11, v4, v9
	v_add_f32_e32 v10, 0, v10
	v_fmac_f32_e32 v11, v5, v8
	v_add_f32_e32 v18, v10, v11
	ds_read2_b64 v[10:13], v110 offset0:61 offset1:62
	v_mul_f32_e32 v3, v3, v7
	v_fma_f32 v2, v2, v6, -v3
	v_mul_f32_e32 v3, v5, v9
	v_add_f32_e32 v2, 0, v2
	s_waitcnt vmcnt(17) lgkmcnt(0)
	v_mul_f32_e32 v19, v10, v15
	v_fmac_f32_e32 v19, v11, v14
	v_add_f32_e32 v18, v18, v19
	v_mul_f32_e32 v19, v12, v17
	v_fmac_f32_e32 v19, v13, v16
	v_add_f32_e32 v26, v18, v19
	ds_read2_b64 v[18:21], v110 offset0:63 offset1:64
	v_fma_f32 v3, v4, v8, -v3
	v_add_f32_e32 v2, v2, v3
	v_mul_f32_e32 v3, v11, v15
	v_fma_f32 v3, v10, v14, -v3
	s_waitcnt vmcnt(16) lgkmcnt(0)
	v_mul_f32_e32 v27, v18, v23
	v_fmac_f32_e32 v27, v19, v22
	v_add_f32_e32 v26, v26, v27
	v_mul_f32_e32 v27, v20, v25
	v_fmac_f32_e32 v27, v21, v24
	v_add_f32_e32 v34, v26, v27
	ds_read2_b64 v[26:29], v110 offset0:65 offset1:66
	v_add_f32_e32 v2, v2, v3
	v_mul_f32_e32 v3, v13, v17
	v_fma_f32 v3, v12, v16, -v3
	v_add_f32_e32 v2, v2, v3
	s_waitcnt vmcnt(15) lgkmcnt(0)
	v_mul_f32_e32 v35, v26, v31
	v_fmac_f32_e32 v35, v27, v30
	v_add_f32_e32 v34, v34, v35
	v_mul_f32_e32 v35, v28, v33
	v_fmac_f32_e32 v35, v29, v32
	v_add_f32_e32 v42, v34, v35
	ds_read2_b64 v[34:37], v110 offset0:67 offset1:68
	v_mul_f32_e32 v3, v19, v23
	v_fma_f32 v3, v18, v22, -v3
	v_add_f32_e32 v2, v2, v3
	v_mul_f32_e32 v3, v21, v25
	s_waitcnt vmcnt(14) lgkmcnt(0)
	v_mul_f32_e32 v43, v34, v39
	v_fmac_f32_e32 v43, v35, v38
	v_add_f32_e32 v42, v42, v43
	v_mul_f32_e32 v43, v36, v41
	v_fmac_f32_e32 v43, v37, v40
	v_add_f32_e32 v50, v42, v43
	ds_read2_b64 v[42:45], v110 offset0:69 offset1:70
	v_fma_f32 v3, v20, v24, -v3
	v_add_f32_e32 v2, v2, v3
	v_mul_f32_e32 v3, v27, v31
	v_fma_f32 v3, v26, v30, -v3
	s_waitcnt vmcnt(13) lgkmcnt(0)
	v_mul_f32_e32 v51, v42, v47
	v_fmac_f32_e32 v51, v43, v46
	v_add_f32_e32 v50, v50, v51
	v_mul_f32_e32 v51, v44, v49
	v_fmac_f32_e32 v51, v45, v48
	v_add_f32_e32 v58, v50, v51
	ds_read2_b64 v[50:53], v110 offset0:71 offset1:72
	v_add_f32_e32 v2, v2, v3
	v_mul_f32_e32 v3, v29, v33
	v_fma_f32 v3, v28, v32, -v3
	v_add_f32_e32 v2, v2, v3
	s_waitcnt vmcnt(12) lgkmcnt(0)
	v_mul_f32_e32 v59, v50, v55
	v_fmac_f32_e32 v59, v51, v54
	v_add_f32_e32 v58, v58, v59
	v_mul_f32_e32 v59, v52, v57
	v_fmac_f32_e32 v59, v53, v56
	v_add_f32_e32 v66, v58, v59
	ds_read2_b64 v[58:61], v110 offset0:73 offset1:74
	v_mul_f32_e32 v3, v35, v39
	v_fma_f32 v3, v34, v38, -v3
	v_add_f32_e32 v2, v2, v3
	v_mul_f32_e32 v3, v37, v41
	;; [unrolled: 36-line block ×5, first 2 shown]
	s_waitcnt vmcnt(2) lgkmcnt(0)
	v_mul_f32_e32 v140, v132, v137
	v_fmac_f32_e32 v140, v133, v136
	v_add_f32_e32 v111, v111, v140
	v_mul_f32_e32 v140, v134, v139
	v_fmac_f32_e32 v140, v135, v138
	v_add_f32_e32 v111, v111, v140
	ds_read2_b64 v[140:143], v110 offset0:93 offset1:94
	v_fma_f32 v3, v84, v88, -v3
	v_add_f32_e32 v2, v2, v3
	v_mul_f32_e32 v3, v91, v95
	v_fma_f32 v3, v90, v94, -v3
	s_waitcnt vmcnt(1) lgkmcnt(0)
	v_mul_f32_e32 v148, v140, v145
	v_fmac_f32_e32 v148, v141, v144
	v_add_f32_e32 v157, v111, v148
	ds_read2_b64 v[148:151], v110 offset0:95 offset1:96
	scratch_load_dwordx4 v[248:251], off, off offset:360
	scratch_load_dwordx4 v[252:255], off, off offset:376
	scratch_load_dwordx4 v[152:155], off, off offset:392
	scratch_load_dwordx2 v[162:163], off, off offset:408
	v_add_f32_e32 v2, v2, v3
	v_mul_f32_e32 v3, v93, v97
	v_fma_f32 v3, v92, v96, -v3
	v_add_f32_e32 v2, v2, v3
	v_mul_f32_e32 v3, v99, v103
	v_fma_f32 v3, v98, v102, -v3
	;; [unrolled: 3-line block ×12, first 2 shown]
	v_add_f32_e32 v156, v2, v3
	v_mul_f32_e32 v2, v143, v147
	v_mul_f32_e32 v159, v142, v147
	v_fma_f32 v158, v142, v146, -v2
	s_waitcnt vmcnt(4) lgkmcnt(0)
	v_mul_f32_e32 v2, v149, v245
	v_mov_b32_e32 v18, v247
	v_fmac_f32_e32 v159, v143, v146
	v_mul_f32_e32 v161, v148, v245
	v_fma_f32 v160, v148, v244, -v2
	ds_read2_b64 v[2:5], v110 offset0:97 offset1:98
	ds_read2_b64 v[6:9], v110 offset0:99 offset1:100
	;; [unrolled: 1-line block ×3, first 2 shown]
	ds_read_b64 v[14:15], v110 offset:824
	v_pk_mul_f32 v[18:19], v[150:151], v[18:19] op_sel:[1,0] op_sel_hi:[0,0]
	v_fmac_f32_e32 v161, v149, v244
	v_pk_add_f32 v[16:17], v[156:157], v[158:159]
	v_pk_fma_f32 v[20:21], v[150:151], v[246:247], v[18:19] neg_lo:[0,0,1] neg_hi:[0,0,1]
	v_pk_fma_f32 v[18:19], v[150:151], v[246:247], v[18:19] op_sel_hi:[1,0,1]
	v_pk_add_f32 v[16:17], v[16:17], v[160:161]
	v_mov_b32_e32 v21, v19
	v_pk_add_f32 v[16:17], v[16:17], v[20:21]
	s_waitcnt vmcnt(3) lgkmcnt(3)
	v_pk_mul_f32 v[18:19], v[2:3], v[248:249] op_sel:[1,1] op_sel_hi:[0,1]
	v_pk_fma_f32 v[20:21], v[2:3], v[248:249], v[18:19] neg_lo:[0,0,1] neg_hi:[0,0,1]
	v_pk_fma_f32 v[2:3], v[2:3], v[248:249], v[18:19] op_sel_hi:[1,0,1]
	s_nop 0
	v_mov_b32_e32 v21, v3
	v_pk_add_f32 v[2:3], v[16:17], v[20:21]
	v_mov_b32_e32 v16, v251
	v_pk_mul_f32 v[16:17], v[4:5], v[16:17] op_sel:[1,0] op_sel_hi:[0,0]
	v_pk_fma_f32 v[18:19], v[4:5], v[250:251], v[16:17] neg_lo:[0,0,1] neg_hi:[0,0,1]
	v_pk_fma_f32 v[4:5], v[4:5], v[250:251], v[16:17] op_sel_hi:[1,0,1]
	s_nop 0
	v_mov_b32_e32 v19, v5
	s_waitcnt vmcnt(2) lgkmcnt(2)
	v_pk_mul_f32 v[4:5], v[6:7], v[252:253] op_sel:[1,1] op_sel_hi:[0,1]
	v_pk_fma_f32 v[16:17], v[6:7], v[252:253], v[4:5] neg_lo:[0,0,1] neg_hi:[0,0,1]
	v_pk_fma_f32 v[4:5], v[6:7], v[252:253], v[4:5] op_sel_hi:[1,0,1]
	v_pk_add_f32 v[2:3], v[2:3], v[18:19]
	v_mov_b32_e32 v4, v255
	v_mov_b32_e32 v17, v5
	v_pk_mul_f32 v[4:5], v[8:9], v[4:5] op_sel:[1,0] op_sel_hi:[0,0]
	v_pk_fma_f32 v[6:7], v[8:9], v[254:255], v[4:5] neg_lo:[0,0,1] neg_hi:[0,0,1]
	v_pk_fma_f32 v[4:5], v[8:9], v[254:255], v[4:5] op_sel_hi:[1,0,1]
	v_pk_add_f32 v[2:3], v[2:3], v[16:17]
	v_mov_b32_e32 v7, v5
	s_waitcnt vmcnt(1) lgkmcnt(1)
	v_pk_mul_f32 v[4:5], v[10:11], v[152:153] op_sel:[1,1] op_sel_hi:[0,1]
	v_pk_add_f32 v[2:3], v[2:3], v[6:7]
	v_pk_fma_f32 v[6:7], v[10:11], v[152:153], v[4:5] neg_lo:[0,0,1] neg_hi:[0,0,1]
	v_pk_fma_f32 v[4:5], v[10:11], v[152:153], v[4:5] op_sel_hi:[1,0,1]
	s_nop 0
	v_mov_b32_e32 v4, v155
	v_mov_b32_e32 v7, v5
	v_pk_mul_f32 v[4:5], v[12:13], v[4:5] op_sel:[1,0] op_sel_hi:[0,0]
	v_pk_add_f32 v[2:3], v[2:3], v[6:7]
	v_pk_fma_f32 v[6:7], v[12:13], v[154:155], v[4:5] neg_lo:[0,0,1] neg_hi:[0,0,1]
	v_pk_fma_f32 v[4:5], v[12:13], v[154:155], v[4:5] op_sel_hi:[1,0,1]
	s_nop 0
	v_mov_b32_e32 v7, v5
	s_waitcnt vmcnt(0) lgkmcnt(0)
	v_pk_mul_f32 v[4:5], v[14:15], v[162:163] op_sel:[1,1] op_sel_hi:[0,1]
	v_pk_add_f32 v[2:3], v[2:3], v[6:7]
	v_pk_fma_f32 v[6:7], v[14:15], v[162:163], v[4:5] neg_lo:[0,0,1] neg_hi:[0,0,1]
	v_pk_fma_f32 v[4:5], v[14:15], v[162:163], v[4:5] op_sel_hi:[1,0,1]
	s_nop 0
	v_mov_b32_e32 v7, v5
	scratch_load_dwordx2 v[4:5], off, off offset:48
	v_pk_add_f32 v[2:3], v[2:3], v[6:7]
	s_waitcnt vmcnt(0)
	v_pk_add_f32 v[2:3], v[4:5], v[2:3] neg_lo:[0,1] neg_hi:[0,1]
	scratch_store_dwordx2 off, v[2:3], off offset:48
	s_and_saveexec_b64 s[0:1], vcc
	s_cbranch_execz .LBB51_315
; %bb.314:
	scratch_load_dwordx2 v[2:3], off, off offset:40
	v_mov_b32_e32 v111, v110
	scratch_store_dwordx2 off, v[110:111], off offset:40
	s_waitcnt vmcnt(1)
	ds_write_b64 v1, v[2:3]
.LBB51_315:
	s_or_b64 exec, exec, s[0:1]
	s_waitcnt lgkmcnt(0)
	; wave barrier
	ds_read_b128 v[14:17], v110 offset:464
	ds_read_b128 v[10:13], v110 offset:480
	;; [unrolled: 1-line block ×4, first 2 shown]
	scratch_load_dwordx4 v[18:21], off, off offset:48
	scratch_load_dwordx4 v[38:41], off, off offset:112
	;; [unrolled: 1-line block ×13, first 2 shown]
	v_cmp_lt_u32_e32 vcc, 4, v0
	scratch_load_dwordx4 v[46:49], off, off offset:128
	scratch_load_dwordx4 v[54:57], off, off offset:144
	;; [unrolled: 1-line block ×3, first 2 shown]
	s_waitcnt vmcnt(15) lgkmcnt(3)
	v_mul_f32_e32 v22, v14, v19
	v_fmac_f32_e32 v22, v15, v18
	v_mul_f32_e32 v23, v16, v21
	v_add_f32_e32 v22, 0, v22
	v_fmac_f32_e32 v23, v17, v20
	v_add_f32_e32 v26, v22, v23
	scratch_load_dwordx4 v[22:25], off, off offset:64
	v_mul_f32_e32 v15, v15, v19
	v_fma_f32 v14, v14, v18, -v15
	v_mul_f32_e32 v15, v17, v21
	v_add_f32_e32 v14, 0, v14
	v_fma_f32 v15, v16, v20, -v15
	v_add_f32_e32 v14, v14, v15
	s_waitcnt vmcnt(0) lgkmcnt(2)
	v_mul_f32_e32 v27, v10, v23
	v_fmac_f32_e32 v27, v11, v22
	v_add_f32_e32 v26, v26, v27
	v_mul_f32_e32 v27, v12, v25
	v_fmac_f32_e32 v27, v13, v24
	v_add_f32_e32 v30, v26, v27
	scratch_load_dwordx4 v[26:29], off, off offset:80
	v_mul_f32_e32 v11, v11, v23
	v_fma_f32 v10, v10, v22, -v11
	v_mul_f32_e32 v11, v13, v25
	v_add_f32_e32 v10, v14, v10
	v_fma_f32 v11, v12, v24, -v11
	v_add_f32_e32 v10, v10, v11
	s_waitcnt vmcnt(0) lgkmcnt(1)
	v_mul_f32_e32 v31, v6, v27
	v_fmac_f32_e32 v31, v7, v26
	v_add_f32_e32 v30, v30, v31
	v_mul_f32_e32 v31, v8, v29
	v_fmac_f32_e32 v31, v9, v28
	v_add_f32_e32 v34, v30, v31
	scratch_load_dwordx4 v[30:33], off, off offset:96
	v_mul_f32_e32 v7, v7, v27
	v_fma_f32 v6, v6, v26, -v7
	v_mul_f32_e32 v7, v9, v29
	v_add_f32_e32 v6, v10, v6
	v_fma_f32 v7, v8, v28, -v7
	v_add_f32_e32 v6, v6, v7
	s_waitcnt vmcnt(0) lgkmcnt(0)
	v_mul_f32_e32 v35, v2, v31
	v_fmac_f32_e32 v35, v3, v30
	v_add_f32_e32 v34, v34, v35
	v_mul_f32_e32 v35, v4, v33
	v_fmac_f32_e32 v35, v5, v32
	v_add_f32_e32 v42, v34, v35
	ds_read_b128 v[34:37], v110 offset:528
	v_mul_f32_e32 v3, v3, v31
	v_fma_f32 v2, v2, v30, -v3
	v_mul_f32_e32 v3, v5, v33
	v_add_f32_e32 v2, v6, v2
	s_waitcnt lgkmcnt(0)
	v_mul_f32_e32 v43, v34, v39
	v_fmac_f32_e32 v43, v35, v38
	v_add_f32_e32 v42, v42, v43
	v_mul_f32_e32 v43, v36, v41
	v_fmac_f32_e32 v43, v37, v40
	v_add_f32_e32 v50, v42, v43
	ds_read_b128 v[42:45], v110 offset:544
	v_fma_f32 v3, v4, v32, -v3
	v_add_f32_e32 v2, v2, v3
	v_mul_f32_e32 v3, v35, v39
	v_fma_f32 v3, v34, v38, -v3
	s_waitcnt lgkmcnt(0)
	v_mul_f32_e32 v51, v42, v47
	v_fmac_f32_e32 v51, v43, v46
	v_add_f32_e32 v50, v50, v51
	v_mul_f32_e32 v51, v44, v49
	v_fmac_f32_e32 v51, v45, v48
	v_add_f32_e32 v58, v50, v51
	ds_read_b128 v[50:53], v110 offset:560
	v_add_f32_e32 v2, v2, v3
	v_mul_f32_e32 v3, v37, v41
	v_fma_f32 v3, v36, v40, -v3
	v_add_f32_e32 v2, v2, v3
	s_waitcnt lgkmcnt(0)
	v_mul_f32_e32 v59, v50, v55
	v_fmac_f32_e32 v59, v51, v54
	v_add_f32_e32 v58, v58, v59
	v_mul_f32_e32 v59, v52, v57
	v_fmac_f32_e32 v59, v53, v56
	v_add_f32_e32 v66, v58, v59
	ds_read_b128 v[58:61], v110 offset:576
	v_mul_f32_e32 v3, v43, v47
	v_fma_f32 v3, v42, v46, -v3
	v_add_f32_e32 v2, v2, v3
	v_mul_f32_e32 v3, v45, v49
	s_waitcnt lgkmcnt(0)
	v_mul_f32_e32 v67, v58, v63
	v_fmac_f32_e32 v67, v59, v62
	v_add_f32_e32 v66, v66, v67
	v_mul_f32_e32 v67, v60, v65
	v_fmac_f32_e32 v67, v61, v64
	v_add_f32_e32 v74, v66, v67
	ds_read_b128 v[66:69], v110 offset:592
	v_fma_f32 v3, v44, v48, -v3
	v_add_f32_e32 v2, v2, v3
	v_mul_f32_e32 v3, v51, v55
	v_fma_f32 v3, v50, v54, -v3
	s_waitcnt lgkmcnt(0)
	v_mul_f32_e32 v75, v66, v71
	v_fmac_f32_e32 v75, v67, v70
	v_add_f32_e32 v74, v74, v75
	v_mul_f32_e32 v75, v68, v73
	v_fmac_f32_e32 v75, v69, v72
	v_add_f32_e32 v82, v74, v75
	ds_read_b128 v[74:77], v110 offset:608
	v_add_f32_e32 v2, v2, v3
	v_mul_f32_e32 v3, v53, v57
	v_fma_f32 v3, v52, v56, -v3
	v_add_f32_e32 v2, v2, v3
	s_waitcnt lgkmcnt(0)
	v_mul_f32_e32 v83, v74, v79
	v_fmac_f32_e32 v83, v75, v78
	v_add_f32_e32 v82, v82, v83
	v_mul_f32_e32 v83, v76, v81
	v_fmac_f32_e32 v83, v77, v80
	v_add_f32_e32 v90, v82, v83
	ds_read_b128 v[82:85], v110 offset:624
	v_mul_f32_e32 v3, v59, v63
	v_fma_f32 v3, v58, v62, -v3
	v_add_f32_e32 v2, v2, v3
	v_mul_f32_e32 v3, v61, v65
	;; [unrolled: 36-line block ×4, first 2 shown]
	s_waitcnt lgkmcnt(0)
	v_mul_f32_e32 v140, v132, v137
	v_fmac_f32_e32 v140, v133, v136
	v_add_f32_e32 v111, v111, v140
	v_mul_f32_e32 v140, v134, v139
	v_fmac_f32_e32 v140, v135, v138
	v_add_f32_e32 v111, v111, v140
	ds_read_b128 v[140:143], v110 offset:736
	v_fma_f32 v3, v92, v96, -v3
	v_add_f32_e32 v2, v2, v3
	v_mul_f32_e32 v3, v99, v103
	v_fma_f32 v3, v98, v102, -v3
	s_waitcnt lgkmcnt(0)
	v_mul_f32_e32 v148, v140, v145
	v_fmac_f32_e32 v148, v141, v144
	v_add_f32_e32 v111, v111, v148
	v_mul_f32_e32 v148, v142, v147
	v_fmac_f32_e32 v148, v143, v146
	v_add_f32_e32 v161, v111, v148
	ds_read_b128 v[148:151], v110 offset:752
	scratch_load_dwordx4 v[244:247], off, off offset:352
	scratch_load_dwordx4 v[248:251], off, off offset:368
	scratch_load_dwordx4 v[252:255], off, off offset:384
	scratch_load_dwordx4 v[156:159], off, off offset:400
	v_add_f32_e32 v2, v2, v3
	v_mul_f32_e32 v3, v101, v105
	v_fma_f32 v3, v100, v104, -v3
	v_add_f32_e32 v2, v2, v3
	v_mul_f32_e32 v3, v107, v113
	v_fma_f32 v3, v106, v112, -v3
	;; [unrolled: 3-line block ×11, first 2 shown]
	v_add_f32_e32 v160, v2, v3
	s_waitcnt lgkmcnt(0)
	v_mul_f32_e32 v2, v149, v153
	v_fma_f32 v162, v148, v152, -v2
	v_mul_f32_e32 v2, v151, v155
	v_fma_f32 v164, v150, v154, -v2
	ds_read_b128 v[2:5], v110 offset:768
	ds_read_b128 v[6:9], v110 offset:784
	;; [unrolled: 1-line block ×4, first 2 shown]
	v_mul_f32_e32 v163, v148, v153
	v_fmac_f32_e32 v163, v149, v152
	v_mul_f32_e32 v165, v150, v155
	v_fmac_f32_e32 v165, v151, v154
	v_pk_add_f32 v[18:19], v[160:161], v[162:163]
	s_waitcnt vmcnt(3) lgkmcnt(3)
	v_pk_mul_f32 v[20:21], v[2:3], v[244:245] op_sel:[1,1] op_sel_hi:[0,1]
	v_pk_fma_f32 v[22:23], v[2:3], v[244:245], v[20:21] neg_lo:[0,0,1] neg_hi:[0,0,1]
	v_pk_fma_f32 v[2:3], v[2:3], v[244:245], v[20:21] op_sel_hi:[1,0,1]
	v_pk_add_f32 v[18:19], v[18:19], v[164:165]
	v_mov_b32_e32 v23, v3
	v_pk_add_f32 v[2:3], v[18:19], v[22:23]
	v_mov_b32_e32 v18, v247
	v_pk_mul_f32 v[18:19], v[4:5], v[18:19] op_sel:[1,0] op_sel_hi:[0,0]
	v_pk_fma_f32 v[20:21], v[4:5], v[246:247], v[18:19] neg_lo:[0,0,1] neg_hi:[0,0,1]
	v_pk_fma_f32 v[4:5], v[4:5], v[246:247], v[18:19] op_sel_hi:[1,0,1]
	s_nop 0
	v_mov_b32_e32 v21, v5
	s_waitcnt vmcnt(2) lgkmcnt(2)
	v_pk_mul_f32 v[4:5], v[6:7], v[248:249] op_sel:[1,1] op_sel_hi:[0,1]
	v_pk_fma_f32 v[18:19], v[6:7], v[248:249], v[4:5] neg_lo:[0,0,1] neg_hi:[0,0,1]
	v_pk_fma_f32 v[4:5], v[6:7], v[248:249], v[4:5] op_sel_hi:[1,0,1]
	v_pk_add_f32 v[2:3], v[2:3], v[20:21]
	v_mov_b32_e32 v4, v251
	v_mov_b32_e32 v19, v5
	v_pk_mul_f32 v[4:5], v[8:9], v[4:5] op_sel:[1,0] op_sel_hi:[0,0]
	v_pk_fma_f32 v[6:7], v[8:9], v[250:251], v[4:5] neg_lo:[0,0,1] neg_hi:[0,0,1]
	v_pk_fma_f32 v[4:5], v[8:9], v[250:251], v[4:5] op_sel_hi:[1,0,1]
	v_pk_add_f32 v[2:3], v[2:3], v[18:19]
	v_mov_b32_e32 v7, v5
	s_waitcnt vmcnt(1) lgkmcnt(1)
	v_pk_mul_f32 v[4:5], v[10:11], v[252:253] op_sel:[1,1] op_sel_hi:[0,1]
	v_pk_add_f32 v[2:3], v[2:3], v[6:7]
	v_pk_fma_f32 v[6:7], v[10:11], v[252:253], v[4:5] neg_lo:[0,0,1] neg_hi:[0,0,1]
	v_pk_fma_f32 v[4:5], v[10:11], v[252:253], v[4:5] op_sel_hi:[1,0,1]
	s_nop 0
	v_mov_b32_e32 v4, v255
	v_mov_b32_e32 v7, v5
	v_pk_mul_f32 v[4:5], v[12:13], v[4:5] op_sel:[1,0] op_sel_hi:[0,0]
	v_pk_add_f32 v[2:3], v[2:3], v[6:7]
	v_pk_fma_f32 v[6:7], v[12:13], v[254:255], v[4:5] neg_lo:[0,0,1] neg_hi:[0,0,1]
	v_pk_fma_f32 v[4:5], v[12:13], v[254:255], v[4:5] op_sel_hi:[1,0,1]
	s_nop 0
	v_mov_b32_e32 v7, v5
	s_waitcnt vmcnt(0) lgkmcnt(0)
	v_pk_mul_f32 v[4:5], v[14:15], v[156:157] op_sel:[1,1] op_sel_hi:[0,1]
	v_pk_add_f32 v[2:3], v[2:3], v[6:7]
	v_pk_fma_f32 v[6:7], v[14:15], v[156:157], v[4:5] neg_lo:[0,0,1] neg_hi:[0,0,1]
	v_pk_fma_f32 v[4:5], v[14:15], v[156:157], v[4:5] op_sel_hi:[1,0,1]
	s_nop 0
	v_mov_b32_e32 v4, v159
	v_mov_b32_e32 v7, v5
	v_pk_mul_f32 v[4:5], v[16:17], v[4:5] op_sel:[1,0] op_sel_hi:[0,0]
	v_pk_add_f32 v[2:3], v[2:3], v[6:7]
	v_pk_fma_f32 v[6:7], v[16:17], v[158:159], v[4:5] neg_lo:[0,0,1] neg_hi:[0,0,1]
	v_pk_fma_f32 v[4:5], v[16:17], v[158:159], v[4:5] op_sel_hi:[1,0,1]
	s_nop 0
	v_mov_b32_e32 v7, v5
	scratch_load_dwordx2 v[4:5], off, off offset:40
	v_pk_add_f32 v[2:3], v[2:3], v[6:7]
	s_waitcnt vmcnt(0)
	v_pk_add_f32 v[2:3], v[4:5], v[2:3] neg_lo:[0,1] neg_hi:[0,1]
	scratch_store_dwordx2 off, v[2:3], off offset:40
	s_and_saveexec_b64 s[0:1], vcc
	s_cbranch_execz .LBB51_317
; %bb.316:
	scratch_load_dwordx2 v[2:3], off, off offset:32
	v_mov_b32_e32 v4, 0
	v_mov_b32_e32 v5, v4
	scratch_store_dwordx2 off, v[4:5], off offset:32
	s_waitcnt vmcnt(1)
	ds_write_b64 v1, v[2:3]
.LBB51_317:
	s_or_b64 exec, exec, s[0:1]
	s_waitcnt lgkmcnt(0)
	; wave barrier
	scratch_load_dwordx4 v[6:9], off, off offset:40
	scratch_load_dwordx4 v[14:17], off, off offset:56
	;; [unrolled: 1-line block ×10, first 2 shown]
	v_mov_b32_e32 v118, 0
	ds_read2_b64 v[2:5], v118 offset0:57 offset1:58
	scratch_load_dwordx4 v[86:89], off, off offset:200
	scratch_load_dwordx4 v[94:97], off, off offset:216
	;; [unrolled: 1-line block ×10, first 2 shown]
	v_cmp_lt_u32_e32 vcc, 3, v0
	s_waitcnt vmcnt(19) lgkmcnt(0)
	v_mul_f32_e32 v10, v2, v7
	v_fmac_f32_e32 v10, v3, v6
	v_mul_f32_e32 v11, v4, v9
	v_add_f32_e32 v10, 0, v10
	v_fmac_f32_e32 v11, v5, v8
	v_add_f32_e32 v18, v10, v11
	ds_read2_b64 v[10:13], v118 offset0:59 offset1:60
	v_mul_f32_e32 v3, v3, v7
	v_fma_f32 v2, v2, v6, -v3
	v_mul_f32_e32 v3, v5, v9
	v_add_f32_e32 v2, 0, v2
	s_waitcnt vmcnt(18) lgkmcnt(0)
	v_mul_f32_e32 v19, v10, v15
	v_fmac_f32_e32 v19, v11, v14
	v_add_f32_e32 v18, v18, v19
	v_mul_f32_e32 v19, v12, v17
	v_fmac_f32_e32 v19, v13, v16
	v_add_f32_e32 v26, v18, v19
	ds_read2_b64 v[18:21], v118 offset0:61 offset1:62
	v_fma_f32 v3, v4, v8, -v3
	v_add_f32_e32 v2, v2, v3
	v_mul_f32_e32 v3, v11, v15
	v_fma_f32 v3, v10, v14, -v3
	s_waitcnt vmcnt(17) lgkmcnt(0)
	v_mul_f32_e32 v27, v18, v23
	v_fmac_f32_e32 v27, v19, v22
	v_add_f32_e32 v26, v26, v27
	v_mul_f32_e32 v27, v20, v25
	v_fmac_f32_e32 v27, v21, v24
	v_add_f32_e32 v34, v26, v27
	ds_read2_b64 v[26:29], v118 offset0:63 offset1:64
	v_add_f32_e32 v2, v2, v3
	v_mul_f32_e32 v3, v13, v17
	v_fma_f32 v3, v12, v16, -v3
	v_add_f32_e32 v2, v2, v3
	s_waitcnt vmcnt(16) lgkmcnt(0)
	v_mul_f32_e32 v35, v26, v31
	v_fmac_f32_e32 v35, v27, v30
	v_add_f32_e32 v34, v34, v35
	v_mul_f32_e32 v35, v28, v33
	v_fmac_f32_e32 v35, v29, v32
	v_add_f32_e32 v42, v34, v35
	ds_read2_b64 v[34:37], v118 offset0:65 offset1:66
	v_mul_f32_e32 v3, v19, v23
	v_fma_f32 v3, v18, v22, -v3
	v_add_f32_e32 v2, v2, v3
	v_mul_f32_e32 v3, v21, v25
	s_waitcnt vmcnt(15) lgkmcnt(0)
	v_mul_f32_e32 v43, v34, v39
	v_fmac_f32_e32 v43, v35, v38
	v_add_f32_e32 v42, v42, v43
	v_mul_f32_e32 v43, v36, v41
	v_fmac_f32_e32 v43, v37, v40
	v_add_f32_e32 v50, v42, v43
	ds_read2_b64 v[42:45], v118 offset0:67 offset1:68
	v_fma_f32 v3, v20, v24, -v3
	v_add_f32_e32 v2, v2, v3
	v_mul_f32_e32 v3, v27, v31
	v_fma_f32 v3, v26, v30, -v3
	s_waitcnt vmcnt(14) lgkmcnt(0)
	v_mul_f32_e32 v51, v42, v47
	v_fmac_f32_e32 v51, v43, v46
	v_add_f32_e32 v50, v50, v51
	v_mul_f32_e32 v51, v44, v49
	v_fmac_f32_e32 v51, v45, v48
	v_add_f32_e32 v58, v50, v51
	ds_read2_b64 v[50:53], v118 offset0:69 offset1:70
	v_add_f32_e32 v2, v2, v3
	v_mul_f32_e32 v3, v29, v33
	v_fma_f32 v3, v28, v32, -v3
	v_add_f32_e32 v2, v2, v3
	s_waitcnt vmcnt(13) lgkmcnt(0)
	v_mul_f32_e32 v59, v50, v55
	v_fmac_f32_e32 v59, v51, v54
	v_add_f32_e32 v58, v58, v59
	v_mul_f32_e32 v59, v52, v57
	v_fmac_f32_e32 v59, v53, v56
	v_add_f32_e32 v66, v58, v59
	ds_read2_b64 v[58:61], v118 offset0:71 offset1:72
	v_mul_f32_e32 v3, v35, v39
	v_fma_f32 v3, v34, v38, -v3
	v_add_f32_e32 v2, v2, v3
	v_mul_f32_e32 v3, v37, v41
	;; [unrolled: 36-line block ×5, first 2 shown]
	s_waitcnt vmcnt(3) lgkmcnt(0)
	v_mul_f32_e32 v140, v132, v137
	v_fmac_f32_e32 v140, v133, v136
	v_add_f32_e32 v119, v119, v140
	v_mul_f32_e32 v140, v134, v139
	v_fmac_f32_e32 v140, v135, v138
	v_add_f32_e32 v119, v119, v140
	ds_read2_b64 v[140:143], v118 offset0:91 offset1:92
	v_fma_f32 v3, v84, v88, -v3
	v_add_f32_e32 v2, v2, v3
	v_mul_f32_e32 v3, v91, v95
	v_fma_f32 v3, v90, v94, -v3
	s_waitcnt vmcnt(2) lgkmcnt(0)
	v_mul_f32_e32 v148, v140, v145
	v_fmac_f32_e32 v148, v141, v144
	v_add_f32_e32 v119, v119, v148
	v_mul_f32_e32 v148, v142, v147
	v_fmac_f32_e32 v148, v143, v146
	v_add_f32_e32 v119, v119, v148
	ds_read2_b64 v[148:151], v118 offset0:93 offset1:94
	v_add_f32_e32 v2, v2, v3
	v_mul_f32_e32 v3, v93, v97
	v_fma_f32 v3, v92, v96, -v3
	v_add_f32_e32 v2, v2, v3
	s_waitcnt vmcnt(1) lgkmcnt(0)
	v_mul_f32_e32 v156, v148, v153
	v_fmac_f32_e32 v156, v149, v152
	v_add_f32_e32 v165, v119, v156
	ds_read2_b64 v[156:159], v118 offset0:95 offset1:96
	scratch_load_dwordx4 v[248:251], off, off offset:360
	scratch_load_dwordx4 v[252:255], off, off offset:376
	;; [unrolled: 1-line block ×3, first 2 shown]
	scratch_load_dwordx2 v[170:171], off, off offset:408
	v_mul_f32_e32 v3, v99, v103
	v_fma_f32 v3, v98, v102, -v3
	v_add_f32_e32 v2, v2, v3
	v_mul_f32_e32 v3, v101, v105
	v_fma_f32 v3, v100, v104, -v3
	v_add_f32_e32 v2, v2, v3
	;; [unrolled: 3-line block ×13, first 2 shown]
	v_mul_f32_e32 v2, v151, v155
	v_mul_f32_e32 v167, v150, v155
	v_fma_f32 v166, v150, v154, -v2
	s_waitcnt vmcnt(4) lgkmcnt(0)
	v_mul_f32_e32 v2, v157, v245
	v_mov_b32_e32 v18, v247
	v_fmac_f32_e32 v167, v151, v154
	v_mul_f32_e32 v169, v156, v245
	v_fma_f32 v168, v156, v244, -v2
	ds_read2_b64 v[2:5], v118 offset0:97 offset1:98
	ds_read2_b64 v[6:9], v118 offset0:99 offset1:100
	;; [unrolled: 1-line block ×3, first 2 shown]
	ds_read_b64 v[14:15], v118 offset:824
	v_pk_mul_f32 v[18:19], v[158:159], v[18:19] op_sel:[1,0] op_sel_hi:[0,0]
	v_fmac_f32_e32 v169, v157, v244
	v_pk_add_f32 v[16:17], v[164:165], v[166:167]
	v_pk_fma_f32 v[20:21], v[158:159], v[246:247], v[18:19] neg_lo:[0,0,1] neg_hi:[0,0,1]
	v_pk_fma_f32 v[18:19], v[158:159], v[246:247], v[18:19] op_sel_hi:[1,0,1]
	v_pk_add_f32 v[16:17], v[16:17], v[168:169]
	v_mov_b32_e32 v21, v19
	v_pk_add_f32 v[16:17], v[16:17], v[20:21]
	s_waitcnt vmcnt(3) lgkmcnt(3)
	v_pk_mul_f32 v[18:19], v[2:3], v[248:249] op_sel:[1,1] op_sel_hi:[0,1]
	v_pk_fma_f32 v[20:21], v[2:3], v[248:249], v[18:19] neg_lo:[0,0,1] neg_hi:[0,0,1]
	v_pk_fma_f32 v[2:3], v[2:3], v[248:249], v[18:19] op_sel_hi:[1,0,1]
	s_nop 0
	v_mov_b32_e32 v21, v3
	v_pk_add_f32 v[2:3], v[16:17], v[20:21]
	v_mov_b32_e32 v16, v251
	v_pk_mul_f32 v[16:17], v[4:5], v[16:17] op_sel:[1,0] op_sel_hi:[0,0]
	v_pk_fma_f32 v[18:19], v[4:5], v[250:251], v[16:17] neg_lo:[0,0,1] neg_hi:[0,0,1]
	v_pk_fma_f32 v[4:5], v[4:5], v[250:251], v[16:17] op_sel_hi:[1,0,1]
	s_nop 0
	v_mov_b32_e32 v19, v5
	s_waitcnt vmcnt(2) lgkmcnt(2)
	v_pk_mul_f32 v[4:5], v[6:7], v[252:253] op_sel:[1,1] op_sel_hi:[0,1]
	v_pk_fma_f32 v[16:17], v[6:7], v[252:253], v[4:5] neg_lo:[0,0,1] neg_hi:[0,0,1]
	v_pk_fma_f32 v[4:5], v[6:7], v[252:253], v[4:5] op_sel_hi:[1,0,1]
	v_pk_add_f32 v[2:3], v[2:3], v[18:19]
	v_mov_b32_e32 v4, v255
	v_mov_b32_e32 v17, v5
	v_pk_mul_f32 v[4:5], v[8:9], v[4:5] op_sel:[1,0] op_sel_hi:[0,0]
	v_pk_fma_f32 v[6:7], v[8:9], v[254:255], v[4:5] neg_lo:[0,0,1] neg_hi:[0,0,1]
	v_pk_fma_f32 v[4:5], v[8:9], v[254:255], v[4:5] op_sel_hi:[1,0,1]
	v_pk_add_f32 v[2:3], v[2:3], v[16:17]
	v_mov_b32_e32 v7, v5
	s_waitcnt vmcnt(1) lgkmcnt(1)
	v_pk_mul_f32 v[4:5], v[10:11], v[160:161] op_sel:[1,1] op_sel_hi:[0,1]
	v_pk_add_f32 v[2:3], v[2:3], v[6:7]
	v_pk_fma_f32 v[6:7], v[10:11], v[160:161], v[4:5] neg_lo:[0,0,1] neg_hi:[0,0,1]
	v_pk_fma_f32 v[4:5], v[10:11], v[160:161], v[4:5] op_sel_hi:[1,0,1]
	s_nop 0
	v_mov_b32_e32 v4, v163
	v_mov_b32_e32 v7, v5
	v_pk_mul_f32 v[4:5], v[12:13], v[4:5] op_sel:[1,0] op_sel_hi:[0,0]
	v_pk_add_f32 v[2:3], v[2:3], v[6:7]
	v_pk_fma_f32 v[6:7], v[12:13], v[162:163], v[4:5] neg_lo:[0,0,1] neg_hi:[0,0,1]
	v_pk_fma_f32 v[4:5], v[12:13], v[162:163], v[4:5] op_sel_hi:[1,0,1]
	s_nop 0
	v_mov_b32_e32 v7, v5
	s_waitcnt vmcnt(0) lgkmcnt(0)
	v_pk_mul_f32 v[4:5], v[14:15], v[170:171] op_sel:[1,1] op_sel_hi:[0,1]
	v_pk_add_f32 v[2:3], v[2:3], v[6:7]
	v_pk_fma_f32 v[6:7], v[14:15], v[170:171], v[4:5] neg_lo:[0,0,1] neg_hi:[0,0,1]
	v_pk_fma_f32 v[4:5], v[14:15], v[170:171], v[4:5] op_sel_hi:[1,0,1]
	s_nop 0
	v_mov_b32_e32 v7, v5
	scratch_load_dwordx2 v[4:5], off, off offset:32
	v_pk_add_f32 v[2:3], v[2:3], v[6:7]
	s_waitcnt vmcnt(0)
	v_pk_add_f32 v[2:3], v[4:5], v[2:3] neg_lo:[0,1] neg_hi:[0,1]
	scratch_store_dwordx2 off, v[2:3], off offset:32
	s_and_saveexec_b64 s[0:1], vcc
	s_cbranch_execz .LBB51_319
; %bb.318:
	scratch_load_dwordx2 v[2:3], off, off offset:24
	v_mov_b32_e32 v119, v118
	scratch_store_dwordx2 off, v[118:119], off offset:24
	s_waitcnt vmcnt(1)
	ds_write_b64 v1, v[2:3]
.LBB51_319:
	s_or_b64 exec, exec, s[0:1]
	s_waitcnt lgkmcnt(0)
	; wave barrier
	ds_read_b128 v[14:17], v118 offset:448
	ds_read_b128 v[10:13], v118 offset:464
	;; [unrolled: 1-line block ×4, first 2 shown]
	scratch_load_dwordx4 v[18:21], off, off offset:32
	scratch_load_dwordx4 v[38:41], off, off offset:96
	;; [unrolled: 1-line block ×14, first 2 shown]
	v_cmp_lt_u32_e32 vcc, 2, v0
	scratch_load_dwordx4 v[46:49], off, off offset:112
	scratch_load_dwordx4 v[54:57], off, off offset:128
	;; [unrolled: 1-line block ×3, first 2 shown]
	s_waitcnt vmcnt(16) lgkmcnt(3)
	v_mul_f32_e32 v22, v14, v19
	v_fmac_f32_e32 v22, v15, v18
	v_mul_f32_e32 v23, v16, v21
	v_add_f32_e32 v22, 0, v22
	v_fmac_f32_e32 v23, v17, v20
	v_add_f32_e32 v26, v22, v23
	scratch_load_dwordx4 v[22:25], off, off offset:48
	v_mul_f32_e32 v15, v15, v19
	v_fma_f32 v14, v14, v18, -v15
	v_mul_f32_e32 v15, v17, v21
	v_add_f32_e32 v14, 0, v14
	v_fma_f32 v15, v16, v20, -v15
	v_add_f32_e32 v14, v14, v15
	s_waitcnt vmcnt(0) lgkmcnt(2)
	v_mul_f32_e32 v27, v10, v23
	v_fmac_f32_e32 v27, v11, v22
	v_add_f32_e32 v26, v26, v27
	v_mul_f32_e32 v27, v12, v25
	v_fmac_f32_e32 v27, v13, v24
	v_add_f32_e32 v30, v26, v27
	scratch_load_dwordx4 v[26:29], off, off offset:64
	v_mul_f32_e32 v11, v11, v23
	v_fma_f32 v10, v10, v22, -v11
	v_mul_f32_e32 v11, v13, v25
	v_add_f32_e32 v10, v14, v10
	v_fma_f32 v11, v12, v24, -v11
	v_add_f32_e32 v10, v10, v11
	s_waitcnt vmcnt(0) lgkmcnt(1)
	v_mul_f32_e32 v31, v6, v27
	v_fmac_f32_e32 v31, v7, v26
	v_add_f32_e32 v30, v30, v31
	v_mul_f32_e32 v31, v8, v29
	;; [unrolled: 14-line block ×3, first 2 shown]
	v_fmac_f32_e32 v35, v5, v32
	v_add_f32_e32 v42, v34, v35
	ds_read_b128 v[34:37], v118 offset:512
	v_mul_f32_e32 v3, v3, v31
	v_fma_f32 v2, v2, v30, -v3
	v_mul_f32_e32 v3, v5, v33
	v_add_f32_e32 v2, v6, v2
	s_waitcnt lgkmcnt(0)
	v_mul_f32_e32 v43, v34, v39
	v_fmac_f32_e32 v43, v35, v38
	v_add_f32_e32 v42, v42, v43
	v_mul_f32_e32 v43, v36, v41
	v_fmac_f32_e32 v43, v37, v40
	v_add_f32_e32 v50, v42, v43
	ds_read_b128 v[42:45], v118 offset:528
	v_fma_f32 v3, v4, v32, -v3
	v_add_f32_e32 v2, v2, v3
	v_mul_f32_e32 v3, v35, v39
	v_fma_f32 v3, v34, v38, -v3
	s_waitcnt lgkmcnt(0)
	v_mul_f32_e32 v51, v42, v47
	v_fmac_f32_e32 v51, v43, v46
	v_add_f32_e32 v50, v50, v51
	v_mul_f32_e32 v51, v44, v49
	v_fmac_f32_e32 v51, v45, v48
	v_add_f32_e32 v58, v50, v51
	ds_read_b128 v[50:53], v118 offset:544
	v_add_f32_e32 v2, v2, v3
	v_mul_f32_e32 v3, v37, v41
	v_fma_f32 v3, v36, v40, -v3
	v_add_f32_e32 v2, v2, v3
	s_waitcnt lgkmcnt(0)
	v_mul_f32_e32 v59, v50, v55
	v_fmac_f32_e32 v59, v51, v54
	v_add_f32_e32 v58, v58, v59
	v_mul_f32_e32 v59, v52, v57
	v_fmac_f32_e32 v59, v53, v56
	v_add_f32_e32 v66, v58, v59
	ds_read_b128 v[58:61], v118 offset:560
	v_mul_f32_e32 v3, v43, v47
	v_fma_f32 v3, v42, v46, -v3
	v_add_f32_e32 v2, v2, v3
	v_mul_f32_e32 v3, v45, v49
	s_waitcnt lgkmcnt(0)
	v_mul_f32_e32 v67, v58, v63
	v_fmac_f32_e32 v67, v59, v62
	v_add_f32_e32 v66, v66, v67
	v_mul_f32_e32 v67, v60, v65
	v_fmac_f32_e32 v67, v61, v64
	v_add_f32_e32 v74, v66, v67
	ds_read_b128 v[66:69], v118 offset:576
	v_fma_f32 v3, v44, v48, -v3
	v_add_f32_e32 v2, v2, v3
	v_mul_f32_e32 v3, v51, v55
	v_fma_f32 v3, v50, v54, -v3
	s_waitcnt lgkmcnt(0)
	v_mul_f32_e32 v75, v66, v71
	v_fmac_f32_e32 v75, v67, v70
	v_add_f32_e32 v74, v74, v75
	v_mul_f32_e32 v75, v68, v73
	v_fmac_f32_e32 v75, v69, v72
	v_add_f32_e32 v82, v74, v75
	ds_read_b128 v[74:77], v118 offset:592
	v_add_f32_e32 v2, v2, v3
	v_mul_f32_e32 v3, v53, v57
	v_fma_f32 v3, v52, v56, -v3
	v_add_f32_e32 v2, v2, v3
	s_waitcnt lgkmcnt(0)
	v_mul_f32_e32 v83, v74, v79
	v_fmac_f32_e32 v83, v75, v78
	v_add_f32_e32 v82, v82, v83
	v_mul_f32_e32 v83, v76, v81
	v_fmac_f32_e32 v83, v77, v80
	v_add_f32_e32 v90, v82, v83
	ds_read_b128 v[82:85], v118 offset:608
	v_mul_f32_e32 v3, v59, v63
	v_fma_f32 v3, v58, v62, -v3
	v_add_f32_e32 v2, v2, v3
	v_mul_f32_e32 v3, v61, v65
	;; [unrolled: 36-line block ×4, first 2 shown]
	s_waitcnt lgkmcnt(0)
	v_mul_f32_e32 v140, v132, v137
	v_fmac_f32_e32 v140, v133, v136
	v_add_f32_e32 v119, v119, v140
	v_mul_f32_e32 v140, v134, v139
	v_fmac_f32_e32 v140, v135, v138
	v_add_f32_e32 v119, v119, v140
	ds_read_b128 v[140:143], v118 offset:720
	v_fma_f32 v3, v92, v96, -v3
	v_add_f32_e32 v2, v2, v3
	v_mul_f32_e32 v3, v99, v103
	v_fma_f32 v3, v98, v102, -v3
	s_waitcnt lgkmcnt(0)
	v_mul_f32_e32 v148, v140, v145
	v_fmac_f32_e32 v148, v141, v144
	v_add_f32_e32 v119, v119, v148
	v_mul_f32_e32 v148, v142, v147
	v_fmac_f32_e32 v148, v143, v146
	v_add_f32_e32 v119, v119, v148
	ds_read_b128 v[148:151], v118 offset:736
	v_add_f32_e32 v2, v2, v3
	v_mul_f32_e32 v3, v101, v105
	v_fma_f32 v3, v100, v104, -v3
	v_add_f32_e32 v2, v2, v3
	s_waitcnt lgkmcnt(0)
	v_mul_f32_e32 v156, v148, v153
	v_fmac_f32_e32 v156, v149, v152
	v_add_f32_e32 v119, v119, v156
	v_mul_f32_e32 v156, v150, v155
	v_fmac_f32_e32 v156, v151, v154
	v_add_f32_e32 v169, v119, v156
	ds_read_b128 v[156:159], v118 offset:752
	scratch_load_dwordx4 v[244:247], off, off offset:352
	scratch_load_dwordx4 v[248:251], off, off offset:368
	;; [unrolled: 1-line block ×4, first 2 shown]
	v_mul_f32_e32 v3, v107, v111
	v_fma_f32 v3, v106, v110, -v3
	v_add_f32_e32 v2, v2, v3
	v_mul_f32_e32 v3, v109, v113
	v_fma_f32 v3, v108, v112, -v3
	v_add_f32_e32 v2, v2, v3
	;; [unrolled: 3-line block ×12, first 2 shown]
	s_waitcnt lgkmcnt(0)
	v_mul_f32_e32 v2, v157, v161
	v_fma_f32 v170, v156, v160, -v2
	v_mul_f32_e32 v2, v159, v163
	v_fma_f32 v172, v158, v162, -v2
	ds_read_b128 v[2:5], v118 offset:768
	ds_read_b128 v[6:9], v118 offset:784
	;; [unrolled: 1-line block ×4, first 2 shown]
	v_mul_f32_e32 v171, v156, v161
	v_fmac_f32_e32 v171, v157, v160
	v_mul_f32_e32 v173, v158, v163
	v_fmac_f32_e32 v173, v159, v162
	v_pk_add_f32 v[18:19], v[168:169], v[170:171]
	s_waitcnt vmcnt(3) lgkmcnt(3)
	v_pk_mul_f32 v[20:21], v[2:3], v[244:245] op_sel:[1,1] op_sel_hi:[0,1]
	v_pk_fma_f32 v[22:23], v[2:3], v[244:245], v[20:21] neg_lo:[0,0,1] neg_hi:[0,0,1]
	v_pk_fma_f32 v[2:3], v[2:3], v[244:245], v[20:21] op_sel_hi:[1,0,1]
	v_pk_add_f32 v[18:19], v[18:19], v[172:173]
	v_mov_b32_e32 v23, v3
	v_pk_add_f32 v[2:3], v[18:19], v[22:23]
	v_mov_b32_e32 v18, v247
	v_pk_mul_f32 v[18:19], v[4:5], v[18:19] op_sel:[1,0] op_sel_hi:[0,0]
	v_pk_fma_f32 v[20:21], v[4:5], v[246:247], v[18:19] neg_lo:[0,0,1] neg_hi:[0,0,1]
	v_pk_fma_f32 v[4:5], v[4:5], v[246:247], v[18:19] op_sel_hi:[1,0,1]
	s_nop 0
	v_mov_b32_e32 v21, v5
	s_waitcnt vmcnt(2) lgkmcnt(2)
	v_pk_mul_f32 v[4:5], v[6:7], v[248:249] op_sel:[1,1] op_sel_hi:[0,1]
	v_pk_fma_f32 v[18:19], v[6:7], v[248:249], v[4:5] neg_lo:[0,0,1] neg_hi:[0,0,1]
	v_pk_fma_f32 v[4:5], v[6:7], v[248:249], v[4:5] op_sel_hi:[1,0,1]
	v_pk_add_f32 v[2:3], v[2:3], v[20:21]
	v_mov_b32_e32 v4, v251
	v_mov_b32_e32 v19, v5
	v_pk_mul_f32 v[4:5], v[8:9], v[4:5] op_sel:[1,0] op_sel_hi:[0,0]
	v_pk_fma_f32 v[6:7], v[8:9], v[250:251], v[4:5] neg_lo:[0,0,1] neg_hi:[0,0,1]
	v_pk_fma_f32 v[4:5], v[8:9], v[250:251], v[4:5] op_sel_hi:[1,0,1]
	v_pk_add_f32 v[2:3], v[2:3], v[18:19]
	v_mov_b32_e32 v7, v5
	s_waitcnt vmcnt(1) lgkmcnt(1)
	v_pk_mul_f32 v[4:5], v[10:11], v[252:253] op_sel:[1,1] op_sel_hi:[0,1]
	v_pk_add_f32 v[2:3], v[2:3], v[6:7]
	v_pk_fma_f32 v[6:7], v[10:11], v[252:253], v[4:5] neg_lo:[0,0,1] neg_hi:[0,0,1]
	v_pk_fma_f32 v[4:5], v[10:11], v[252:253], v[4:5] op_sel_hi:[1,0,1]
	s_nop 0
	v_mov_b32_e32 v4, v255
	v_mov_b32_e32 v7, v5
	v_pk_mul_f32 v[4:5], v[12:13], v[4:5] op_sel:[1,0] op_sel_hi:[0,0]
	v_pk_add_f32 v[2:3], v[2:3], v[6:7]
	v_pk_fma_f32 v[6:7], v[12:13], v[254:255], v[4:5] neg_lo:[0,0,1] neg_hi:[0,0,1]
	v_pk_fma_f32 v[4:5], v[12:13], v[254:255], v[4:5] op_sel_hi:[1,0,1]
	s_nop 0
	v_mov_b32_e32 v7, v5
	s_waitcnt vmcnt(0) lgkmcnt(0)
	v_pk_mul_f32 v[4:5], v[14:15], v[164:165] op_sel:[1,1] op_sel_hi:[0,1]
	v_pk_add_f32 v[2:3], v[2:3], v[6:7]
	v_pk_fma_f32 v[6:7], v[14:15], v[164:165], v[4:5] neg_lo:[0,0,1] neg_hi:[0,0,1]
	v_pk_fma_f32 v[4:5], v[14:15], v[164:165], v[4:5] op_sel_hi:[1,0,1]
	s_nop 0
	v_mov_b32_e32 v4, v167
	v_mov_b32_e32 v7, v5
	v_pk_mul_f32 v[4:5], v[16:17], v[4:5] op_sel:[1,0] op_sel_hi:[0,0]
	v_pk_add_f32 v[2:3], v[2:3], v[6:7]
	v_pk_fma_f32 v[6:7], v[16:17], v[166:167], v[4:5] neg_lo:[0,0,1] neg_hi:[0,0,1]
	v_pk_fma_f32 v[4:5], v[16:17], v[166:167], v[4:5] op_sel_hi:[1,0,1]
	s_nop 0
	v_mov_b32_e32 v7, v5
	scratch_load_dwordx2 v[4:5], off, off offset:24
	v_pk_add_f32 v[2:3], v[2:3], v[6:7]
	s_waitcnt vmcnt(0)
	v_pk_add_f32 v[2:3], v[4:5], v[2:3] neg_lo:[0,1] neg_hi:[0,1]
	scratch_store_dwordx2 off, v[2:3], off offset:24
	s_and_saveexec_b64 s[0:1], vcc
	s_cbranch_execz .LBB51_321
; %bb.320:
	scratch_load_dwordx2 v[2:3], off, off offset:16
	v_mov_b32_e32 v4, 0
	v_mov_b32_e32 v5, v4
	scratch_store_dwordx2 off, v[4:5], off offset:16
	s_waitcnt vmcnt(1)
	ds_write_b64 v1, v[2:3]
.LBB51_321:
	s_or_b64 exec, exec, s[0:1]
	s_waitcnt lgkmcnt(0)
	; wave barrier
	scratch_load_dwordx4 v[6:9], off, off offset:24
	scratch_load_dwordx4 v[14:17], off, off offset:40
	;; [unrolled: 1-line block ×10, first 2 shown]
	v_mov_b32_e32 v134, 0
	ds_read2_b64 v[2:5], v134 offset0:55 offset1:56
	scratch_load_dwordx4 v[86:89], off, off offset:184
	scratch_load_dwordx4 v[94:97], off, off offset:200
	;; [unrolled: 1-line block ×11, first 2 shown]
	v_cmp_lt_u32_e32 vcc, 1, v0
	s_waitcnt vmcnt(20) lgkmcnt(0)
	v_mul_f32_e32 v10, v2, v7
	v_fmac_f32_e32 v10, v3, v6
	v_mul_f32_e32 v11, v4, v9
	v_add_f32_e32 v10, 0, v10
	v_fmac_f32_e32 v11, v5, v8
	v_add_f32_e32 v18, v10, v11
	ds_read2_b64 v[10:13], v134 offset0:57 offset1:58
	v_mul_f32_e32 v3, v3, v7
	v_fma_f32 v2, v2, v6, -v3
	v_mul_f32_e32 v3, v5, v9
	v_add_f32_e32 v2, 0, v2
	s_waitcnt vmcnt(19) lgkmcnt(0)
	v_mul_f32_e32 v19, v10, v15
	v_fmac_f32_e32 v19, v11, v14
	v_add_f32_e32 v18, v18, v19
	v_mul_f32_e32 v19, v12, v17
	v_fmac_f32_e32 v19, v13, v16
	v_add_f32_e32 v26, v18, v19
	ds_read2_b64 v[18:21], v134 offset0:59 offset1:60
	v_fma_f32 v3, v4, v8, -v3
	v_add_f32_e32 v2, v2, v3
	v_mul_f32_e32 v3, v11, v15
	v_fma_f32 v3, v10, v14, -v3
	s_waitcnt vmcnt(18) lgkmcnt(0)
	v_mul_f32_e32 v27, v18, v23
	v_fmac_f32_e32 v27, v19, v22
	v_add_f32_e32 v26, v26, v27
	v_mul_f32_e32 v27, v20, v25
	v_fmac_f32_e32 v27, v21, v24
	v_add_f32_e32 v34, v26, v27
	ds_read2_b64 v[26:29], v134 offset0:61 offset1:62
	v_add_f32_e32 v2, v2, v3
	v_mul_f32_e32 v3, v13, v17
	v_fma_f32 v3, v12, v16, -v3
	v_add_f32_e32 v2, v2, v3
	s_waitcnt vmcnt(17) lgkmcnt(0)
	v_mul_f32_e32 v35, v26, v31
	v_fmac_f32_e32 v35, v27, v30
	v_add_f32_e32 v34, v34, v35
	v_mul_f32_e32 v35, v28, v33
	v_fmac_f32_e32 v35, v29, v32
	v_add_f32_e32 v42, v34, v35
	ds_read2_b64 v[34:37], v134 offset0:63 offset1:64
	v_mul_f32_e32 v3, v19, v23
	v_fma_f32 v3, v18, v22, -v3
	v_add_f32_e32 v2, v2, v3
	v_mul_f32_e32 v3, v21, v25
	s_waitcnt vmcnt(16) lgkmcnt(0)
	v_mul_f32_e32 v43, v34, v39
	v_fmac_f32_e32 v43, v35, v38
	v_add_f32_e32 v42, v42, v43
	v_mul_f32_e32 v43, v36, v41
	v_fmac_f32_e32 v43, v37, v40
	v_add_f32_e32 v50, v42, v43
	ds_read2_b64 v[42:45], v134 offset0:65 offset1:66
	v_fma_f32 v3, v20, v24, -v3
	v_add_f32_e32 v2, v2, v3
	v_mul_f32_e32 v3, v27, v31
	v_fma_f32 v3, v26, v30, -v3
	s_waitcnt vmcnt(15) lgkmcnt(0)
	v_mul_f32_e32 v51, v42, v47
	v_fmac_f32_e32 v51, v43, v46
	v_add_f32_e32 v50, v50, v51
	v_mul_f32_e32 v51, v44, v49
	v_fmac_f32_e32 v51, v45, v48
	v_add_f32_e32 v58, v50, v51
	ds_read2_b64 v[50:53], v134 offset0:67 offset1:68
	v_add_f32_e32 v2, v2, v3
	v_mul_f32_e32 v3, v29, v33
	v_fma_f32 v3, v28, v32, -v3
	v_add_f32_e32 v2, v2, v3
	s_waitcnt vmcnt(14) lgkmcnt(0)
	v_mul_f32_e32 v59, v50, v55
	v_fmac_f32_e32 v59, v51, v54
	v_add_f32_e32 v58, v58, v59
	v_mul_f32_e32 v59, v52, v57
	v_fmac_f32_e32 v59, v53, v56
	v_add_f32_e32 v66, v58, v59
	ds_read2_b64 v[58:61], v134 offset0:69 offset1:70
	v_mul_f32_e32 v3, v35, v39
	v_fma_f32 v3, v34, v38, -v3
	v_add_f32_e32 v2, v2, v3
	v_mul_f32_e32 v3, v37, v41
	;; [unrolled: 36-line block ×6, first 2 shown]
	s_waitcnt vmcnt(1) lgkmcnt(0)
	v_mul_f32_e32 v164, v156, v161
	v_fmac_f32_e32 v164, v157, v160
	v_add_f32_e32 v173, v135, v164
	ds_read2_b64 v[164:167], v134 offset0:95 offset1:96
	scratch_load_dwordx4 v[248:251], off, off offset:360
	scratch_load_dwordx4 v[252:255], off, off offset:376
	;; [unrolled: 1-line block ×3, first 2 shown]
	scratch_load_dwordx2 v[178:179], off, off offset:408
	v_fma_f32 v3, v100, v104, -v3
	v_add_f32_e32 v2, v2, v3
	v_mul_f32_e32 v3, v107, v111
	v_fma_f32 v3, v106, v110, -v3
	v_add_f32_e32 v2, v2, v3
	v_mul_f32_e32 v3, v109, v113
	;; [unrolled: 3-line block ×14, first 2 shown]
	v_mul_f32_e32 v175, v158, v163
	v_fma_f32 v174, v158, v162, -v2
	s_waitcnt vmcnt(4) lgkmcnt(0)
	v_mul_f32_e32 v2, v165, v245
	v_mov_b32_e32 v18, v247
	v_fmac_f32_e32 v175, v159, v162
	v_mul_f32_e32 v177, v164, v245
	v_fma_f32 v176, v164, v244, -v2
	ds_read2_b64 v[2:5], v134 offset0:97 offset1:98
	ds_read2_b64 v[6:9], v134 offset0:99 offset1:100
	;; [unrolled: 1-line block ×3, first 2 shown]
	ds_read_b64 v[14:15], v134 offset:824
	v_pk_mul_f32 v[18:19], v[166:167], v[18:19] op_sel:[1,0] op_sel_hi:[0,0]
	v_fmac_f32_e32 v177, v165, v244
	v_pk_add_f32 v[16:17], v[172:173], v[174:175]
	v_pk_fma_f32 v[20:21], v[166:167], v[246:247], v[18:19] neg_lo:[0,0,1] neg_hi:[0,0,1]
	v_pk_fma_f32 v[18:19], v[166:167], v[246:247], v[18:19] op_sel_hi:[1,0,1]
	v_pk_add_f32 v[16:17], v[16:17], v[176:177]
	v_mov_b32_e32 v21, v19
	v_pk_add_f32 v[16:17], v[16:17], v[20:21]
	s_waitcnt vmcnt(3) lgkmcnt(3)
	v_pk_mul_f32 v[18:19], v[2:3], v[248:249] op_sel:[1,1] op_sel_hi:[0,1]
	v_pk_fma_f32 v[20:21], v[2:3], v[248:249], v[18:19] neg_lo:[0,0,1] neg_hi:[0,0,1]
	v_pk_fma_f32 v[2:3], v[2:3], v[248:249], v[18:19] op_sel_hi:[1,0,1]
	s_nop 0
	v_mov_b32_e32 v21, v3
	v_pk_add_f32 v[2:3], v[16:17], v[20:21]
	v_mov_b32_e32 v16, v251
	v_pk_mul_f32 v[16:17], v[4:5], v[16:17] op_sel:[1,0] op_sel_hi:[0,0]
	v_pk_fma_f32 v[18:19], v[4:5], v[250:251], v[16:17] neg_lo:[0,0,1] neg_hi:[0,0,1]
	v_pk_fma_f32 v[4:5], v[4:5], v[250:251], v[16:17] op_sel_hi:[1,0,1]
	s_nop 0
	v_mov_b32_e32 v19, v5
	s_waitcnt vmcnt(2) lgkmcnt(2)
	v_pk_mul_f32 v[4:5], v[6:7], v[252:253] op_sel:[1,1] op_sel_hi:[0,1]
	v_pk_fma_f32 v[16:17], v[6:7], v[252:253], v[4:5] neg_lo:[0,0,1] neg_hi:[0,0,1]
	v_pk_fma_f32 v[4:5], v[6:7], v[252:253], v[4:5] op_sel_hi:[1,0,1]
	v_pk_add_f32 v[2:3], v[2:3], v[18:19]
	v_mov_b32_e32 v4, v255
	v_mov_b32_e32 v17, v5
	v_pk_mul_f32 v[4:5], v[8:9], v[4:5] op_sel:[1,0] op_sel_hi:[0,0]
	v_pk_fma_f32 v[6:7], v[8:9], v[254:255], v[4:5] neg_lo:[0,0,1] neg_hi:[0,0,1]
	v_pk_fma_f32 v[4:5], v[8:9], v[254:255], v[4:5] op_sel_hi:[1,0,1]
	v_pk_add_f32 v[2:3], v[2:3], v[16:17]
	v_mov_b32_e32 v7, v5
	s_waitcnt vmcnt(1) lgkmcnt(1)
	v_pk_mul_f32 v[4:5], v[10:11], v[168:169] op_sel:[1,1] op_sel_hi:[0,1]
	v_pk_add_f32 v[2:3], v[2:3], v[6:7]
	v_pk_fma_f32 v[6:7], v[10:11], v[168:169], v[4:5] neg_lo:[0,0,1] neg_hi:[0,0,1]
	v_pk_fma_f32 v[4:5], v[10:11], v[168:169], v[4:5] op_sel_hi:[1,0,1]
	s_nop 0
	v_mov_b32_e32 v4, v171
	v_mov_b32_e32 v7, v5
	v_pk_mul_f32 v[4:5], v[12:13], v[4:5] op_sel:[1,0] op_sel_hi:[0,0]
	v_pk_add_f32 v[2:3], v[2:3], v[6:7]
	v_pk_fma_f32 v[6:7], v[12:13], v[170:171], v[4:5] neg_lo:[0,0,1] neg_hi:[0,0,1]
	v_pk_fma_f32 v[4:5], v[12:13], v[170:171], v[4:5] op_sel_hi:[1,0,1]
	s_nop 0
	v_mov_b32_e32 v7, v5
	s_waitcnt vmcnt(0) lgkmcnt(0)
	v_pk_mul_f32 v[4:5], v[14:15], v[178:179] op_sel:[1,1] op_sel_hi:[0,1]
	v_pk_add_f32 v[2:3], v[2:3], v[6:7]
	v_pk_fma_f32 v[6:7], v[14:15], v[178:179], v[4:5] neg_lo:[0,0,1] neg_hi:[0,0,1]
	v_pk_fma_f32 v[4:5], v[14:15], v[178:179], v[4:5] op_sel_hi:[1,0,1]
	s_nop 0
	v_mov_b32_e32 v7, v5
	scratch_load_dwordx2 v[4:5], off, off offset:16
	v_pk_add_f32 v[2:3], v[2:3], v[6:7]
	s_waitcnt vmcnt(0)
	v_pk_add_f32 v[2:3], v[4:5], v[2:3] neg_lo:[0,1] neg_hi:[0,1]
	scratch_store_dwordx2 off, v[2:3], off offset:16
	s_and_saveexec_b64 s[0:1], vcc
	s_cbranch_execz .LBB51_323
; %bb.322:
	scratch_load_dwordx2 v[2:3], off, off offset:8
	v_mov_b32_e32 v135, v134
	scratch_store_dwordx2 off, v[134:135], off offset:8
	s_waitcnt vmcnt(1)
	ds_write_b64 v1, v[2:3]
.LBB51_323:
	s_or_b64 exec, exec, s[0:1]
	s_waitcnt lgkmcnt(0)
	; wave barrier
	ds_read_b128 v[14:17], v134 offset:432
	ds_read_b128 v[10:13], v134 offset:448
	;; [unrolled: 1-line block ×4, first 2 shown]
	scratch_load_dwordx4 v[18:21], off, off offset:16
	scratch_load_dwordx4 v[38:41], off, off offset:80
	scratch_load_dwordx4 v[70:73], off, off offset:144
	scratch_load_dwordx4 v[78:81], off, off offset:160
	scratch_load_dwordx4 v[86:89], off, off offset:176
	scratch_load_dwordx4 v[94:97], off, off offset:192
	scratch_load_dwordx4 v[102:105], off, off offset:208
	scratch_load_dwordx4 v[110:113], off, off offset:224
	scratch_load_dwordx4 v[118:121], off, off offset:240
	scratch_load_dwordx4 v[126:129], off, off offset:256
	scratch_load_dwordx4 v[136:139], off, off offset:272
	scratch_load_dwordx4 v[144:147], off, off offset:288
	scratch_load_dwordx4 v[152:155], off, off offset:304
	scratch_load_dwordx4 v[160:163], off, off offset:320
	scratch_load_dwordx4 v[168:171], off, off offset:336
	v_cmp_ne_u32_e32 vcc, 0, v0
	scratch_load_dwordx4 v[46:49], off, off offset:96
	scratch_load_dwordx4 v[54:57], off, off offset:112
	;; [unrolled: 1-line block ×3, first 2 shown]
	s_waitcnt vmcnt(17) lgkmcnt(3)
	v_mul_f32_e32 v22, v14, v19
	v_fmac_f32_e32 v22, v15, v18
	v_mul_f32_e32 v23, v16, v21
	v_add_f32_e32 v22, 0, v22
	v_fmac_f32_e32 v23, v17, v20
	v_add_f32_e32 v26, v22, v23
	scratch_load_dwordx4 v[22:25], off, off offset:32
	v_mul_f32_e32 v15, v15, v19
	v_fma_f32 v14, v14, v18, -v15
	v_mul_f32_e32 v15, v17, v21
	v_add_f32_e32 v14, 0, v14
	v_fma_f32 v15, v16, v20, -v15
	v_add_f32_e32 v14, v14, v15
	s_waitcnt vmcnt(0) lgkmcnt(2)
	v_mul_f32_e32 v27, v10, v23
	v_fmac_f32_e32 v27, v11, v22
	v_add_f32_e32 v26, v26, v27
	v_mul_f32_e32 v27, v12, v25
	v_fmac_f32_e32 v27, v13, v24
	v_add_f32_e32 v30, v26, v27
	scratch_load_dwordx4 v[26:29], off, off offset:48
	v_mul_f32_e32 v11, v11, v23
	v_fma_f32 v10, v10, v22, -v11
	v_mul_f32_e32 v11, v13, v25
	v_add_f32_e32 v10, v14, v10
	v_fma_f32 v11, v12, v24, -v11
	v_add_f32_e32 v10, v10, v11
	s_waitcnt vmcnt(0) lgkmcnt(1)
	v_mul_f32_e32 v31, v6, v27
	v_fmac_f32_e32 v31, v7, v26
	v_add_f32_e32 v30, v30, v31
	v_mul_f32_e32 v31, v8, v29
	;; [unrolled: 14-line block ×3, first 2 shown]
	v_fmac_f32_e32 v35, v5, v32
	v_add_f32_e32 v42, v34, v35
	ds_read_b128 v[34:37], v134 offset:496
	v_mul_f32_e32 v3, v3, v31
	v_fma_f32 v2, v2, v30, -v3
	v_mul_f32_e32 v3, v5, v33
	v_add_f32_e32 v2, v6, v2
	s_waitcnt lgkmcnt(0)
	v_mul_f32_e32 v43, v34, v39
	v_fmac_f32_e32 v43, v35, v38
	v_add_f32_e32 v42, v42, v43
	v_mul_f32_e32 v43, v36, v41
	v_fmac_f32_e32 v43, v37, v40
	v_add_f32_e32 v50, v42, v43
	ds_read_b128 v[42:45], v134 offset:512
	v_fma_f32 v3, v4, v32, -v3
	v_add_f32_e32 v2, v2, v3
	v_mul_f32_e32 v3, v35, v39
	v_fma_f32 v3, v34, v38, -v3
	s_waitcnt lgkmcnt(0)
	v_mul_f32_e32 v51, v42, v47
	v_fmac_f32_e32 v51, v43, v46
	v_add_f32_e32 v50, v50, v51
	v_mul_f32_e32 v51, v44, v49
	v_fmac_f32_e32 v51, v45, v48
	v_add_f32_e32 v58, v50, v51
	ds_read_b128 v[50:53], v134 offset:528
	v_add_f32_e32 v2, v2, v3
	v_mul_f32_e32 v3, v37, v41
	v_fma_f32 v3, v36, v40, -v3
	v_add_f32_e32 v2, v2, v3
	s_waitcnt lgkmcnt(0)
	v_mul_f32_e32 v59, v50, v55
	v_fmac_f32_e32 v59, v51, v54
	v_add_f32_e32 v58, v58, v59
	v_mul_f32_e32 v59, v52, v57
	v_fmac_f32_e32 v59, v53, v56
	v_add_f32_e32 v66, v58, v59
	ds_read_b128 v[58:61], v134 offset:544
	v_mul_f32_e32 v3, v43, v47
	v_fma_f32 v3, v42, v46, -v3
	v_add_f32_e32 v2, v2, v3
	v_mul_f32_e32 v3, v45, v49
	s_waitcnt lgkmcnt(0)
	v_mul_f32_e32 v67, v58, v63
	v_fmac_f32_e32 v67, v59, v62
	v_add_f32_e32 v66, v66, v67
	v_mul_f32_e32 v67, v60, v65
	v_fmac_f32_e32 v67, v61, v64
	v_add_f32_e32 v74, v66, v67
	ds_read_b128 v[66:69], v134 offset:560
	v_fma_f32 v3, v44, v48, -v3
	v_add_f32_e32 v2, v2, v3
	v_mul_f32_e32 v3, v51, v55
	v_fma_f32 v3, v50, v54, -v3
	s_waitcnt lgkmcnt(0)
	v_mul_f32_e32 v75, v66, v71
	v_fmac_f32_e32 v75, v67, v70
	v_add_f32_e32 v74, v74, v75
	v_mul_f32_e32 v75, v68, v73
	v_fmac_f32_e32 v75, v69, v72
	v_add_f32_e32 v82, v74, v75
	ds_read_b128 v[74:77], v134 offset:576
	v_add_f32_e32 v2, v2, v3
	v_mul_f32_e32 v3, v53, v57
	v_fma_f32 v3, v52, v56, -v3
	v_add_f32_e32 v2, v2, v3
	s_waitcnt lgkmcnt(0)
	v_mul_f32_e32 v83, v74, v79
	v_fmac_f32_e32 v83, v75, v78
	v_add_f32_e32 v82, v82, v83
	v_mul_f32_e32 v83, v76, v81
	v_fmac_f32_e32 v83, v77, v80
	v_add_f32_e32 v90, v82, v83
	ds_read_b128 v[82:85], v134 offset:592
	v_mul_f32_e32 v3, v59, v63
	v_fma_f32 v3, v58, v62, -v3
	v_add_f32_e32 v2, v2, v3
	v_mul_f32_e32 v3, v61, v65
	;; [unrolled: 36-line block ×5, first 2 shown]
	s_waitcnt lgkmcnt(0)
	v_mul_f32_e32 v164, v156, v161
	v_fmac_f32_e32 v164, v157, v160
	v_add_f32_e32 v135, v135, v164
	v_mul_f32_e32 v164, v158, v163
	v_fmac_f32_e32 v164, v159, v162
	v_add_f32_e32 v177, v135, v164
	ds_read_b128 v[164:167], v134 offset:752
	scratch_load_dwordx4 v[244:247], off, off offset:352
	scratch_load_dwordx4 v[248:251], off, off offset:368
	;; [unrolled: 1-line block ×4, first 2 shown]
	v_fma_f32 v3, v108, v112, -v3
	v_add_f32_e32 v2, v2, v3
	v_mul_f32_e32 v3, v115, v119
	v_fma_f32 v3, v114, v118, -v3
	v_add_f32_e32 v2, v2, v3
	v_mul_f32_e32 v3, v117, v121
	;; [unrolled: 3-line block ×12, first 2 shown]
	v_fma_f32 v3, v158, v162, -v3
	v_add_f32_e32 v176, v2, v3
	s_waitcnt lgkmcnt(0)
	v_mul_f32_e32 v2, v165, v169
	v_fma_f32 v178, v164, v168, -v2
	v_mul_f32_e32 v2, v167, v171
	v_fma_f32 v180, v166, v170, -v2
	ds_read_b128 v[2:5], v134 offset:768
	ds_read_b128 v[6:9], v134 offset:784
	;; [unrolled: 1-line block ×4, first 2 shown]
	v_mul_f32_e32 v179, v164, v169
	v_fmac_f32_e32 v179, v165, v168
	v_mul_f32_e32 v181, v166, v171
	v_fmac_f32_e32 v181, v167, v170
	v_pk_add_f32 v[18:19], v[176:177], v[178:179]
	s_waitcnt vmcnt(3) lgkmcnt(3)
	v_pk_mul_f32 v[20:21], v[2:3], v[244:245] op_sel:[1,1] op_sel_hi:[0,1]
	v_pk_fma_f32 v[22:23], v[2:3], v[244:245], v[20:21] neg_lo:[0,0,1] neg_hi:[0,0,1]
	v_pk_fma_f32 v[2:3], v[2:3], v[244:245], v[20:21] op_sel_hi:[1,0,1]
	v_pk_add_f32 v[18:19], v[18:19], v[180:181]
	v_mov_b32_e32 v23, v3
	v_pk_add_f32 v[2:3], v[18:19], v[22:23]
	v_mov_b32_e32 v18, v247
	v_pk_mul_f32 v[18:19], v[4:5], v[18:19] op_sel:[1,0] op_sel_hi:[0,0]
	v_pk_fma_f32 v[20:21], v[4:5], v[246:247], v[18:19] neg_lo:[0,0,1] neg_hi:[0,0,1]
	v_pk_fma_f32 v[4:5], v[4:5], v[246:247], v[18:19] op_sel_hi:[1,0,1]
	s_nop 0
	v_mov_b32_e32 v21, v5
	s_waitcnt vmcnt(2) lgkmcnt(2)
	v_pk_mul_f32 v[4:5], v[6:7], v[248:249] op_sel:[1,1] op_sel_hi:[0,1]
	v_pk_fma_f32 v[18:19], v[6:7], v[248:249], v[4:5] neg_lo:[0,0,1] neg_hi:[0,0,1]
	v_pk_fma_f32 v[4:5], v[6:7], v[248:249], v[4:5] op_sel_hi:[1,0,1]
	v_pk_add_f32 v[2:3], v[2:3], v[20:21]
	v_mov_b32_e32 v4, v251
	v_mov_b32_e32 v19, v5
	v_pk_mul_f32 v[4:5], v[8:9], v[4:5] op_sel:[1,0] op_sel_hi:[0,0]
	v_pk_fma_f32 v[6:7], v[8:9], v[250:251], v[4:5] neg_lo:[0,0,1] neg_hi:[0,0,1]
	v_pk_fma_f32 v[4:5], v[8:9], v[250:251], v[4:5] op_sel_hi:[1,0,1]
	v_pk_add_f32 v[2:3], v[2:3], v[18:19]
	v_mov_b32_e32 v7, v5
	s_waitcnt vmcnt(1) lgkmcnt(1)
	v_pk_mul_f32 v[4:5], v[10:11], v[252:253] op_sel:[1,1] op_sel_hi:[0,1]
	v_pk_add_f32 v[2:3], v[2:3], v[6:7]
	v_pk_fma_f32 v[6:7], v[10:11], v[252:253], v[4:5] neg_lo:[0,0,1] neg_hi:[0,0,1]
	v_pk_fma_f32 v[4:5], v[10:11], v[252:253], v[4:5] op_sel_hi:[1,0,1]
	s_nop 0
	v_mov_b32_e32 v4, v255
	v_mov_b32_e32 v7, v5
	v_pk_mul_f32 v[4:5], v[12:13], v[4:5] op_sel:[1,0] op_sel_hi:[0,0]
	v_pk_add_f32 v[2:3], v[2:3], v[6:7]
	v_pk_fma_f32 v[6:7], v[12:13], v[254:255], v[4:5] neg_lo:[0,0,1] neg_hi:[0,0,1]
	v_pk_fma_f32 v[4:5], v[12:13], v[254:255], v[4:5] op_sel_hi:[1,0,1]
	s_nop 0
	v_mov_b32_e32 v7, v5
	s_waitcnt vmcnt(0) lgkmcnt(0)
	v_pk_mul_f32 v[4:5], v[14:15], v[172:173] op_sel:[1,1] op_sel_hi:[0,1]
	v_pk_add_f32 v[2:3], v[2:3], v[6:7]
	v_pk_fma_f32 v[6:7], v[14:15], v[172:173], v[4:5] neg_lo:[0,0,1] neg_hi:[0,0,1]
	v_pk_fma_f32 v[4:5], v[14:15], v[172:173], v[4:5] op_sel_hi:[1,0,1]
	s_nop 0
	v_mov_b32_e32 v4, v175
	v_mov_b32_e32 v7, v5
	v_pk_mul_f32 v[4:5], v[16:17], v[4:5] op_sel:[1,0] op_sel_hi:[0,0]
	v_pk_add_f32 v[2:3], v[2:3], v[6:7]
	v_pk_fma_f32 v[6:7], v[16:17], v[174:175], v[4:5] neg_lo:[0,0,1] neg_hi:[0,0,1]
	v_pk_fma_f32 v[4:5], v[16:17], v[174:175], v[4:5] op_sel_hi:[1,0,1]
	s_nop 0
	v_mov_b32_e32 v7, v5
	scratch_load_dwordx2 v[4:5], off, off offset:8
	v_pk_add_f32 v[2:3], v[2:3], v[6:7]
	s_waitcnt vmcnt(0)
	v_pk_add_f32 v[2:3], v[4:5], v[2:3] neg_lo:[0,1] neg_hi:[0,1]
	scratch_store_dwordx2 off, v[2:3], off offset:8
	s_and_saveexec_b64 s[0:1], vcc
	s_cbranch_execz .LBB51_325
; %bb.324:
	scratch_load_dwordx2 v[2:3], off, off
	v_mov_b32_e32 v4, 0
	v_mov_b32_e32 v5, v4
	scratch_store_dwordx2 off, v[4:5], off
	s_waitcnt vmcnt(1)
	ds_write_b64 v1, v[2:3]
.LBB51_325:
	s_or_b64 exec, exec, s[0:1]
	s_waitcnt lgkmcnt(0)
	; wave barrier
	scratch_load_dwordx4 v[4:7], off, off offset:8
	scratch_load_dwordx4 v[12:15], off, off offset:24
	;; [unrolled: 1-line block ×10, first 2 shown]
	v_mov_b32_e32 v244, 0
	ds_read2_b64 v[0:3], v244 offset0:53 offset1:54
	scratch_load_dwordx4 v[84:87], off, off offset:168
	scratch_load_dwordx4 v[92:95], off, off offset:184
	;; [unrolled: 1-line block ×12, first 2 shown]
	s_and_b64 vcc, exec, s[18:19]
	s_waitcnt vmcnt(21) lgkmcnt(0)
	v_mul_f32_e32 v8, v0, v5
	v_fmac_f32_e32 v8, v1, v4
	v_mul_f32_e32 v9, v2, v7
	v_add_f32_e32 v8, 0, v8
	v_fmac_f32_e32 v9, v3, v6
	v_add_f32_e32 v16, v8, v9
	ds_read2_b64 v[8:11], v244 offset0:55 offset1:56
	v_mul_f32_e32 v1, v1, v5
	v_fma_f32 v0, v0, v4, -v1
	v_mul_f32_e32 v1, v3, v7
	v_add_f32_e32 v0, 0, v0
	s_waitcnt vmcnt(20) lgkmcnt(0)
	v_mul_f32_e32 v17, v8, v13
	v_fmac_f32_e32 v17, v9, v12
	v_add_f32_e32 v16, v16, v17
	v_mul_f32_e32 v17, v10, v15
	v_fmac_f32_e32 v17, v11, v14
	v_add_f32_e32 v24, v16, v17
	ds_read2_b64 v[16:19], v244 offset0:57 offset1:58
	v_fma_f32 v1, v2, v6, -v1
	v_add_f32_e32 v0, v0, v1
	v_mul_f32_e32 v1, v9, v13
	v_fma_f32 v1, v8, v12, -v1
	s_waitcnt vmcnt(19) lgkmcnt(0)
	v_mul_f32_e32 v25, v16, v21
	v_fmac_f32_e32 v25, v17, v20
	v_add_f32_e32 v24, v24, v25
	v_mul_f32_e32 v25, v18, v23
	v_fmac_f32_e32 v25, v19, v22
	v_add_f32_e32 v32, v24, v25
	ds_read2_b64 v[24:27], v244 offset0:59 offset1:60
	v_add_f32_e32 v0, v0, v1
	v_mul_f32_e32 v1, v11, v15
	v_fma_f32 v1, v10, v14, -v1
	v_add_f32_e32 v0, v0, v1
	s_waitcnt vmcnt(18) lgkmcnt(0)
	v_mul_f32_e32 v33, v24, v29
	v_fmac_f32_e32 v33, v25, v28
	v_add_f32_e32 v32, v32, v33
	v_mul_f32_e32 v33, v26, v31
	v_fmac_f32_e32 v33, v27, v30
	v_add_f32_e32 v40, v32, v33
	ds_read2_b64 v[32:35], v244 offset0:61 offset1:62
	v_mul_f32_e32 v1, v17, v21
	v_fma_f32 v1, v16, v20, -v1
	v_add_f32_e32 v0, v0, v1
	v_mul_f32_e32 v1, v19, v23
	s_waitcnt vmcnt(17) lgkmcnt(0)
	v_mul_f32_e32 v41, v32, v37
	v_fmac_f32_e32 v41, v33, v36
	v_add_f32_e32 v40, v40, v41
	v_mul_f32_e32 v41, v34, v39
	v_fmac_f32_e32 v41, v35, v38
	v_add_f32_e32 v48, v40, v41
	ds_read2_b64 v[40:43], v244 offset0:63 offset1:64
	v_fma_f32 v1, v18, v22, -v1
	v_add_f32_e32 v0, v0, v1
	v_mul_f32_e32 v1, v25, v29
	v_fma_f32 v1, v24, v28, -v1
	s_waitcnt vmcnt(16) lgkmcnt(0)
	v_mul_f32_e32 v49, v40, v45
	v_fmac_f32_e32 v49, v41, v44
	v_add_f32_e32 v48, v48, v49
	v_mul_f32_e32 v49, v42, v47
	v_fmac_f32_e32 v49, v43, v46
	v_add_f32_e32 v56, v48, v49
	ds_read2_b64 v[48:51], v244 offset0:65 offset1:66
	v_add_f32_e32 v0, v0, v1
	v_mul_f32_e32 v1, v27, v31
	v_fma_f32 v1, v26, v30, -v1
	v_add_f32_e32 v0, v0, v1
	s_waitcnt vmcnt(15) lgkmcnt(0)
	v_mul_f32_e32 v57, v48, v53
	v_fmac_f32_e32 v57, v49, v52
	v_add_f32_e32 v56, v56, v57
	v_mul_f32_e32 v57, v50, v55
	v_fmac_f32_e32 v57, v51, v54
	v_add_f32_e32 v64, v56, v57
	ds_read2_b64 v[56:59], v244 offset0:67 offset1:68
	v_mul_f32_e32 v1, v33, v37
	v_fma_f32 v1, v32, v36, -v1
	v_add_f32_e32 v0, v0, v1
	v_mul_f32_e32 v1, v35, v39
	;; [unrolled: 36-line block ×6, first 2 shown]
	s_waitcnt vmcnt(2) lgkmcnt(0)
	v_mul_f32_e32 v161, v152, v157
	v_fmac_f32_e32 v161, v153, v156
	v_add_f32_e32 v160, v160, v161
	v_mul_f32_e32 v161, v154, v159
	v_fmac_f32_e32 v161, v155, v158
	v_add_f32_e32 v168, v160, v161
	ds_read2_b64 v[160:163], v244 offset0:93 offset1:94
	v_fma_f32 v1, v98, v102, -v1
	v_add_f32_e32 v0, v0, v1
	v_mul_f32_e32 v1, v105, v109
	v_fma_f32 v1, v104, v108, -v1
	s_waitcnt vmcnt(1) lgkmcnt(0)
	v_mul_f32_e32 v169, v160, v165
	v_fmac_f32_e32 v169, v161, v164
	v_add_f32_e32 v181, v168, v169
	ds_read2_b64 v[168:171], v244 offset0:95 offset1:96
	scratch_load_dwordx4 v[246:249], off, off offset:360
	scratch_load_dwordx4 v[250:253], off, off offset:376
	;; [unrolled: 1-line block ×3, first 2 shown]
	scratch_load_dwordx2 v[184:185], off, off offset:408
	v_add_f32_e32 v0, v0, v1
	v_mul_f32_e32 v1, v107, v111
	v_fma_f32 v1, v106, v110, -v1
	v_add_f32_e32 v0, v0, v1
	v_mul_f32_e32 v1, v113, v117
	v_fma_f32 v1, v112, v116, -v1
	;; [unrolled: 3-line block ×14, first 2 shown]
	v_add_f32_e32 v180, v0, v1
	v_mul_f32_e32 v0, v163, v167
	v_mul_f32_e32 v255, v162, v167
	v_fma_f32 v254, v162, v166, -v0
	s_waitcnt vmcnt(4) lgkmcnt(0)
	v_mul_f32_e32 v0, v169, v173
	v_mov_b32_e32 v16, v175
	v_fmac_f32_e32 v255, v163, v166
	v_mul_f32_e32 v183, v168, v173
	v_fma_f32 v182, v168, v172, -v0
	ds_read2_b64 v[0:3], v244 offset0:97 offset1:98
	ds_read2_b64 v[4:7], v244 offset0:99 offset1:100
	;; [unrolled: 1-line block ×3, first 2 shown]
	ds_read_b64 v[12:13], v244 offset:824
	v_pk_mul_f32 v[16:17], v[170:171], v[16:17] op_sel:[1,0] op_sel_hi:[0,0]
	v_fmac_f32_e32 v183, v169, v172
	v_pk_add_f32 v[14:15], v[180:181], v[254:255]
	v_pk_fma_f32 v[18:19], v[170:171], v[174:175], v[16:17] neg_lo:[0,0,1] neg_hi:[0,0,1]
	v_pk_fma_f32 v[16:17], v[170:171], v[174:175], v[16:17] op_sel_hi:[1,0,1]
	v_pk_add_f32 v[14:15], v[14:15], v[182:183]
	v_mov_b32_e32 v19, v17
	v_pk_add_f32 v[14:15], v[14:15], v[18:19]
	s_waitcnt vmcnt(3) lgkmcnt(3)
	v_pk_mul_f32 v[16:17], v[0:1], v[246:247] op_sel:[1,1] op_sel_hi:[0,1]
	v_pk_fma_f32 v[18:19], v[0:1], v[246:247], v[16:17] neg_lo:[0,0,1] neg_hi:[0,0,1]
	v_pk_fma_f32 v[0:1], v[0:1], v[246:247], v[16:17] op_sel_hi:[1,0,1]
	s_nop 0
	v_mov_b32_e32 v19, v1
	v_pk_add_f32 v[0:1], v[14:15], v[18:19]
	v_mov_b32_e32 v14, v249
	v_pk_mul_f32 v[14:15], v[2:3], v[14:15] op_sel:[1,0] op_sel_hi:[0,0]
	v_pk_fma_f32 v[16:17], v[2:3], v[248:249], v[14:15] neg_lo:[0,0,1] neg_hi:[0,0,1]
	v_pk_fma_f32 v[2:3], v[2:3], v[248:249], v[14:15] op_sel_hi:[1,0,1]
	s_nop 0
	v_mov_b32_e32 v17, v3
	s_waitcnt vmcnt(2) lgkmcnt(2)
	v_pk_mul_f32 v[2:3], v[4:5], v[250:251] op_sel:[1,1] op_sel_hi:[0,1]
	v_pk_fma_f32 v[14:15], v[4:5], v[250:251], v[2:3] neg_lo:[0,0,1] neg_hi:[0,0,1]
	v_pk_fma_f32 v[2:3], v[4:5], v[250:251], v[2:3] op_sel_hi:[1,0,1]
	v_pk_add_f32 v[0:1], v[0:1], v[16:17]
	v_mov_b32_e32 v2, v253
	v_mov_b32_e32 v15, v3
	v_pk_mul_f32 v[2:3], v[6:7], v[2:3] op_sel:[1,0] op_sel_hi:[0,0]
	v_pk_fma_f32 v[4:5], v[6:7], v[252:253], v[2:3] neg_lo:[0,0,1] neg_hi:[0,0,1]
	v_pk_fma_f32 v[2:3], v[6:7], v[252:253], v[2:3] op_sel_hi:[1,0,1]
	v_pk_add_f32 v[0:1], v[0:1], v[14:15]
	v_mov_b32_e32 v5, v3
	s_waitcnt vmcnt(1) lgkmcnt(1)
	v_pk_mul_f32 v[2:3], v[8:9], v[176:177] op_sel:[1,1] op_sel_hi:[0,1]
	v_pk_add_f32 v[0:1], v[0:1], v[4:5]
	v_pk_fma_f32 v[4:5], v[8:9], v[176:177], v[2:3] neg_lo:[0,0,1] neg_hi:[0,0,1]
	v_pk_fma_f32 v[2:3], v[8:9], v[176:177], v[2:3] op_sel_hi:[1,0,1]
	s_nop 0
	v_mov_b32_e32 v2, v179
	v_mov_b32_e32 v5, v3
	v_pk_mul_f32 v[2:3], v[10:11], v[2:3] op_sel:[1,0] op_sel_hi:[0,0]
	v_pk_add_f32 v[0:1], v[0:1], v[4:5]
	v_pk_fma_f32 v[4:5], v[10:11], v[178:179], v[2:3] neg_lo:[0,0,1] neg_hi:[0,0,1]
	v_pk_fma_f32 v[2:3], v[10:11], v[178:179], v[2:3] op_sel_hi:[1,0,1]
	s_nop 0
	v_mov_b32_e32 v5, v3
	s_waitcnt vmcnt(0) lgkmcnt(0)
	v_pk_mul_f32 v[2:3], v[12:13], v[184:185] op_sel:[1,1] op_sel_hi:[0,1]
	v_pk_add_f32 v[0:1], v[0:1], v[4:5]
	v_pk_fma_f32 v[4:5], v[12:13], v[184:185], v[2:3] neg_lo:[0,0,1] neg_hi:[0,0,1]
	v_pk_fma_f32 v[2:3], v[12:13], v[184:185], v[2:3] op_sel_hi:[1,0,1]
	s_nop 0
	v_mov_b32_e32 v5, v3
	scratch_load_dwordx2 v[2:3], off, off
	v_pk_add_f32 v[0:1], v[0:1], v[4:5]
	s_waitcnt vmcnt(0)
	v_pk_add_f32 v[0:1], v[2:3], v[0:1] neg_lo:[0,1] neg_hi:[0,1]
	scratch_store_dwordx2 off, v[0:1], off
	s_cbranch_vccz .LBB51_428
; %bb.326:
	global_load_dword v0, v244, s[16:17] offset:200
	s_waitcnt vmcnt(0)
	v_readfirstlane_b32 s0, v0
	s_add_i32 s0, s0, -1
	s_cmp_lg_u32 s0, 50
	s_cbranch_scc0 .LBB51_328
; %bb.327:
	s_lshl_b32 s0, s0, 3
	s_nop 0
	scratch_load_dwordx2 v[0:1], off, s0
	scratch_load_dwordx2 v[2:3], off, off offset:400
	s_waitcnt vmcnt(1)
	scratch_store_dwordx2 off, v[0:1], off offset:400
	s_waitcnt vmcnt(1)
	scratch_store_dwordx2 off, v[2:3], s0
.LBB51_328:
	v_mov_b32_e32 v0, 0
	global_load_dword v1, v0, s[16:17] offset:196
	s_waitcnt vmcnt(0)
	v_readfirstlane_b32 s0, v1
	s_add_i32 s0, s0, -1
	s_cmp_eq_u32 s0, 49
	s_cbranch_scc1 .LBB51_330
; %bb.329:
	s_lshl_b32 s0, s0, 3
	s_nop 0
	scratch_load_dwordx2 v[2:3], off, s0
	scratch_load_dwordx2 v[4:5], off, off offset:392
	s_waitcnt vmcnt(1)
	scratch_store_dwordx2 off, v[2:3], off offset:392
	s_waitcnt vmcnt(1)
	scratch_store_dwordx2 off, v[4:5], s0
.LBB51_330:
	global_load_dword v0, v0, s[16:17] offset:192
	s_waitcnt vmcnt(0)
	v_readfirstlane_b32 s0, v0
	s_add_i32 s0, s0, -1
	s_cmp_eq_u32 s0, 48
	s_cbranch_scc1 .LBB51_332
; %bb.331:
	s_lshl_b32 s0, s0, 3
	s_nop 0
	scratch_load_dwordx2 v[0:1], off, s0
	scratch_load_dwordx2 v[2:3], off, off offset:384
	s_waitcnt vmcnt(1)
	scratch_store_dwordx2 off, v[0:1], off offset:384
	s_waitcnt vmcnt(1)
	scratch_store_dwordx2 off, v[2:3], s0
.LBB51_332:
	v_mov_b32_e32 v0, 0
	global_load_dword v1, v0, s[16:17] offset:188
	s_waitcnt vmcnt(0)
	v_readfirstlane_b32 s0, v1
	s_add_i32 s0, s0, -1
	s_cmp_eq_u32 s0, 47
	s_cbranch_scc1 .LBB51_334
; %bb.333:
	s_lshl_b32 s0, s0, 3
	s_nop 0
	scratch_load_dwordx2 v[2:3], off, s0
	scratch_load_dwordx2 v[4:5], off, off offset:376
	s_waitcnt vmcnt(1)
	scratch_store_dwordx2 off, v[2:3], off offset:376
	s_waitcnt vmcnt(1)
	scratch_store_dwordx2 off, v[4:5], s0
.LBB51_334:
	global_load_dword v0, v0, s[16:17] offset:184
	s_waitcnt vmcnt(0)
	v_readfirstlane_b32 s0, v0
	s_add_i32 s0, s0, -1
	s_cmp_eq_u32 s0, 46
	s_cbranch_scc1 .LBB51_336
; %bb.335:
	s_lshl_b32 s0, s0, 3
	s_nop 0
	scratch_load_dwordx2 v[0:1], off, s0
	scratch_load_dwordx2 v[2:3], off, off offset:368
	s_waitcnt vmcnt(1)
	scratch_store_dwordx2 off, v[0:1], off offset:368
	s_waitcnt vmcnt(1)
	scratch_store_dwordx2 off, v[2:3], s0
.LBB51_336:
	;; [unrolled: 33-line block ×24, first 2 shown]
	v_mov_b32_e32 v0, 0
	global_load_dword v1, v0, s[16:17] offset:4
	s_waitcnt vmcnt(0)
	v_readfirstlane_b32 s0, v1
	s_add_i32 s0, s0, -1
	s_cmp_eq_u32 s0, 1
	s_cbranch_scc1 .LBB51_426
; %bb.425:
	s_lshl_b32 s0, s0, 3
	s_nop 0
	scratch_load_dwordx2 v[2:3], off, s0
	scratch_load_dwordx2 v[4:5], off, off offset:8
	s_waitcnt vmcnt(1)
	scratch_store_dwordx2 off, v[2:3], off offset:8
	s_waitcnt vmcnt(1)
	scratch_store_dwordx2 off, v[4:5], s0
.LBB51_426:
	global_load_dword v2, v0, s[16:17]
	s_nop 0
	scratch_load_dwordx2 v[0:1], off, off
	s_waitcnt vmcnt(1)
	v_readfirstlane_b32 s0, v2
	s_add_i32 s0, s0, -1
	s_cmp_eq_u32 s0, 0
	s_cbranch_scc1 .LBB51_428
; %bb.427:
	s_lshl_b32 s0, s0, 3
	s_nop 0
	scratch_load_dwordx2 v[2:3], off, s0
	s_waitcnt vmcnt(0)
	scratch_store_dwordx2 off, v[2:3], off
	scratch_store_dwordx2 off, v[0:1], s0
	scratch_load_dwordx2 v[0:1], off, off
.LBB51_428:
	s_nop 0
	scratch_load_dwordx4 v[4:7], off, off offset:8
	scratch_load_dwordx4 v[8:11], off, off offset:24
	;; [unrolled: 1-line block ×25, first 2 shown]
	scratch_load_dwordx2 v[2:3], off, off offset:408
	v_accvgpr_read_b32 v105, a1
	v_accvgpr_read_b32 v104, a0
	s_waitcnt vmcnt(26)
	global_store_dwordx2 v[104:105], v[0:1], off
	v_accvgpr_read_b32 v0, a2
	v_accvgpr_read_b32 v1, a3
	s_waitcnt vmcnt(26)
	global_store_dwordx2 v[0:1], v[4:5], off
	v_accvgpr_read_b32 v0, a4
	v_accvgpr_read_b32 v1, a5
	global_store_dwordx2 v[0:1], v[6:7], off
	v_accvgpr_read_b32 v0, a6
	v_accvgpr_read_b32 v1, a7
	s_waitcnt vmcnt(27)
	global_store_dwordx2 v[0:1], v[8:9], off
	v_accvgpr_read_b32 v0, a8
	v_accvgpr_read_b32 v1, a9
	;; [unrolled: 7-line block ×11, first 2 shown]
	global_store_dwordx2 v[0:1], v[46:47], off
	s_waitcnt vmcnt(37)
	global_store_dwordx2 v[186:187], v[48:49], off
	global_store_dwordx2 v[188:189], v[50:51], off
	s_waitcnt vmcnt(38)
	global_store_dwordx2 v[190:191], v[52:53], off
	;; [unrolled: 3-line block ×15, first 2 shown]
	s_endpgm
	.section	.rodata,"a",@progbits
	.p2align	6, 0x0
	.amdhsa_kernel _ZN9rocsolver6v33100L18getri_kernel_smallILi52E19rocblas_complex_numIfEPS3_EEvT1_iilPiilS6_bb
		.amdhsa_group_segment_fixed_size 836
		.amdhsa_private_segment_fixed_size 432
		.amdhsa_kernarg_size 60
		.amdhsa_user_sgpr_count 2
		.amdhsa_user_sgpr_dispatch_ptr 0
		.amdhsa_user_sgpr_queue_ptr 0
		.amdhsa_user_sgpr_kernarg_segment_ptr 1
		.amdhsa_user_sgpr_dispatch_id 0
		.amdhsa_user_sgpr_kernarg_preload_length 0
		.amdhsa_user_sgpr_kernarg_preload_offset 0
		.amdhsa_user_sgpr_private_segment_size 0
		.amdhsa_uses_dynamic_stack 0
		.amdhsa_enable_private_segment 1
		.amdhsa_system_sgpr_workgroup_id_x 1
		.amdhsa_system_sgpr_workgroup_id_y 0
		.amdhsa_system_sgpr_workgroup_id_z 0
		.amdhsa_system_sgpr_workgroup_info 0
		.amdhsa_system_vgpr_workitem_id 0
		.amdhsa_next_free_vgpr 302
		.amdhsa_next_free_sgpr 20
		.amdhsa_accum_offset 256
		.amdhsa_reserve_vcc 1
		.amdhsa_float_round_mode_32 0
		.amdhsa_float_round_mode_16_64 0
		.amdhsa_float_denorm_mode_32 3
		.amdhsa_float_denorm_mode_16_64 3
		.amdhsa_dx10_clamp 1
		.amdhsa_ieee_mode 1
		.amdhsa_fp16_overflow 0
		.amdhsa_tg_split 0
		.amdhsa_exception_fp_ieee_invalid_op 0
		.amdhsa_exception_fp_denorm_src 0
		.amdhsa_exception_fp_ieee_div_zero 0
		.amdhsa_exception_fp_ieee_overflow 0
		.amdhsa_exception_fp_ieee_underflow 0
		.amdhsa_exception_fp_ieee_inexact 0
		.amdhsa_exception_int_div_zero 0
	.end_amdhsa_kernel
	.section	.text._ZN9rocsolver6v33100L18getri_kernel_smallILi52E19rocblas_complex_numIfEPS3_EEvT1_iilPiilS6_bb,"axG",@progbits,_ZN9rocsolver6v33100L18getri_kernel_smallILi52E19rocblas_complex_numIfEPS3_EEvT1_iilPiilS6_bb,comdat
.Lfunc_end51:
	.size	_ZN9rocsolver6v33100L18getri_kernel_smallILi52E19rocblas_complex_numIfEPS3_EEvT1_iilPiilS6_bb, .Lfunc_end51-_ZN9rocsolver6v33100L18getri_kernel_smallILi52E19rocblas_complex_numIfEPS3_EEvT1_iilPiilS6_bb
                                        ; -- End function
	.set _ZN9rocsolver6v33100L18getri_kernel_smallILi52E19rocblas_complex_numIfEPS3_EEvT1_iilPiilS6_bb.num_vgpr, 256
	.set _ZN9rocsolver6v33100L18getri_kernel_smallILi52E19rocblas_complex_numIfEPS3_EEvT1_iilPiilS6_bb.num_agpr, 46
	.set _ZN9rocsolver6v33100L18getri_kernel_smallILi52E19rocblas_complex_numIfEPS3_EEvT1_iilPiilS6_bb.numbered_sgpr, 20
	.set _ZN9rocsolver6v33100L18getri_kernel_smallILi52E19rocblas_complex_numIfEPS3_EEvT1_iilPiilS6_bb.num_named_barrier, 0
	.set _ZN9rocsolver6v33100L18getri_kernel_smallILi52E19rocblas_complex_numIfEPS3_EEvT1_iilPiilS6_bb.private_seg_size, 432
	.set _ZN9rocsolver6v33100L18getri_kernel_smallILi52E19rocblas_complex_numIfEPS3_EEvT1_iilPiilS6_bb.uses_vcc, 1
	.set _ZN9rocsolver6v33100L18getri_kernel_smallILi52E19rocblas_complex_numIfEPS3_EEvT1_iilPiilS6_bb.uses_flat_scratch, 0
	.set _ZN9rocsolver6v33100L18getri_kernel_smallILi52E19rocblas_complex_numIfEPS3_EEvT1_iilPiilS6_bb.has_dyn_sized_stack, 0
	.set _ZN9rocsolver6v33100L18getri_kernel_smallILi52E19rocblas_complex_numIfEPS3_EEvT1_iilPiilS6_bb.has_recursion, 0
	.set _ZN9rocsolver6v33100L18getri_kernel_smallILi52E19rocblas_complex_numIfEPS3_EEvT1_iilPiilS6_bb.has_indirect_call, 0
	.section	.AMDGPU.csdata,"",@progbits
; Kernel info:
; codeLenInByte = 78440
; TotalNumSgprs: 26
; NumVgprs: 256
; NumAgprs: 46
; TotalNumVgprs: 302
; ScratchSize: 432
; MemoryBound: 0
; FloatMode: 240
; IeeeMode: 1
; LDSByteSize: 836 bytes/workgroup (compile time only)
; SGPRBlocks: 3
; VGPRBlocks: 37
; NumSGPRsForWavesPerEU: 26
; NumVGPRsForWavesPerEU: 302
; AccumOffset: 256
; Occupancy: 1
; WaveLimiterHint : 1
; COMPUTE_PGM_RSRC2:SCRATCH_EN: 1
; COMPUTE_PGM_RSRC2:USER_SGPR: 2
; COMPUTE_PGM_RSRC2:TRAP_HANDLER: 0
; COMPUTE_PGM_RSRC2:TGID_X_EN: 1
; COMPUTE_PGM_RSRC2:TGID_Y_EN: 0
; COMPUTE_PGM_RSRC2:TGID_Z_EN: 0
; COMPUTE_PGM_RSRC2:TIDIG_COMP_CNT: 0
; COMPUTE_PGM_RSRC3_GFX90A:ACCUM_OFFSET: 63
; COMPUTE_PGM_RSRC3_GFX90A:TG_SPLIT: 0
	.section	.text._ZN9rocsolver6v33100L18getri_kernel_smallILi53E19rocblas_complex_numIfEPS3_EEvT1_iilPiilS6_bb,"axG",@progbits,_ZN9rocsolver6v33100L18getri_kernel_smallILi53E19rocblas_complex_numIfEPS3_EEvT1_iilPiilS6_bb,comdat
	.globl	_ZN9rocsolver6v33100L18getri_kernel_smallILi53E19rocblas_complex_numIfEPS3_EEvT1_iilPiilS6_bb ; -- Begin function _ZN9rocsolver6v33100L18getri_kernel_smallILi53E19rocblas_complex_numIfEPS3_EEvT1_iilPiilS6_bb
	.p2align	8
	.type	_ZN9rocsolver6v33100L18getri_kernel_smallILi53E19rocblas_complex_numIfEPS3_EEvT1_iilPiilS6_bb,@function
_ZN9rocsolver6v33100L18getri_kernel_smallILi53E19rocblas_complex_numIfEPS3_EEvT1_iilPiilS6_bb: ; @_ZN9rocsolver6v33100L18getri_kernel_smallILi53E19rocblas_complex_numIfEPS3_EEvT1_iilPiilS6_bb
; %bb.0:
	v_cmp_gt_u32_e32 vcc, 53, v0
	s_and_saveexec_b64 s[4:5], vcc
	s_cbranch_execz .LBB52_226
; %bb.1:
	s_load_dword s8, s[0:1], 0x38
	s_load_dwordx4 s[12:15], s[0:1], 0x10
	s_load_dwordx4 s[4:7], s[0:1], 0x28
                                        ; implicit-def: $sgpr16_sgpr17
	s_waitcnt lgkmcnt(0)
	s_bitcmp1_b32 s8, 8
	s_cselect_b64 s[18:19], -1, 0
	s_ashr_i32 s3, s2, 31
	s_bfe_u32 s8, s8, 0x10008
	s_cmp_eq_u32 s8, 0
	s_cbranch_scc1 .LBB52_3
; %bb.2:
	s_load_dword s8, s[0:1], 0x20
	s_mul_i32 s9, s4, s3
	s_mul_hi_u32 s10, s4, s2
	s_mul_i32 s5, s5, s2
	s_add_i32 s10, s10, s9
	s_add_i32 s5, s10, s5
	s_mul_i32 s4, s4, s2
	s_waitcnt lgkmcnt(0)
	s_ashr_i32 s9, s8, 31
	s_lshl_b64 s[4:5], s[4:5], 2
	s_add_u32 s10, s14, s4
	s_addc_u32 s11, s15, s5
	s_lshl_b64 s[4:5], s[8:9], 2
	s_add_u32 s16, s10, s4
	s_addc_u32 s17, s11, s5
.LBB52_3:
	s_load_dwordx4 s[8:11], s[0:1], 0x0
	s_load_dword s4, s[0:1], 0x38
	s_mul_i32 s5, s12, s3
	s_mul_hi_u32 s14, s12, s2
	s_add_i32 s5, s14, s5
	s_waitcnt lgkmcnt(0)
	s_ashr_i32 s1, s10, 31
	s_mov_b32 s0, s10
	s_mul_i32 s10, s13, s2
	s_add_i32 s13, s5, s10
	s_mul_i32 s12, s12, s2
	s_lshl_b64 s[12:13], s[12:13], 3
	s_add_u32 s5, s8, s12
	s_addc_u32 s8, s9, s13
	s_lshl_b64 s[0:1], s[0:1], 3
	s_add_u32 s0, s5, s0
	s_addc_u32 s1, s8, s1
	v_lshlrev_b32_e32 v2, 3, v0
	v_mov_b32_e32 v3, 0
	v_lshl_add_u64 v[6:7], s[0:1], 0, v[2:3]
	s_ashr_i32 s9, s11, 31
	s_mov_b32 s8, s11
	v_accvgpr_write_b32 a0, v6
	s_add_i32 s5, s11, s11
	v_accvgpr_write_b32 a1, v7
	v_lshl_add_u64 v[8:9], s[8:9], 3, v[6:7]
	v_add_u32_e32 v6, s5, v0
	v_ashrrev_i32_e32 v7, 31, v6
	v_lshl_add_u64 v[10:11], v[6:7], 3, s[0:1]
	v_add_u32_e32 v6, s11, v6
	v_add_u32_e32 v14, s11, v6
	v_ashrrev_i32_e32 v7, 31, v6
	v_ashrrev_i32_e32 v15, 31, v14
	v_lshl_add_u64 v[12:13], v[6:7], 3, s[0:1]
	v_lshl_add_u64 v[16:17], v[14:15], 3, s[0:1]
	v_add_u32_e32 v14, s11, v14
	v_accvgpr_write_b32 a2, v8
	v_accvgpr_write_b32 a4, v10
	;; [unrolled: 1-line block ×4, first 2 shown]
	v_ashrrev_i32_e32 v15, 31, v14
	global_load_dwordx2 v[4:5], v2, s[0:1]
	global_load_dwordx2 v[6:7], v[8:9], off
	v_accvgpr_write_b32 a3, v9
	v_accvgpr_write_b32 a5, v11
	global_load_dwordx2 v[8:9], v[10:11], off
	v_accvgpr_write_b32 a7, v13
	global_load_dwordx2 v[10:11], v[12:13], off
	;; [unrolled: 2-line block ×3, first 2 shown]
	v_lshl_add_u64 v[16:17], v[14:15], 3, s[0:1]
	v_add_u32_e32 v14, s11, v14
	v_ashrrev_i32_e32 v15, 31, v14
	v_lshl_add_u64 v[18:19], v[14:15], 3, s[0:1]
	v_add_u32_e32 v14, s11, v14
	v_add_u32_e32 v22, s11, v14
	v_ashrrev_i32_e32 v15, 31, v14
	v_ashrrev_i32_e32 v23, 31, v22
	v_lshl_add_u64 v[20:21], v[14:15], 3, s[0:1]
	v_lshl_add_u64 v[24:25], v[22:23], 3, s[0:1]
	v_add_u32_e32 v22, s11, v22
	v_accvgpr_write_b32 a10, v16
	v_accvgpr_write_b32 a12, v18
	;; [unrolled: 1-line block ×4, first 2 shown]
	v_ashrrev_i32_e32 v23, 31, v22
	v_accvgpr_write_b32 a11, v17
	global_load_dwordx2 v[14:15], v[16:17], off
	v_accvgpr_write_b32 a13, v19
	global_load_dwordx2 v[16:17], v[18:19], off
	;; [unrolled: 2-line block ×4, first 2 shown]
	v_lshl_add_u64 v[24:25], v[22:23], 3, s[0:1]
	v_add_u32_e32 v22, s11, v22
	v_ashrrev_i32_e32 v23, 31, v22
	v_lshl_add_u64 v[26:27], v[22:23], 3, s[0:1]
	v_add_u32_e32 v22, s11, v22
	v_add_u32_e32 v30, s11, v22
	v_ashrrev_i32_e32 v31, 31, v30
	v_lshl_add_u64 v[32:33], v[30:31], 3, s[0:1]
	v_add_u32_e32 v30, s11, v30
	v_ashrrev_i32_e32 v31, 31, v30
	v_ashrrev_i32_e32 v23, 31, v22
	v_lshl_add_u64 v[34:35], v[30:31], 3, s[0:1]
	v_add_u32_e32 v30, s11, v30
	v_lshl_add_u64 v[28:29], v[22:23], 3, s[0:1]
	v_ashrrev_i32_e32 v31, 31, v30
	v_accvgpr_write_b32 a18, v24
	v_accvgpr_write_b32 a20, v26
	;; [unrolled: 1-line block ×4, first 2 shown]
	v_lshl_add_u64 v[36:37], v[30:31], 3, s[0:1]
	v_add_u32_e32 v30, s11, v30
	v_accvgpr_write_b32 a19, v25
	global_load_dwordx2 v[22:23], v[24:25], off
	v_accvgpr_write_b32 a21, v27
	global_load_dwordx2 v[24:25], v[26:27], off
	;; [unrolled: 2-line block ×4, first 2 shown]
	v_add_u32_e32 v32, s11, v30
	v_ashrrev_i32_e32 v31, 31, v30
	v_ashrrev_i32_e32 v33, 31, v32
	v_lshl_add_u64 v[38:39], v[30:31], 3, s[0:1]
	v_lshl_add_u64 v[40:41], v[32:33], 3, s[0:1]
	v_add_u32_e32 v32, s11, v32
	v_accvgpr_write_b32 a26, v34
	v_accvgpr_write_b32 a28, v36
	;; [unrolled: 1-line block ×4, first 2 shown]
	v_ashrrev_i32_e32 v33, 31, v32
	v_accvgpr_write_b32 a27, v35
	global_load_dwordx2 v[30:31], v[34:35], off
	v_accvgpr_write_b32 a29, v37
	global_load_dwordx2 v[34:35], v[36:37], off
	;; [unrolled: 2-line block ×4, first 2 shown]
	v_lshl_add_u64 v[40:41], v[32:33], 3, s[0:1]
	v_add_u32_e32 v32, s11, v32
	v_ashrrev_i32_e32 v33, 31, v32
	v_lshl_add_u64 v[42:43], v[32:33], 3, s[0:1]
	v_add_u32_e32 v32, s11, v32
	v_ashrrev_i32_e32 v33, 31, v32
	;; [unrolled: 3-line block ×34, first 2 shown]
	v_lshl_add_u64 v[244:245], v[32:33], 3, s[0:1]
	v_add_u32_e32 v32, s11, v32
	v_accvgpr_write_b32 a34, v40
	v_accvgpr_write_b32 a36, v42
	;; [unrolled: 1-line block ×8, first 2 shown]
	v_ashrrev_i32_e32 v33, 31, v32
	v_accvgpr_write_b32 a35, v41
	global_load_dwordx2 v[40:41], v[40:41], off
	v_accvgpr_write_b32 a37, v43
	global_load_dwordx2 v[42:43], v[42:43], off
	;; [unrolled: 2-line block ×8, first 2 shown]
	s_nop 0
	global_load_dwordx2 v[56:57], v[192:193], off
	global_load_dwordx2 v[58:59], v[194:195], off
	;; [unrolled: 1-line block ×24, first 2 shown]
	v_lshl_add_u64 v[246:247], v[32:33], 3, s[0:1]
	global_load_dwordx2 v[104:105], v[240:241], off
	global_load_dwordx2 v[106:107], v[242:243], off
	;; [unrolled: 1-line block ×4, first 2 shown]
	s_bitcmp0_b32 s4, 0
	s_mov_b64 s[4:5], -1
	s_waitcnt vmcnt(51)
	scratch_store_dwordx4 off, v[4:7], off
	s_waitcnt vmcnt(50)
	scratch_store_dwordx4 off, v[8:11], off offset:16
	s_waitcnt vmcnt(49)
	scratch_store_dwordx4 off, v[12:15], off offset:32
	s_waitcnt vmcnt(48)
	scratch_store_dwordx4 off, v[16:19], off offset:48
	s_waitcnt vmcnt(47)
	scratch_store_dwordx4 off, v[20:23], off offset:64
	s_waitcnt vmcnt(46)
	scratch_store_dwordx4 off, v[24:27], off offset:80
	s_waitcnt vmcnt(45)
	scratch_store_dwordx4 off, v[28:31], off offset:96
	s_waitcnt vmcnt(44)
	scratch_store_dwordx4 off, v[34:37], off offset:112
	s_waitcnt vmcnt(43)
	scratch_store_dwordx4 off, v[38:41], off offset:128
	s_waitcnt vmcnt(42)
	scratch_store_dwordx4 off, v[42:45], off offset:144
	s_waitcnt vmcnt(41)
	scratch_store_dwordx4 off, v[46:49], off offset:160
	s_waitcnt vmcnt(40)
	scratch_store_dwordx4 off, v[50:53], off offset:176
	s_waitcnt vmcnt(39)
	scratch_store_dwordx4 off, v[54:57], off offset:192
	s_waitcnt vmcnt(38)
	scratch_store_dwordx4 off, v[58:61], off offset:208
	s_waitcnt vmcnt(37)
	scratch_store_dwordx4 off, v[62:65], off offset:224
	s_waitcnt vmcnt(36)
	scratch_store_dwordx4 off, v[66:69], off offset:240
	s_waitcnt vmcnt(35)
	scratch_store_dwordx4 off, v[70:73], off offset:256
	s_waitcnt vmcnt(34)
	scratch_store_dwordx4 off, v[74:77], off offset:272
	s_waitcnt vmcnt(33)
	scratch_store_dwordx4 off, v[78:81], off offset:288
	s_waitcnt vmcnt(32)
	scratch_store_dwordx4 off, v[82:85], off offset:304
	s_waitcnt vmcnt(31)
	scratch_store_dwordx4 off, v[86:89], off offset:320
	s_waitcnt vmcnt(30)
	scratch_store_dwordx4 off, v[90:93], off offset:336
	s_waitcnt vmcnt(29)
	scratch_store_dwordx4 off, v[94:97], off offset:352
	s_waitcnt vmcnt(28)
	scratch_store_dwordx4 off, v[98:101], off offset:368
	s_waitcnt vmcnt(27)
	scratch_store_dwordx4 off, v[102:105], off offset:384
	s_waitcnt vmcnt(26)
	scratch_store_dwordx4 off, v[106:109], off offset:400
	s_waitcnt vmcnt(26)
	scratch_store_dwordx2 off, v[32:33], off offset:416
	s_cbranch_scc1 .LBB52_224
; %bb.4:
	v_cmp_eq_u32_e64 s[0:1], 0, v0
	s_and_saveexec_b64 s[4:5], s[0:1]
; %bb.5:
	v_mov_b32_e32 v1, 0
	ds_write_b32 v1, v1 offset:424
; %bb.6:
	s_or_b64 exec, exec, s[4:5]
	s_waitcnt lgkmcnt(0)
	; wave barrier
	scratch_load_dwordx2 v[4:5], v2, off
	s_waitcnt vmcnt(0)
	v_cmp_eq_f32_e32 vcc, 0, v4
	v_cmp_eq_f32_e64 s[4:5], 0, v5
	s_and_b64 s[4:5], vcc, s[4:5]
	s_and_saveexec_b64 s[8:9], s[4:5]
	s_cbranch_execz .LBB52_10
; %bb.7:
	v_mov_b32_e32 v1, 0
	ds_read_b32 v4, v1 offset:424
	v_add_u32_e32 v3, 1, v0
	s_waitcnt lgkmcnt(0)
	v_readfirstlane_b32 s4, v4
	s_cmp_eq_u32 s4, 0
	s_cselect_b64 s[10:11], -1, 0
	v_cmp_gt_i32_e32 vcc, s4, v3
	s_or_b64 s[10:11], s[10:11], vcc
	s_and_b64 exec, exec, s[10:11]
	s_cbranch_execz .LBB52_10
; %bb.8:
	s_mov_b64 s[10:11], 0
	v_mov_b32_e32 v4, s4
.LBB52_9:                               ; =>This Inner Loop Header: Depth=1
	ds_cmpst_rtn_b32 v4, v1, v4, v3 offset:424
	s_waitcnt lgkmcnt(0)
	v_cmp_ne_u32_e32 vcc, 0, v4
	v_cmp_le_i32_e64 s[4:5], v4, v3
	s_and_b64 s[4:5], vcc, s[4:5]
	s_and_b64 s[4:5], exec, s[4:5]
	s_or_b64 s[10:11], s[4:5], s[10:11]
	s_andn2_b64 exec, exec, s[10:11]
	s_cbranch_execnz .LBB52_9
.LBB52_10:
	s_or_b64 exec, exec, s[8:9]
	v_mov_b32_e32 v3, 0
	; wave barrier
	ds_read_b32 v1, v3 offset:424
	s_and_saveexec_b64 s[4:5], s[0:1]
	s_cbranch_execz .LBB52_12
; %bb.11:
	s_lshl_b64 s[8:9], s[2:3], 2
	s_add_u32 s8, s6, s8
	s_addc_u32 s9, s7, s9
	s_waitcnt lgkmcnt(0)
	global_store_dword v3, v1, s[8:9]
.LBB52_12:
	s_or_b64 exec, exec, s[4:5]
	s_waitcnt lgkmcnt(0)
	v_cmp_ne_u32_e32 vcc, 0, v1
	s_mov_b64 s[4:5], 0
	s_cbranch_vccnz .LBB52_224
; %bb.13:
	v_mov_b32_e32 v3, v2
	scratch_load_dwordx2 v[4:5], v3, off
                                        ; implicit-def: $vgpr7
                                        ; implicit-def: $vgpr8
	s_waitcnt vmcnt(0)
	v_cmp_ngt_f32_e64 s[4:5], |v4|, |v5|
	s_and_saveexec_b64 s[8:9], s[4:5]
	s_xor_b64 s[4:5], exec, s[8:9]
	s_cbranch_execz .LBB52_15
; %bb.14:
	v_div_scale_f32 v1, s[8:9], v5, v5, v4
	v_rcp_f32_e32 v6, v1
	v_div_scale_f32 v7, vcc, v4, v5, v4
	v_fma_f32 v8, -v1, v6, 1.0
	v_fmac_f32_e32 v6, v8, v6
	v_mul_f32_e32 v8, v7, v6
	v_fma_f32 v9, -v1, v8, v7
	v_fmac_f32_e32 v8, v9, v6
	v_fma_f32 v1, -v1, v8, v7
	v_div_fmas_f32 v1, v1, v6, v8
	v_div_fixup_f32 v1, v1, v5, v4
	v_fmac_f32_e32 v5, v4, v1
	v_div_scale_f32 v4, s[8:9], v5, v5, -1.0
	v_rcp_f32_e32 v6, v4
	s_nop 0
	v_fma_f32 v7, -v4, v6, 1.0
	v_fmac_f32_e32 v6, v7, v6
	v_div_scale_f32 v7, vcc, -1.0, v5, -1.0
	v_mul_f32_e32 v8, v7, v6
	v_fma_f32 v9, -v4, v8, v7
	v_fmac_f32_e32 v8, v9, v6
	v_fma_f32 v4, -v4, v8, v7
	v_div_fmas_f32 v4, v4, v6, v8
	v_div_fixup_f32 v7, v4, v5, -1.0
	v_mul_f32_e32 v8, v1, v7
	v_xor_b32_e32 v6, 0x80000000, v8
                                        ; implicit-def: $vgpr4_vgpr5
.LBB52_15:
	s_andn2_saveexec_b64 s[4:5], s[4:5]
	s_cbranch_execz .LBB52_17
; %bb.16:
	v_div_scale_f32 v1, s[8:9], v4, v4, v5
	v_rcp_f32_e32 v6, v1
	v_div_scale_f32 v7, vcc, v5, v4, v5
	v_fma_f32 v8, -v1, v6, 1.0
	v_fmac_f32_e32 v6, v8, v6
	v_mul_f32_e32 v8, v7, v6
	v_fma_f32 v9, -v1, v8, v7
	v_fmac_f32_e32 v8, v9, v6
	v_fma_f32 v1, -v1, v8, v7
	v_div_fmas_f32 v1, v1, v6, v8
	v_div_fixup_f32 v1, v1, v4, v5
	v_fmac_f32_e32 v4, v5, v1
	v_div_scale_f32 v5, s[8:9], v4, v4, 1.0
	v_rcp_f32_e32 v6, v5
	s_nop 0
	v_fma_f32 v7, -v5, v6, 1.0
	v_fmac_f32_e32 v6, v7, v6
	v_div_scale_f32 v7, vcc, 1.0, v4, 1.0
	v_mul_f32_e32 v8, v7, v6
	v_fma_f32 v9, -v5, v8, v7
	v_fmac_f32_e32 v8, v9, v6
	v_fma_f32 v5, -v5, v8, v7
	v_div_fmas_f32 v5, v5, v6, v8
	v_div_fixup_f32 v6, v5, v4, 1.0
	v_xor_b32_e32 v8, 0x80000000, v6
	v_mul_f32_e64 v7, v1, -v6
.LBB52_17:
	s_or_b64 exec, exec, s[4:5]
	scratch_store_dwordx2 v3, v[6:7], off
	scratch_load_dwordx2 v[4:5], off, off offset:8
	v_xor_b32_e32 v9, 0x80000000, v7
	v_add_u32_e32 v1, 0x1b0, v2
	s_waitcnt vmcnt(0)
	ds_write2_b64 v2, v[8:9], v[4:5] offset1:54
	s_waitcnt lgkmcnt(0)
	; wave barrier
	s_and_saveexec_b64 s[4:5], s[0:1]
	s_cbranch_execz .LBB52_19
; %bb.18:
	scratch_load_dwordx2 v[4:5], v3, off
	ds_read_b64 v[6:7], v1
	v_mov_b32_e32 v8, 0
	ds_read_b64 v[8:9], v8 offset:8
	s_waitcnt vmcnt(0) lgkmcnt(1)
	v_pk_mul_f32 v[10:11], v[6:7], v[4:5] op_sel:[1,1] op_sel_hi:[0,1]
	v_pk_fma_f32 v[12:13], v[6:7], v[4:5], v[10:11] neg_lo:[0,0,1] neg_hi:[0,0,1]
	v_pk_fma_f32 v[4:5], v[6:7], v[4:5], v[10:11] op_sel_hi:[1,0,1]
	s_nop 0
	v_mov_b32_e32 v13, v5
	v_pk_add_f32 v[4:5], v[12:13], 0 op_sel_hi:[1,0]
	s_waitcnt lgkmcnt(0)
	v_pk_mul_f32 v[6:7], v[4:5], v[8:9] op_sel:[1,1] op_sel_hi:[0,1]
	v_pk_fma_f32 v[10:11], v[4:5], v[8:9], v[6:7] neg_lo:[0,0,1] neg_hi:[0,0,1]
	v_pk_fma_f32 v[4:5], v[4:5], v[8:9], v[6:7] op_sel_hi:[1,0,1]
	s_nop 0
	v_mov_b32_e32 v11, v5
	scratch_store_dwordx2 off, v[10:11], off offset:8
.LBB52_19:
	s_or_b64 exec, exec, s[4:5]
	; wave barrier
	scratch_load_dwordx2 v[4:5], off, off offset:16
	v_cmp_gt_u32_e32 vcc, 2, v0
	s_waitcnt vmcnt(0)
	ds_write_b64 v1, v[4:5]
	s_waitcnt lgkmcnt(0)
	; wave barrier
	s_and_saveexec_b64 s[4:5], vcc
	s_cbranch_execz .LBB52_23
; %bb.20:
	scratch_load_dwordx2 v[4:5], v3, off
	ds_read_b64 v[6:7], v1
	s_waitcnt vmcnt(0) lgkmcnt(0)
	v_pk_mul_f32 v[8:9], v[6:7], v[4:5] op_sel:[1,1] op_sel_hi:[0,1]
	v_pk_fma_f32 v[10:11], v[6:7], v[4:5], v[8:9] neg_lo:[0,0,1] neg_hi:[0,0,1]
	v_pk_fma_f32 v[4:5], v[6:7], v[4:5], v[8:9] op_sel_hi:[1,0,1]
	s_nop 0
	v_mov_b32_e32 v11, v5
	v_pk_add_f32 v[4:5], v[10:11], 0 op_sel_hi:[1,0]
	s_and_saveexec_b64 s[8:9], s[0:1]
	s_cbranch_execz .LBB52_22
; %bb.21:
	scratch_load_dwordx2 v[6:7], off, off offset:8
	v_mov_b32_e32 v3, 0
	ds_read_b64 v[8:9], v3 offset:440
	s_waitcnt vmcnt(0) lgkmcnt(0)
	v_pk_mul_f32 v[10:11], v[8:9], v[6:7] op_sel:[1,1] op_sel_hi:[0,1]
	v_pk_fma_f32 v[12:13], v[8:9], v[6:7], v[10:11] neg_lo:[0,0,1] neg_hi:[0,0,1]
	v_pk_fma_f32 v[6:7], v[8:9], v[6:7], v[10:11] op_sel_hi:[1,0,1]
	s_nop 0
	v_mov_b32_e32 v13, v7
	v_pk_add_f32 v[4:5], v[4:5], v[12:13]
.LBB52_22:
	s_or_b64 exec, exec, s[8:9]
	v_mov_b32_e32 v3, 0
	ds_read_b64 v[6:7], v3 offset:16
	s_waitcnt lgkmcnt(0)
	v_pk_mul_f32 v[8:9], v[4:5], v[6:7] op_sel:[1,1] op_sel_hi:[0,1]
	v_pk_fma_f32 v[10:11], v[4:5], v[6:7], v[8:9] neg_lo:[0,0,1] neg_hi:[0,0,1]
	v_pk_fma_f32 v[4:5], v[4:5], v[6:7], v[8:9] op_sel_hi:[1,0,1]
	s_nop 0
	v_mov_b32_e32 v11, v5
	scratch_store_dwordx2 off, v[10:11], off offset:16
.LBB52_23:
	s_or_b64 exec, exec, s[4:5]
	; wave barrier
	scratch_load_dwordx2 v[4:5], off, off offset:24
	v_cmp_gt_u32_e32 vcc, 3, v0
	v_add_u32_e32 v6, -1, v0
	s_waitcnt vmcnt(0)
	ds_write_b64 v1, v[4:5]
	s_waitcnt lgkmcnt(0)
	; wave barrier
	s_and_saveexec_b64 s[0:1], vcc
	s_cbranch_execz .LBB52_27
; %bb.24:
	v_mov_b32_e32 v4, 0
	v_add_u32_e32 v3, -1, v0
	v_add_u32_e32 v7, 0x1b0, v2
	v_mov_b32_e32 v8, v2
	s_mov_b64 s[4:5], 0
	v_mov_b32_e32 v5, v4
.LBB52_25:                              ; =>This Inner Loop Header: Depth=1
	scratch_load_dwordx2 v[10:11], v8, off
	ds_read_b64 v[12:13], v7
	v_add_u32_e32 v3, 1, v3
	v_cmp_lt_u32_e32 vcc, 1, v3
	v_add_u32_e32 v7, 8, v7
	v_add_u32_e32 v8, 8, v8
	s_or_b64 s[4:5], vcc, s[4:5]
	s_waitcnt vmcnt(0) lgkmcnt(0)
	v_pk_mul_f32 v[14:15], v[12:13], v[10:11] op_sel:[1,1] op_sel_hi:[0,1]
	v_pk_fma_f32 v[16:17], v[12:13], v[10:11], v[14:15] neg_lo:[0,0,1] neg_hi:[0,0,1]
	v_pk_fma_f32 v[10:11], v[12:13], v[10:11], v[14:15] op_sel_hi:[1,0,1]
	s_nop 0
	v_mov_b32_e32 v17, v11
	v_pk_add_f32 v[4:5], v[4:5], v[16:17]
	s_andn2_b64 exec, exec, s[4:5]
	s_cbranch_execnz .LBB52_25
; %bb.26:
	s_or_b64 exec, exec, s[4:5]
	v_mov_b32_e32 v3, 0
	ds_read_b64 v[8:9], v3 offset:24
	s_waitcnt lgkmcnt(0)
	v_pk_mul_f32 v[10:11], v[4:5], v[8:9] op_sel:[1,1] op_sel_hi:[0,1]
	v_pk_fma_f32 v[12:13], v[4:5], v[8:9], v[10:11] neg_lo:[0,0,1] neg_hi:[0,0,1]
	v_pk_fma_f32 v[4:5], v[4:5], v[8:9], v[10:11] op_sel_hi:[1,0,1]
	s_nop 0
	v_mov_b32_e32 v13, v5
	scratch_store_dwordx2 off, v[12:13], off offset:24
.LBB52_27:
	s_or_b64 exec, exec, s[0:1]
	; wave barrier
	scratch_load_dwordx2 v[4:5], off, off offset:32
	v_cmp_gt_u32_e32 vcc, 4, v0
	s_waitcnt vmcnt(0)
	ds_write_b64 v1, v[4:5]
	s_waitcnt lgkmcnt(0)
	; wave barrier
	s_and_saveexec_b64 s[0:1], vcc
	s_cbranch_execz .LBB52_31
; %bb.28:
	v_mov_b32_e32 v4, 0
	v_add_u32_e32 v3, -1, v0
	v_add_u32_e32 v7, 0x1b0, v2
	v_mov_b32_e32 v8, v2
	s_mov_b64 s[4:5], 0
	v_mov_b32_e32 v5, v4
.LBB52_29:                              ; =>This Inner Loop Header: Depth=1
	scratch_load_dwordx2 v[10:11], v8, off
	ds_read_b64 v[12:13], v7
	v_add_u32_e32 v3, 1, v3
	v_cmp_lt_u32_e32 vcc, 2, v3
	v_add_u32_e32 v7, 8, v7
	v_add_u32_e32 v8, 8, v8
	s_or_b64 s[4:5], vcc, s[4:5]
	s_waitcnt vmcnt(0) lgkmcnt(0)
	v_pk_mul_f32 v[14:15], v[12:13], v[10:11] op_sel:[1,1] op_sel_hi:[0,1]
	v_pk_fma_f32 v[16:17], v[12:13], v[10:11], v[14:15] neg_lo:[0,0,1] neg_hi:[0,0,1]
	v_pk_fma_f32 v[10:11], v[12:13], v[10:11], v[14:15] op_sel_hi:[1,0,1]
	s_nop 0
	v_mov_b32_e32 v17, v11
	v_pk_add_f32 v[4:5], v[4:5], v[16:17]
	s_andn2_b64 exec, exec, s[4:5]
	s_cbranch_execnz .LBB52_29
; %bb.30:
	s_or_b64 exec, exec, s[4:5]
	v_mov_b32_e32 v3, 0
	ds_read_b64 v[8:9], v3 offset:32
	s_waitcnt lgkmcnt(0)
	v_pk_mul_f32 v[10:11], v[4:5], v[8:9] op_sel:[1,1] op_sel_hi:[0,1]
	v_pk_fma_f32 v[12:13], v[4:5], v[8:9], v[10:11] neg_lo:[0,0,1] neg_hi:[0,0,1]
	v_pk_fma_f32 v[4:5], v[4:5], v[8:9], v[10:11] op_sel_hi:[1,0,1]
	s_nop 0
	v_mov_b32_e32 v13, v5
	scratch_store_dwordx2 off, v[12:13], off offset:32
.LBB52_31:
	s_or_b64 exec, exec, s[0:1]
	; wave barrier
	scratch_load_dwordx2 v[4:5], off, off offset:40
	v_cmp_gt_u32_e32 vcc, 5, v0
	;; [unrolled: 46-line block ×19, first 2 shown]
	s_waitcnt vmcnt(0)
	ds_write_b64 v1, v[4:5]
	s_waitcnt lgkmcnt(0)
	; wave barrier
	s_and_saveexec_b64 s[0:1], vcc
	s_cbranch_execz .LBB52_103
; %bb.100:
	v_mov_b32_e32 v4, 0
	v_add_u32_e32 v3, -1, v0
	v_add_u32_e32 v7, 0x1b0, v2
	v_mov_b32_e32 v8, v2
	s_mov_b64 s[4:5], 0
	v_mov_b32_e32 v5, v4
.LBB52_101:                             ; =>This Inner Loop Header: Depth=1
	scratch_load_dwordx2 v[10:11], v8, off
	ds_read_b64 v[12:13], v7
	v_add_u32_e32 v3, 1, v3
	v_cmp_lt_u32_e32 vcc, 20, v3
	v_add_u32_e32 v7, 8, v7
	v_add_u32_e32 v8, 8, v8
	s_or_b64 s[4:5], vcc, s[4:5]
	s_waitcnt vmcnt(0) lgkmcnt(0)
	v_pk_mul_f32 v[14:15], v[12:13], v[10:11] op_sel:[1,1] op_sel_hi:[0,1]
	v_pk_fma_f32 v[16:17], v[12:13], v[10:11], v[14:15] neg_lo:[0,0,1] neg_hi:[0,0,1]
	v_pk_fma_f32 v[10:11], v[12:13], v[10:11], v[14:15] op_sel_hi:[1,0,1]
	s_nop 0
	v_mov_b32_e32 v17, v11
	v_pk_add_f32 v[4:5], v[4:5], v[16:17]
	s_andn2_b64 exec, exec, s[4:5]
	s_cbranch_execnz .LBB52_101
; %bb.102:
	s_or_b64 exec, exec, s[4:5]
	v_mov_b32_e32 v3, 0
	ds_read_b64 v[8:9], v3 offset:176
	s_waitcnt lgkmcnt(0)
	v_pk_mul_f32 v[10:11], v[4:5], v[8:9] op_sel:[1,1] op_sel_hi:[0,1]
	v_pk_fma_f32 v[12:13], v[4:5], v[8:9], v[10:11] neg_lo:[0,0,1] neg_hi:[0,0,1]
	v_pk_fma_f32 v[4:5], v[4:5], v[8:9], v[10:11] op_sel_hi:[1,0,1]
	s_nop 0
	v_mov_b32_e32 v13, v5
	scratch_store_dwordx2 off, v[12:13], off offset:176
.LBB52_103:
	s_or_b64 exec, exec, s[0:1]
	; wave barrier
	scratch_load_dwordx2 v[4:5], off, off offset:184
	v_cmp_gt_u32_e32 vcc, 23, v0
	s_waitcnt vmcnt(0)
	ds_write_b64 v1, v[4:5]
	s_waitcnt lgkmcnt(0)
	; wave barrier
	s_and_saveexec_b64 s[0:1], vcc
	s_cbranch_execz .LBB52_107
; %bb.104:
	v_mov_b32_e32 v4, 0
	v_add_u32_e32 v3, -1, v0
	v_add_u32_e32 v7, 0x1b0, v2
	v_mov_b32_e32 v8, v2
	s_mov_b64 s[4:5], 0
	v_mov_b32_e32 v5, v4
.LBB52_105:                             ; =>This Inner Loop Header: Depth=1
	scratch_load_dwordx2 v[10:11], v8, off
	ds_read_b64 v[12:13], v7
	v_add_u32_e32 v3, 1, v3
	v_cmp_lt_u32_e32 vcc, 21, v3
	v_add_u32_e32 v7, 8, v7
	v_add_u32_e32 v8, 8, v8
	s_or_b64 s[4:5], vcc, s[4:5]
	s_waitcnt vmcnt(0) lgkmcnt(0)
	v_pk_mul_f32 v[14:15], v[12:13], v[10:11] op_sel:[1,1] op_sel_hi:[0,1]
	v_pk_fma_f32 v[16:17], v[12:13], v[10:11], v[14:15] neg_lo:[0,0,1] neg_hi:[0,0,1]
	v_pk_fma_f32 v[10:11], v[12:13], v[10:11], v[14:15] op_sel_hi:[1,0,1]
	s_nop 0
	v_mov_b32_e32 v17, v11
	v_pk_add_f32 v[4:5], v[4:5], v[16:17]
	s_andn2_b64 exec, exec, s[4:5]
	s_cbranch_execnz .LBB52_105
; %bb.106:
	s_or_b64 exec, exec, s[4:5]
	v_mov_b32_e32 v3, 0
	ds_read_b64 v[8:9], v3 offset:184
	s_waitcnt lgkmcnt(0)
	v_pk_mul_f32 v[10:11], v[4:5], v[8:9] op_sel:[1,1] op_sel_hi:[0,1]
	v_pk_fma_f32 v[12:13], v[4:5], v[8:9], v[10:11] neg_lo:[0,0,1] neg_hi:[0,0,1]
	v_pk_fma_f32 v[4:5], v[4:5], v[8:9], v[10:11] op_sel_hi:[1,0,1]
	s_nop 0
	v_mov_b32_e32 v13, v5
	scratch_store_dwordx2 off, v[12:13], off offset:184
.LBB52_107:
	s_or_b64 exec, exec, s[0:1]
	; wave barrier
	scratch_load_dwordx2 v[4:5], off, off offset:192
	v_cmp_gt_u32_e32 vcc, 24, v0
	s_waitcnt vmcnt(0)
	ds_write_b64 v1, v[4:5]
	s_waitcnt lgkmcnt(0)
	; wave barrier
	s_and_saveexec_b64 s[0:1], vcc
	s_cbranch_execz .LBB52_111
; %bb.108:
	v_mov_b32_e32 v4, 0
	v_add_u32_e32 v3, -1, v0
	v_add_u32_e32 v7, 0x1b0, v2
	v_mov_b32_e32 v8, v2
	s_mov_b64 s[4:5], 0
	v_mov_b32_e32 v5, v4
.LBB52_109:                             ; =>This Inner Loop Header: Depth=1
	scratch_load_dwordx2 v[10:11], v8, off
	ds_read_b64 v[12:13], v7
	v_add_u32_e32 v3, 1, v3
	v_cmp_lt_u32_e32 vcc, 22, v3
	v_add_u32_e32 v7, 8, v7
	v_add_u32_e32 v8, 8, v8
	s_or_b64 s[4:5], vcc, s[4:5]
	s_waitcnt vmcnt(0) lgkmcnt(0)
	v_pk_mul_f32 v[14:15], v[12:13], v[10:11] op_sel:[1,1] op_sel_hi:[0,1]
	v_pk_fma_f32 v[16:17], v[12:13], v[10:11], v[14:15] neg_lo:[0,0,1] neg_hi:[0,0,1]
	v_pk_fma_f32 v[10:11], v[12:13], v[10:11], v[14:15] op_sel_hi:[1,0,1]
	s_nop 0
	v_mov_b32_e32 v17, v11
	v_pk_add_f32 v[4:5], v[4:5], v[16:17]
	s_andn2_b64 exec, exec, s[4:5]
	s_cbranch_execnz .LBB52_109
; %bb.110:
	s_or_b64 exec, exec, s[4:5]
	v_mov_b32_e32 v3, 0
	ds_read_b64 v[8:9], v3 offset:192
	s_waitcnt lgkmcnt(0)
	v_pk_mul_f32 v[10:11], v[4:5], v[8:9] op_sel:[1,1] op_sel_hi:[0,1]
	v_pk_fma_f32 v[12:13], v[4:5], v[8:9], v[10:11] neg_lo:[0,0,1] neg_hi:[0,0,1]
	v_pk_fma_f32 v[4:5], v[4:5], v[8:9], v[10:11] op_sel_hi:[1,0,1]
	s_nop 0
	v_mov_b32_e32 v13, v5
	scratch_store_dwordx2 off, v[12:13], off offset:192
.LBB52_111:
	s_or_b64 exec, exec, s[0:1]
	; wave barrier
	scratch_load_dwordx2 v[4:5], off, off offset:200
	v_cmp_gt_u32_e32 vcc, 25, v0
	s_waitcnt vmcnt(0)
	ds_write_b64 v1, v[4:5]
	s_waitcnt lgkmcnt(0)
	; wave barrier
	s_and_saveexec_b64 s[0:1], vcc
	s_cbranch_execz .LBB52_115
; %bb.112:
	v_mov_b32_e32 v4, 0
	v_add_u32_e32 v3, -1, v0
	v_add_u32_e32 v7, 0x1b0, v2
	v_mov_b32_e32 v8, v2
	s_mov_b64 s[4:5], 0
	v_mov_b32_e32 v5, v4
.LBB52_113:                             ; =>This Inner Loop Header: Depth=1
	scratch_load_dwordx2 v[10:11], v8, off
	ds_read_b64 v[12:13], v7
	v_add_u32_e32 v3, 1, v3
	v_cmp_lt_u32_e32 vcc, 23, v3
	v_add_u32_e32 v7, 8, v7
	v_add_u32_e32 v8, 8, v8
	s_or_b64 s[4:5], vcc, s[4:5]
	s_waitcnt vmcnt(0) lgkmcnt(0)
	v_pk_mul_f32 v[14:15], v[12:13], v[10:11] op_sel:[1,1] op_sel_hi:[0,1]
	v_pk_fma_f32 v[16:17], v[12:13], v[10:11], v[14:15] neg_lo:[0,0,1] neg_hi:[0,0,1]
	v_pk_fma_f32 v[10:11], v[12:13], v[10:11], v[14:15] op_sel_hi:[1,0,1]
	s_nop 0
	v_mov_b32_e32 v17, v11
	v_pk_add_f32 v[4:5], v[4:5], v[16:17]
	s_andn2_b64 exec, exec, s[4:5]
	s_cbranch_execnz .LBB52_113
; %bb.114:
	s_or_b64 exec, exec, s[4:5]
	v_mov_b32_e32 v3, 0
	ds_read_b64 v[8:9], v3 offset:200
	s_waitcnt lgkmcnt(0)
	v_pk_mul_f32 v[10:11], v[4:5], v[8:9] op_sel:[1,1] op_sel_hi:[0,1]
	v_pk_fma_f32 v[12:13], v[4:5], v[8:9], v[10:11] neg_lo:[0,0,1] neg_hi:[0,0,1]
	v_pk_fma_f32 v[4:5], v[4:5], v[8:9], v[10:11] op_sel_hi:[1,0,1]
	s_nop 0
	v_mov_b32_e32 v13, v5
	scratch_store_dwordx2 off, v[12:13], off offset:200
.LBB52_115:
	s_or_b64 exec, exec, s[0:1]
	; wave barrier
	scratch_load_dwordx2 v[4:5], off, off offset:208
	v_cmp_gt_u32_e32 vcc, 26, v0
	s_waitcnt vmcnt(0)
	ds_write_b64 v1, v[4:5]
	s_waitcnt lgkmcnt(0)
	; wave barrier
	s_and_saveexec_b64 s[0:1], vcc
	s_cbranch_execz .LBB52_119
; %bb.116:
	v_mov_b32_e32 v4, 0
	v_add_u32_e32 v3, -1, v0
	v_add_u32_e32 v7, 0x1b0, v2
	v_mov_b32_e32 v8, v2
	s_mov_b64 s[4:5], 0
	v_mov_b32_e32 v5, v4
.LBB52_117:                             ; =>This Inner Loop Header: Depth=1
	scratch_load_dwordx2 v[10:11], v8, off
	ds_read_b64 v[12:13], v7
	v_add_u32_e32 v3, 1, v3
	v_cmp_lt_u32_e32 vcc, 24, v3
	v_add_u32_e32 v7, 8, v7
	v_add_u32_e32 v8, 8, v8
	s_or_b64 s[4:5], vcc, s[4:5]
	s_waitcnt vmcnt(0) lgkmcnt(0)
	v_pk_mul_f32 v[14:15], v[12:13], v[10:11] op_sel:[1,1] op_sel_hi:[0,1]
	v_pk_fma_f32 v[16:17], v[12:13], v[10:11], v[14:15] neg_lo:[0,0,1] neg_hi:[0,0,1]
	v_pk_fma_f32 v[10:11], v[12:13], v[10:11], v[14:15] op_sel_hi:[1,0,1]
	s_nop 0
	v_mov_b32_e32 v17, v11
	v_pk_add_f32 v[4:5], v[4:5], v[16:17]
	s_andn2_b64 exec, exec, s[4:5]
	s_cbranch_execnz .LBB52_117
; %bb.118:
	s_or_b64 exec, exec, s[4:5]
	v_mov_b32_e32 v3, 0
	ds_read_b64 v[8:9], v3 offset:208
	s_waitcnt lgkmcnt(0)
	v_pk_mul_f32 v[10:11], v[4:5], v[8:9] op_sel:[1,1] op_sel_hi:[0,1]
	v_pk_fma_f32 v[12:13], v[4:5], v[8:9], v[10:11] neg_lo:[0,0,1] neg_hi:[0,0,1]
	v_pk_fma_f32 v[4:5], v[4:5], v[8:9], v[10:11] op_sel_hi:[1,0,1]
	s_nop 0
	v_mov_b32_e32 v13, v5
	scratch_store_dwordx2 off, v[12:13], off offset:208
.LBB52_119:
	s_or_b64 exec, exec, s[0:1]
	; wave barrier
	scratch_load_dwordx2 v[4:5], off, off offset:216
	v_cmp_gt_u32_e32 vcc, 27, v0
	s_waitcnt vmcnt(0)
	ds_write_b64 v1, v[4:5]
	s_waitcnt lgkmcnt(0)
	; wave barrier
	s_and_saveexec_b64 s[0:1], vcc
	s_cbranch_execz .LBB52_123
; %bb.120:
	v_mov_b32_e32 v4, 0
	v_add_u32_e32 v3, -1, v0
	v_add_u32_e32 v7, 0x1b0, v2
	v_mov_b32_e32 v8, v2
	s_mov_b64 s[4:5], 0
	v_mov_b32_e32 v5, v4
.LBB52_121:                             ; =>This Inner Loop Header: Depth=1
	scratch_load_dwordx2 v[10:11], v8, off
	ds_read_b64 v[12:13], v7
	v_add_u32_e32 v3, 1, v3
	v_cmp_lt_u32_e32 vcc, 25, v3
	v_add_u32_e32 v7, 8, v7
	v_add_u32_e32 v8, 8, v8
	s_or_b64 s[4:5], vcc, s[4:5]
	s_waitcnt vmcnt(0) lgkmcnt(0)
	v_pk_mul_f32 v[14:15], v[12:13], v[10:11] op_sel:[1,1] op_sel_hi:[0,1]
	v_pk_fma_f32 v[16:17], v[12:13], v[10:11], v[14:15] neg_lo:[0,0,1] neg_hi:[0,0,1]
	v_pk_fma_f32 v[10:11], v[12:13], v[10:11], v[14:15] op_sel_hi:[1,0,1]
	s_nop 0
	v_mov_b32_e32 v17, v11
	v_pk_add_f32 v[4:5], v[4:5], v[16:17]
	s_andn2_b64 exec, exec, s[4:5]
	s_cbranch_execnz .LBB52_121
; %bb.122:
	s_or_b64 exec, exec, s[4:5]
	v_mov_b32_e32 v3, 0
	ds_read_b64 v[8:9], v3 offset:216
	s_waitcnt lgkmcnt(0)
	v_pk_mul_f32 v[10:11], v[4:5], v[8:9] op_sel:[1,1] op_sel_hi:[0,1]
	v_pk_fma_f32 v[12:13], v[4:5], v[8:9], v[10:11] neg_lo:[0,0,1] neg_hi:[0,0,1]
	v_pk_fma_f32 v[4:5], v[4:5], v[8:9], v[10:11] op_sel_hi:[1,0,1]
	s_nop 0
	v_mov_b32_e32 v13, v5
	scratch_store_dwordx2 off, v[12:13], off offset:216
.LBB52_123:
	s_or_b64 exec, exec, s[0:1]
	; wave barrier
	scratch_load_dwordx2 v[4:5], off, off offset:224
	v_cmp_gt_u32_e32 vcc, 28, v0
	s_waitcnt vmcnt(0)
	ds_write_b64 v1, v[4:5]
	s_waitcnt lgkmcnt(0)
	; wave barrier
	s_and_saveexec_b64 s[0:1], vcc
	s_cbranch_execz .LBB52_127
; %bb.124:
	v_mov_b32_e32 v4, 0
	v_add_u32_e32 v3, -1, v0
	v_add_u32_e32 v7, 0x1b0, v2
	v_mov_b32_e32 v8, v2
	s_mov_b64 s[4:5], 0
	v_mov_b32_e32 v5, v4
.LBB52_125:                             ; =>This Inner Loop Header: Depth=1
	scratch_load_dwordx2 v[10:11], v8, off
	ds_read_b64 v[12:13], v7
	v_add_u32_e32 v3, 1, v3
	v_cmp_lt_u32_e32 vcc, 26, v3
	v_add_u32_e32 v7, 8, v7
	v_add_u32_e32 v8, 8, v8
	s_or_b64 s[4:5], vcc, s[4:5]
	s_waitcnt vmcnt(0) lgkmcnt(0)
	v_pk_mul_f32 v[14:15], v[12:13], v[10:11] op_sel:[1,1] op_sel_hi:[0,1]
	v_pk_fma_f32 v[16:17], v[12:13], v[10:11], v[14:15] neg_lo:[0,0,1] neg_hi:[0,0,1]
	v_pk_fma_f32 v[10:11], v[12:13], v[10:11], v[14:15] op_sel_hi:[1,0,1]
	s_nop 0
	v_mov_b32_e32 v17, v11
	v_pk_add_f32 v[4:5], v[4:5], v[16:17]
	s_andn2_b64 exec, exec, s[4:5]
	s_cbranch_execnz .LBB52_125
; %bb.126:
	s_or_b64 exec, exec, s[4:5]
	v_mov_b32_e32 v3, 0
	ds_read_b64 v[8:9], v3 offset:224
	s_waitcnt lgkmcnt(0)
	v_pk_mul_f32 v[10:11], v[4:5], v[8:9] op_sel:[1,1] op_sel_hi:[0,1]
	v_pk_fma_f32 v[12:13], v[4:5], v[8:9], v[10:11] neg_lo:[0,0,1] neg_hi:[0,0,1]
	v_pk_fma_f32 v[4:5], v[4:5], v[8:9], v[10:11] op_sel_hi:[1,0,1]
	s_nop 0
	v_mov_b32_e32 v13, v5
	scratch_store_dwordx2 off, v[12:13], off offset:224
.LBB52_127:
	s_or_b64 exec, exec, s[0:1]
	; wave barrier
	scratch_load_dwordx2 v[4:5], off, off offset:232
	v_cmp_gt_u32_e32 vcc, 29, v0
	s_waitcnt vmcnt(0)
	ds_write_b64 v1, v[4:5]
	s_waitcnt lgkmcnt(0)
	; wave barrier
	s_and_saveexec_b64 s[0:1], vcc
	s_cbranch_execz .LBB52_131
; %bb.128:
	v_mov_b32_e32 v4, 0
	v_add_u32_e32 v3, -1, v0
	v_add_u32_e32 v7, 0x1b0, v2
	v_mov_b32_e32 v8, v2
	s_mov_b64 s[4:5], 0
	v_mov_b32_e32 v5, v4
.LBB52_129:                             ; =>This Inner Loop Header: Depth=1
	scratch_load_dwordx2 v[10:11], v8, off
	ds_read_b64 v[12:13], v7
	v_add_u32_e32 v3, 1, v3
	v_cmp_lt_u32_e32 vcc, 27, v3
	v_add_u32_e32 v7, 8, v7
	v_add_u32_e32 v8, 8, v8
	s_or_b64 s[4:5], vcc, s[4:5]
	s_waitcnt vmcnt(0) lgkmcnt(0)
	v_pk_mul_f32 v[14:15], v[12:13], v[10:11] op_sel:[1,1] op_sel_hi:[0,1]
	v_pk_fma_f32 v[16:17], v[12:13], v[10:11], v[14:15] neg_lo:[0,0,1] neg_hi:[0,0,1]
	v_pk_fma_f32 v[10:11], v[12:13], v[10:11], v[14:15] op_sel_hi:[1,0,1]
	s_nop 0
	v_mov_b32_e32 v17, v11
	v_pk_add_f32 v[4:5], v[4:5], v[16:17]
	s_andn2_b64 exec, exec, s[4:5]
	s_cbranch_execnz .LBB52_129
; %bb.130:
	s_or_b64 exec, exec, s[4:5]
	v_mov_b32_e32 v3, 0
	ds_read_b64 v[8:9], v3 offset:232
	s_waitcnt lgkmcnt(0)
	v_pk_mul_f32 v[10:11], v[4:5], v[8:9] op_sel:[1,1] op_sel_hi:[0,1]
	v_pk_fma_f32 v[12:13], v[4:5], v[8:9], v[10:11] neg_lo:[0,0,1] neg_hi:[0,0,1]
	v_pk_fma_f32 v[4:5], v[4:5], v[8:9], v[10:11] op_sel_hi:[1,0,1]
	s_nop 0
	v_mov_b32_e32 v13, v5
	scratch_store_dwordx2 off, v[12:13], off offset:232
.LBB52_131:
	s_or_b64 exec, exec, s[0:1]
	; wave barrier
	scratch_load_dwordx2 v[4:5], off, off offset:240
	v_cmp_gt_u32_e32 vcc, 30, v0
	s_waitcnt vmcnt(0)
	ds_write_b64 v1, v[4:5]
	s_waitcnt lgkmcnt(0)
	; wave barrier
	s_and_saveexec_b64 s[0:1], vcc
	s_cbranch_execz .LBB52_135
; %bb.132:
	v_mov_b32_e32 v4, 0
	v_add_u32_e32 v3, -1, v0
	v_add_u32_e32 v7, 0x1b0, v2
	v_mov_b32_e32 v8, v2
	s_mov_b64 s[4:5], 0
	v_mov_b32_e32 v5, v4
.LBB52_133:                             ; =>This Inner Loop Header: Depth=1
	scratch_load_dwordx2 v[10:11], v8, off
	ds_read_b64 v[12:13], v7
	v_add_u32_e32 v3, 1, v3
	v_cmp_lt_u32_e32 vcc, 28, v3
	v_add_u32_e32 v7, 8, v7
	v_add_u32_e32 v8, 8, v8
	s_or_b64 s[4:5], vcc, s[4:5]
	s_waitcnt vmcnt(0) lgkmcnt(0)
	v_pk_mul_f32 v[14:15], v[12:13], v[10:11] op_sel:[1,1] op_sel_hi:[0,1]
	v_pk_fma_f32 v[16:17], v[12:13], v[10:11], v[14:15] neg_lo:[0,0,1] neg_hi:[0,0,1]
	v_pk_fma_f32 v[10:11], v[12:13], v[10:11], v[14:15] op_sel_hi:[1,0,1]
	s_nop 0
	v_mov_b32_e32 v17, v11
	v_pk_add_f32 v[4:5], v[4:5], v[16:17]
	s_andn2_b64 exec, exec, s[4:5]
	s_cbranch_execnz .LBB52_133
; %bb.134:
	s_or_b64 exec, exec, s[4:5]
	v_mov_b32_e32 v3, 0
	ds_read_b64 v[8:9], v3 offset:240
	s_waitcnt lgkmcnt(0)
	v_pk_mul_f32 v[10:11], v[4:5], v[8:9] op_sel:[1,1] op_sel_hi:[0,1]
	v_pk_fma_f32 v[12:13], v[4:5], v[8:9], v[10:11] neg_lo:[0,0,1] neg_hi:[0,0,1]
	v_pk_fma_f32 v[4:5], v[4:5], v[8:9], v[10:11] op_sel_hi:[1,0,1]
	s_nop 0
	v_mov_b32_e32 v13, v5
	scratch_store_dwordx2 off, v[12:13], off offset:240
.LBB52_135:
	s_or_b64 exec, exec, s[0:1]
	; wave barrier
	scratch_load_dwordx2 v[4:5], off, off offset:248
	v_cmp_gt_u32_e32 vcc, 31, v0
	s_waitcnt vmcnt(0)
	ds_write_b64 v1, v[4:5]
	s_waitcnt lgkmcnt(0)
	; wave barrier
	s_and_saveexec_b64 s[0:1], vcc
	s_cbranch_execz .LBB52_139
; %bb.136:
	v_mov_b32_e32 v4, 0
	v_add_u32_e32 v3, -1, v0
	v_add_u32_e32 v7, 0x1b0, v2
	v_mov_b32_e32 v8, v2
	s_mov_b64 s[4:5], 0
	v_mov_b32_e32 v5, v4
.LBB52_137:                             ; =>This Inner Loop Header: Depth=1
	scratch_load_dwordx2 v[10:11], v8, off
	ds_read_b64 v[12:13], v7
	v_add_u32_e32 v3, 1, v3
	v_cmp_lt_u32_e32 vcc, 29, v3
	v_add_u32_e32 v7, 8, v7
	v_add_u32_e32 v8, 8, v8
	s_or_b64 s[4:5], vcc, s[4:5]
	s_waitcnt vmcnt(0) lgkmcnt(0)
	v_pk_mul_f32 v[14:15], v[12:13], v[10:11] op_sel:[1,1] op_sel_hi:[0,1]
	v_pk_fma_f32 v[16:17], v[12:13], v[10:11], v[14:15] neg_lo:[0,0,1] neg_hi:[0,0,1]
	v_pk_fma_f32 v[10:11], v[12:13], v[10:11], v[14:15] op_sel_hi:[1,0,1]
	s_nop 0
	v_mov_b32_e32 v17, v11
	v_pk_add_f32 v[4:5], v[4:5], v[16:17]
	s_andn2_b64 exec, exec, s[4:5]
	s_cbranch_execnz .LBB52_137
; %bb.138:
	s_or_b64 exec, exec, s[4:5]
	v_mov_b32_e32 v3, 0
	ds_read_b64 v[8:9], v3 offset:248
	s_waitcnt lgkmcnt(0)
	v_pk_mul_f32 v[10:11], v[4:5], v[8:9] op_sel:[1,1] op_sel_hi:[0,1]
	v_pk_fma_f32 v[12:13], v[4:5], v[8:9], v[10:11] neg_lo:[0,0,1] neg_hi:[0,0,1]
	v_pk_fma_f32 v[4:5], v[4:5], v[8:9], v[10:11] op_sel_hi:[1,0,1]
	s_nop 0
	v_mov_b32_e32 v13, v5
	scratch_store_dwordx2 off, v[12:13], off offset:248
.LBB52_139:
	s_or_b64 exec, exec, s[0:1]
	; wave barrier
	scratch_load_dwordx2 v[4:5], off, off offset:256
	v_cmp_gt_u32_e32 vcc, 32, v0
	s_waitcnt vmcnt(0)
	ds_write_b64 v1, v[4:5]
	s_waitcnt lgkmcnt(0)
	; wave barrier
	s_and_saveexec_b64 s[0:1], vcc
	s_cbranch_execz .LBB52_143
; %bb.140:
	v_mov_b32_e32 v4, 0
	v_add_u32_e32 v3, -1, v0
	v_add_u32_e32 v7, 0x1b0, v2
	v_mov_b32_e32 v8, v2
	s_mov_b64 s[4:5], 0
	v_mov_b32_e32 v5, v4
.LBB52_141:                             ; =>This Inner Loop Header: Depth=1
	scratch_load_dwordx2 v[10:11], v8, off
	ds_read_b64 v[12:13], v7
	v_add_u32_e32 v3, 1, v3
	v_cmp_lt_u32_e32 vcc, 30, v3
	v_add_u32_e32 v7, 8, v7
	v_add_u32_e32 v8, 8, v8
	s_or_b64 s[4:5], vcc, s[4:5]
	s_waitcnt vmcnt(0) lgkmcnt(0)
	v_pk_mul_f32 v[14:15], v[12:13], v[10:11] op_sel:[1,1] op_sel_hi:[0,1]
	v_pk_fma_f32 v[16:17], v[12:13], v[10:11], v[14:15] neg_lo:[0,0,1] neg_hi:[0,0,1]
	v_pk_fma_f32 v[10:11], v[12:13], v[10:11], v[14:15] op_sel_hi:[1,0,1]
	s_nop 0
	v_mov_b32_e32 v17, v11
	v_pk_add_f32 v[4:5], v[4:5], v[16:17]
	s_andn2_b64 exec, exec, s[4:5]
	s_cbranch_execnz .LBB52_141
; %bb.142:
	s_or_b64 exec, exec, s[4:5]
	v_mov_b32_e32 v3, 0
	ds_read_b64 v[8:9], v3 offset:256
	s_waitcnt lgkmcnt(0)
	v_pk_mul_f32 v[10:11], v[4:5], v[8:9] op_sel:[1,1] op_sel_hi:[0,1]
	v_pk_fma_f32 v[12:13], v[4:5], v[8:9], v[10:11] neg_lo:[0,0,1] neg_hi:[0,0,1]
	v_pk_fma_f32 v[4:5], v[4:5], v[8:9], v[10:11] op_sel_hi:[1,0,1]
	s_nop 0
	v_mov_b32_e32 v13, v5
	scratch_store_dwordx2 off, v[12:13], off offset:256
.LBB52_143:
	s_or_b64 exec, exec, s[0:1]
	; wave barrier
	scratch_load_dwordx2 v[4:5], off, off offset:264
	v_cmp_gt_u32_e32 vcc, 33, v0
	s_waitcnt vmcnt(0)
	ds_write_b64 v1, v[4:5]
	s_waitcnt lgkmcnt(0)
	; wave barrier
	s_and_saveexec_b64 s[0:1], vcc
	s_cbranch_execz .LBB52_147
; %bb.144:
	v_mov_b32_e32 v4, 0
	v_add_u32_e32 v3, -1, v0
	v_add_u32_e32 v7, 0x1b0, v2
	v_mov_b32_e32 v8, v2
	s_mov_b64 s[4:5], 0
	v_mov_b32_e32 v5, v4
.LBB52_145:                             ; =>This Inner Loop Header: Depth=1
	scratch_load_dwordx2 v[10:11], v8, off
	ds_read_b64 v[12:13], v7
	v_add_u32_e32 v3, 1, v3
	v_cmp_lt_u32_e32 vcc, 31, v3
	v_add_u32_e32 v7, 8, v7
	v_add_u32_e32 v8, 8, v8
	s_or_b64 s[4:5], vcc, s[4:5]
	s_waitcnt vmcnt(0) lgkmcnt(0)
	v_pk_mul_f32 v[14:15], v[12:13], v[10:11] op_sel:[1,1] op_sel_hi:[0,1]
	v_pk_fma_f32 v[16:17], v[12:13], v[10:11], v[14:15] neg_lo:[0,0,1] neg_hi:[0,0,1]
	v_pk_fma_f32 v[10:11], v[12:13], v[10:11], v[14:15] op_sel_hi:[1,0,1]
	s_nop 0
	v_mov_b32_e32 v17, v11
	v_pk_add_f32 v[4:5], v[4:5], v[16:17]
	s_andn2_b64 exec, exec, s[4:5]
	s_cbranch_execnz .LBB52_145
; %bb.146:
	s_or_b64 exec, exec, s[4:5]
	v_mov_b32_e32 v3, 0
	ds_read_b64 v[8:9], v3 offset:264
	s_waitcnt lgkmcnt(0)
	v_pk_mul_f32 v[10:11], v[4:5], v[8:9] op_sel:[1,1] op_sel_hi:[0,1]
	v_pk_fma_f32 v[12:13], v[4:5], v[8:9], v[10:11] neg_lo:[0,0,1] neg_hi:[0,0,1]
	v_pk_fma_f32 v[4:5], v[4:5], v[8:9], v[10:11] op_sel_hi:[1,0,1]
	s_nop 0
	v_mov_b32_e32 v13, v5
	scratch_store_dwordx2 off, v[12:13], off offset:264
.LBB52_147:
	s_or_b64 exec, exec, s[0:1]
	; wave barrier
	scratch_load_dwordx2 v[4:5], off, off offset:272
	v_cmp_gt_u32_e32 vcc, 34, v0
	s_waitcnt vmcnt(0)
	ds_write_b64 v1, v[4:5]
	s_waitcnt lgkmcnt(0)
	; wave barrier
	s_and_saveexec_b64 s[0:1], vcc
	s_cbranch_execz .LBB52_151
; %bb.148:
	v_mov_b32_e32 v4, 0
	v_add_u32_e32 v3, -1, v0
	v_add_u32_e32 v7, 0x1b0, v2
	v_mov_b32_e32 v8, v2
	s_mov_b64 s[4:5], 0
	v_mov_b32_e32 v5, v4
.LBB52_149:                             ; =>This Inner Loop Header: Depth=1
	scratch_load_dwordx2 v[10:11], v8, off
	ds_read_b64 v[12:13], v7
	v_add_u32_e32 v3, 1, v3
	v_cmp_lt_u32_e32 vcc, 32, v3
	v_add_u32_e32 v7, 8, v7
	v_add_u32_e32 v8, 8, v8
	s_or_b64 s[4:5], vcc, s[4:5]
	s_waitcnt vmcnt(0) lgkmcnt(0)
	v_pk_mul_f32 v[14:15], v[12:13], v[10:11] op_sel:[1,1] op_sel_hi:[0,1]
	v_pk_fma_f32 v[16:17], v[12:13], v[10:11], v[14:15] neg_lo:[0,0,1] neg_hi:[0,0,1]
	v_pk_fma_f32 v[10:11], v[12:13], v[10:11], v[14:15] op_sel_hi:[1,0,1]
	s_nop 0
	v_mov_b32_e32 v17, v11
	v_pk_add_f32 v[4:5], v[4:5], v[16:17]
	s_andn2_b64 exec, exec, s[4:5]
	s_cbranch_execnz .LBB52_149
; %bb.150:
	s_or_b64 exec, exec, s[4:5]
	v_mov_b32_e32 v3, 0
	ds_read_b64 v[8:9], v3 offset:272
	s_waitcnt lgkmcnt(0)
	v_pk_mul_f32 v[10:11], v[4:5], v[8:9] op_sel:[1,1] op_sel_hi:[0,1]
	v_pk_fma_f32 v[12:13], v[4:5], v[8:9], v[10:11] neg_lo:[0,0,1] neg_hi:[0,0,1]
	v_pk_fma_f32 v[4:5], v[4:5], v[8:9], v[10:11] op_sel_hi:[1,0,1]
	s_nop 0
	v_mov_b32_e32 v13, v5
	scratch_store_dwordx2 off, v[12:13], off offset:272
.LBB52_151:
	s_or_b64 exec, exec, s[0:1]
	; wave barrier
	scratch_load_dwordx2 v[4:5], off, off offset:280
	v_cmp_gt_u32_e32 vcc, 35, v0
	s_waitcnt vmcnt(0)
	ds_write_b64 v1, v[4:5]
	s_waitcnt lgkmcnt(0)
	; wave barrier
	s_and_saveexec_b64 s[0:1], vcc
	s_cbranch_execz .LBB52_155
; %bb.152:
	v_mov_b32_e32 v4, 0
	v_add_u32_e32 v3, -1, v0
	v_add_u32_e32 v7, 0x1b0, v2
	v_mov_b32_e32 v8, v2
	s_mov_b64 s[4:5], 0
	v_mov_b32_e32 v5, v4
.LBB52_153:                             ; =>This Inner Loop Header: Depth=1
	scratch_load_dwordx2 v[10:11], v8, off
	ds_read_b64 v[12:13], v7
	v_add_u32_e32 v3, 1, v3
	v_cmp_lt_u32_e32 vcc, 33, v3
	v_add_u32_e32 v7, 8, v7
	v_add_u32_e32 v8, 8, v8
	s_or_b64 s[4:5], vcc, s[4:5]
	s_waitcnt vmcnt(0) lgkmcnt(0)
	v_pk_mul_f32 v[14:15], v[12:13], v[10:11] op_sel:[1,1] op_sel_hi:[0,1]
	v_pk_fma_f32 v[16:17], v[12:13], v[10:11], v[14:15] neg_lo:[0,0,1] neg_hi:[0,0,1]
	v_pk_fma_f32 v[10:11], v[12:13], v[10:11], v[14:15] op_sel_hi:[1,0,1]
	s_nop 0
	v_mov_b32_e32 v17, v11
	v_pk_add_f32 v[4:5], v[4:5], v[16:17]
	s_andn2_b64 exec, exec, s[4:5]
	s_cbranch_execnz .LBB52_153
; %bb.154:
	s_or_b64 exec, exec, s[4:5]
	v_mov_b32_e32 v3, 0
	ds_read_b64 v[8:9], v3 offset:280
	s_waitcnt lgkmcnt(0)
	v_pk_mul_f32 v[10:11], v[4:5], v[8:9] op_sel:[1,1] op_sel_hi:[0,1]
	v_pk_fma_f32 v[12:13], v[4:5], v[8:9], v[10:11] neg_lo:[0,0,1] neg_hi:[0,0,1]
	v_pk_fma_f32 v[4:5], v[4:5], v[8:9], v[10:11] op_sel_hi:[1,0,1]
	s_nop 0
	v_mov_b32_e32 v13, v5
	scratch_store_dwordx2 off, v[12:13], off offset:280
.LBB52_155:
	s_or_b64 exec, exec, s[0:1]
	; wave barrier
	scratch_load_dwordx2 v[4:5], off, off offset:288
	v_cmp_gt_u32_e32 vcc, 36, v0
	s_waitcnt vmcnt(0)
	ds_write_b64 v1, v[4:5]
	s_waitcnt lgkmcnt(0)
	; wave barrier
	s_and_saveexec_b64 s[0:1], vcc
	s_cbranch_execz .LBB52_159
; %bb.156:
	v_mov_b32_e32 v4, 0
	v_add_u32_e32 v3, -1, v0
	v_add_u32_e32 v7, 0x1b0, v2
	v_mov_b32_e32 v8, v2
	s_mov_b64 s[4:5], 0
	v_mov_b32_e32 v5, v4
.LBB52_157:                             ; =>This Inner Loop Header: Depth=1
	scratch_load_dwordx2 v[10:11], v8, off
	ds_read_b64 v[12:13], v7
	v_add_u32_e32 v3, 1, v3
	v_cmp_lt_u32_e32 vcc, 34, v3
	v_add_u32_e32 v7, 8, v7
	v_add_u32_e32 v8, 8, v8
	s_or_b64 s[4:5], vcc, s[4:5]
	s_waitcnt vmcnt(0) lgkmcnt(0)
	v_pk_mul_f32 v[14:15], v[12:13], v[10:11] op_sel:[1,1] op_sel_hi:[0,1]
	v_pk_fma_f32 v[16:17], v[12:13], v[10:11], v[14:15] neg_lo:[0,0,1] neg_hi:[0,0,1]
	v_pk_fma_f32 v[10:11], v[12:13], v[10:11], v[14:15] op_sel_hi:[1,0,1]
	s_nop 0
	v_mov_b32_e32 v17, v11
	v_pk_add_f32 v[4:5], v[4:5], v[16:17]
	s_andn2_b64 exec, exec, s[4:5]
	s_cbranch_execnz .LBB52_157
; %bb.158:
	s_or_b64 exec, exec, s[4:5]
	v_mov_b32_e32 v3, 0
	ds_read_b64 v[8:9], v3 offset:288
	s_waitcnt lgkmcnt(0)
	v_pk_mul_f32 v[10:11], v[4:5], v[8:9] op_sel:[1,1] op_sel_hi:[0,1]
	v_pk_fma_f32 v[12:13], v[4:5], v[8:9], v[10:11] neg_lo:[0,0,1] neg_hi:[0,0,1]
	v_pk_fma_f32 v[4:5], v[4:5], v[8:9], v[10:11] op_sel_hi:[1,0,1]
	s_nop 0
	v_mov_b32_e32 v13, v5
	scratch_store_dwordx2 off, v[12:13], off offset:288
.LBB52_159:
	s_or_b64 exec, exec, s[0:1]
	; wave barrier
	scratch_load_dwordx2 v[4:5], off, off offset:296
	v_cmp_gt_u32_e32 vcc, 37, v0
	s_waitcnt vmcnt(0)
	ds_write_b64 v1, v[4:5]
	s_waitcnt lgkmcnt(0)
	; wave barrier
	s_and_saveexec_b64 s[0:1], vcc
	s_cbranch_execz .LBB52_163
; %bb.160:
	v_mov_b32_e32 v4, 0
	v_add_u32_e32 v3, -1, v0
	v_add_u32_e32 v7, 0x1b0, v2
	v_mov_b32_e32 v8, v2
	s_mov_b64 s[4:5], 0
	v_mov_b32_e32 v5, v4
.LBB52_161:                             ; =>This Inner Loop Header: Depth=1
	scratch_load_dwordx2 v[10:11], v8, off
	ds_read_b64 v[12:13], v7
	v_add_u32_e32 v3, 1, v3
	v_cmp_lt_u32_e32 vcc, 35, v3
	v_add_u32_e32 v7, 8, v7
	v_add_u32_e32 v8, 8, v8
	s_or_b64 s[4:5], vcc, s[4:5]
	s_waitcnt vmcnt(0) lgkmcnt(0)
	v_pk_mul_f32 v[14:15], v[12:13], v[10:11] op_sel:[1,1] op_sel_hi:[0,1]
	v_pk_fma_f32 v[16:17], v[12:13], v[10:11], v[14:15] neg_lo:[0,0,1] neg_hi:[0,0,1]
	v_pk_fma_f32 v[10:11], v[12:13], v[10:11], v[14:15] op_sel_hi:[1,0,1]
	s_nop 0
	v_mov_b32_e32 v17, v11
	v_pk_add_f32 v[4:5], v[4:5], v[16:17]
	s_andn2_b64 exec, exec, s[4:5]
	s_cbranch_execnz .LBB52_161
; %bb.162:
	s_or_b64 exec, exec, s[4:5]
	v_mov_b32_e32 v3, 0
	ds_read_b64 v[8:9], v3 offset:296
	s_waitcnt lgkmcnt(0)
	v_pk_mul_f32 v[10:11], v[4:5], v[8:9] op_sel:[1,1] op_sel_hi:[0,1]
	v_pk_fma_f32 v[12:13], v[4:5], v[8:9], v[10:11] neg_lo:[0,0,1] neg_hi:[0,0,1]
	v_pk_fma_f32 v[4:5], v[4:5], v[8:9], v[10:11] op_sel_hi:[1,0,1]
	s_nop 0
	v_mov_b32_e32 v13, v5
	scratch_store_dwordx2 off, v[12:13], off offset:296
.LBB52_163:
	s_or_b64 exec, exec, s[0:1]
	; wave barrier
	scratch_load_dwordx2 v[4:5], off, off offset:304
	v_cmp_gt_u32_e32 vcc, 38, v0
	s_waitcnt vmcnt(0)
	ds_write_b64 v1, v[4:5]
	s_waitcnt lgkmcnt(0)
	; wave barrier
	s_and_saveexec_b64 s[0:1], vcc
	s_cbranch_execz .LBB52_167
; %bb.164:
	v_mov_b32_e32 v4, 0
	v_add_u32_e32 v3, -1, v0
	v_add_u32_e32 v7, 0x1b0, v2
	v_mov_b32_e32 v8, v2
	s_mov_b64 s[4:5], 0
	v_mov_b32_e32 v5, v4
.LBB52_165:                             ; =>This Inner Loop Header: Depth=1
	scratch_load_dwordx2 v[10:11], v8, off
	ds_read_b64 v[12:13], v7
	v_add_u32_e32 v3, 1, v3
	v_cmp_lt_u32_e32 vcc, 36, v3
	v_add_u32_e32 v7, 8, v7
	v_add_u32_e32 v8, 8, v8
	s_or_b64 s[4:5], vcc, s[4:5]
	s_waitcnt vmcnt(0) lgkmcnt(0)
	v_pk_mul_f32 v[14:15], v[12:13], v[10:11] op_sel:[1,1] op_sel_hi:[0,1]
	v_pk_fma_f32 v[16:17], v[12:13], v[10:11], v[14:15] neg_lo:[0,0,1] neg_hi:[0,0,1]
	v_pk_fma_f32 v[10:11], v[12:13], v[10:11], v[14:15] op_sel_hi:[1,0,1]
	s_nop 0
	v_mov_b32_e32 v17, v11
	v_pk_add_f32 v[4:5], v[4:5], v[16:17]
	s_andn2_b64 exec, exec, s[4:5]
	s_cbranch_execnz .LBB52_165
; %bb.166:
	s_or_b64 exec, exec, s[4:5]
	v_mov_b32_e32 v3, 0
	ds_read_b64 v[8:9], v3 offset:304
	s_waitcnt lgkmcnt(0)
	v_pk_mul_f32 v[10:11], v[4:5], v[8:9] op_sel:[1,1] op_sel_hi:[0,1]
	v_pk_fma_f32 v[12:13], v[4:5], v[8:9], v[10:11] neg_lo:[0,0,1] neg_hi:[0,0,1]
	v_pk_fma_f32 v[4:5], v[4:5], v[8:9], v[10:11] op_sel_hi:[1,0,1]
	s_nop 0
	v_mov_b32_e32 v13, v5
	scratch_store_dwordx2 off, v[12:13], off offset:304
.LBB52_167:
	s_or_b64 exec, exec, s[0:1]
	; wave barrier
	scratch_load_dwordx2 v[4:5], off, off offset:312
	v_cmp_gt_u32_e32 vcc, 39, v0
	s_waitcnt vmcnt(0)
	ds_write_b64 v1, v[4:5]
	s_waitcnt lgkmcnt(0)
	; wave barrier
	s_and_saveexec_b64 s[0:1], vcc
	s_cbranch_execz .LBB52_171
; %bb.168:
	v_mov_b32_e32 v4, 0
	v_add_u32_e32 v3, -1, v0
	v_add_u32_e32 v7, 0x1b0, v2
	v_mov_b32_e32 v8, v2
	s_mov_b64 s[4:5], 0
	v_mov_b32_e32 v5, v4
.LBB52_169:                             ; =>This Inner Loop Header: Depth=1
	scratch_load_dwordx2 v[10:11], v8, off
	ds_read_b64 v[12:13], v7
	v_add_u32_e32 v3, 1, v3
	v_cmp_lt_u32_e32 vcc, 37, v3
	v_add_u32_e32 v7, 8, v7
	v_add_u32_e32 v8, 8, v8
	s_or_b64 s[4:5], vcc, s[4:5]
	s_waitcnt vmcnt(0) lgkmcnt(0)
	v_pk_mul_f32 v[14:15], v[12:13], v[10:11] op_sel:[1,1] op_sel_hi:[0,1]
	v_pk_fma_f32 v[16:17], v[12:13], v[10:11], v[14:15] neg_lo:[0,0,1] neg_hi:[0,0,1]
	v_pk_fma_f32 v[10:11], v[12:13], v[10:11], v[14:15] op_sel_hi:[1,0,1]
	s_nop 0
	v_mov_b32_e32 v17, v11
	v_pk_add_f32 v[4:5], v[4:5], v[16:17]
	s_andn2_b64 exec, exec, s[4:5]
	s_cbranch_execnz .LBB52_169
; %bb.170:
	s_or_b64 exec, exec, s[4:5]
	v_mov_b32_e32 v3, 0
	ds_read_b64 v[8:9], v3 offset:312
	s_waitcnt lgkmcnt(0)
	v_pk_mul_f32 v[10:11], v[4:5], v[8:9] op_sel:[1,1] op_sel_hi:[0,1]
	v_pk_fma_f32 v[12:13], v[4:5], v[8:9], v[10:11] neg_lo:[0,0,1] neg_hi:[0,0,1]
	v_pk_fma_f32 v[4:5], v[4:5], v[8:9], v[10:11] op_sel_hi:[1,0,1]
	s_nop 0
	v_mov_b32_e32 v13, v5
	scratch_store_dwordx2 off, v[12:13], off offset:312
.LBB52_171:
	s_or_b64 exec, exec, s[0:1]
	; wave barrier
	scratch_load_dwordx2 v[4:5], off, off offset:320
	v_cmp_gt_u32_e32 vcc, 40, v0
	s_waitcnt vmcnt(0)
	ds_write_b64 v1, v[4:5]
	s_waitcnt lgkmcnt(0)
	; wave barrier
	s_and_saveexec_b64 s[0:1], vcc
	s_cbranch_execz .LBB52_175
; %bb.172:
	v_mov_b32_e32 v4, 0
	v_add_u32_e32 v3, -1, v0
	v_add_u32_e32 v7, 0x1b0, v2
	v_mov_b32_e32 v8, v2
	s_mov_b64 s[4:5], 0
	v_mov_b32_e32 v5, v4
.LBB52_173:                             ; =>This Inner Loop Header: Depth=1
	scratch_load_dwordx2 v[10:11], v8, off
	ds_read_b64 v[12:13], v7
	v_add_u32_e32 v3, 1, v3
	v_cmp_lt_u32_e32 vcc, 38, v3
	v_add_u32_e32 v7, 8, v7
	v_add_u32_e32 v8, 8, v8
	s_or_b64 s[4:5], vcc, s[4:5]
	s_waitcnt vmcnt(0) lgkmcnt(0)
	v_pk_mul_f32 v[14:15], v[12:13], v[10:11] op_sel:[1,1] op_sel_hi:[0,1]
	v_pk_fma_f32 v[16:17], v[12:13], v[10:11], v[14:15] neg_lo:[0,0,1] neg_hi:[0,0,1]
	v_pk_fma_f32 v[10:11], v[12:13], v[10:11], v[14:15] op_sel_hi:[1,0,1]
	s_nop 0
	v_mov_b32_e32 v17, v11
	v_pk_add_f32 v[4:5], v[4:5], v[16:17]
	s_andn2_b64 exec, exec, s[4:5]
	s_cbranch_execnz .LBB52_173
; %bb.174:
	s_or_b64 exec, exec, s[4:5]
	v_mov_b32_e32 v3, 0
	ds_read_b64 v[8:9], v3 offset:320
	s_waitcnt lgkmcnt(0)
	v_pk_mul_f32 v[10:11], v[4:5], v[8:9] op_sel:[1,1] op_sel_hi:[0,1]
	v_pk_fma_f32 v[12:13], v[4:5], v[8:9], v[10:11] neg_lo:[0,0,1] neg_hi:[0,0,1]
	v_pk_fma_f32 v[4:5], v[4:5], v[8:9], v[10:11] op_sel_hi:[1,0,1]
	s_nop 0
	v_mov_b32_e32 v13, v5
	scratch_store_dwordx2 off, v[12:13], off offset:320
.LBB52_175:
	s_or_b64 exec, exec, s[0:1]
	; wave barrier
	scratch_load_dwordx2 v[4:5], off, off offset:328
	v_cmp_gt_u32_e32 vcc, 41, v0
	s_waitcnt vmcnt(0)
	ds_write_b64 v1, v[4:5]
	s_waitcnt lgkmcnt(0)
	; wave barrier
	s_and_saveexec_b64 s[0:1], vcc
	s_cbranch_execz .LBB52_179
; %bb.176:
	v_mov_b32_e32 v4, 0
	v_add_u32_e32 v3, -1, v0
	v_add_u32_e32 v7, 0x1b0, v2
	v_mov_b32_e32 v8, v2
	s_mov_b64 s[4:5], 0
	v_mov_b32_e32 v5, v4
.LBB52_177:                             ; =>This Inner Loop Header: Depth=1
	scratch_load_dwordx2 v[10:11], v8, off
	ds_read_b64 v[12:13], v7
	v_add_u32_e32 v3, 1, v3
	v_cmp_lt_u32_e32 vcc, 39, v3
	v_add_u32_e32 v7, 8, v7
	v_add_u32_e32 v8, 8, v8
	s_or_b64 s[4:5], vcc, s[4:5]
	s_waitcnt vmcnt(0) lgkmcnt(0)
	v_pk_mul_f32 v[14:15], v[12:13], v[10:11] op_sel:[1,1] op_sel_hi:[0,1]
	v_pk_fma_f32 v[16:17], v[12:13], v[10:11], v[14:15] neg_lo:[0,0,1] neg_hi:[0,0,1]
	v_pk_fma_f32 v[10:11], v[12:13], v[10:11], v[14:15] op_sel_hi:[1,0,1]
	s_nop 0
	v_mov_b32_e32 v17, v11
	v_pk_add_f32 v[4:5], v[4:5], v[16:17]
	s_andn2_b64 exec, exec, s[4:5]
	s_cbranch_execnz .LBB52_177
; %bb.178:
	s_or_b64 exec, exec, s[4:5]
	v_mov_b32_e32 v3, 0
	ds_read_b64 v[8:9], v3 offset:328
	s_waitcnt lgkmcnt(0)
	v_pk_mul_f32 v[10:11], v[4:5], v[8:9] op_sel:[1,1] op_sel_hi:[0,1]
	v_pk_fma_f32 v[12:13], v[4:5], v[8:9], v[10:11] neg_lo:[0,0,1] neg_hi:[0,0,1]
	v_pk_fma_f32 v[4:5], v[4:5], v[8:9], v[10:11] op_sel_hi:[1,0,1]
	s_nop 0
	v_mov_b32_e32 v13, v5
	scratch_store_dwordx2 off, v[12:13], off offset:328
.LBB52_179:
	s_or_b64 exec, exec, s[0:1]
	; wave barrier
	scratch_load_dwordx2 v[4:5], off, off offset:336
	v_cmp_gt_u32_e32 vcc, 42, v0
	s_waitcnt vmcnt(0)
	ds_write_b64 v1, v[4:5]
	s_waitcnt lgkmcnt(0)
	; wave barrier
	s_and_saveexec_b64 s[0:1], vcc
	s_cbranch_execz .LBB52_183
; %bb.180:
	v_mov_b32_e32 v4, 0
	v_add_u32_e32 v3, -1, v0
	v_add_u32_e32 v7, 0x1b0, v2
	v_mov_b32_e32 v8, v2
	s_mov_b64 s[4:5], 0
	v_mov_b32_e32 v5, v4
.LBB52_181:                             ; =>This Inner Loop Header: Depth=1
	scratch_load_dwordx2 v[10:11], v8, off
	ds_read_b64 v[12:13], v7
	v_add_u32_e32 v3, 1, v3
	v_cmp_lt_u32_e32 vcc, 40, v3
	v_add_u32_e32 v7, 8, v7
	v_add_u32_e32 v8, 8, v8
	s_or_b64 s[4:5], vcc, s[4:5]
	s_waitcnt vmcnt(0) lgkmcnt(0)
	v_pk_mul_f32 v[14:15], v[12:13], v[10:11] op_sel:[1,1] op_sel_hi:[0,1]
	v_pk_fma_f32 v[16:17], v[12:13], v[10:11], v[14:15] neg_lo:[0,0,1] neg_hi:[0,0,1]
	v_pk_fma_f32 v[10:11], v[12:13], v[10:11], v[14:15] op_sel_hi:[1,0,1]
	s_nop 0
	v_mov_b32_e32 v17, v11
	v_pk_add_f32 v[4:5], v[4:5], v[16:17]
	s_andn2_b64 exec, exec, s[4:5]
	s_cbranch_execnz .LBB52_181
; %bb.182:
	s_or_b64 exec, exec, s[4:5]
	v_mov_b32_e32 v3, 0
	ds_read_b64 v[8:9], v3 offset:336
	s_waitcnt lgkmcnt(0)
	v_pk_mul_f32 v[10:11], v[4:5], v[8:9] op_sel:[1,1] op_sel_hi:[0,1]
	v_pk_fma_f32 v[12:13], v[4:5], v[8:9], v[10:11] neg_lo:[0,0,1] neg_hi:[0,0,1]
	v_pk_fma_f32 v[4:5], v[4:5], v[8:9], v[10:11] op_sel_hi:[1,0,1]
	s_nop 0
	v_mov_b32_e32 v13, v5
	scratch_store_dwordx2 off, v[12:13], off offset:336
.LBB52_183:
	s_or_b64 exec, exec, s[0:1]
	; wave barrier
	scratch_load_dwordx2 v[4:5], off, off offset:344
	v_cmp_gt_u32_e32 vcc, 43, v0
	s_waitcnt vmcnt(0)
	ds_write_b64 v1, v[4:5]
	s_waitcnt lgkmcnt(0)
	; wave barrier
	s_and_saveexec_b64 s[0:1], vcc
	s_cbranch_execz .LBB52_187
; %bb.184:
	v_mov_b32_e32 v4, 0
	v_add_u32_e32 v3, -1, v0
	v_add_u32_e32 v7, 0x1b0, v2
	v_mov_b32_e32 v8, v2
	s_mov_b64 s[4:5], 0
	v_mov_b32_e32 v5, v4
.LBB52_185:                             ; =>This Inner Loop Header: Depth=1
	scratch_load_dwordx2 v[10:11], v8, off
	ds_read_b64 v[12:13], v7
	v_add_u32_e32 v3, 1, v3
	v_cmp_lt_u32_e32 vcc, 41, v3
	v_add_u32_e32 v7, 8, v7
	v_add_u32_e32 v8, 8, v8
	s_or_b64 s[4:5], vcc, s[4:5]
	s_waitcnt vmcnt(0) lgkmcnt(0)
	v_pk_mul_f32 v[14:15], v[12:13], v[10:11] op_sel:[1,1] op_sel_hi:[0,1]
	v_pk_fma_f32 v[16:17], v[12:13], v[10:11], v[14:15] neg_lo:[0,0,1] neg_hi:[0,0,1]
	v_pk_fma_f32 v[10:11], v[12:13], v[10:11], v[14:15] op_sel_hi:[1,0,1]
	s_nop 0
	v_mov_b32_e32 v17, v11
	v_pk_add_f32 v[4:5], v[4:5], v[16:17]
	s_andn2_b64 exec, exec, s[4:5]
	s_cbranch_execnz .LBB52_185
; %bb.186:
	s_or_b64 exec, exec, s[4:5]
	v_mov_b32_e32 v3, 0
	ds_read_b64 v[8:9], v3 offset:344
	s_waitcnt lgkmcnt(0)
	v_pk_mul_f32 v[10:11], v[4:5], v[8:9] op_sel:[1,1] op_sel_hi:[0,1]
	v_pk_fma_f32 v[12:13], v[4:5], v[8:9], v[10:11] neg_lo:[0,0,1] neg_hi:[0,0,1]
	v_pk_fma_f32 v[4:5], v[4:5], v[8:9], v[10:11] op_sel_hi:[1,0,1]
	s_nop 0
	v_mov_b32_e32 v13, v5
	scratch_store_dwordx2 off, v[12:13], off offset:344
.LBB52_187:
	s_or_b64 exec, exec, s[0:1]
	; wave barrier
	scratch_load_dwordx2 v[4:5], off, off offset:352
	v_cmp_gt_u32_e32 vcc, 44, v0
	s_waitcnt vmcnt(0)
	ds_write_b64 v1, v[4:5]
	s_waitcnt lgkmcnt(0)
	; wave barrier
	s_and_saveexec_b64 s[0:1], vcc
	s_cbranch_execz .LBB52_191
; %bb.188:
	v_mov_b32_e32 v4, 0
	v_add_u32_e32 v3, -1, v0
	v_add_u32_e32 v7, 0x1b0, v2
	v_mov_b32_e32 v8, v2
	s_mov_b64 s[4:5], 0
	v_mov_b32_e32 v5, v4
.LBB52_189:                             ; =>This Inner Loop Header: Depth=1
	scratch_load_dwordx2 v[10:11], v8, off
	ds_read_b64 v[12:13], v7
	v_add_u32_e32 v3, 1, v3
	v_cmp_lt_u32_e32 vcc, 42, v3
	v_add_u32_e32 v7, 8, v7
	v_add_u32_e32 v8, 8, v8
	s_or_b64 s[4:5], vcc, s[4:5]
	s_waitcnt vmcnt(0) lgkmcnt(0)
	v_pk_mul_f32 v[14:15], v[12:13], v[10:11] op_sel:[1,1] op_sel_hi:[0,1]
	v_pk_fma_f32 v[16:17], v[12:13], v[10:11], v[14:15] neg_lo:[0,0,1] neg_hi:[0,0,1]
	v_pk_fma_f32 v[10:11], v[12:13], v[10:11], v[14:15] op_sel_hi:[1,0,1]
	s_nop 0
	v_mov_b32_e32 v17, v11
	v_pk_add_f32 v[4:5], v[4:5], v[16:17]
	s_andn2_b64 exec, exec, s[4:5]
	s_cbranch_execnz .LBB52_189
; %bb.190:
	s_or_b64 exec, exec, s[4:5]
	v_mov_b32_e32 v3, 0
	ds_read_b64 v[8:9], v3 offset:352
	s_waitcnt lgkmcnt(0)
	v_pk_mul_f32 v[10:11], v[4:5], v[8:9] op_sel:[1,1] op_sel_hi:[0,1]
	v_pk_fma_f32 v[12:13], v[4:5], v[8:9], v[10:11] neg_lo:[0,0,1] neg_hi:[0,0,1]
	v_pk_fma_f32 v[4:5], v[4:5], v[8:9], v[10:11] op_sel_hi:[1,0,1]
	s_nop 0
	v_mov_b32_e32 v13, v5
	scratch_store_dwordx2 off, v[12:13], off offset:352
.LBB52_191:
	s_or_b64 exec, exec, s[0:1]
	; wave barrier
	scratch_load_dwordx2 v[4:5], off, off offset:360
	v_cmp_gt_u32_e32 vcc, 45, v0
	s_waitcnt vmcnt(0)
	ds_write_b64 v1, v[4:5]
	s_waitcnt lgkmcnt(0)
	; wave barrier
	s_and_saveexec_b64 s[0:1], vcc
	s_cbranch_execz .LBB52_195
; %bb.192:
	v_mov_b32_e32 v4, 0
	v_add_u32_e32 v3, -1, v0
	v_add_u32_e32 v7, 0x1b0, v2
	v_mov_b32_e32 v8, v2
	s_mov_b64 s[4:5], 0
	v_mov_b32_e32 v5, v4
.LBB52_193:                             ; =>This Inner Loop Header: Depth=1
	scratch_load_dwordx2 v[10:11], v8, off
	ds_read_b64 v[12:13], v7
	v_add_u32_e32 v3, 1, v3
	v_cmp_lt_u32_e32 vcc, 43, v3
	v_add_u32_e32 v7, 8, v7
	v_add_u32_e32 v8, 8, v8
	s_or_b64 s[4:5], vcc, s[4:5]
	s_waitcnt vmcnt(0) lgkmcnt(0)
	v_pk_mul_f32 v[14:15], v[12:13], v[10:11] op_sel:[1,1] op_sel_hi:[0,1]
	v_pk_fma_f32 v[16:17], v[12:13], v[10:11], v[14:15] neg_lo:[0,0,1] neg_hi:[0,0,1]
	v_pk_fma_f32 v[10:11], v[12:13], v[10:11], v[14:15] op_sel_hi:[1,0,1]
	s_nop 0
	v_mov_b32_e32 v17, v11
	v_pk_add_f32 v[4:5], v[4:5], v[16:17]
	s_andn2_b64 exec, exec, s[4:5]
	s_cbranch_execnz .LBB52_193
; %bb.194:
	s_or_b64 exec, exec, s[4:5]
	v_mov_b32_e32 v3, 0
	ds_read_b64 v[8:9], v3 offset:360
	s_waitcnt lgkmcnt(0)
	v_pk_mul_f32 v[10:11], v[4:5], v[8:9] op_sel:[1,1] op_sel_hi:[0,1]
	v_pk_fma_f32 v[12:13], v[4:5], v[8:9], v[10:11] neg_lo:[0,0,1] neg_hi:[0,0,1]
	v_pk_fma_f32 v[4:5], v[4:5], v[8:9], v[10:11] op_sel_hi:[1,0,1]
	s_nop 0
	v_mov_b32_e32 v13, v5
	scratch_store_dwordx2 off, v[12:13], off offset:360
.LBB52_195:
	s_or_b64 exec, exec, s[0:1]
	; wave barrier
	scratch_load_dwordx2 v[4:5], off, off offset:368
	v_cmp_gt_u32_e32 vcc, 46, v0
	s_waitcnt vmcnt(0)
	ds_write_b64 v1, v[4:5]
	s_waitcnt lgkmcnt(0)
	; wave barrier
	s_and_saveexec_b64 s[0:1], vcc
	s_cbranch_execz .LBB52_199
; %bb.196:
	v_mov_b32_e32 v4, 0
	v_add_u32_e32 v3, -1, v0
	v_add_u32_e32 v7, 0x1b0, v2
	v_mov_b32_e32 v8, v2
	s_mov_b64 s[4:5], 0
	v_mov_b32_e32 v5, v4
.LBB52_197:                             ; =>This Inner Loop Header: Depth=1
	scratch_load_dwordx2 v[10:11], v8, off
	ds_read_b64 v[12:13], v7
	v_add_u32_e32 v3, 1, v3
	v_cmp_lt_u32_e32 vcc, 44, v3
	v_add_u32_e32 v7, 8, v7
	v_add_u32_e32 v8, 8, v8
	s_or_b64 s[4:5], vcc, s[4:5]
	s_waitcnt vmcnt(0) lgkmcnt(0)
	v_pk_mul_f32 v[14:15], v[12:13], v[10:11] op_sel:[1,1] op_sel_hi:[0,1]
	v_pk_fma_f32 v[16:17], v[12:13], v[10:11], v[14:15] neg_lo:[0,0,1] neg_hi:[0,0,1]
	v_pk_fma_f32 v[10:11], v[12:13], v[10:11], v[14:15] op_sel_hi:[1,0,1]
	s_nop 0
	v_mov_b32_e32 v17, v11
	v_pk_add_f32 v[4:5], v[4:5], v[16:17]
	s_andn2_b64 exec, exec, s[4:5]
	s_cbranch_execnz .LBB52_197
; %bb.198:
	s_or_b64 exec, exec, s[4:5]
	v_mov_b32_e32 v3, 0
	ds_read_b64 v[8:9], v3 offset:368
	s_waitcnt lgkmcnt(0)
	v_pk_mul_f32 v[10:11], v[4:5], v[8:9] op_sel:[1,1] op_sel_hi:[0,1]
	v_pk_fma_f32 v[12:13], v[4:5], v[8:9], v[10:11] neg_lo:[0,0,1] neg_hi:[0,0,1]
	v_pk_fma_f32 v[4:5], v[4:5], v[8:9], v[10:11] op_sel_hi:[1,0,1]
	s_nop 0
	v_mov_b32_e32 v13, v5
	scratch_store_dwordx2 off, v[12:13], off offset:368
.LBB52_199:
	s_or_b64 exec, exec, s[0:1]
	; wave barrier
	scratch_load_dwordx2 v[4:5], off, off offset:376
	v_cmp_gt_u32_e32 vcc, 47, v0
	s_waitcnt vmcnt(0)
	ds_write_b64 v1, v[4:5]
	s_waitcnt lgkmcnt(0)
	; wave barrier
	s_and_saveexec_b64 s[0:1], vcc
	s_cbranch_execz .LBB52_203
; %bb.200:
	v_mov_b32_e32 v4, 0
	v_add_u32_e32 v3, -1, v0
	v_add_u32_e32 v7, 0x1b0, v2
	v_mov_b32_e32 v8, v2
	s_mov_b64 s[4:5], 0
	v_mov_b32_e32 v5, v4
.LBB52_201:                             ; =>This Inner Loop Header: Depth=1
	scratch_load_dwordx2 v[10:11], v8, off
	ds_read_b64 v[12:13], v7
	v_add_u32_e32 v3, 1, v3
	v_cmp_lt_u32_e32 vcc, 45, v3
	v_add_u32_e32 v7, 8, v7
	v_add_u32_e32 v8, 8, v8
	s_or_b64 s[4:5], vcc, s[4:5]
	s_waitcnt vmcnt(0) lgkmcnt(0)
	v_pk_mul_f32 v[14:15], v[12:13], v[10:11] op_sel:[1,1] op_sel_hi:[0,1]
	v_pk_fma_f32 v[16:17], v[12:13], v[10:11], v[14:15] neg_lo:[0,0,1] neg_hi:[0,0,1]
	v_pk_fma_f32 v[10:11], v[12:13], v[10:11], v[14:15] op_sel_hi:[1,0,1]
	s_nop 0
	v_mov_b32_e32 v17, v11
	v_pk_add_f32 v[4:5], v[4:5], v[16:17]
	s_andn2_b64 exec, exec, s[4:5]
	s_cbranch_execnz .LBB52_201
; %bb.202:
	s_or_b64 exec, exec, s[4:5]
	v_mov_b32_e32 v3, 0
	ds_read_b64 v[8:9], v3 offset:376
	s_waitcnt lgkmcnt(0)
	v_pk_mul_f32 v[10:11], v[4:5], v[8:9] op_sel:[1,1] op_sel_hi:[0,1]
	v_pk_fma_f32 v[12:13], v[4:5], v[8:9], v[10:11] neg_lo:[0,0,1] neg_hi:[0,0,1]
	v_pk_fma_f32 v[4:5], v[4:5], v[8:9], v[10:11] op_sel_hi:[1,0,1]
	s_nop 0
	v_mov_b32_e32 v13, v5
	scratch_store_dwordx2 off, v[12:13], off offset:376
.LBB52_203:
	s_or_b64 exec, exec, s[0:1]
	; wave barrier
	scratch_load_dwordx2 v[4:5], off, off offset:384
	v_cmp_gt_u32_e32 vcc, 48, v0
	s_waitcnt vmcnt(0)
	ds_write_b64 v1, v[4:5]
	s_waitcnt lgkmcnt(0)
	; wave barrier
	s_and_saveexec_b64 s[0:1], vcc
	s_cbranch_execz .LBB52_207
; %bb.204:
	v_mov_b32_e32 v4, 0
	v_add_u32_e32 v3, -1, v0
	v_add_u32_e32 v7, 0x1b0, v2
	v_mov_b32_e32 v8, v2
	s_mov_b64 s[4:5], 0
	v_mov_b32_e32 v5, v4
.LBB52_205:                             ; =>This Inner Loop Header: Depth=1
	scratch_load_dwordx2 v[10:11], v8, off
	ds_read_b64 v[12:13], v7
	v_add_u32_e32 v3, 1, v3
	v_cmp_lt_u32_e32 vcc, 46, v3
	v_add_u32_e32 v7, 8, v7
	v_add_u32_e32 v8, 8, v8
	s_or_b64 s[4:5], vcc, s[4:5]
	s_waitcnt vmcnt(0) lgkmcnt(0)
	v_pk_mul_f32 v[14:15], v[12:13], v[10:11] op_sel:[1,1] op_sel_hi:[0,1]
	v_pk_fma_f32 v[16:17], v[12:13], v[10:11], v[14:15] neg_lo:[0,0,1] neg_hi:[0,0,1]
	v_pk_fma_f32 v[10:11], v[12:13], v[10:11], v[14:15] op_sel_hi:[1,0,1]
	s_nop 0
	v_mov_b32_e32 v17, v11
	v_pk_add_f32 v[4:5], v[4:5], v[16:17]
	s_andn2_b64 exec, exec, s[4:5]
	s_cbranch_execnz .LBB52_205
; %bb.206:
	s_or_b64 exec, exec, s[4:5]
	v_mov_b32_e32 v3, 0
	ds_read_b64 v[8:9], v3 offset:384
	s_waitcnt lgkmcnt(0)
	v_pk_mul_f32 v[10:11], v[4:5], v[8:9] op_sel:[1,1] op_sel_hi:[0,1]
	v_pk_fma_f32 v[12:13], v[4:5], v[8:9], v[10:11] neg_lo:[0,0,1] neg_hi:[0,0,1]
	v_pk_fma_f32 v[4:5], v[4:5], v[8:9], v[10:11] op_sel_hi:[1,0,1]
	s_nop 0
	v_mov_b32_e32 v13, v5
	scratch_store_dwordx2 off, v[12:13], off offset:384
.LBB52_207:
	s_or_b64 exec, exec, s[0:1]
	; wave barrier
	scratch_load_dwordx2 v[4:5], off, off offset:392
	v_cmp_gt_u32_e32 vcc, 49, v0
	s_waitcnt vmcnt(0)
	ds_write_b64 v1, v[4:5]
	s_waitcnt lgkmcnt(0)
	; wave barrier
	s_and_saveexec_b64 s[0:1], vcc
	s_cbranch_execz .LBB52_211
; %bb.208:
	v_mov_b32_e32 v4, 0
	v_add_u32_e32 v3, -1, v0
	v_add_u32_e32 v7, 0x1b0, v2
	v_mov_b32_e32 v8, v2
	s_mov_b64 s[4:5], 0
	v_mov_b32_e32 v5, v4
.LBB52_209:                             ; =>This Inner Loop Header: Depth=1
	scratch_load_dwordx2 v[10:11], v8, off
	ds_read_b64 v[12:13], v7
	v_add_u32_e32 v3, 1, v3
	v_cmp_lt_u32_e32 vcc, 47, v3
	v_add_u32_e32 v7, 8, v7
	v_add_u32_e32 v8, 8, v8
	s_or_b64 s[4:5], vcc, s[4:5]
	s_waitcnt vmcnt(0) lgkmcnt(0)
	v_pk_mul_f32 v[14:15], v[12:13], v[10:11] op_sel:[1,1] op_sel_hi:[0,1]
	v_pk_fma_f32 v[16:17], v[12:13], v[10:11], v[14:15] neg_lo:[0,0,1] neg_hi:[0,0,1]
	v_pk_fma_f32 v[10:11], v[12:13], v[10:11], v[14:15] op_sel_hi:[1,0,1]
	s_nop 0
	v_mov_b32_e32 v17, v11
	v_pk_add_f32 v[4:5], v[4:5], v[16:17]
	s_andn2_b64 exec, exec, s[4:5]
	s_cbranch_execnz .LBB52_209
; %bb.210:
	s_or_b64 exec, exec, s[4:5]
	v_mov_b32_e32 v3, 0
	ds_read_b64 v[8:9], v3 offset:392
	s_waitcnt lgkmcnt(0)
	v_pk_mul_f32 v[10:11], v[4:5], v[8:9] op_sel:[1,1] op_sel_hi:[0,1]
	v_pk_fma_f32 v[12:13], v[4:5], v[8:9], v[10:11] neg_lo:[0,0,1] neg_hi:[0,0,1]
	v_pk_fma_f32 v[4:5], v[4:5], v[8:9], v[10:11] op_sel_hi:[1,0,1]
	s_nop 0
	v_mov_b32_e32 v13, v5
	scratch_store_dwordx2 off, v[12:13], off offset:392
.LBB52_211:
	s_or_b64 exec, exec, s[0:1]
	; wave barrier
	scratch_load_dwordx2 v[4:5], off, off offset:400
	v_cmp_gt_u32_e32 vcc, 50, v0
	s_waitcnt vmcnt(0)
	ds_write_b64 v1, v[4:5]
	s_waitcnt lgkmcnt(0)
	; wave barrier
	s_and_saveexec_b64 s[0:1], vcc
	s_cbranch_execz .LBB52_215
; %bb.212:
	v_mov_b32_e32 v4, 0
	v_add_u32_e32 v3, -1, v0
	v_add_u32_e32 v7, 0x1b0, v2
	v_mov_b32_e32 v8, v2
	s_mov_b64 s[4:5], 0
	v_mov_b32_e32 v5, v4
.LBB52_213:                             ; =>This Inner Loop Header: Depth=1
	scratch_load_dwordx2 v[10:11], v8, off
	ds_read_b64 v[12:13], v7
	v_add_u32_e32 v3, 1, v3
	v_cmp_lt_u32_e32 vcc, 48, v3
	v_add_u32_e32 v7, 8, v7
	v_add_u32_e32 v8, 8, v8
	s_or_b64 s[4:5], vcc, s[4:5]
	s_waitcnt vmcnt(0) lgkmcnt(0)
	v_pk_mul_f32 v[14:15], v[12:13], v[10:11] op_sel:[1,1] op_sel_hi:[0,1]
	v_pk_fma_f32 v[16:17], v[12:13], v[10:11], v[14:15] neg_lo:[0,0,1] neg_hi:[0,0,1]
	v_pk_fma_f32 v[10:11], v[12:13], v[10:11], v[14:15] op_sel_hi:[1,0,1]
	s_nop 0
	v_mov_b32_e32 v17, v11
	v_pk_add_f32 v[4:5], v[4:5], v[16:17]
	s_andn2_b64 exec, exec, s[4:5]
	s_cbranch_execnz .LBB52_213
; %bb.214:
	s_or_b64 exec, exec, s[4:5]
	v_mov_b32_e32 v3, 0
	ds_read_b64 v[8:9], v3 offset:400
	s_waitcnt lgkmcnt(0)
	v_pk_mul_f32 v[10:11], v[4:5], v[8:9] op_sel:[1,1] op_sel_hi:[0,1]
	v_pk_fma_f32 v[12:13], v[4:5], v[8:9], v[10:11] neg_lo:[0,0,1] neg_hi:[0,0,1]
	v_pk_fma_f32 v[4:5], v[4:5], v[8:9], v[10:11] op_sel_hi:[1,0,1]
	s_nop 0
	v_mov_b32_e32 v13, v5
	scratch_store_dwordx2 off, v[12:13], off offset:400
.LBB52_215:
	s_or_b64 exec, exec, s[0:1]
	; wave barrier
	scratch_load_dwordx2 v[4:5], off, off offset:408
	v_cmp_gt_u32_e32 vcc, 51, v0
	s_waitcnt vmcnt(0)
	ds_write_b64 v1, v[4:5]
	s_waitcnt lgkmcnt(0)
	; wave barrier
	s_and_saveexec_b64 s[0:1], vcc
	s_cbranch_execz .LBB52_219
; %bb.216:
	v_mov_b32_e32 v4, 0
	v_add_u32_e32 v3, -1, v0
	v_add_u32_e32 v7, 0x1b0, v2
	v_mov_b32_e32 v8, v2
	s_mov_b64 s[4:5], 0
	v_mov_b32_e32 v5, v4
.LBB52_217:                             ; =>This Inner Loop Header: Depth=1
	scratch_load_dwordx2 v[10:11], v8, off
	ds_read_b64 v[12:13], v7
	v_add_u32_e32 v3, 1, v3
	v_cmp_lt_u32_e32 vcc, 49, v3
	v_add_u32_e32 v7, 8, v7
	v_add_u32_e32 v8, 8, v8
	s_or_b64 s[4:5], vcc, s[4:5]
	s_waitcnt vmcnt(0) lgkmcnt(0)
	v_pk_mul_f32 v[14:15], v[12:13], v[10:11] op_sel:[1,1] op_sel_hi:[0,1]
	v_pk_fma_f32 v[16:17], v[12:13], v[10:11], v[14:15] neg_lo:[0,0,1] neg_hi:[0,0,1]
	v_pk_fma_f32 v[10:11], v[12:13], v[10:11], v[14:15] op_sel_hi:[1,0,1]
	s_nop 0
	v_mov_b32_e32 v17, v11
	v_pk_add_f32 v[4:5], v[4:5], v[16:17]
	s_andn2_b64 exec, exec, s[4:5]
	s_cbranch_execnz .LBB52_217
; %bb.218:
	s_or_b64 exec, exec, s[4:5]
	v_mov_b32_e32 v3, 0
	ds_read_b64 v[8:9], v3 offset:408
	s_waitcnt lgkmcnt(0)
	v_pk_mul_f32 v[10:11], v[4:5], v[8:9] op_sel:[1,1] op_sel_hi:[0,1]
	v_pk_fma_f32 v[12:13], v[4:5], v[8:9], v[10:11] neg_lo:[0,0,1] neg_hi:[0,0,1]
	v_pk_fma_f32 v[4:5], v[4:5], v[8:9], v[10:11] op_sel_hi:[1,0,1]
	s_nop 0
	v_mov_b32_e32 v13, v5
	scratch_store_dwordx2 off, v[12:13], off offset:408
.LBB52_219:
	s_or_b64 exec, exec, s[0:1]
	; wave barrier
	scratch_load_dwordx2 v[4:5], off, off offset:416
	v_cmp_ne_u32_e32 vcc, 52, v0
	s_waitcnt vmcnt(0)
	ds_write_b64 v1, v[4:5]
	s_waitcnt lgkmcnt(0)
	; wave barrier
	s_and_saveexec_b64 s[0:1], vcc
	s_cbranch_execz .LBB52_223
; %bb.220:
	v_add_u32_e32 v1, 0x1b0, v2
	v_mov_b32_e32 v4, v2
	v_mov_b32_e32 v2, 0
	s_mov_b64 s[4:5], 0
	v_mov_b32_e32 v3, v2
.LBB52_221:                             ; =>This Inner Loop Header: Depth=1
	scratch_load_dwordx2 v[8:9], v4, off
	ds_read_b64 v[10:11], v1
	v_add_u32_e32 v6, 1, v6
	v_cmp_lt_u32_e32 vcc, 50, v6
	v_add_u32_e32 v1, 8, v1
	v_add_u32_e32 v4, 8, v4
	s_or_b64 s[4:5], vcc, s[4:5]
	s_waitcnt vmcnt(0) lgkmcnt(0)
	v_pk_mul_f32 v[12:13], v[10:11], v[8:9] op_sel:[1,1] op_sel_hi:[0,1]
	v_pk_fma_f32 v[14:15], v[10:11], v[8:9], v[12:13] neg_lo:[0,0,1] neg_hi:[0,0,1]
	v_pk_fma_f32 v[8:9], v[10:11], v[8:9], v[12:13] op_sel_hi:[1,0,1]
	s_nop 0
	v_mov_b32_e32 v15, v9
	v_pk_add_f32 v[2:3], v[2:3], v[14:15]
	s_andn2_b64 exec, exec, s[4:5]
	s_cbranch_execnz .LBB52_221
; %bb.222:
	s_or_b64 exec, exec, s[4:5]
	v_mov_b32_e32 v1, 0
	ds_read_b64 v[4:5], v1 offset:416
	s_waitcnt lgkmcnt(0)
	v_pk_mul_f32 v[6:7], v[2:3], v[4:5] op_sel:[1,1] op_sel_hi:[0,1]
	v_pk_fma_f32 v[8:9], v[2:3], v[4:5], v[6:7] neg_lo:[0,0,1] neg_hi:[0,0,1]
	v_pk_fma_f32 v[2:3], v[2:3], v[4:5], v[6:7] op_sel_hi:[1,0,1]
	s_nop 0
	v_mov_b32_e32 v9, v3
	scratch_store_dwordx2 off, v[8:9], off offset:416
.LBB52_223:
	s_or_b64 exec, exec, s[0:1]
	s_mov_b64 s[4:5], -1
	; wave barrier
.LBB52_224:
	s_and_b64 vcc, exec, s[4:5]
	s_cbranch_vccz .LBB52_226
; %bb.225:
	s_lshl_b64 s[0:1], s[2:3], 2
	s_add_u32 s0, s6, s0
	s_addc_u32 s1, s7, s1
	v_mov_b32_e32 v1, 0
	global_load_dword v1, v1, s[0:1]
	s_waitcnt vmcnt(0)
	v_cmp_ne_u32_e32 vcc, 0, v1
	s_cbranch_vccz .LBB52_227
.LBB52_226:
	s_endpgm
.LBB52_227:
	v_mov_b32_e32 v1, 0x1b0
	v_lshl_add_u32 v1, v0, 3, v1
	v_cmp_eq_u32_e32 vcc, 52, v0
	s_and_saveexec_b64 s[0:1], vcc
	s_cbranch_execz .LBB52_229
; %bb.228:
	scratch_load_dwordx2 v[2:3], off, off offset:408
	v_mov_b32_e32 v4, 0
	v_mov_b32_e32 v5, v4
	scratch_store_dwordx2 off, v[4:5], off offset:408
	s_waitcnt vmcnt(1)
	ds_write_b64 v1, v[2:3]
.LBB52_229:
	s_or_b64 exec, exec, s[0:1]
	s_waitcnt lgkmcnt(0)
	; wave barrier
	scratch_load_dwordx2 v[4:5], off, off offset:416
	scratch_load_dwordx2 v[6:7], off, off offset:408
	v_mov_b32_e32 v2, 0
	ds_read_b64 v[8:9], v2 offset:848
	v_cmp_lt_u32_e32 vcc, 50, v0
	s_waitcnt vmcnt(1) lgkmcnt(0)
	v_pk_mul_f32 v[10:11], v[8:9], v[4:5] op_sel:[1,1] op_sel_hi:[0,1]
	v_pk_fma_f32 v[12:13], v[8:9], v[4:5], v[10:11] neg_lo:[0,0,1] neg_hi:[0,0,1]
	v_pk_fma_f32 v[4:5], v[8:9], v[4:5], v[10:11] op_sel_hi:[1,0,1]
	s_nop 0
	v_mov_b32_e32 v13, v5
	v_pk_add_f32 v[4:5], v[12:13], 0 op_sel_hi:[1,0]
	s_waitcnt vmcnt(0)
	v_pk_add_f32 v[4:5], v[6:7], v[4:5] neg_lo:[0,1] neg_hi:[0,1]
	scratch_store_dwordx2 off, v[4:5], off offset:408
	s_and_saveexec_b64 s[0:1], vcc
	s_cbranch_execz .LBB52_231
; %bb.230:
	scratch_load_dwordx2 v[4:5], off, off offset:400
	v_mov_b32_e32 v3, v2
	scratch_store_dwordx2 off, v[2:3], off offset:400
	s_waitcnt vmcnt(1)
	ds_write_b64 v1, v[4:5]
.LBB52_231:
	s_or_b64 exec, exec, s[0:1]
	s_waitcnt lgkmcnt(0)
	; wave barrier
	scratch_load_dwordx4 v[4:7], off, off offset:408
	scratch_load_dwordx2 v[12:13], off, off offset:400
	ds_read2_b64 v[8:11], v2 offset0:105 offset1:106
	v_cmp_lt_u32_e32 vcc, 49, v0
	s_waitcnt vmcnt(1) lgkmcnt(0)
	v_pk_mul_f32 v[2:3], v[8:9], v[4:5] op_sel:[1,1] op_sel_hi:[0,1]
	v_mov_b32_e32 v14, v7
	v_pk_fma_f32 v[16:17], v[8:9], v[4:5], v[2:3] neg_lo:[0,0,1] neg_hi:[0,0,1]
	v_pk_fma_f32 v[2:3], v[8:9], v[4:5], v[2:3] op_sel_hi:[1,0,1]
	v_pk_mul_f32 v[4:5], v[10:11], v[14:15] op_sel:[1,0] op_sel_hi:[0,0]
	v_mov_b32_e32 v17, v3
	v_pk_fma_f32 v[2:3], v[10:11], v[6:7], v[4:5] neg_lo:[0,0,1] neg_hi:[0,0,1]
	v_pk_fma_f32 v[4:5], v[10:11], v[6:7], v[4:5] op_sel_hi:[1,0,1]
	v_pk_add_f32 v[6:7], v[16:17], 0 op_sel_hi:[1,0]
	v_mov_b32_e32 v3, v5
	v_pk_add_f32 v[2:3], v[6:7], v[2:3]
	s_waitcnt vmcnt(0)
	v_pk_add_f32 v[2:3], v[12:13], v[2:3] neg_lo:[0,1] neg_hi:[0,1]
	scratch_store_dwordx2 off, v[2:3], off offset:400
	s_and_saveexec_b64 s[0:1], vcc
	s_cbranch_execz .LBB52_233
; %bb.232:
	scratch_load_dwordx2 v[2:3], off, off offset:392
	v_mov_b32_e32 v4, 0
	v_mov_b32_e32 v5, v4
	scratch_store_dwordx2 off, v[4:5], off offset:392
	s_waitcnt vmcnt(1)
	ds_write_b64 v1, v[2:3]
.LBB52_233:
	s_or_b64 exec, exec, s[0:1]
	s_waitcnt lgkmcnt(0)
	; wave barrier
	scratch_load_dwordx4 v[4:7], off, off offset:400
	scratch_load_dwordx2 v[12:13], off, off offset:416
	v_mov_b32_e32 v2, 0
	ds_read_b128 v[8:11], v2 offset:832
	ds_read_b64 v[14:15], v2 offset:848
	v_cmp_lt_u32_e32 vcc, 48, v0
	s_waitcnt vmcnt(1) lgkmcnt(1)
	v_pk_mul_f32 v[16:17], v[8:9], v[4:5] op_sel:[1,1] op_sel_hi:[0,1]
	v_pk_fma_f32 v[18:19], v[8:9], v[4:5], v[16:17] neg_lo:[0,0,1] neg_hi:[0,0,1]
	v_pk_fma_f32 v[4:5], v[8:9], v[4:5], v[16:17] op_sel_hi:[1,0,1]
	v_mov_b32_e32 v8, v7
	v_pk_mul_f32 v[8:9], v[10:11], v[8:9] op_sel:[1,0] op_sel_hi:[0,0]
	v_pk_fma_f32 v[16:17], v[10:11], v[6:7], v[8:9] neg_lo:[0,0,1] neg_hi:[0,0,1]
	v_pk_fma_f32 v[6:7], v[10:11], v[6:7], v[8:9] op_sel_hi:[1,0,1]
	v_mov_b32_e32 v19, v5
	v_mov_b32_e32 v17, v7
	s_waitcnt vmcnt(0) lgkmcnt(0)
	v_pk_mul_f32 v[6:7], v[14:15], v[12:13] op_sel:[1,1] op_sel_hi:[0,1]
	v_pk_fma_f32 v[8:9], v[14:15], v[12:13], v[6:7] neg_lo:[0,0,1] neg_hi:[0,0,1]
	v_pk_fma_f32 v[6:7], v[14:15], v[12:13], v[6:7] op_sel_hi:[1,0,1]
	v_pk_add_f32 v[4:5], v[18:19], 0 op_sel_hi:[1,0]
	v_mov_b32_e32 v9, v7
	scratch_load_dwordx2 v[6:7], off, off offset:392
	v_pk_add_f32 v[4:5], v[4:5], v[16:17]
	s_nop 0
	v_pk_add_f32 v[4:5], v[4:5], v[8:9]
	s_waitcnt vmcnt(0)
	v_pk_add_f32 v[4:5], v[6:7], v[4:5] neg_lo:[0,1] neg_hi:[0,1]
	scratch_store_dwordx2 off, v[4:5], off offset:392
	s_and_saveexec_b64 s[0:1], vcc
	s_cbranch_execz .LBB52_235
; %bb.234:
	scratch_load_dwordx2 v[4:5], off, off offset:384
	v_mov_b32_e32 v3, v2
	scratch_store_dwordx2 off, v[2:3], off offset:384
	s_waitcnt vmcnt(1)
	ds_write_b64 v1, v[4:5]
.LBB52_235:
	s_or_b64 exec, exec, s[0:1]
	s_waitcnt lgkmcnt(0)
	; wave barrier
	scratch_load_dwordx4 v[4:7], off, off offset:392
	scratch_load_dwordx4 v[8:11], off, off offset:408
	scratch_load_dwordx2 v[20:21], off, off offset:384
	ds_read2_b64 v[12:15], v2 offset0:103 offset1:104
	ds_read2_b64 v[16:19], v2 offset0:105 offset1:106
	v_cmp_lt_u32_e32 vcc, 47, v0
	s_waitcnt vmcnt(2) lgkmcnt(1)
	v_pk_mul_f32 v[2:3], v[12:13], v[4:5] op_sel:[1,1] op_sel_hi:[0,1]
	v_mov_b32_e32 v22, v7
	s_waitcnt vmcnt(1) lgkmcnt(0)
	v_pk_mul_f32 v[24:25], v[16:17], v[8:9] op_sel:[1,1] op_sel_hi:[0,1]
	v_mov_b32_e32 v26, v11
	v_pk_fma_f32 v[28:29], v[12:13], v[4:5], v[2:3] neg_lo:[0,0,1] neg_hi:[0,0,1]
	v_pk_fma_f32 v[2:3], v[12:13], v[4:5], v[2:3] op_sel_hi:[1,0,1]
	v_pk_mul_f32 v[4:5], v[14:15], v[22:23] op_sel:[1,0] op_sel_hi:[0,0]
	v_pk_fma_f32 v[12:13], v[16:17], v[8:9], v[24:25] neg_lo:[0,0,1] neg_hi:[0,0,1]
	v_pk_fma_f32 v[8:9], v[16:17], v[8:9], v[24:25] op_sel_hi:[1,0,1]
	v_pk_mul_f32 v[16:17], v[18:19], v[26:27] op_sel:[1,0] op_sel_hi:[0,0]
	v_mov_b32_e32 v29, v3
	v_pk_fma_f32 v[2:3], v[14:15], v[6:7], v[4:5] neg_lo:[0,0,1] neg_hi:[0,0,1]
	v_pk_fma_f32 v[4:5], v[14:15], v[6:7], v[4:5] op_sel_hi:[1,0,1]
	v_mov_b32_e32 v13, v9
	v_pk_fma_f32 v[6:7], v[18:19], v[10:11], v[16:17] neg_lo:[0,0,1] neg_hi:[0,0,1]
	v_pk_fma_f32 v[8:9], v[18:19], v[10:11], v[16:17] op_sel_hi:[1,0,1]
	v_pk_add_f32 v[10:11], v[28:29], 0 op_sel_hi:[1,0]
	v_mov_b32_e32 v3, v5
	v_pk_add_f32 v[2:3], v[10:11], v[2:3]
	v_mov_b32_e32 v7, v9
	v_pk_add_f32 v[2:3], v[2:3], v[12:13]
	s_nop 0
	v_pk_add_f32 v[2:3], v[2:3], v[6:7]
	s_waitcnt vmcnt(0)
	v_pk_add_f32 v[2:3], v[20:21], v[2:3] neg_lo:[0,1] neg_hi:[0,1]
	scratch_store_dwordx2 off, v[2:3], off offset:384
	s_and_saveexec_b64 s[0:1], vcc
	s_cbranch_execz .LBB52_237
; %bb.236:
	scratch_load_dwordx2 v[2:3], off, off offset:376
	v_mov_b32_e32 v4, 0
	v_mov_b32_e32 v5, v4
	scratch_store_dwordx2 off, v[4:5], off offset:376
	s_waitcnt vmcnt(1)
	ds_write_b64 v1, v[2:3]
.LBB52_237:
	s_or_b64 exec, exec, s[0:1]
	s_waitcnt lgkmcnt(0)
	; wave barrier
	scratch_load_dwordx4 v[4:7], off, off offset:384
	scratch_load_dwordx4 v[8:11], off, off offset:400
	scratch_load_dwordx2 v[20:21], off, off offset:416
	scratch_load_dwordx2 v[22:23], off, off offset:376
	v_mov_b32_e32 v2, 0
	ds_read_b128 v[12:15], v2 offset:816
	ds_read_b128 v[16:19], v2 offset:832
	ds_read_b64 v[24:25], v2 offset:848
	v_cmp_lt_u32_e32 vcc, 46, v0
	s_waitcnt vmcnt(3) lgkmcnt(2)
	v_pk_mul_f32 v[26:27], v[12:13], v[4:5] op_sel:[1,1] op_sel_hi:[0,1]
	v_mov_b32_e32 v28, v7
	v_pk_fma_f32 v[36:37], v[12:13], v[4:5], v[26:27] neg_lo:[0,0,1] neg_hi:[0,0,1]
	v_pk_fma_f32 v[4:5], v[12:13], v[4:5], v[26:27] op_sel_hi:[1,0,1]
	v_pk_mul_f32 v[12:13], v[14:15], v[28:29] op_sel:[1,0] op_sel_hi:[0,0]
	s_waitcnt vmcnt(2) lgkmcnt(1)
	v_pk_mul_f32 v[30:31], v[16:17], v[8:9] op_sel:[1,1] op_sel_hi:[0,1]
	v_mov_b32_e32 v32, v11
	v_mov_b32_e32 v37, v5
	v_pk_fma_f32 v[4:5], v[14:15], v[6:7], v[12:13] neg_lo:[0,0,1] neg_hi:[0,0,1]
	v_pk_fma_f32 v[6:7], v[14:15], v[6:7], v[12:13] op_sel_hi:[1,0,1]
	v_pk_fma_f32 v[26:27], v[16:17], v[8:9], v[30:31] neg_lo:[0,0,1] neg_hi:[0,0,1]
	v_pk_fma_f32 v[8:9], v[16:17], v[8:9], v[30:31] op_sel_hi:[1,0,1]
	v_pk_mul_f32 v[16:17], v[18:19], v[32:33] op_sel:[1,0] op_sel_hi:[0,0]
	v_pk_add_f32 v[12:13], v[36:37], 0 op_sel_hi:[1,0]
	v_mov_b32_e32 v5, v7
	s_waitcnt vmcnt(1) lgkmcnt(0)
	v_pk_mul_f32 v[34:35], v[24:25], v[20:21] op_sel:[1,1] op_sel_hi:[0,1]
	v_mov_b32_e32 v27, v9
	v_pk_fma_f32 v[8:9], v[18:19], v[10:11], v[16:17] neg_lo:[0,0,1] neg_hi:[0,0,1]
	v_pk_fma_f32 v[10:11], v[18:19], v[10:11], v[16:17] op_sel_hi:[1,0,1]
	v_pk_add_f32 v[4:5], v[12:13], v[4:5]
	v_pk_fma_f32 v[28:29], v[24:25], v[20:21], v[34:35] neg_lo:[0,0,1] neg_hi:[0,0,1]
	v_pk_fma_f32 v[20:21], v[24:25], v[20:21], v[34:35] op_sel_hi:[1,0,1]
	v_mov_b32_e32 v9, v11
	v_pk_add_f32 v[4:5], v[4:5], v[26:27]
	v_mov_b32_e32 v29, v21
	v_pk_add_f32 v[4:5], v[4:5], v[8:9]
	s_nop 0
	v_pk_add_f32 v[4:5], v[4:5], v[28:29]
	s_waitcnt vmcnt(0)
	v_pk_add_f32 v[4:5], v[22:23], v[4:5] neg_lo:[0,1] neg_hi:[0,1]
	scratch_store_dwordx2 off, v[4:5], off offset:376
	s_and_saveexec_b64 s[0:1], vcc
	s_cbranch_execz .LBB52_239
; %bb.238:
	scratch_load_dwordx2 v[4:5], off, off offset:368
	v_mov_b32_e32 v3, v2
	scratch_store_dwordx2 off, v[2:3], off offset:368
	s_waitcnt vmcnt(1)
	ds_write_b64 v1, v[4:5]
.LBB52_239:
	s_or_b64 exec, exec, s[0:1]
	s_waitcnt lgkmcnt(0)
	; wave barrier
	scratch_load_dwordx4 v[4:7], off, off offset:376
	scratch_load_dwordx4 v[8:11], off, off offset:392
	;; [unrolled: 1-line block ×3, first 2 shown]
	scratch_load_dwordx2 v[28:29], off, off offset:368
	ds_read2_b64 v[16:19], v2 offset0:101 offset1:102
	ds_read2_b64 v[20:23], v2 offset0:103 offset1:104
	;; [unrolled: 1-line block ×3, first 2 shown]
	v_cmp_lt_u32_e32 vcc, 45, v0
	s_waitcnt vmcnt(3) lgkmcnt(2)
	v_pk_mul_f32 v[2:3], v[16:17], v[4:5] op_sel:[1,1] op_sel_hi:[0,1]
	v_mov_b32_e32 v30, v7
	s_waitcnt vmcnt(2) lgkmcnt(1)
	v_pk_mul_f32 v[32:33], v[20:21], v[8:9] op_sel:[1,1] op_sel_hi:[0,1]
	v_mov_b32_e32 v34, v11
	;; [unrolled: 3-line block ×3, first 2 shown]
	v_pk_fma_f32 v[40:41], v[16:17], v[4:5], v[2:3] neg_lo:[0,0,1] neg_hi:[0,0,1]
	v_pk_fma_f32 v[2:3], v[16:17], v[4:5], v[2:3] op_sel_hi:[1,0,1]
	v_pk_mul_f32 v[4:5], v[18:19], v[30:31] op_sel:[1,0] op_sel_hi:[0,0]
	v_pk_fma_f32 v[16:17], v[20:21], v[8:9], v[32:33] neg_lo:[0,0,1] neg_hi:[0,0,1]
	v_pk_fma_f32 v[8:9], v[20:21], v[8:9], v[32:33] op_sel_hi:[1,0,1]
	v_pk_mul_f32 v[20:21], v[22:23], v[34:35] op_sel:[1,0] op_sel_hi:[0,0]
	;; [unrolled: 3-line block ×3, first 2 shown]
	v_mov_b32_e32 v41, v3
	v_pk_fma_f32 v[2:3], v[18:19], v[6:7], v[4:5] neg_lo:[0,0,1] neg_hi:[0,0,1]
	v_pk_fma_f32 v[4:5], v[18:19], v[6:7], v[4:5] op_sel_hi:[1,0,1]
	v_mov_b32_e32 v17, v9
	v_pk_fma_f32 v[6:7], v[22:23], v[10:11], v[20:21] neg_lo:[0,0,1] neg_hi:[0,0,1]
	v_pk_fma_f32 v[8:9], v[22:23], v[10:11], v[20:21] op_sel_hi:[1,0,1]
	;; [unrolled: 3-line block ×3, first 2 shown]
	v_pk_add_f32 v[14:15], v[40:41], 0 op_sel_hi:[1,0]
	v_mov_b32_e32 v3, v5
	v_pk_add_f32 v[2:3], v[14:15], v[2:3]
	v_mov_b32_e32 v7, v9
	v_pk_add_f32 v[2:3], v[2:3], v[16:17]
	;; [unrolled: 2-line block ×3, first 2 shown]
	s_nop 0
	v_pk_add_f32 v[2:3], v[2:3], v[30:31]
	s_nop 0
	v_pk_add_f32 v[2:3], v[2:3], v[10:11]
	s_waitcnt vmcnt(0)
	v_pk_add_f32 v[2:3], v[28:29], v[2:3] neg_lo:[0,1] neg_hi:[0,1]
	scratch_store_dwordx2 off, v[2:3], off offset:368
	s_and_saveexec_b64 s[0:1], vcc
	s_cbranch_execz .LBB52_241
; %bb.240:
	scratch_load_dwordx2 v[2:3], off, off offset:360
	v_mov_b32_e32 v4, 0
	v_mov_b32_e32 v5, v4
	scratch_store_dwordx2 off, v[4:5], off offset:360
	s_waitcnt vmcnt(1)
	ds_write_b64 v1, v[2:3]
.LBB52_241:
	s_or_b64 exec, exec, s[0:1]
	s_waitcnt lgkmcnt(0)
	; wave barrier
	scratch_load_dwordx4 v[4:7], off, off offset:368
	scratch_load_dwordx4 v[8:11], off, off offset:384
	;; [unrolled: 1-line block ×3, first 2 shown]
	scratch_load_dwordx2 v[28:29], off, off offset:416
	scratch_load_dwordx2 v[30:31], off, off offset:360
	v_mov_b32_e32 v2, 0
	ds_read_b128 v[16:19], v2 offset:800
	ds_read_b128 v[20:23], v2 offset:816
	;; [unrolled: 1-line block ×3, first 2 shown]
	ds_read_b64 v[32:33], v2 offset:848
	v_cmp_lt_u32_e32 vcc, 44, v0
	s_waitcnt vmcnt(4) lgkmcnt(3)
	v_pk_mul_f32 v[34:35], v[16:17], v[4:5] op_sel:[1,1] op_sel_hi:[0,1]
	v_mov_b32_e32 v36, v7
	v_pk_fma_f32 v[48:49], v[16:17], v[4:5], v[34:35] neg_lo:[0,0,1] neg_hi:[0,0,1]
	v_pk_fma_f32 v[4:5], v[16:17], v[4:5], v[34:35] op_sel_hi:[1,0,1]
	v_pk_mul_f32 v[16:17], v[18:19], v[36:37] op_sel:[1,0] op_sel_hi:[0,0]
	s_waitcnt vmcnt(3) lgkmcnt(2)
	v_pk_mul_f32 v[38:39], v[20:21], v[8:9] op_sel:[1,1] op_sel_hi:[0,1]
	v_mov_b32_e32 v40, v11
	v_mov_b32_e32 v49, v5
	v_pk_fma_f32 v[4:5], v[18:19], v[6:7], v[16:17] neg_lo:[0,0,1] neg_hi:[0,0,1]
	v_pk_fma_f32 v[6:7], v[18:19], v[6:7], v[16:17] op_sel_hi:[1,0,1]
	v_pk_fma_f32 v[34:35], v[20:21], v[8:9], v[38:39] neg_lo:[0,0,1] neg_hi:[0,0,1]
	v_pk_fma_f32 v[8:9], v[20:21], v[8:9], v[38:39] op_sel_hi:[1,0,1]
	v_pk_mul_f32 v[20:21], v[22:23], v[40:41] op_sel:[1,0] op_sel_hi:[0,0]
	v_pk_add_f32 v[16:17], v[48:49], 0 op_sel_hi:[1,0]
	v_mov_b32_e32 v5, v7
	s_waitcnt vmcnt(2) lgkmcnt(1)
	v_pk_mul_f32 v[42:43], v[24:25], v[12:13] op_sel:[1,1] op_sel_hi:[0,1]
	v_mov_b32_e32 v44, v15
	v_mov_b32_e32 v35, v9
	v_pk_fma_f32 v[8:9], v[22:23], v[10:11], v[20:21] neg_lo:[0,0,1] neg_hi:[0,0,1]
	v_pk_fma_f32 v[10:11], v[22:23], v[10:11], v[20:21] op_sel_hi:[1,0,1]
	v_pk_add_f32 v[4:5], v[16:17], v[4:5]
	v_pk_fma_f32 v[36:37], v[24:25], v[12:13], v[42:43] neg_lo:[0,0,1] neg_hi:[0,0,1]
	v_pk_fma_f32 v[12:13], v[24:25], v[12:13], v[42:43] op_sel_hi:[1,0,1]
	v_pk_mul_f32 v[24:25], v[26:27], v[44:45] op_sel:[1,0] op_sel_hi:[0,0]
	v_mov_b32_e32 v9, v11
	v_pk_add_f32 v[4:5], v[4:5], v[34:35]
	s_waitcnt vmcnt(1) lgkmcnt(0)
	v_pk_mul_f32 v[46:47], v[32:33], v[28:29] op_sel:[1,1] op_sel_hi:[0,1]
	v_mov_b32_e32 v37, v13
	v_pk_fma_f32 v[12:13], v[26:27], v[14:15], v[24:25] neg_lo:[0,0,1] neg_hi:[0,0,1]
	v_pk_fma_f32 v[14:15], v[26:27], v[14:15], v[24:25] op_sel_hi:[1,0,1]
	v_pk_add_f32 v[4:5], v[4:5], v[8:9]
	v_pk_fma_f32 v[38:39], v[32:33], v[28:29], v[46:47] neg_lo:[0,0,1] neg_hi:[0,0,1]
	v_pk_fma_f32 v[28:29], v[32:33], v[28:29], v[46:47] op_sel_hi:[1,0,1]
	v_mov_b32_e32 v13, v15
	v_pk_add_f32 v[4:5], v[4:5], v[36:37]
	v_mov_b32_e32 v39, v29
	v_pk_add_f32 v[4:5], v[4:5], v[12:13]
	s_nop 0
	v_pk_add_f32 v[4:5], v[4:5], v[38:39]
	s_waitcnt vmcnt(0)
	v_pk_add_f32 v[4:5], v[30:31], v[4:5] neg_lo:[0,1] neg_hi:[0,1]
	scratch_store_dwordx2 off, v[4:5], off offset:360
	s_and_saveexec_b64 s[0:1], vcc
	s_cbranch_execz .LBB52_243
; %bb.242:
	scratch_load_dwordx2 v[4:5], off, off offset:352
	v_mov_b32_e32 v3, v2
	scratch_store_dwordx2 off, v[2:3], off offset:352
	s_waitcnt vmcnt(1)
	ds_write_b64 v1, v[4:5]
.LBB52_243:
	s_or_b64 exec, exec, s[0:1]
	s_waitcnt lgkmcnt(0)
	; wave barrier
	scratch_load_dwordx4 v[4:7], off, off offset:360
	scratch_load_dwordx4 v[8:11], off, off offset:376
	;; [unrolled: 1-line block ×4, first 2 shown]
	scratch_load_dwordx2 v[36:37], off, off offset:352
	ds_read2_b64 v[20:23], v2 offset0:99 offset1:100
	ds_read2_b64 v[24:27], v2 offset0:101 offset1:102
	;; [unrolled: 1-line block ×4, first 2 shown]
	v_cmp_lt_u32_e32 vcc, 43, v0
	s_waitcnt vmcnt(4) lgkmcnt(3)
	v_pk_mul_f32 v[2:3], v[20:21], v[4:5] op_sel:[1,1] op_sel_hi:[0,1]
	v_mov_b32_e32 v38, v7
	s_waitcnt vmcnt(3) lgkmcnt(2)
	v_pk_mul_f32 v[40:41], v[24:25], v[8:9] op_sel:[1,1] op_sel_hi:[0,1]
	v_mov_b32_e32 v42, v11
	;; [unrolled: 3-line block ×4, first 2 shown]
	v_pk_fma_f32 v[52:53], v[20:21], v[4:5], v[2:3] neg_lo:[0,0,1] neg_hi:[0,0,1]
	v_pk_fma_f32 v[2:3], v[20:21], v[4:5], v[2:3] op_sel_hi:[1,0,1]
	v_pk_mul_f32 v[4:5], v[22:23], v[38:39] op_sel:[1,0] op_sel_hi:[0,0]
	v_pk_fma_f32 v[20:21], v[24:25], v[8:9], v[40:41] neg_lo:[0,0,1] neg_hi:[0,0,1]
	v_pk_fma_f32 v[8:9], v[24:25], v[8:9], v[40:41] op_sel_hi:[1,0,1]
	v_pk_mul_f32 v[24:25], v[26:27], v[42:43] op_sel:[1,0] op_sel_hi:[0,0]
	v_pk_fma_f32 v[38:39], v[28:29], v[12:13], v[44:45] neg_lo:[0,0,1] neg_hi:[0,0,1]
	v_pk_fma_f32 v[12:13], v[28:29], v[12:13], v[44:45] op_sel_hi:[1,0,1]
	v_pk_mul_f32 v[28:29], v[30:31], v[46:47] op_sel:[1,0] op_sel_hi:[0,0]
	v_pk_fma_f32 v[40:41], v[32:33], v[16:17], v[48:49] neg_lo:[0,0,1] neg_hi:[0,0,1]
	v_pk_fma_f32 v[16:17], v[32:33], v[16:17], v[48:49] op_sel_hi:[1,0,1]
	v_pk_mul_f32 v[32:33], v[34:35], v[50:51] op_sel:[1,0] op_sel_hi:[0,0]
	v_mov_b32_e32 v53, v3
	v_pk_fma_f32 v[2:3], v[22:23], v[6:7], v[4:5] neg_lo:[0,0,1] neg_hi:[0,0,1]
	v_pk_fma_f32 v[4:5], v[22:23], v[6:7], v[4:5] op_sel_hi:[1,0,1]
	v_mov_b32_e32 v21, v9
	v_pk_fma_f32 v[6:7], v[26:27], v[10:11], v[24:25] neg_lo:[0,0,1] neg_hi:[0,0,1]
	v_pk_fma_f32 v[8:9], v[26:27], v[10:11], v[24:25] op_sel_hi:[1,0,1]
	;; [unrolled: 3-line block ×4, first 2 shown]
	v_pk_add_f32 v[18:19], v[52:53], 0 op_sel_hi:[1,0]
	v_mov_b32_e32 v3, v5
	v_pk_add_f32 v[2:3], v[18:19], v[2:3]
	v_mov_b32_e32 v7, v9
	v_pk_add_f32 v[2:3], v[2:3], v[20:21]
	;; [unrolled: 2-line block ×4, first 2 shown]
	s_nop 0
	v_pk_add_f32 v[2:3], v[2:3], v[10:11]
	s_nop 0
	v_pk_add_f32 v[2:3], v[2:3], v[40:41]
	;; [unrolled: 2-line block ×3, first 2 shown]
	s_waitcnt vmcnt(0)
	v_pk_add_f32 v[2:3], v[36:37], v[2:3] neg_lo:[0,1] neg_hi:[0,1]
	scratch_store_dwordx2 off, v[2:3], off offset:352
	s_and_saveexec_b64 s[0:1], vcc
	s_cbranch_execz .LBB52_245
; %bb.244:
	scratch_load_dwordx2 v[2:3], off, off offset:344
	v_mov_b32_e32 v4, 0
	v_mov_b32_e32 v5, v4
	scratch_store_dwordx2 off, v[4:5], off offset:344
	s_waitcnt vmcnt(1)
	ds_write_b64 v1, v[2:3]
.LBB52_245:
	s_or_b64 exec, exec, s[0:1]
	s_waitcnt lgkmcnt(0)
	; wave barrier
	scratch_load_dwordx4 v[4:7], off, off offset:352
	scratch_load_dwordx4 v[8:11], off, off offset:368
	;; [unrolled: 1-line block ×4, first 2 shown]
	scratch_load_dwordx2 v[36:37], off, off offset:416
	scratch_load_dwordx2 v[38:39], off, off offset:344
	v_mov_b32_e32 v2, 0
	ds_read_b128 v[20:23], v2 offset:784
	ds_read_b128 v[24:27], v2 offset:800
	;; [unrolled: 1-line block ×4, first 2 shown]
	ds_read_b64 v[40:41], v2 offset:848
	v_cmp_lt_u32_e32 vcc, 42, v0
	s_waitcnt vmcnt(5) lgkmcnt(4)
	v_mul_f32_e32 v43, v20, v5
	v_mul_f32_e32 v3, v21, v5
	v_mov_b32_e32 v44, v7
	s_waitcnt vmcnt(4) lgkmcnt(3)
	v_pk_mul_f32 v[46:47], v[24:25], v[8:9] op_sel:[1,1] op_sel_hi:[0,1]
	v_mov_b32_e32 v48, v11
	s_waitcnt vmcnt(1) lgkmcnt(0)
	v_pk_mul_f32 v[58:59], v[40:41], v[36:37] op_sel:[1,1] op_sel_hi:[0,1]
	v_fmac_f32_e32 v43, v21, v4
	v_fma_f32 v42, v20, v4, -v3
	v_pk_mul_f32 v[4:5], v[22:23], v[44:45] op_sel:[1,0] op_sel_hi:[0,0]
	v_pk_fma_f32 v[20:21], v[24:25], v[8:9], v[46:47] neg_lo:[0,0,1] neg_hi:[0,0,1]
	v_pk_fma_f32 v[8:9], v[24:25], v[8:9], v[46:47] op_sel_hi:[1,0,1]
	v_pk_mul_f32 v[24:25], v[26:27], v[48:49] op_sel:[1,0] op_sel_hi:[0,0]
	v_pk_fma_f32 v[48:49], v[40:41], v[36:37], v[58:59] neg_lo:[0,0,1] neg_hi:[0,0,1]
	v_pk_fma_f32 v[36:37], v[40:41], v[36:37], v[58:59] op_sel_hi:[1,0,1]
	v_pk_add_f32 v[40:41], v[42:43], 0 op_sel_hi:[1,0]
	v_pk_fma_f32 v[42:43], v[22:23], v[6:7], v[4:5] neg_lo:[0,0,1] neg_hi:[0,0,1]
	v_pk_fma_f32 v[4:5], v[22:23], v[6:7], v[4:5] op_sel_hi:[1,0,1]
	v_pk_mul_f32 v[50:51], v[28:29], v[12:13] op_sel:[1,1] op_sel_hi:[0,1]
	v_mov_b32_e32 v43, v5
	v_mov_b32_e32 v52, v15
	;; [unrolled: 1-line block ×3, first 2 shown]
	v_pk_fma_f32 v[6:7], v[26:27], v[10:11], v[24:25] neg_lo:[0,0,1] neg_hi:[0,0,1]
	v_pk_fma_f32 v[8:9], v[26:27], v[10:11], v[24:25] op_sel_hi:[1,0,1]
	v_pk_add_f32 v[4:5], v[40:41], v[42:43]
	v_pk_fma_f32 v[44:45], v[28:29], v[12:13], v[50:51] neg_lo:[0,0,1] neg_hi:[0,0,1]
	v_pk_fma_f32 v[12:13], v[28:29], v[12:13], v[50:51] op_sel_hi:[1,0,1]
	v_pk_mul_f32 v[28:29], v[30:31], v[52:53] op_sel:[1,0] op_sel_hi:[0,0]
	v_mov_b32_e32 v7, v9
	v_pk_add_f32 v[4:5], v[4:5], v[20:21]
	v_pk_mul_f32 v[54:55], v[32:33], v[16:17] op_sel:[1,1] op_sel_hi:[0,1]
	v_mov_b32_e32 v56, v19
	v_mov_b32_e32 v45, v13
	v_pk_fma_f32 v[10:11], v[30:31], v[14:15], v[28:29] neg_lo:[0,0,1] neg_hi:[0,0,1]
	v_pk_fma_f32 v[12:13], v[30:31], v[14:15], v[28:29] op_sel_hi:[1,0,1]
	v_pk_add_f32 v[4:5], v[4:5], v[6:7]
	v_pk_fma_f32 v[46:47], v[32:33], v[16:17], v[54:55] neg_lo:[0,0,1] neg_hi:[0,0,1]
	v_pk_fma_f32 v[16:17], v[32:33], v[16:17], v[54:55] op_sel_hi:[1,0,1]
	v_pk_mul_f32 v[32:33], v[34:35], v[56:57] op_sel:[1,0] op_sel_hi:[0,0]
	v_mov_b32_e32 v11, v13
	v_pk_add_f32 v[4:5], v[4:5], v[44:45]
	v_mov_b32_e32 v47, v17
	v_pk_fma_f32 v[14:15], v[34:35], v[18:19], v[32:33] neg_lo:[0,0,1] neg_hi:[0,0,1]
	v_pk_fma_f32 v[16:17], v[34:35], v[18:19], v[32:33] op_sel_hi:[1,0,1]
	v_pk_add_f32 v[4:5], v[4:5], v[10:11]
	v_mov_b32_e32 v15, v17
	v_pk_add_f32 v[4:5], v[4:5], v[46:47]
	v_mov_b32_e32 v49, v37
	v_pk_add_f32 v[4:5], v[4:5], v[14:15]
	s_nop 0
	v_pk_add_f32 v[4:5], v[4:5], v[48:49]
	s_waitcnt vmcnt(0)
	v_pk_add_f32 v[4:5], v[38:39], v[4:5] neg_lo:[0,1] neg_hi:[0,1]
	scratch_store_dwordx2 off, v[4:5], off offset:344
	s_and_saveexec_b64 s[0:1], vcc
	s_cbranch_execz .LBB52_247
; %bb.246:
	scratch_load_dwordx2 v[4:5], off, off offset:336
	v_mov_b32_e32 v3, v2
	scratch_store_dwordx2 off, v[2:3], off offset:336
	s_waitcnt vmcnt(1)
	ds_write_b64 v1, v[4:5]
.LBB52_247:
	s_or_b64 exec, exec, s[0:1]
	s_waitcnt lgkmcnt(0)
	; wave barrier
	scratch_load_dwordx4 v[4:7], off, off offset:344
	scratch_load_dwordx4 v[8:11], off, off offset:360
	;; [unrolled: 1-line block ×5, first 2 shown]
	scratch_load_dwordx2 v[44:45], off, off offset:336
	ds_read2_b64 v[24:27], v2 offset0:97 offset1:98
	ds_read2_b64 v[28:31], v2 offset0:99 offset1:100
	;; [unrolled: 1-line block ×5, first 2 shown]
	v_cmp_lt_u32_e32 vcc, 41, v0
	s_waitcnt vmcnt(5) lgkmcnt(4)
	v_mul_f32_e32 v3, v24, v5
	v_mul_f32_e32 v2, v25, v5
	;; [unrolled: 1-line block ×4, first 2 shown]
	s_waitcnt vmcnt(4) lgkmcnt(3)
	v_pk_mul_f32 v[48:49], v[28:29], v[8:9] op_sel:[1,1] op_sel_hi:[0,1]
	v_mov_b32_e32 v50, v11
	v_fmac_f32_e32 v3, v25, v4
	v_fma_f32 v2, v24, v4, -v2
	v_fmac_f32_e32 v47, v27, v6
	v_fma_f32 v46, v26, v6, -v5
	v_pk_fma_f32 v[4:5], v[28:29], v[8:9], v[48:49] neg_lo:[0,0,1] neg_hi:[0,0,1]
	v_pk_fma_f32 v[6:7], v[28:29], v[8:9], v[48:49] op_sel_hi:[1,0,1]
	v_pk_mul_f32 v[8:9], v[30:31], v[50:51] op_sel:[1,0] op_sel_hi:[0,0]
	v_pk_add_f32 v[2:3], v[2:3], 0 op_sel_hi:[1,0]
	s_waitcnt vmcnt(3) lgkmcnt(2)
	v_pk_mul_f32 v[52:53], v[32:33], v[12:13] op_sel:[1,1] op_sel_hi:[0,1]
	v_mov_b32_e32 v54, v15
	v_mov_b32_e32 v5, v7
	v_pk_fma_f32 v[6:7], v[30:31], v[10:11], v[8:9] neg_lo:[0,0,1] neg_hi:[0,0,1]
	v_pk_fma_f32 v[8:9], v[30:31], v[10:11], v[8:9] op_sel_hi:[1,0,1]
	v_pk_add_f32 v[2:3], v[2:3], v[46:47]
	v_pk_fma_f32 v[24:25], v[32:33], v[12:13], v[52:53] neg_lo:[0,0,1] neg_hi:[0,0,1]
	v_pk_fma_f32 v[12:13], v[32:33], v[12:13], v[52:53] op_sel_hi:[1,0,1]
	v_pk_mul_f32 v[26:27], v[34:35], v[54:55] op_sel:[1,0] op_sel_hi:[0,0]
	v_mov_b32_e32 v7, v9
	v_pk_add_f32 v[2:3], v[2:3], v[4:5]
	s_waitcnt vmcnt(2) lgkmcnt(1)
	v_pk_mul_f32 v[56:57], v[36:37], v[16:17] op_sel:[1,1] op_sel_hi:[0,1]
	v_mov_b32_e32 v58, v19
	v_mov_b32_e32 v25, v13
	v_pk_fma_f32 v[10:11], v[34:35], v[14:15], v[26:27] neg_lo:[0,0,1] neg_hi:[0,0,1]
	v_pk_fma_f32 v[12:13], v[34:35], v[14:15], v[26:27] op_sel_hi:[1,0,1]
	v_pk_add_f32 v[2:3], v[2:3], v[6:7]
	v_pk_fma_f32 v[28:29], v[36:37], v[16:17], v[56:57] neg_lo:[0,0,1] neg_hi:[0,0,1]
	v_pk_fma_f32 v[16:17], v[36:37], v[16:17], v[56:57] op_sel_hi:[1,0,1]
	v_pk_mul_f32 v[32:33], v[38:39], v[58:59] op_sel:[1,0] op_sel_hi:[0,0]
	v_mov_b32_e32 v11, v13
	v_pk_add_f32 v[2:3], v[2:3], v[24:25]
	;; [unrolled: 12-line block ×3, first 2 shown]
	v_mov_b32_e32 v37, v21
	v_pk_fma_f32 v[18:19], v[42:43], v[22:23], v[40:41] neg_lo:[0,0,1] neg_hi:[0,0,1]
	v_pk_fma_f32 v[20:21], v[42:43], v[22:23], v[40:41] op_sel_hi:[1,0,1]
	v_pk_add_f32 v[2:3], v[2:3], v[14:15]
	v_mov_b32_e32 v19, v21
	v_pk_add_f32 v[2:3], v[2:3], v[36:37]
	s_nop 0
	v_pk_add_f32 v[2:3], v[2:3], v[18:19]
	s_waitcnt vmcnt(0)
	v_pk_add_f32 v[2:3], v[44:45], v[2:3] neg_lo:[0,1] neg_hi:[0,1]
	scratch_store_dwordx2 off, v[2:3], off offset:336
	s_and_saveexec_b64 s[0:1], vcc
	s_cbranch_execz .LBB52_249
; %bb.248:
	scratch_load_dwordx2 v[2:3], off, off offset:328
	v_mov_b32_e32 v4, 0
	v_mov_b32_e32 v5, v4
	scratch_store_dwordx2 off, v[4:5], off offset:328
	s_waitcnt vmcnt(1)
	ds_write_b64 v1, v[2:3]
.LBB52_249:
	s_or_b64 exec, exec, s[0:1]
	v_mov_b32_e32 v2, 0
	s_waitcnt lgkmcnt(0)
	; wave barrier
	ds_read_b128 v[4:7], v2 offset:768
	ds_read_b128 v[8:11], v2 offset:784
	;; [unrolled: 1-line block ×4, first 2 shown]
	scratch_load_dwordx4 v[20:23], off, off offset:336
	scratch_load_dwordx4 v[24:27], off, off offset:352
	;; [unrolled: 1-line block ×5, first 2 shown]
	scratch_load_dwordx2 v[46:47], off, off offset:416
	v_cmp_lt_u32_e32 vcc, 40, v0
	s_waitcnt vmcnt(5) lgkmcnt(3)
	v_mul_f32_e32 v3, v4, v21
	v_fmac_f32_e32 v3, v5, v20
	v_add_f32_e32 v41, 0, v3
	v_mul_f32_e32 v3, v5, v21
	v_fma_f32 v3, v4, v20, -v3
	v_mul_f32_e32 v43, v6, v23
	v_add_f32_e32 v40, 0, v3
	v_mul_f32_e32 v3, v7, v23
	v_fmac_f32_e32 v43, v7, v22
	v_fma_f32 v42, v6, v22, -v3
	s_waitcnt vmcnt(4)
	v_mov_b32_e32 v22, v27
	s_waitcnt lgkmcnt(2)
	v_mul_f32_e32 v45, v8, v25
	v_mul_f32_e32 v3, v9, v25
	v_pk_mul_f32 v[22:23], v[10:11], v[22:23] op_sel:[1,0] op_sel_hi:[0,0]
	v_fmac_f32_e32 v45, v9, v24
	v_fma_f32 v44, v8, v24, -v3
	v_pk_add_f32 v[20:21], v[40:41], v[42:43]
	v_pk_fma_f32 v[24:25], v[10:11], v[26:27], v[22:23] neg_lo:[0,0,1] neg_hi:[0,0,1]
	v_pk_fma_f32 v[10:11], v[10:11], v[26:27], v[22:23] op_sel_hi:[1,0,1]
	v_pk_add_f32 v[20:21], v[20:21], v[44:45]
	v_mov_b32_e32 v25, v11
	v_pk_add_f32 v[10:11], v[20:21], v[24:25]
	s_waitcnt vmcnt(3) lgkmcnt(1)
	v_pk_mul_f32 v[20:21], v[12:13], v[28:29] op_sel:[1,1] op_sel_hi:[0,1]
	v_pk_fma_f32 v[22:23], v[12:13], v[28:29], v[20:21] neg_lo:[0,0,1] neg_hi:[0,0,1]
	v_pk_fma_f32 v[12:13], v[12:13], v[28:29], v[20:21] op_sel_hi:[1,0,1]
	ds_read_b128 v[4:7], v2 offset:832
	ds_read_b64 v[8:9], v2 offset:848
	v_mov_b32_e32 v12, v31
	v_mov_b32_e32 v23, v13
	v_pk_mul_f32 v[12:13], v[14:15], v[12:13] op_sel:[1,0] op_sel_hi:[0,0]
	v_pk_fma_f32 v[20:21], v[14:15], v[30:31], v[12:13] neg_lo:[0,0,1] neg_hi:[0,0,1]
	v_pk_fma_f32 v[12:13], v[14:15], v[30:31], v[12:13] op_sel_hi:[1,0,1]
	v_pk_add_f32 v[10:11], v[10:11], v[22:23]
	v_mov_b32_e32 v21, v13
	s_waitcnt vmcnt(2) lgkmcnt(2)
	v_pk_mul_f32 v[12:13], v[16:17], v[32:33] op_sel:[1,1] op_sel_hi:[0,1]
	v_pk_fma_f32 v[14:15], v[16:17], v[32:33], v[12:13] neg_lo:[0,0,1] neg_hi:[0,0,1]
	v_pk_fma_f32 v[12:13], v[16:17], v[32:33], v[12:13] op_sel_hi:[1,0,1]
	v_pk_add_f32 v[10:11], v[10:11], v[20:21]
	v_mov_b32_e32 v12, v35
	v_mov_b32_e32 v15, v13
	v_pk_mul_f32 v[12:13], v[18:19], v[12:13] op_sel:[1,0] op_sel_hi:[0,0]
	v_pk_add_f32 v[10:11], v[10:11], v[14:15]
	v_pk_fma_f32 v[14:15], v[18:19], v[34:35], v[12:13] neg_lo:[0,0,1] neg_hi:[0,0,1]
	v_pk_fma_f32 v[12:13], v[18:19], v[34:35], v[12:13] op_sel_hi:[1,0,1]
	s_nop 0
	v_mov_b32_e32 v15, v13
	s_waitcnt vmcnt(1) lgkmcnt(1)
	v_pk_mul_f32 v[12:13], v[4:5], v[36:37] op_sel:[1,1] op_sel_hi:[0,1]
	v_pk_add_f32 v[10:11], v[10:11], v[14:15]
	v_pk_fma_f32 v[14:15], v[4:5], v[36:37], v[12:13] neg_lo:[0,0,1] neg_hi:[0,0,1]
	v_pk_fma_f32 v[4:5], v[4:5], v[36:37], v[12:13] op_sel_hi:[1,0,1]
	s_nop 0
	v_mov_b32_e32 v15, v5
	v_pk_add_f32 v[4:5], v[10:11], v[14:15]
	v_mov_b32_e32 v10, v39
	v_pk_mul_f32 v[10:11], v[6:7], v[10:11] op_sel:[1,0] op_sel_hi:[0,0]
	v_pk_fma_f32 v[12:13], v[6:7], v[38:39], v[10:11] neg_lo:[0,0,1] neg_hi:[0,0,1]
	v_pk_fma_f32 v[6:7], v[6:7], v[38:39], v[10:11] op_sel_hi:[1,0,1]
	s_nop 0
	v_mov_b32_e32 v13, v7
	s_waitcnt vmcnt(0) lgkmcnt(0)
	v_pk_mul_f32 v[6:7], v[8:9], v[46:47] op_sel:[1,1] op_sel_hi:[0,1]
	v_pk_fma_f32 v[10:11], v[8:9], v[46:47], v[6:7] neg_lo:[0,0,1] neg_hi:[0,0,1]
	v_pk_fma_f32 v[6:7], v[8:9], v[46:47], v[6:7] op_sel_hi:[1,0,1]
	v_pk_add_f32 v[4:5], v[4:5], v[12:13]
	v_mov_b32_e32 v11, v7
	scratch_load_dwordx2 v[6:7], off, off offset:328
	v_pk_add_f32 v[4:5], v[4:5], v[10:11]
	s_waitcnt vmcnt(0)
	v_pk_add_f32 v[4:5], v[6:7], v[4:5] neg_lo:[0,1] neg_hi:[0,1]
	scratch_store_dwordx2 off, v[4:5], off offset:328
	s_and_saveexec_b64 s[0:1], vcc
	s_cbranch_execz .LBB52_251
; %bb.250:
	scratch_load_dwordx2 v[4:5], off, off offset:320
	v_mov_b32_e32 v3, v2
	scratch_store_dwordx2 off, v[2:3], off offset:320
	s_waitcnt vmcnt(1)
	ds_write_b64 v1, v[4:5]
.LBB52_251:
	s_or_b64 exec, exec, s[0:1]
	s_waitcnt lgkmcnt(0)
	; wave barrier
	scratch_load_dwordx4 v[8:11], off, off offset:328
	scratch_load_dwordx4 v[16:19], off, off offset:344
	ds_read2_b64 v[4:7], v2 offset0:95 offset1:96
	v_cmp_lt_u32_e32 vcc, 39, v0
	s_waitcnt vmcnt(1) lgkmcnt(0)
	v_mul_f32_e32 v3, v4, v9
	v_fmac_f32_e32 v3, v5, v8
	v_mul_f32_e32 v12, v6, v11
	v_add_f32_e32 v3, 0, v3
	v_fmac_f32_e32 v12, v7, v10
	v_add_f32_e32 v37, v3, v12
	ds_read2_b64 v[12:15], v2 offset0:97 offset1:98
	scratch_load_dwordx4 v[20:23], off, off offset:360
	scratch_load_dwordx4 v[24:27], off, off offset:376
	;; [unrolled: 1-line block ×4, first 2 shown]
	v_mul_f32_e32 v3, v5, v9
	v_fma_f32 v3, v4, v8, -v3
	v_mul_f32_e32 v4, v7, v11
	v_add_f32_e32 v3, 0, v3
	v_fma_f32 v4, v6, v10, -v4
	v_add_f32_e32 v36, v3, v4
	s_waitcnt vmcnt(4) lgkmcnt(0)
	v_mul_f32_e32 v3, v13, v17
	v_mul_f32_e32 v39, v12, v17
	;; [unrolled: 1-line block ×3, first 2 shown]
	v_fma_f32 v38, v12, v16, -v3
	v_mul_f32_e32 v3, v15, v19
	v_fmac_f32_e32 v39, v13, v16
	v_fmac_f32_e32 v41, v15, v18
	v_fma_f32 v40, v14, v18, -v3
	ds_read2_b64 v[4:7], v2 offset0:99 offset1:100
	ds_read2_b64 v[8:11], v2 offset0:101 offset1:102
	;; [unrolled: 1-line block ×4, first 2 shown]
	v_pk_add_f32 v[2:3], v[36:37], v[38:39]
	s_waitcnt vmcnt(3) lgkmcnt(3)
	v_pk_mul_f32 v[36:37], v[4:5], v[20:21] op_sel:[1,1] op_sel_hi:[0,1]
	v_pk_fma_f32 v[38:39], v[4:5], v[20:21], v[36:37] neg_lo:[0,0,1] neg_hi:[0,0,1]
	v_pk_fma_f32 v[4:5], v[4:5], v[20:21], v[36:37] op_sel_hi:[1,0,1]
	v_pk_add_f32 v[2:3], v[2:3], v[40:41]
	v_mov_b32_e32 v4, v23
	v_mov_b32_e32 v39, v5
	v_pk_mul_f32 v[4:5], v[6:7], v[4:5] op_sel:[1,0] op_sel_hi:[0,0]
	v_pk_fma_f32 v[20:21], v[6:7], v[22:23], v[4:5] neg_lo:[0,0,1] neg_hi:[0,0,1]
	v_pk_fma_f32 v[4:5], v[6:7], v[22:23], v[4:5] op_sel_hi:[1,0,1]
	v_pk_add_f32 v[2:3], v[2:3], v[38:39]
	v_mov_b32_e32 v21, v5
	s_waitcnt vmcnt(2) lgkmcnt(2)
	v_pk_mul_f32 v[4:5], v[8:9], v[24:25] op_sel:[1,1] op_sel_hi:[0,1]
	v_pk_fma_f32 v[6:7], v[8:9], v[24:25], v[4:5] neg_lo:[0,0,1] neg_hi:[0,0,1]
	v_pk_fma_f32 v[4:5], v[8:9], v[24:25], v[4:5] op_sel_hi:[1,0,1]
	v_pk_add_f32 v[2:3], v[2:3], v[20:21]
	v_mov_b32_e32 v4, v27
	v_mov_b32_e32 v7, v5
	v_pk_mul_f32 v[4:5], v[10:11], v[4:5] op_sel:[1,0] op_sel_hi:[0,0]
	v_pk_add_f32 v[2:3], v[2:3], v[6:7]
	v_pk_fma_f32 v[6:7], v[10:11], v[26:27], v[4:5] neg_lo:[0,0,1] neg_hi:[0,0,1]
	v_pk_fma_f32 v[4:5], v[10:11], v[26:27], v[4:5] op_sel_hi:[1,0,1]
	s_nop 0
	v_mov_b32_e32 v7, v5
	s_waitcnt vmcnt(1) lgkmcnt(1)
	v_pk_mul_f32 v[4:5], v[12:13], v[28:29] op_sel:[1,1] op_sel_hi:[0,1]
	v_pk_add_f32 v[2:3], v[2:3], v[6:7]
	v_pk_fma_f32 v[6:7], v[12:13], v[28:29], v[4:5] neg_lo:[0,0,1] neg_hi:[0,0,1]
	v_pk_fma_f32 v[4:5], v[12:13], v[28:29], v[4:5] op_sel_hi:[1,0,1]
	s_nop 0
	v_mov_b32_e32 v4, v31
	v_mov_b32_e32 v7, v5
	v_pk_mul_f32 v[4:5], v[14:15], v[4:5] op_sel:[1,0] op_sel_hi:[0,0]
	v_pk_add_f32 v[2:3], v[2:3], v[6:7]
	v_pk_fma_f32 v[6:7], v[14:15], v[30:31], v[4:5] neg_lo:[0,0,1] neg_hi:[0,0,1]
	v_pk_fma_f32 v[4:5], v[14:15], v[30:31], v[4:5] op_sel_hi:[1,0,1]
	s_nop 0
	v_mov_b32_e32 v7, v5
	s_waitcnt vmcnt(0) lgkmcnt(0)
	v_pk_mul_f32 v[4:5], v[16:17], v[32:33] op_sel:[1,1] op_sel_hi:[0,1]
	v_pk_add_f32 v[2:3], v[2:3], v[6:7]
	v_pk_fma_f32 v[6:7], v[16:17], v[32:33], v[4:5] neg_lo:[0,0,1] neg_hi:[0,0,1]
	v_pk_fma_f32 v[4:5], v[16:17], v[32:33], v[4:5] op_sel_hi:[1,0,1]
	s_nop 0
	v_mov_b32_e32 v4, v35
	v_mov_b32_e32 v7, v5
	v_pk_mul_f32 v[4:5], v[18:19], v[4:5] op_sel:[1,0] op_sel_hi:[0,0]
	v_pk_add_f32 v[2:3], v[2:3], v[6:7]
	v_pk_fma_f32 v[6:7], v[18:19], v[34:35], v[4:5] neg_lo:[0,0,1] neg_hi:[0,0,1]
	v_pk_fma_f32 v[4:5], v[18:19], v[34:35], v[4:5] op_sel_hi:[1,0,1]
	s_nop 0
	v_mov_b32_e32 v7, v5
	scratch_load_dwordx2 v[4:5], off, off offset:320
	v_pk_add_f32 v[2:3], v[2:3], v[6:7]
	s_waitcnt vmcnt(0)
	v_pk_add_f32 v[2:3], v[4:5], v[2:3] neg_lo:[0,1] neg_hi:[0,1]
	scratch_store_dwordx2 off, v[2:3], off offset:320
	s_and_saveexec_b64 s[0:1], vcc
	s_cbranch_execz .LBB52_253
; %bb.252:
	scratch_load_dwordx2 v[2:3], off, off offset:312
	v_mov_b32_e32 v4, 0
	v_mov_b32_e32 v5, v4
	scratch_store_dwordx2 off, v[4:5], off offset:312
	s_waitcnt vmcnt(1)
	ds_write_b64 v1, v[2:3]
.LBB52_253:
	s_or_b64 exec, exec, s[0:1]
	v_mov_b32_e32 v2, 0
	s_waitcnt lgkmcnt(0)
	; wave barrier
	ds_read_b128 v[4:7], v2 offset:752
	ds_read_b128 v[8:11], v2 offset:768
	ds_read_b128 v[12:15], v2 offset:784
	ds_read_b128 v[16:19], v2 offset:800
	scratch_load_dwordx4 v[20:23], off, off offset:320
	v_cmp_lt_u32_e32 vcc, 38, v0
	s_waitcnt vmcnt(0) lgkmcnt(3)
	v_mul_f32_e32 v3, v4, v21
	v_fmac_f32_e32 v3, v5, v20
	v_mul_f32_e32 v24, v6, v23
	v_add_f32_e32 v3, 0, v3
	v_fmac_f32_e32 v24, v7, v22
	v_add_f32_e32 v3, v3, v24
	scratch_load_dwordx4 v[24:27], off, off offset:336
	s_waitcnt vmcnt(0) lgkmcnt(2)
	v_mul_f32_e32 v28, v8, v25
	v_fmac_f32_e32 v28, v9, v24
	v_add_f32_e32 v45, v3, v28
	scratch_load_dwordx4 v[28:31], off, off offset:352
	scratch_load_dwordx4 v[32:35], off, off offset:368
	;; [unrolled: 1-line block ×4, first 2 shown]
	scratch_load_dwordx2 v[50:51], off, off offset:416
	v_mul_f32_e32 v3, v5, v21
	v_fma_f32 v3, v4, v20, -v3
	v_mul_f32_e32 v4, v7, v23
	v_add_f32_e32 v3, 0, v3
	v_fma_f32 v4, v6, v22, -v4
	v_add_f32_e32 v3, v3, v4
	v_mul_f32_e32 v4, v9, v25
	v_fma_f32 v4, v8, v24, -v4
	v_mul_f32_e32 v47, v10, v27
	v_add_f32_e32 v44, v3, v4
	v_mul_f32_e32 v3, v11, v27
	v_fmac_f32_e32 v47, v11, v26
	v_fma_f32 v46, v10, v26, -v3
	v_pk_add_f32 v[20:21], v[44:45], v[46:47]
	s_waitcnt vmcnt(4)
	v_mov_b32_e32 v22, v31
	s_waitcnt lgkmcnt(1)
	v_mul_f32_e32 v49, v12, v29
	v_mul_f32_e32 v3, v13, v29
	v_pk_mul_f32 v[22:23], v[14:15], v[22:23] op_sel:[1,0] op_sel_hi:[0,0]
	v_fmac_f32_e32 v49, v13, v28
	v_fma_f32 v48, v12, v28, -v3
	v_pk_fma_f32 v[24:25], v[14:15], v[30:31], v[22:23] neg_lo:[0,0,1] neg_hi:[0,0,1]
	v_pk_fma_f32 v[14:15], v[14:15], v[30:31], v[22:23] op_sel_hi:[1,0,1]
	v_pk_add_f32 v[20:21], v[20:21], v[48:49]
	v_mov_b32_e32 v25, v15
	v_pk_add_f32 v[14:15], v[20:21], v[24:25]
	s_waitcnt vmcnt(3) lgkmcnt(0)
	v_pk_mul_f32 v[20:21], v[16:17], v[32:33] op_sel:[1,1] op_sel_hi:[0,1]
	v_pk_fma_f32 v[22:23], v[16:17], v[32:33], v[20:21] neg_lo:[0,0,1] neg_hi:[0,0,1]
	v_pk_fma_f32 v[16:17], v[16:17], v[32:33], v[20:21] op_sel_hi:[1,0,1]
	ds_read_b128 v[4:7], v2 offset:816
	ds_read_b128 v[8:11], v2 offset:832
	ds_read_b64 v[12:13], v2 offset:848
	v_mov_b32_e32 v16, v35
	v_mov_b32_e32 v23, v17
	v_pk_mul_f32 v[16:17], v[18:19], v[16:17] op_sel:[1,0] op_sel_hi:[0,0]
	v_pk_fma_f32 v[20:21], v[18:19], v[34:35], v[16:17] neg_lo:[0,0,1] neg_hi:[0,0,1]
	v_pk_fma_f32 v[16:17], v[18:19], v[34:35], v[16:17] op_sel_hi:[1,0,1]
	v_pk_add_f32 v[14:15], v[14:15], v[22:23]
	v_mov_b32_e32 v21, v17
	s_waitcnt vmcnt(2) lgkmcnt(2)
	v_pk_mul_f32 v[16:17], v[4:5], v[36:37] op_sel:[1,1] op_sel_hi:[0,1]
	v_pk_fma_f32 v[18:19], v[4:5], v[36:37], v[16:17] neg_lo:[0,0,1] neg_hi:[0,0,1]
	v_pk_fma_f32 v[4:5], v[4:5], v[36:37], v[16:17] op_sel_hi:[1,0,1]
	v_pk_add_f32 v[14:15], v[14:15], v[20:21]
	v_mov_b32_e32 v19, v5
	v_pk_add_f32 v[4:5], v[14:15], v[18:19]
	v_mov_b32_e32 v14, v39
	v_pk_mul_f32 v[14:15], v[6:7], v[14:15] op_sel:[1,0] op_sel_hi:[0,0]
	v_pk_fma_f32 v[16:17], v[6:7], v[38:39], v[14:15] neg_lo:[0,0,1] neg_hi:[0,0,1]
	v_pk_fma_f32 v[6:7], v[6:7], v[38:39], v[14:15] op_sel_hi:[1,0,1]
	s_nop 0
	v_mov_b32_e32 v17, v7
	s_waitcnt vmcnt(1) lgkmcnt(1)
	v_pk_mul_f32 v[6:7], v[8:9], v[40:41] op_sel:[1,1] op_sel_hi:[0,1]
	v_pk_fma_f32 v[14:15], v[8:9], v[40:41], v[6:7] neg_lo:[0,0,1] neg_hi:[0,0,1]
	v_pk_fma_f32 v[6:7], v[8:9], v[40:41], v[6:7] op_sel_hi:[1,0,1]
	v_pk_add_f32 v[4:5], v[4:5], v[16:17]
	v_mov_b32_e32 v6, v43
	v_mov_b32_e32 v15, v7
	v_pk_mul_f32 v[6:7], v[10:11], v[6:7] op_sel:[1,0] op_sel_hi:[0,0]
	v_pk_fma_f32 v[8:9], v[10:11], v[42:43], v[6:7] neg_lo:[0,0,1] neg_hi:[0,0,1]
	v_pk_fma_f32 v[6:7], v[10:11], v[42:43], v[6:7] op_sel_hi:[1,0,1]
	v_pk_add_f32 v[4:5], v[4:5], v[14:15]
	v_mov_b32_e32 v9, v7
	s_waitcnt vmcnt(0) lgkmcnt(0)
	v_pk_mul_f32 v[6:7], v[12:13], v[50:51] op_sel:[1,1] op_sel_hi:[0,1]
	v_pk_add_f32 v[4:5], v[4:5], v[8:9]
	v_pk_fma_f32 v[8:9], v[12:13], v[50:51], v[6:7] neg_lo:[0,0,1] neg_hi:[0,0,1]
	v_pk_fma_f32 v[6:7], v[12:13], v[50:51], v[6:7] op_sel_hi:[1,0,1]
	s_nop 0
	v_mov_b32_e32 v9, v7
	scratch_load_dwordx2 v[6:7], off, off offset:312
	v_pk_add_f32 v[4:5], v[4:5], v[8:9]
	s_waitcnt vmcnt(0)
	v_pk_add_f32 v[4:5], v[6:7], v[4:5] neg_lo:[0,1] neg_hi:[0,1]
	scratch_store_dwordx2 off, v[4:5], off offset:312
	s_and_saveexec_b64 s[0:1], vcc
	s_cbranch_execz .LBB52_255
; %bb.254:
	scratch_load_dwordx2 v[4:5], off, off offset:304
	v_mov_b32_e32 v3, v2
	scratch_store_dwordx2 off, v[2:3], off offset:304
	s_waitcnt vmcnt(1)
	ds_write_b64 v1, v[4:5]
.LBB52_255:
	s_or_b64 exec, exec, s[0:1]
	s_waitcnt lgkmcnt(0)
	; wave barrier
	scratch_load_dwordx4 v[8:11], off, off offset:312
	scratch_load_dwordx4 v[16:19], off, off offset:328
	ds_read2_b64 v[4:7], v2 offset0:93 offset1:94
	scratch_load_dwordx4 v[24:27], off, off offset:344
	v_cmp_lt_u32_e32 vcc, 37, v0
	s_waitcnt vmcnt(2) lgkmcnt(0)
	v_mul_f32_e32 v3, v4, v9
	v_fmac_f32_e32 v3, v5, v8
	v_mul_f32_e32 v12, v6, v11
	v_add_f32_e32 v3, 0, v3
	v_fmac_f32_e32 v12, v7, v10
	v_add_f32_e32 v3, v3, v12
	ds_read2_b64 v[12:15], v2 offset0:95 offset1:96
	s_waitcnt vmcnt(1) lgkmcnt(0)
	v_mul_f32_e32 v20, v12, v17
	v_fmac_f32_e32 v20, v13, v16
	v_add_f32_e32 v3, v3, v20
	v_mul_f32_e32 v20, v14, v19
	v_fmac_f32_e32 v20, v15, v18
	v_add_f32_e32 v45, v3, v20
	ds_read2_b64 v[20:23], v2 offset0:97 offset1:98
	scratch_load_dwordx4 v[28:31], off, off offset:360
	scratch_load_dwordx4 v[32:35], off, off offset:376
	;; [unrolled: 1-line block ×4, first 2 shown]
	v_mul_f32_e32 v3, v5, v9
	v_fma_f32 v3, v4, v8, -v3
	v_mul_f32_e32 v4, v7, v11
	v_add_f32_e32 v3, 0, v3
	v_fma_f32 v4, v6, v10, -v4
	v_add_f32_e32 v3, v3, v4
	v_mul_f32_e32 v4, v13, v17
	v_fma_f32 v4, v12, v16, -v4
	v_add_f32_e32 v3, v3, v4
	v_mul_f32_e32 v4, v15, v19
	v_fma_f32 v4, v14, v18, -v4
	v_add_f32_e32 v44, v3, v4
	ds_read2_b64 v[4:7], v2 offset0:99 offset1:100
	ds_read2_b64 v[8:11], v2 offset0:101 offset1:102
	;; [unrolled: 1-line block ×4, first 2 shown]
	s_waitcnt vmcnt(4) lgkmcnt(4)
	v_mul_f32_e32 v47, v20, v25
	v_mul_f32_e32 v3, v21, v25
	v_fmac_f32_e32 v47, v21, v24
	v_mul_f32_e32 v49, v22, v27
	v_fma_f32 v46, v20, v24, -v3
	v_mul_f32_e32 v3, v23, v27
	v_fmac_f32_e32 v49, v23, v26
	v_fma_f32 v48, v22, v26, -v3
	v_pk_add_f32 v[2:3], v[44:45], v[46:47]
	s_waitcnt vmcnt(3) lgkmcnt(3)
	v_pk_mul_f32 v[20:21], v[4:5], v[28:29] op_sel:[1,1] op_sel_hi:[0,1]
	v_pk_fma_f32 v[22:23], v[4:5], v[28:29], v[20:21] neg_lo:[0,0,1] neg_hi:[0,0,1]
	v_pk_fma_f32 v[4:5], v[4:5], v[28:29], v[20:21] op_sel_hi:[1,0,1]
	v_pk_add_f32 v[2:3], v[2:3], v[48:49]
	v_mov_b32_e32 v4, v31
	v_mov_b32_e32 v23, v5
	v_pk_mul_f32 v[4:5], v[6:7], v[4:5] op_sel:[1,0] op_sel_hi:[0,0]
	v_pk_fma_f32 v[20:21], v[6:7], v[30:31], v[4:5] neg_lo:[0,0,1] neg_hi:[0,0,1]
	v_pk_fma_f32 v[4:5], v[6:7], v[30:31], v[4:5] op_sel_hi:[1,0,1]
	v_pk_add_f32 v[2:3], v[2:3], v[22:23]
	v_mov_b32_e32 v21, v5
	s_waitcnt vmcnt(2) lgkmcnt(2)
	v_pk_mul_f32 v[4:5], v[8:9], v[32:33] op_sel:[1,1] op_sel_hi:[0,1]
	v_pk_fma_f32 v[6:7], v[8:9], v[32:33], v[4:5] neg_lo:[0,0,1] neg_hi:[0,0,1]
	v_pk_fma_f32 v[4:5], v[8:9], v[32:33], v[4:5] op_sel_hi:[1,0,1]
	v_pk_add_f32 v[2:3], v[2:3], v[20:21]
	v_mov_b32_e32 v4, v35
	v_mov_b32_e32 v7, v5
	v_pk_mul_f32 v[4:5], v[10:11], v[4:5] op_sel:[1,0] op_sel_hi:[0,0]
	v_pk_add_f32 v[2:3], v[2:3], v[6:7]
	v_pk_fma_f32 v[6:7], v[10:11], v[34:35], v[4:5] neg_lo:[0,0,1] neg_hi:[0,0,1]
	v_pk_fma_f32 v[4:5], v[10:11], v[34:35], v[4:5] op_sel_hi:[1,0,1]
	s_nop 0
	v_mov_b32_e32 v7, v5
	s_waitcnt vmcnt(1) lgkmcnt(1)
	v_pk_mul_f32 v[4:5], v[12:13], v[36:37] op_sel:[1,1] op_sel_hi:[0,1]
	v_pk_add_f32 v[2:3], v[2:3], v[6:7]
	v_pk_fma_f32 v[6:7], v[12:13], v[36:37], v[4:5] neg_lo:[0,0,1] neg_hi:[0,0,1]
	v_pk_fma_f32 v[4:5], v[12:13], v[36:37], v[4:5] op_sel_hi:[1,0,1]
	s_nop 0
	v_mov_b32_e32 v4, v39
	v_mov_b32_e32 v7, v5
	v_pk_mul_f32 v[4:5], v[14:15], v[4:5] op_sel:[1,0] op_sel_hi:[0,0]
	v_pk_add_f32 v[2:3], v[2:3], v[6:7]
	v_pk_fma_f32 v[6:7], v[14:15], v[38:39], v[4:5] neg_lo:[0,0,1] neg_hi:[0,0,1]
	v_pk_fma_f32 v[4:5], v[14:15], v[38:39], v[4:5] op_sel_hi:[1,0,1]
	s_nop 0
	v_mov_b32_e32 v7, v5
	s_waitcnt vmcnt(0) lgkmcnt(0)
	v_pk_mul_f32 v[4:5], v[16:17], v[40:41] op_sel:[1,1] op_sel_hi:[0,1]
	v_pk_add_f32 v[2:3], v[2:3], v[6:7]
	v_pk_fma_f32 v[6:7], v[16:17], v[40:41], v[4:5] neg_lo:[0,0,1] neg_hi:[0,0,1]
	v_pk_fma_f32 v[4:5], v[16:17], v[40:41], v[4:5] op_sel_hi:[1,0,1]
	s_nop 0
	v_mov_b32_e32 v4, v43
	v_mov_b32_e32 v7, v5
	v_pk_mul_f32 v[4:5], v[18:19], v[4:5] op_sel:[1,0] op_sel_hi:[0,0]
	v_pk_add_f32 v[2:3], v[2:3], v[6:7]
	v_pk_fma_f32 v[6:7], v[18:19], v[42:43], v[4:5] neg_lo:[0,0,1] neg_hi:[0,0,1]
	v_pk_fma_f32 v[4:5], v[18:19], v[42:43], v[4:5] op_sel_hi:[1,0,1]
	s_nop 0
	v_mov_b32_e32 v7, v5
	scratch_load_dwordx2 v[4:5], off, off offset:304
	v_pk_add_f32 v[2:3], v[2:3], v[6:7]
	s_waitcnt vmcnt(0)
	v_pk_add_f32 v[2:3], v[4:5], v[2:3] neg_lo:[0,1] neg_hi:[0,1]
	scratch_store_dwordx2 off, v[2:3], off offset:304
	s_and_saveexec_b64 s[0:1], vcc
	s_cbranch_execz .LBB52_257
; %bb.256:
	scratch_load_dwordx2 v[2:3], off, off offset:296
	v_mov_b32_e32 v4, 0
	v_mov_b32_e32 v5, v4
	scratch_store_dwordx2 off, v[4:5], off offset:296
	s_waitcnt vmcnt(1)
	ds_write_b64 v1, v[2:3]
.LBB52_257:
	s_or_b64 exec, exec, s[0:1]
	v_mov_b32_e32 v2, 0
	s_waitcnt lgkmcnt(0)
	; wave barrier
	ds_read_b128 v[4:7], v2 offset:736
	ds_read_b128 v[8:11], v2 offset:752
	;; [unrolled: 1-line block ×4, first 2 shown]
	scratch_load_dwordx4 v[20:23], off, off offset:304
	v_cmp_lt_u32_e32 vcc, 36, v0
	s_waitcnt vmcnt(0) lgkmcnt(3)
	v_mul_f32_e32 v3, v4, v21
	v_fmac_f32_e32 v3, v5, v20
	v_mul_f32_e32 v24, v6, v23
	v_add_f32_e32 v3, 0, v3
	v_fmac_f32_e32 v24, v7, v22
	v_add_f32_e32 v3, v3, v24
	scratch_load_dwordx4 v[24:27], off, off offset:320
	s_waitcnt vmcnt(0) lgkmcnt(2)
	v_mul_f32_e32 v28, v8, v25
	v_fmac_f32_e32 v28, v9, v24
	v_add_f32_e32 v3, v3, v28
	v_mul_f32_e32 v28, v10, v27
	v_fmac_f32_e32 v28, v11, v26
	v_add_f32_e32 v3, v3, v28
	scratch_load_dwordx4 v[28:31], off, off offset:336
	s_waitcnt vmcnt(0) lgkmcnt(1)
	v_mul_f32_e32 v32, v12, v29
	v_fmac_f32_e32 v32, v13, v28
	v_add_f32_e32 v49, v3, v32
	scratch_load_dwordx4 v[32:35], off, off offset:352
	scratch_load_dwordx4 v[36:39], off, off offset:368
	;; [unrolled: 1-line block ×4, first 2 shown]
	scratch_load_dwordx2 v[54:55], off, off offset:416
	v_mul_f32_e32 v3, v5, v21
	v_fma_f32 v3, v4, v20, -v3
	v_mul_f32_e32 v4, v7, v23
	v_add_f32_e32 v3, 0, v3
	v_fma_f32 v4, v6, v22, -v4
	v_add_f32_e32 v3, v3, v4
	v_mul_f32_e32 v4, v9, v25
	v_fma_f32 v4, v8, v24, -v4
	v_add_f32_e32 v3, v3, v4
	v_mul_f32_e32 v4, v11, v27
	;; [unrolled: 3-line block ×3, first 2 shown]
	v_fma_f32 v4, v12, v28, -v4
	v_mul_f32_e32 v51, v14, v31
	v_add_f32_e32 v48, v3, v4
	v_mul_f32_e32 v3, v15, v31
	v_fmac_f32_e32 v51, v15, v30
	v_fma_f32 v50, v14, v30, -v3
	v_pk_add_f32 v[20:21], v[48:49], v[50:51]
	s_waitcnt vmcnt(4)
	v_mov_b32_e32 v22, v35
	s_waitcnt lgkmcnt(0)
	v_mul_f32_e32 v53, v16, v33
	v_mul_f32_e32 v3, v17, v33
	v_pk_mul_f32 v[22:23], v[18:19], v[22:23] op_sel:[1,0] op_sel_hi:[0,0]
	v_fmac_f32_e32 v53, v17, v32
	v_fma_f32 v52, v16, v32, -v3
	ds_read_b128 v[4:7], v2 offset:800
	ds_read_b128 v[8:11], v2 offset:816
	;; [unrolled: 1-line block ×3, first 2 shown]
	ds_read_b64 v[16:17], v2 offset:848
	v_pk_fma_f32 v[24:25], v[18:19], v[34:35], v[22:23] neg_lo:[0,0,1] neg_hi:[0,0,1]
	v_pk_fma_f32 v[18:19], v[18:19], v[34:35], v[22:23] op_sel_hi:[1,0,1]
	v_pk_add_f32 v[20:21], v[20:21], v[52:53]
	v_mov_b32_e32 v25, v19
	v_pk_add_f32 v[18:19], v[20:21], v[24:25]
	s_waitcnt vmcnt(3) lgkmcnt(3)
	v_pk_mul_f32 v[20:21], v[4:5], v[36:37] op_sel:[1,1] op_sel_hi:[0,1]
	v_pk_fma_f32 v[22:23], v[4:5], v[36:37], v[20:21] neg_lo:[0,0,1] neg_hi:[0,0,1]
	v_pk_fma_f32 v[4:5], v[4:5], v[36:37], v[20:21] op_sel_hi:[1,0,1]
	s_nop 0
	v_mov_b32_e32 v23, v5
	v_pk_add_f32 v[4:5], v[18:19], v[22:23]
	v_mov_b32_e32 v18, v39
	v_pk_mul_f32 v[18:19], v[6:7], v[18:19] op_sel:[1,0] op_sel_hi:[0,0]
	v_pk_fma_f32 v[20:21], v[6:7], v[38:39], v[18:19] neg_lo:[0,0,1] neg_hi:[0,0,1]
	v_pk_fma_f32 v[6:7], v[6:7], v[38:39], v[18:19] op_sel_hi:[1,0,1]
	s_nop 0
	v_mov_b32_e32 v21, v7
	s_waitcnt vmcnt(2) lgkmcnt(2)
	v_pk_mul_f32 v[6:7], v[8:9], v[40:41] op_sel:[1,1] op_sel_hi:[0,1]
	v_pk_fma_f32 v[18:19], v[8:9], v[40:41], v[6:7] neg_lo:[0,0,1] neg_hi:[0,0,1]
	v_pk_fma_f32 v[6:7], v[8:9], v[40:41], v[6:7] op_sel_hi:[1,0,1]
	v_pk_add_f32 v[4:5], v[4:5], v[20:21]
	v_mov_b32_e32 v6, v43
	v_mov_b32_e32 v19, v7
	v_pk_mul_f32 v[6:7], v[10:11], v[6:7] op_sel:[1,0] op_sel_hi:[0,0]
	v_pk_fma_f32 v[8:9], v[10:11], v[42:43], v[6:7] neg_lo:[0,0,1] neg_hi:[0,0,1]
	v_pk_fma_f32 v[6:7], v[10:11], v[42:43], v[6:7] op_sel_hi:[1,0,1]
	v_pk_add_f32 v[4:5], v[4:5], v[18:19]
	v_mov_b32_e32 v9, v7
	s_waitcnt vmcnt(1) lgkmcnt(1)
	v_pk_mul_f32 v[6:7], v[12:13], v[44:45] op_sel:[1,1] op_sel_hi:[0,1]
	v_pk_add_f32 v[4:5], v[4:5], v[8:9]
	v_pk_fma_f32 v[8:9], v[12:13], v[44:45], v[6:7] neg_lo:[0,0,1] neg_hi:[0,0,1]
	v_pk_fma_f32 v[6:7], v[12:13], v[44:45], v[6:7] op_sel_hi:[1,0,1]
	s_nop 0
	v_mov_b32_e32 v6, v47
	v_mov_b32_e32 v9, v7
	v_pk_mul_f32 v[6:7], v[14:15], v[6:7] op_sel:[1,0] op_sel_hi:[0,0]
	v_pk_add_f32 v[4:5], v[4:5], v[8:9]
	v_pk_fma_f32 v[8:9], v[14:15], v[46:47], v[6:7] neg_lo:[0,0,1] neg_hi:[0,0,1]
	v_pk_fma_f32 v[6:7], v[14:15], v[46:47], v[6:7] op_sel_hi:[1,0,1]
	s_nop 0
	v_mov_b32_e32 v9, v7
	s_waitcnt vmcnt(0) lgkmcnt(0)
	v_pk_mul_f32 v[6:7], v[16:17], v[54:55] op_sel:[1,1] op_sel_hi:[0,1]
	v_pk_add_f32 v[4:5], v[4:5], v[8:9]
	v_pk_fma_f32 v[8:9], v[16:17], v[54:55], v[6:7] neg_lo:[0,0,1] neg_hi:[0,0,1]
	v_pk_fma_f32 v[6:7], v[16:17], v[54:55], v[6:7] op_sel_hi:[1,0,1]
	s_nop 0
	v_mov_b32_e32 v9, v7
	scratch_load_dwordx2 v[6:7], off, off offset:296
	v_pk_add_f32 v[4:5], v[4:5], v[8:9]
	s_waitcnt vmcnt(0)
	v_pk_add_f32 v[4:5], v[6:7], v[4:5] neg_lo:[0,1] neg_hi:[0,1]
	scratch_store_dwordx2 off, v[4:5], off offset:296
	s_and_saveexec_b64 s[0:1], vcc
	s_cbranch_execz .LBB52_259
; %bb.258:
	scratch_load_dwordx2 v[4:5], off, off offset:288
	v_mov_b32_e32 v3, v2
	scratch_store_dwordx2 off, v[2:3], off offset:288
	s_waitcnt vmcnt(1)
	ds_write_b64 v1, v[4:5]
.LBB52_259:
	s_or_b64 exec, exec, s[0:1]
	s_waitcnt lgkmcnt(0)
	; wave barrier
	scratch_load_dwordx4 v[8:11], off, off offset:296
	scratch_load_dwordx4 v[16:19], off, off offset:312
	scratch_load_dwordx4 v[24:27], off, off offset:328
	scratch_load_dwordx4 v[32:35], off, off offset:344
	ds_read2_b64 v[4:7], v2 offset0:91 offset1:92
	v_cmp_lt_u32_e32 vcc, 35, v0
	s_waitcnt vmcnt(3) lgkmcnt(0)
	v_mul_f32_e32 v3, v4, v9
	v_fmac_f32_e32 v3, v5, v8
	v_mul_f32_e32 v12, v6, v11
	v_add_f32_e32 v3, 0, v3
	v_fmac_f32_e32 v12, v7, v10
	v_add_f32_e32 v3, v3, v12
	ds_read2_b64 v[12:15], v2 offset0:93 offset1:94
	s_waitcnt vmcnt(2) lgkmcnt(0)
	v_mul_f32_e32 v20, v12, v17
	v_fmac_f32_e32 v20, v13, v16
	v_add_f32_e32 v3, v3, v20
	v_mul_f32_e32 v20, v14, v19
	v_fmac_f32_e32 v20, v15, v18
	v_add_f32_e32 v3, v3, v20
	ds_read2_b64 v[20:23], v2 offset0:95 offset1:96
	s_waitcnt vmcnt(1) lgkmcnt(0)
	v_mul_f32_e32 v28, v20, v25
	v_fmac_f32_e32 v28, v21, v24
	v_add_f32_e32 v3, v3, v28
	v_mul_f32_e32 v28, v22, v27
	v_fmac_f32_e32 v28, v23, v26
	v_add_f32_e32 v53, v3, v28
	ds_read2_b64 v[28:31], v2 offset0:97 offset1:98
	scratch_load_dwordx4 v[36:39], off, off offset:360
	scratch_load_dwordx4 v[40:43], off, off offset:376
	;; [unrolled: 1-line block ×4, first 2 shown]
	v_mul_f32_e32 v3, v5, v9
	v_fma_f32 v3, v4, v8, -v3
	v_mul_f32_e32 v4, v7, v11
	v_add_f32_e32 v3, 0, v3
	v_fma_f32 v4, v6, v10, -v4
	v_add_f32_e32 v3, v3, v4
	v_mul_f32_e32 v4, v13, v17
	v_fma_f32 v4, v12, v16, -v4
	v_add_f32_e32 v3, v3, v4
	v_mul_f32_e32 v4, v15, v19
	;; [unrolled: 3-line block ×4, first 2 shown]
	v_fma_f32 v4, v22, v26, -v4
	v_add_f32_e32 v52, v3, v4
	ds_read2_b64 v[4:7], v2 offset0:99 offset1:100
	ds_read2_b64 v[8:11], v2 offset0:101 offset1:102
	;; [unrolled: 1-line block ×4, first 2 shown]
	s_waitcnt vmcnt(4) lgkmcnt(4)
	v_mul_f32_e32 v55, v28, v33
	v_mul_f32_e32 v3, v29, v33
	v_fmac_f32_e32 v55, v29, v32
	v_mul_f32_e32 v57, v30, v35
	v_fma_f32 v54, v28, v32, -v3
	v_mul_f32_e32 v3, v31, v35
	v_fmac_f32_e32 v57, v31, v34
	v_fma_f32 v56, v30, v34, -v3
	v_pk_add_f32 v[2:3], v[52:53], v[54:55]
	s_waitcnt vmcnt(3) lgkmcnt(3)
	v_pk_mul_f32 v[20:21], v[4:5], v[36:37] op_sel:[1,1] op_sel_hi:[0,1]
	v_pk_fma_f32 v[22:23], v[4:5], v[36:37], v[20:21] neg_lo:[0,0,1] neg_hi:[0,0,1]
	v_pk_fma_f32 v[4:5], v[4:5], v[36:37], v[20:21] op_sel_hi:[1,0,1]
	v_pk_add_f32 v[2:3], v[2:3], v[56:57]
	v_mov_b32_e32 v4, v39
	v_mov_b32_e32 v23, v5
	v_pk_mul_f32 v[4:5], v[6:7], v[4:5] op_sel:[1,0] op_sel_hi:[0,0]
	v_pk_fma_f32 v[20:21], v[6:7], v[38:39], v[4:5] neg_lo:[0,0,1] neg_hi:[0,0,1]
	v_pk_fma_f32 v[4:5], v[6:7], v[38:39], v[4:5] op_sel_hi:[1,0,1]
	v_pk_add_f32 v[2:3], v[2:3], v[22:23]
	v_mov_b32_e32 v21, v5
	s_waitcnt vmcnt(2) lgkmcnt(2)
	v_pk_mul_f32 v[4:5], v[8:9], v[40:41] op_sel:[1,1] op_sel_hi:[0,1]
	v_pk_fma_f32 v[6:7], v[8:9], v[40:41], v[4:5] neg_lo:[0,0,1] neg_hi:[0,0,1]
	v_pk_fma_f32 v[4:5], v[8:9], v[40:41], v[4:5] op_sel_hi:[1,0,1]
	v_pk_add_f32 v[2:3], v[2:3], v[20:21]
	v_mov_b32_e32 v4, v43
	v_mov_b32_e32 v7, v5
	v_pk_mul_f32 v[4:5], v[10:11], v[4:5] op_sel:[1,0] op_sel_hi:[0,0]
	v_pk_add_f32 v[2:3], v[2:3], v[6:7]
	v_pk_fma_f32 v[6:7], v[10:11], v[42:43], v[4:5] neg_lo:[0,0,1] neg_hi:[0,0,1]
	v_pk_fma_f32 v[4:5], v[10:11], v[42:43], v[4:5] op_sel_hi:[1,0,1]
	s_nop 0
	v_mov_b32_e32 v7, v5
	s_waitcnt vmcnt(1) lgkmcnt(1)
	v_pk_mul_f32 v[4:5], v[12:13], v[44:45] op_sel:[1,1] op_sel_hi:[0,1]
	v_pk_add_f32 v[2:3], v[2:3], v[6:7]
	v_pk_fma_f32 v[6:7], v[12:13], v[44:45], v[4:5] neg_lo:[0,0,1] neg_hi:[0,0,1]
	v_pk_fma_f32 v[4:5], v[12:13], v[44:45], v[4:5] op_sel_hi:[1,0,1]
	s_nop 0
	v_mov_b32_e32 v4, v47
	v_mov_b32_e32 v7, v5
	v_pk_mul_f32 v[4:5], v[14:15], v[4:5] op_sel:[1,0] op_sel_hi:[0,0]
	v_pk_add_f32 v[2:3], v[2:3], v[6:7]
	v_pk_fma_f32 v[6:7], v[14:15], v[46:47], v[4:5] neg_lo:[0,0,1] neg_hi:[0,0,1]
	v_pk_fma_f32 v[4:5], v[14:15], v[46:47], v[4:5] op_sel_hi:[1,0,1]
	s_nop 0
	v_mov_b32_e32 v7, v5
	s_waitcnt vmcnt(0) lgkmcnt(0)
	v_pk_mul_f32 v[4:5], v[16:17], v[48:49] op_sel:[1,1] op_sel_hi:[0,1]
	v_pk_add_f32 v[2:3], v[2:3], v[6:7]
	v_pk_fma_f32 v[6:7], v[16:17], v[48:49], v[4:5] neg_lo:[0,0,1] neg_hi:[0,0,1]
	v_pk_fma_f32 v[4:5], v[16:17], v[48:49], v[4:5] op_sel_hi:[1,0,1]
	s_nop 0
	v_mov_b32_e32 v4, v51
	v_mov_b32_e32 v7, v5
	v_pk_mul_f32 v[4:5], v[18:19], v[4:5] op_sel:[1,0] op_sel_hi:[0,0]
	v_pk_add_f32 v[2:3], v[2:3], v[6:7]
	v_pk_fma_f32 v[6:7], v[18:19], v[50:51], v[4:5] neg_lo:[0,0,1] neg_hi:[0,0,1]
	v_pk_fma_f32 v[4:5], v[18:19], v[50:51], v[4:5] op_sel_hi:[1,0,1]
	s_nop 0
	v_mov_b32_e32 v7, v5
	scratch_load_dwordx2 v[4:5], off, off offset:288
	v_pk_add_f32 v[2:3], v[2:3], v[6:7]
	s_waitcnt vmcnt(0)
	v_pk_add_f32 v[2:3], v[4:5], v[2:3] neg_lo:[0,1] neg_hi:[0,1]
	scratch_store_dwordx2 off, v[2:3], off offset:288
	s_and_saveexec_b64 s[0:1], vcc
	s_cbranch_execz .LBB52_261
; %bb.260:
	scratch_load_dwordx2 v[2:3], off, off offset:280
	v_mov_b32_e32 v4, 0
	v_mov_b32_e32 v5, v4
	scratch_store_dwordx2 off, v[4:5], off offset:280
	s_waitcnt vmcnt(1)
	ds_write_b64 v1, v[2:3]
.LBB52_261:
	s_or_b64 exec, exec, s[0:1]
	v_mov_b32_e32 v2, 0
	s_waitcnt lgkmcnt(0)
	; wave barrier
	ds_read_b128 v[4:7], v2 offset:720
	ds_read_b128 v[8:11], v2 offset:736
	;; [unrolled: 1-line block ×4, first 2 shown]
	scratch_load_dwordx4 v[20:23], off, off offset:288
	scratch_load_dwordx4 v[40:43], off, off offset:352
	v_cmp_lt_u32_e32 vcc, 34, v0
	s_waitcnt vmcnt(1) lgkmcnt(3)
	v_mul_f32_e32 v3, v4, v21
	v_fmac_f32_e32 v3, v5, v20
	v_mul_f32_e32 v24, v6, v23
	v_add_f32_e32 v3, 0, v3
	v_fmac_f32_e32 v24, v7, v22
	v_add_f32_e32 v3, v3, v24
	scratch_load_dwordx4 v[24:27], off, off offset:304
	s_waitcnt vmcnt(0) lgkmcnt(2)
	v_mul_f32_e32 v28, v8, v25
	v_fmac_f32_e32 v28, v9, v24
	v_add_f32_e32 v3, v3, v28
	v_mul_f32_e32 v28, v10, v27
	v_fmac_f32_e32 v28, v11, v26
	v_add_f32_e32 v3, v3, v28
	scratch_load_dwordx4 v[28:31], off, off offset:320
	s_waitcnt vmcnt(0) lgkmcnt(1)
	v_mul_f32_e32 v32, v12, v29
	v_fmac_f32_e32 v32, v13, v28
	v_add_f32_e32 v3, v3, v32
	v_mul_f32_e32 v32, v14, v31
	v_fmac_f32_e32 v32, v15, v30
	v_add_f32_e32 v3, v3, v32
	scratch_load_dwordx4 v[32:35], off, off offset:336
	s_waitcnt vmcnt(0) lgkmcnt(0)
	v_mul_f32_e32 v36, v16, v33
	v_fmac_f32_e32 v36, v17, v32
	v_add_f32_e32 v57, v3, v36
	ds_read_b128 v[36:39], v2 offset:784
	scratch_load_dwordx4 v[44:47], off, off offset:368
	scratch_load_dwordx4 v[48:51], off, off offset:384
	;; [unrolled: 1-line block ×3, first 2 shown]
	scratch_load_dwordx2 v[62:63], off, off offset:416
	v_mul_f32_e32 v3, v5, v21
	v_fma_f32 v3, v4, v20, -v3
	v_mul_f32_e32 v4, v7, v23
	v_add_f32_e32 v3, 0, v3
	v_fma_f32 v4, v6, v22, -v4
	v_add_f32_e32 v3, v3, v4
	v_mul_f32_e32 v4, v9, v25
	v_fma_f32 v4, v8, v24, -v4
	v_add_f32_e32 v3, v3, v4
	v_mul_f32_e32 v4, v11, v27
	;; [unrolled: 3-line block ×5, first 2 shown]
	v_fma_f32 v4, v16, v32, -v4
	v_mul_f32_e32 v59, v18, v35
	v_add_f32_e32 v56, v3, v4
	v_mul_f32_e32 v3, v19, v35
	v_mov_b32_e32 v20, v43
	v_fmac_f32_e32 v59, v19, v34
	s_waitcnt lgkmcnt(0)
	v_mul_f32_e32 v61, v36, v41
	v_fma_f32 v58, v18, v34, -v3
	v_mul_f32_e32 v3, v37, v41
	ds_read_b128 v[4:7], v2 offset:800
	ds_read_b128 v[8:11], v2 offset:816
	;; [unrolled: 1-line block ×3, first 2 shown]
	ds_read_b64 v[16:17], v2 offset:848
	v_pk_mul_f32 v[20:21], v[38:39], v[20:21] op_sel:[1,0] op_sel_hi:[0,0]
	v_fmac_f32_e32 v61, v37, v40
	v_fma_f32 v60, v36, v40, -v3
	v_pk_add_f32 v[18:19], v[56:57], v[58:59]
	v_pk_fma_f32 v[22:23], v[38:39], v[42:43], v[20:21] neg_lo:[0,0,1] neg_hi:[0,0,1]
	v_pk_fma_f32 v[20:21], v[38:39], v[42:43], v[20:21] op_sel_hi:[1,0,1]
	v_pk_add_f32 v[18:19], v[18:19], v[60:61]
	v_mov_b32_e32 v23, v21
	v_pk_add_f32 v[18:19], v[18:19], v[22:23]
	s_waitcnt vmcnt(3) lgkmcnt(3)
	v_pk_mul_f32 v[20:21], v[4:5], v[44:45] op_sel:[1,1] op_sel_hi:[0,1]
	v_pk_fma_f32 v[22:23], v[4:5], v[44:45], v[20:21] neg_lo:[0,0,1] neg_hi:[0,0,1]
	v_pk_fma_f32 v[4:5], v[4:5], v[44:45], v[20:21] op_sel_hi:[1,0,1]
	s_nop 0
	v_mov_b32_e32 v23, v5
	v_pk_add_f32 v[4:5], v[18:19], v[22:23]
	v_mov_b32_e32 v18, v47
	v_pk_mul_f32 v[18:19], v[6:7], v[18:19] op_sel:[1,0] op_sel_hi:[0,0]
	v_pk_fma_f32 v[20:21], v[6:7], v[46:47], v[18:19] neg_lo:[0,0,1] neg_hi:[0,0,1]
	v_pk_fma_f32 v[6:7], v[6:7], v[46:47], v[18:19] op_sel_hi:[1,0,1]
	s_nop 0
	v_mov_b32_e32 v21, v7
	s_waitcnt vmcnt(2) lgkmcnt(2)
	v_pk_mul_f32 v[6:7], v[8:9], v[48:49] op_sel:[1,1] op_sel_hi:[0,1]
	v_pk_fma_f32 v[18:19], v[8:9], v[48:49], v[6:7] neg_lo:[0,0,1] neg_hi:[0,0,1]
	v_pk_fma_f32 v[6:7], v[8:9], v[48:49], v[6:7] op_sel_hi:[1,0,1]
	v_pk_add_f32 v[4:5], v[4:5], v[20:21]
	v_mov_b32_e32 v6, v51
	v_mov_b32_e32 v19, v7
	v_pk_mul_f32 v[6:7], v[10:11], v[6:7] op_sel:[1,0] op_sel_hi:[0,0]
	v_pk_fma_f32 v[8:9], v[10:11], v[50:51], v[6:7] neg_lo:[0,0,1] neg_hi:[0,0,1]
	v_pk_fma_f32 v[6:7], v[10:11], v[50:51], v[6:7] op_sel_hi:[1,0,1]
	v_pk_add_f32 v[4:5], v[4:5], v[18:19]
	v_mov_b32_e32 v9, v7
	s_waitcnt vmcnt(1) lgkmcnt(1)
	v_pk_mul_f32 v[6:7], v[12:13], v[52:53] op_sel:[1,1] op_sel_hi:[0,1]
	v_pk_add_f32 v[4:5], v[4:5], v[8:9]
	v_pk_fma_f32 v[8:9], v[12:13], v[52:53], v[6:7] neg_lo:[0,0,1] neg_hi:[0,0,1]
	v_pk_fma_f32 v[6:7], v[12:13], v[52:53], v[6:7] op_sel_hi:[1,0,1]
	s_nop 0
	v_mov_b32_e32 v6, v55
	v_mov_b32_e32 v9, v7
	v_pk_mul_f32 v[6:7], v[14:15], v[6:7] op_sel:[1,0] op_sel_hi:[0,0]
	v_pk_add_f32 v[4:5], v[4:5], v[8:9]
	v_pk_fma_f32 v[8:9], v[14:15], v[54:55], v[6:7] neg_lo:[0,0,1] neg_hi:[0,0,1]
	v_pk_fma_f32 v[6:7], v[14:15], v[54:55], v[6:7] op_sel_hi:[1,0,1]
	s_nop 0
	v_mov_b32_e32 v9, v7
	s_waitcnt vmcnt(0) lgkmcnt(0)
	v_pk_mul_f32 v[6:7], v[16:17], v[62:63] op_sel:[1,1] op_sel_hi:[0,1]
	v_pk_add_f32 v[4:5], v[4:5], v[8:9]
	v_pk_fma_f32 v[8:9], v[16:17], v[62:63], v[6:7] neg_lo:[0,0,1] neg_hi:[0,0,1]
	v_pk_fma_f32 v[6:7], v[16:17], v[62:63], v[6:7] op_sel_hi:[1,0,1]
	s_nop 0
	v_mov_b32_e32 v9, v7
	scratch_load_dwordx2 v[6:7], off, off offset:280
	v_pk_add_f32 v[4:5], v[4:5], v[8:9]
	s_waitcnt vmcnt(0)
	v_pk_add_f32 v[4:5], v[6:7], v[4:5] neg_lo:[0,1] neg_hi:[0,1]
	scratch_store_dwordx2 off, v[4:5], off offset:280
	s_and_saveexec_b64 s[0:1], vcc
	s_cbranch_execz .LBB52_263
; %bb.262:
	scratch_load_dwordx2 v[4:5], off, off offset:272
	v_mov_b32_e32 v3, v2
	scratch_store_dwordx2 off, v[2:3], off offset:272
	s_waitcnt vmcnt(1)
	ds_write_b64 v1, v[4:5]
.LBB52_263:
	s_or_b64 exec, exec, s[0:1]
	s_waitcnt lgkmcnt(0)
	; wave barrier
	scratch_load_dwordx4 v[4:7], off, off offset:280
	scratch_load_dwordx4 v[8:11], off, off offset:296
	;; [unrolled: 1-line block ×7, first 2 shown]
	ds_read2_b64 v[32:35], v2 offset0:89 offset1:90
	ds_read2_b64 v[36:39], v2 offset0:91 offset1:92
	;; [unrolled: 1-line block ×4, first 2 shown]
	scratch_load_dwordx4 v[48:51], off, off offset:392
	scratch_load_dwordx4 v[52:55], off, off offset:408
	ds_read2_b64 v[56:59], v2 offset0:97 offset1:98
	ds_read2_b64 v[60:63], v2 offset0:99 offset1:100
	;; [unrolled: 1-line block ×5, first 2 shown]
	scratch_load_dwordx2 v[2:3], off, off offset:272
	v_cmp_lt_u32_e32 vcc, 33, v0
	s_waitcnt vmcnt(9) lgkmcnt(8)
	v_mul_f32_e32 v83, v32, v5
	v_mul_f32_e32 v86, v34, v7
	s_waitcnt vmcnt(8) lgkmcnt(7)
	v_mul_f32_e32 v87, v36, v9
	s_waitcnt vmcnt(7) lgkmcnt(6)
	v_mul_f32_e32 v89, v40, v13
	v_mul_f32_e32 v5, v33, v5
	;; [unrolled: 1-line block ×5, first 2 shown]
	s_waitcnt vmcnt(4) lgkmcnt(3)
	v_pk_mul_f32 v[80:81], v[60:61], v[24:25] op_sel:[1,1] op_sel_hi:[0,1]
	v_mov_b32_e32 v82, v27
	s_waitcnt vmcnt(3) lgkmcnt(2)
	v_pk_mul_f32 v[84:85], v[64:65], v[28:29] op_sel:[1,1] op_sel_hi:[0,1]
	v_fmac_f32_e32 v83, v33, v4
	v_mul_f32_e32 v90, v42, v15
	v_mul_f32_e32 v91, v44, v17
	;; [unrolled: 1-line block ×4, first 2 shown]
	v_fmac_f32_e32 v86, v35, v6
	v_fmac_f32_e32 v87, v37, v8
	;; [unrolled: 1-line block ×3, first 2 shown]
	v_fma_f32 v32, v32, v4, -v5
	v_fma_f32 v33, v34, v6, -v7
	;; [unrolled: 1-line block ×4, first 2 shown]
	v_pk_fma_f32 v[4:5], v[60:61], v[24:25], v[80:81] neg_lo:[0,0,1] neg_hi:[0,0,1]
	v_pk_fma_f32 v[6:7], v[60:61], v[24:25], v[80:81] op_sel_hi:[1,0,1]
	v_pk_mul_f32 v[8:9], v[62:63], v[82:83] op_sel:[1,0] op_sel_hi:[0,0]
	v_pk_fma_f32 v[12:13], v[64:65], v[28:29], v[84:85] op_sel_hi:[1,0,1]
	v_fmac_f32_e32 v90, v43, v14
	v_fma_f32 v14, v42, v14, -v15
	v_fma_f32 v15, v44, v16, -v17
	v_add_f32_e32 v12, 0, v83
	v_add_f32_e32 v17, 0, v32
	v_mov_b32_e32 v5, v7
	v_pk_fma_f32 v[6:7], v[62:63], v[26:27], v[8:9] neg_lo:[0,0,1] neg_hi:[0,0,1]
	v_pk_fma_f32 v[8:9], v[62:63], v[26:27], v[8:9] op_sel_hi:[1,0,1]
	v_mul_f32_e32 v88, v38, v11
	v_mul_f32_e32 v11, v39, v11
	v_add_f32_e32 v8, v12, v86
	v_add_f32_e32 v12, v17, v33
	v_fmac_f32_e32 v88, v39, v10
	v_fma_f32 v35, v38, v10, -v11
	v_mov_b32_e32 v7, v9
	v_add_f32_e32 v8, v8, v87
	v_add_f32_e32 v9, v12, v34
	;; [unrolled: 1-line block ×6, first 2 shown]
	v_mul_f32_e32 v92, v46, v19
	v_mul_f32_e32 v19, v47, v19
	v_fmac_f32_e32 v91, v45, v16
	v_add_f32_e32 v8, v8, v90
	v_add_f32_e32 v9, v9, v14
	v_mul_f32_e32 v77, v56, v21
	v_mul_f32_e32 v21, v57, v21
	v_fmac_f32_e32 v92, v47, v18
	v_fma_f32 v16, v46, v18, -v19
	v_add_f32_e32 v8, v8, v91
	v_add_f32_e32 v12, v9, v15
	v_mul_f32_e32 v79, v58, v23
	v_mul_f32_e32 v23, v59, v23
	v_fmac_f32_e32 v77, v57, v20
	v_fma_f32 v76, v56, v20, -v21
	v_add_f32_e32 v9, v8, v92
	v_add_f32_e32 v8, v12, v16
	v_fmac_f32_e32 v79, v59, v22
	v_fma_f32 v78, v58, v22, -v23
	v_pk_add_f32 v[8:9], v[8:9], v[76:77]
	v_pk_fma_f32 v[10:11], v[64:65], v[28:29], v[84:85] neg_lo:[0,0,1] neg_hi:[0,0,1]
	v_pk_add_f32 v[8:9], v[8:9], v[78:79]
	v_mov_b32_e32 v11, v13
	v_pk_add_f32 v[4:5], v[8:9], v[4:5]
	s_nop 0
	v_pk_add_f32 v[4:5], v[4:5], v[6:7]
	v_mov_b32_e32 v6, v31
	v_pk_mul_f32 v[6:7], v[66:67], v[6:7] op_sel:[1,0] op_sel_hi:[0,0]
	v_pk_fma_f32 v[8:9], v[66:67], v[30:31], v[6:7] neg_lo:[0,0,1] neg_hi:[0,0,1]
	v_pk_fma_f32 v[6:7], v[66:67], v[30:31], v[6:7] op_sel_hi:[1,0,1]
	v_pk_add_f32 v[4:5], v[4:5], v[10:11]
	v_mov_b32_e32 v9, v7
	s_waitcnt vmcnt(2) lgkmcnt(1)
	v_pk_mul_f32 v[6:7], v[68:69], v[48:49] op_sel:[1,1] op_sel_hi:[0,1]
	v_pk_add_f32 v[4:5], v[4:5], v[8:9]
	v_pk_fma_f32 v[8:9], v[68:69], v[48:49], v[6:7] neg_lo:[0,0,1] neg_hi:[0,0,1]
	v_pk_fma_f32 v[6:7], v[68:69], v[48:49], v[6:7] op_sel_hi:[1,0,1]
	s_nop 0
	v_mov_b32_e32 v6, v51
	v_mov_b32_e32 v9, v7
	v_pk_mul_f32 v[6:7], v[70:71], v[6:7] op_sel:[1,0] op_sel_hi:[0,0]
	v_pk_add_f32 v[4:5], v[4:5], v[8:9]
	v_pk_fma_f32 v[8:9], v[70:71], v[50:51], v[6:7] neg_lo:[0,0,1] neg_hi:[0,0,1]
	v_pk_fma_f32 v[6:7], v[70:71], v[50:51], v[6:7] op_sel_hi:[1,0,1]
	s_nop 0
	v_mov_b32_e32 v9, v7
	s_waitcnt vmcnt(1) lgkmcnt(0)
	v_pk_mul_f32 v[6:7], v[72:73], v[52:53] op_sel:[1,1] op_sel_hi:[0,1]
	v_pk_add_f32 v[4:5], v[4:5], v[8:9]
	v_pk_fma_f32 v[8:9], v[72:73], v[52:53], v[6:7] neg_lo:[0,0,1] neg_hi:[0,0,1]
	v_pk_fma_f32 v[6:7], v[72:73], v[52:53], v[6:7] op_sel_hi:[1,0,1]
	s_nop 0
	v_mov_b32_e32 v6, v55
	v_mov_b32_e32 v9, v7
	v_pk_mul_f32 v[6:7], v[74:75], v[6:7] op_sel:[1,0] op_sel_hi:[0,0]
	v_pk_add_f32 v[4:5], v[4:5], v[8:9]
	v_pk_fma_f32 v[8:9], v[74:75], v[54:55], v[6:7] neg_lo:[0,0,1] neg_hi:[0,0,1]
	v_pk_fma_f32 v[6:7], v[74:75], v[54:55], v[6:7] op_sel_hi:[1,0,1]
	s_nop 0
	v_mov_b32_e32 v9, v7
	v_pk_add_f32 v[4:5], v[4:5], v[8:9]
	s_waitcnt vmcnt(0)
	v_pk_add_f32 v[2:3], v[2:3], v[4:5] neg_lo:[0,1] neg_hi:[0,1]
	scratch_store_dwordx2 off, v[2:3], off offset:272
	s_and_saveexec_b64 s[0:1], vcc
	s_cbranch_execz .LBB52_265
; %bb.264:
	scratch_load_dwordx2 v[2:3], off, off offset:264
	v_mov_b32_e32 v4, 0
	v_mov_b32_e32 v5, v4
	scratch_store_dwordx2 off, v[4:5], off offset:264
	s_waitcnt vmcnt(1)
	ds_write_b64 v1, v[2:3]
.LBB52_265:
	s_or_b64 exec, exec, s[0:1]
	s_waitcnt lgkmcnt(0)
	; wave barrier
	scratch_load_dwordx4 v[4:7], off, off offset:272
	scratch_load_dwordx4 v[8:11], off, off offset:288
	;; [unrolled: 1-line block ×9, first 2 shown]
	scratch_load_dwordx2 v[76:77], off, off offset:416
	scratch_load_dwordx2 v[78:79], off, off offset:264
	v_mov_b32_e32 v2, 0
	ds_read_b128 v[40:43], v2 offset:704
	ds_read_b128 v[44:47], v2 offset:720
	;; [unrolled: 1-line block ×9, first 2 shown]
	ds_read_b64 v[80:81], v2 offset:848
	v_cmp_lt_u32_e32 vcc, 32, v0
	s_waitcnt vmcnt(10) lgkmcnt(9)
	v_mul_f32_e32 v87, v42, v7
	v_mul_f32_e32 v3, v40, v5
	;; [unrolled: 1-line block ×3, first 2 shown]
	v_fmac_f32_e32 v87, v43, v6
	s_waitcnt vmcnt(9) lgkmcnt(8)
	v_mul_f32_e32 v88, v44, v9
	s_waitcnt vmcnt(5)
	v_mov_b32_e32 v86, v27
	v_mul_f32_e32 v89, v46, v11
	s_waitcnt lgkmcnt(7)
	v_mul_f32_e32 v91, v50, v15
	v_mul_f32_e32 v7, v43, v7
	;; [unrolled: 1-line block ×5, first 2 shown]
	v_fmac_f32_e32 v3, v41, v4
	v_fma_f32 v40, v40, v4, -v5
	s_waitcnt lgkmcnt(4)
	v_pk_mul_f32 v[4:5], v[62:63], v[86:87] op_sel:[1,0] op_sel_hi:[0,0]
	v_fmac_f32_e32 v88, v45, v8
	v_fma_f32 v41, v42, v6, -v7
	v_fma_f32 v8, v44, v8, -v9
	;; [unrolled: 1-line block ×4, first 2 shown]
	v_add_f32_e32 v3, 0, v3
	v_add_f32_e32 v15, 0, v40
	v_pk_fma_f32 v[6:7], v[62:63], v[26:27], v[4:5] neg_lo:[0,0,1] neg_hi:[0,0,1]
	v_pk_fma_f32 v[4:5], v[62:63], v[26:27], v[4:5] op_sel_hi:[1,0,1]
	v_add_f32_e32 v3, v3, v87
	v_add_f32_e32 v4, v15, v41
	v_mul_f32_e32 v90, v48, v13
	v_mul_f32_e32 v13, v49, v13
	v_fmac_f32_e32 v89, v47, v10
	v_add_f32_e32 v3, v3, v88
	v_add_f32_e32 v4, v4, v8
	v_fmac_f32_e32 v90, v49, v12
	v_fma_f32 v10, v48, v12, -v13
	v_add_f32_e32 v3, v3, v89
	v_add_f32_e32 v4, v4, v9
	v_mul_f32_e32 v92, v52, v17
	v_mul_f32_e32 v17, v53, v17
	v_fmac_f32_e32 v91, v51, v14
	v_add_f32_e32 v3, v3, v90
	v_add_f32_e32 v4, v4, v10
	v_mul_f32_e32 v93, v54, v19
	v_mul_f32_e32 v19, v55, v19
	v_fmac_f32_e32 v92, v53, v16
	v_fma_f32 v12, v52, v16, -v17
	v_add_f32_e32 v3, v3, v91
	v_add_f32_e32 v4, v4, v11
	v_mul_f32_e32 v94, v56, v21
	v_mul_f32_e32 v21, v57, v21
	v_fmac_f32_e32 v93, v55, v18
	v_fma_f32 v13, v54, v18, -v19
	;; [unrolled: 6-line block ×4, first 2 shown]
	v_mov_b32_e32 v7, v5
	v_add_f32_e32 v5, v3, v94
	v_add_f32_e32 v4, v4, v14
	v_fmac_f32_e32 v85, v61, v24
	v_fma_f32 v84, v60, v24, -v25
	v_pk_add_f32 v[4:5], v[4:5], v[82:83]
	s_nop 0
	v_pk_add_f32 v[4:5], v[4:5], v[84:85]
	s_nop 0
	v_pk_add_f32 v[4:5], v[4:5], v[6:7]
	s_waitcnt vmcnt(4) lgkmcnt(3)
	v_pk_mul_f32 v[6:7], v[64:65], v[28:29] op_sel:[1,1] op_sel_hi:[0,1]
	v_pk_fma_f32 v[8:9], v[64:65], v[28:29], v[6:7] neg_lo:[0,0,1] neg_hi:[0,0,1]
	v_pk_fma_f32 v[6:7], v[64:65], v[28:29], v[6:7] op_sel_hi:[1,0,1]
	s_nop 0
	v_mov_b32_e32 v6, v31
	v_mov_b32_e32 v9, v7
	v_pk_mul_f32 v[6:7], v[66:67], v[6:7] op_sel:[1,0] op_sel_hi:[0,0]
	v_pk_add_f32 v[4:5], v[4:5], v[8:9]
	v_pk_fma_f32 v[8:9], v[66:67], v[30:31], v[6:7] neg_lo:[0,0,1] neg_hi:[0,0,1]
	v_pk_fma_f32 v[6:7], v[66:67], v[30:31], v[6:7] op_sel_hi:[1,0,1]
	s_nop 0
	v_mov_b32_e32 v9, v7
	s_waitcnt vmcnt(3) lgkmcnt(2)
	v_pk_mul_f32 v[6:7], v[68:69], v[32:33] op_sel:[1,1] op_sel_hi:[0,1]
	v_pk_add_f32 v[4:5], v[4:5], v[8:9]
	v_pk_fma_f32 v[8:9], v[68:69], v[32:33], v[6:7] neg_lo:[0,0,1] neg_hi:[0,0,1]
	v_pk_fma_f32 v[6:7], v[68:69], v[32:33], v[6:7] op_sel_hi:[1,0,1]
	s_nop 0
	v_mov_b32_e32 v6, v35
	v_mov_b32_e32 v9, v7
	v_pk_mul_f32 v[6:7], v[70:71], v[6:7] op_sel:[1,0] op_sel_hi:[0,0]
	v_pk_add_f32 v[4:5], v[4:5], v[8:9]
	v_pk_fma_f32 v[8:9], v[70:71], v[34:35], v[6:7] neg_lo:[0,0,1] neg_hi:[0,0,1]
	v_pk_fma_f32 v[6:7], v[70:71], v[34:35], v[6:7] op_sel_hi:[1,0,1]
	s_nop 0
	v_mov_b32_e32 v9, v7
	s_waitcnt vmcnt(2) lgkmcnt(1)
	v_pk_mul_f32 v[6:7], v[72:73], v[36:37] op_sel:[1,1] op_sel_hi:[0,1]
	v_pk_add_f32 v[4:5], v[4:5], v[8:9]
	;; [unrolled: 14-line block ×3, first 2 shown]
	v_pk_fma_f32 v[8:9], v[80:81], v[76:77], v[6:7] neg_lo:[0,0,1] neg_hi:[0,0,1]
	v_pk_fma_f32 v[6:7], v[80:81], v[76:77], v[6:7] op_sel_hi:[1,0,1]
	s_nop 0
	v_mov_b32_e32 v9, v7
	v_pk_add_f32 v[4:5], v[4:5], v[8:9]
	s_waitcnt vmcnt(0)
	v_pk_add_f32 v[4:5], v[78:79], v[4:5] neg_lo:[0,1] neg_hi:[0,1]
	scratch_store_dwordx2 off, v[4:5], off offset:264
	s_and_saveexec_b64 s[0:1], vcc
	s_cbranch_execz .LBB52_267
; %bb.266:
	scratch_load_dwordx2 v[4:5], off, off offset:256
	v_mov_b32_e32 v3, v2
	scratch_store_dwordx2 off, v[2:3], off offset:256
	s_waitcnt vmcnt(1)
	ds_write_b64 v1, v[4:5]
.LBB52_267:
	s_or_b64 exec, exec, s[0:1]
	s_waitcnt lgkmcnt(0)
	; wave barrier
	scratch_load_dwordx4 v[4:7], off, off offset:264
	scratch_load_dwordx4 v[8:11], off, off offset:280
	;; [unrolled: 1-line block ×7, first 2 shown]
	ds_read2_b64 v[32:35], v2 offset0:87 offset1:88
	ds_read2_b64 v[36:39], v2 offset0:89 offset1:90
	ds_read2_b64 v[40:43], v2 offset0:91 offset1:92
	ds_read2_b64 v[44:47], v2 offset0:93 offset1:94
	ds_read2_b64 v[48:51], v2 offset0:95 offset1:96
	ds_read2_b64 v[52:55], v2 offset0:97 offset1:98
	scratch_load_dwordx4 v[56:59], off, off offset:376
	scratch_load_dwordx4 v[60:63], off, off offset:392
	;; [unrolled: 1-line block ×3, first 2 shown]
	ds_read2_b64 v[68:71], v2 offset0:99 offset1:100
	ds_read2_b64 v[72:75], v2 offset0:101 offset1:102
	ds_read2_b64 v[76:79], v2 offset0:103 offset1:104
	ds_read2_b64 v[80:83], v2 offset0:105 offset1:106
	scratch_load_dwordx2 v[2:3], off, off offset:256
	v_cmp_lt_u32_e32 vcc, 31, v0
	s_waitcnt vmcnt(10) lgkmcnt(9)
	v_mul_f32_e32 v90, v32, v5
	v_mul_f32_e32 v5, v33, v5
	;; [unrolled: 1-line block ×3, first 2 shown]
	s_waitcnt vmcnt(9) lgkmcnt(8)
	v_mul_f32_e32 v92, v36, v9
	s_waitcnt vmcnt(8) lgkmcnt(7)
	v_mul_f32_e32 v95, v42, v15
	v_mul_f32_e32 v7, v35, v7
	;; [unrolled: 1-line block ×4, first 2 shown]
	v_fmac_f32_e32 v90, v33, v4
	v_fma_f32 v4, v32, v4, -v5
	v_fmac_f32_e32 v91, v35, v6
	v_fmac_f32_e32 v95, v43, v14
	v_fma_f32 v5, v34, v6, -v7
	v_fma_f32 v6, v36, v8, -v9
	;; [unrolled: 1-line block ×3, first 2 shown]
	v_add_f32_e32 v14, 0, v90
	v_add_f32_e32 v4, 0, v4
	v_mul_f32_e32 v93, v38, v11
	v_mul_f32_e32 v11, v39, v11
	v_fmac_f32_e32 v92, v37, v8
	v_add_f32_e32 v14, v14, v91
	v_add_f32_e32 v4, v4, v5
	v_mul_f32_e32 v94, v40, v13
	v_mul_f32_e32 v13, v41, v13
	v_fmac_f32_e32 v93, v39, v10
	v_fma_f32 v7, v38, v10, -v11
	v_add_f32_e32 v5, v14, v92
	v_add_f32_e32 v4, v4, v6
	v_fmac_f32_e32 v94, v41, v12
	v_fma_f32 v8, v40, v12, -v13
	v_add_f32_e32 v5, v5, v93
	v_add_f32_e32 v4, v4, v7
	s_waitcnt vmcnt(7) lgkmcnt(6)
	v_mul_f32_e32 v96, v44, v17
	v_mul_f32_e32 v17, v45, v17
	v_add_f32_e32 v5, v5, v94
	v_add_f32_e32 v4, v4, v8
	v_mul_f32_e32 v97, v46, v19
	v_mul_f32_e32 v19, v47, v19
	v_fmac_f32_e32 v96, v45, v16
	v_fma_f32 v10, v44, v16, -v17
	v_add_f32_e32 v5, v5, v95
	v_add_f32_e32 v4, v4, v9
	s_waitcnt vmcnt(6) lgkmcnt(5)
	v_mul_f32_e32 v98, v48, v21
	v_mul_f32_e32 v21, v49, v21
	v_fmac_f32_e32 v97, v47, v18
	v_fma_f32 v11, v46, v18, -v19
	v_add_f32_e32 v5, v5, v96
	v_add_f32_e32 v4, v4, v10
	v_mul_f32_e32 v99, v50, v23
	v_mul_f32_e32 v23, v51, v23
	v_fmac_f32_e32 v98, v49, v20
	v_fma_f32 v12, v48, v20, -v21
	v_add_f32_e32 v5, v5, v97
	v_add_f32_e32 v4, v4, v11
	s_waitcnt vmcnt(5) lgkmcnt(4)
	v_mul_f32_e32 v85, v52, v25
	v_mul_f32_e32 v25, v53, v25
	v_fmac_f32_e32 v99, v51, v22
	v_fma_f32 v13, v50, v22, -v23
	v_add_f32_e32 v5, v5, v98
	v_add_f32_e32 v4, v4, v12
	v_mul_f32_e32 v87, v54, v27
	v_mul_f32_e32 v27, v55, v27
	s_waitcnt vmcnt(4) lgkmcnt(3)
	v_pk_mul_f32 v[88:89], v[68:69], v[28:29] op_sel:[1,1] op_sel_hi:[0,1]
	v_fmac_f32_e32 v85, v53, v24
	v_fma_f32 v84, v52, v24, -v25
	v_add_f32_e32 v5, v5, v99
	v_add_f32_e32 v4, v4, v13
	v_fmac_f32_e32 v87, v55, v26
	v_fma_f32 v86, v54, v26, -v27
	v_pk_add_f32 v[4:5], v[4:5], v[84:85]
	v_pk_fma_f32 v[6:7], v[68:69], v[28:29], v[88:89] neg_lo:[0,0,1] neg_hi:[0,0,1]
	v_pk_fma_f32 v[8:9], v[68:69], v[28:29], v[88:89] op_sel_hi:[1,0,1]
	v_pk_add_f32 v[4:5], v[4:5], v[86:87]
	v_mov_b32_e32 v7, v9
	v_pk_add_f32 v[4:5], v[4:5], v[6:7]
	v_mov_b32_e32 v6, v31
	v_pk_mul_f32 v[6:7], v[70:71], v[6:7] op_sel:[1,0] op_sel_hi:[0,0]
	v_pk_fma_f32 v[8:9], v[70:71], v[30:31], v[6:7] neg_lo:[0,0,1] neg_hi:[0,0,1]
	v_pk_fma_f32 v[6:7], v[70:71], v[30:31], v[6:7] op_sel_hi:[1,0,1]
	s_nop 0
	v_mov_b32_e32 v9, v7
	s_waitcnt vmcnt(3) lgkmcnt(2)
	v_pk_mul_f32 v[6:7], v[72:73], v[56:57] op_sel:[1,1] op_sel_hi:[0,1]
	v_pk_add_f32 v[4:5], v[4:5], v[8:9]
	v_pk_fma_f32 v[8:9], v[72:73], v[56:57], v[6:7] neg_lo:[0,0,1] neg_hi:[0,0,1]
	v_pk_fma_f32 v[6:7], v[72:73], v[56:57], v[6:7] op_sel_hi:[1,0,1]
	s_nop 0
	v_mov_b32_e32 v6, v59
	v_mov_b32_e32 v9, v7
	v_pk_mul_f32 v[6:7], v[74:75], v[6:7] op_sel:[1,0] op_sel_hi:[0,0]
	v_pk_add_f32 v[4:5], v[4:5], v[8:9]
	v_pk_fma_f32 v[8:9], v[74:75], v[58:59], v[6:7] neg_lo:[0,0,1] neg_hi:[0,0,1]
	v_pk_fma_f32 v[6:7], v[74:75], v[58:59], v[6:7] op_sel_hi:[1,0,1]
	s_nop 0
	v_mov_b32_e32 v9, v7
	s_waitcnt vmcnt(2) lgkmcnt(1)
	v_pk_mul_f32 v[6:7], v[76:77], v[60:61] op_sel:[1,1] op_sel_hi:[0,1]
	v_pk_add_f32 v[4:5], v[4:5], v[8:9]
	v_pk_fma_f32 v[8:9], v[76:77], v[60:61], v[6:7] neg_lo:[0,0,1] neg_hi:[0,0,1]
	v_pk_fma_f32 v[6:7], v[76:77], v[60:61], v[6:7] op_sel_hi:[1,0,1]
	s_nop 0
	v_mov_b32_e32 v6, v63
	v_mov_b32_e32 v9, v7
	v_pk_mul_f32 v[6:7], v[78:79], v[6:7] op_sel:[1,0] op_sel_hi:[0,0]
	v_pk_add_f32 v[4:5], v[4:5], v[8:9]
	;; [unrolled: 14-line block ×3, first 2 shown]
	v_pk_fma_f32 v[8:9], v[82:83], v[66:67], v[6:7] neg_lo:[0,0,1] neg_hi:[0,0,1]
	v_pk_fma_f32 v[6:7], v[82:83], v[66:67], v[6:7] op_sel_hi:[1,0,1]
	s_nop 0
	v_mov_b32_e32 v9, v7
	v_pk_add_f32 v[4:5], v[4:5], v[8:9]
	s_waitcnt vmcnt(0)
	v_pk_add_f32 v[2:3], v[2:3], v[4:5] neg_lo:[0,1] neg_hi:[0,1]
	scratch_store_dwordx2 off, v[2:3], off offset:256
	s_and_saveexec_b64 s[0:1], vcc
	s_cbranch_execz .LBB52_269
; %bb.268:
	scratch_load_dwordx2 v[2:3], off, off offset:248
	v_mov_b32_e32 v4, 0
	v_mov_b32_e32 v5, v4
	scratch_store_dwordx2 off, v[4:5], off offset:248
	s_waitcnt vmcnt(1)
	ds_write_b64 v1, v[2:3]
.LBB52_269:
	s_or_b64 exec, exec, s[0:1]
	s_waitcnt lgkmcnt(0)
	; wave barrier
	scratch_load_dwordx4 v[2:5], off, off offset:256
	scratch_load_dwordx4 v[6:9], off, off offset:272
	scratch_load_dwordx4 v[12:15], off, off offset:288
	scratch_load_dwordx4 v[16:19], off, off offset:304
	scratch_load_dwordx4 v[20:23], off, off offset:320
	scratch_load_dwordx4 v[24:27], off, off offset:336
	scratch_load_dwordx4 v[28:31], off, off offset:352
	scratch_load_dwordx4 v[32:35], off, off offset:368
	scratch_load_dwordx4 v[36:39], off, off offset:384
	scratch_load_dwordx4 v[40:43], off, off offset:400
	scratch_load_dwordx2 v[76:77], off, off offset:416
	scratch_load_dwordx2 v[78:79], off, off offset:248
	v_mov_b32_e32 v10, 0
	ds_read_b128 v[44:47], v10 offset:688
	ds_read_b128 v[48:51], v10 offset:704
	;; [unrolled: 1-line block ×8, first 2 shown]
	v_cmp_lt_u32_e32 vcc, 30, v0
	s_waitcnt vmcnt(11) lgkmcnt(7)
	v_mul_f32_e32 v11, v44, v3
	v_mul_f32_e32 v3, v45, v3
	;; [unrolled: 1-line block ×4, first 2 shown]
	v_fmac_f32_e32 v11, v45, v2
	v_fma_f32 v2, v44, v2, -v3
	s_waitcnt vmcnt(10) lgkmcnt(6)
	v_mul_f32_e32 v82, v48, v7
	v_mul_f32_e32 v7, v49, v7
	v_fma_f32 v3, v46, v4, -v5
	v_add_f32_e32 v2, 0, v2
	v_mul_f32_e32 v84, v50, v9
	v_mul_f32_e32 v9, v51, v9
	v_fmac_f32_e32 v80, v47, v4
	v_fma_f32 v4, v48, v6, -v7
	v_add_f32_e32 v11, 0, v11
	v_add_f32_e32 v2, v2, v3
	s_waitcnt vmcnt(9) lgkmcnt(5)
	v_mul_f32_e32 v85, v52, v13
	v_mul_f32_e32 v13, v53, v13
	v_fmac_f32_e32 v82, v49, v6
	v_fma_f32 v5, v50, v8, -v9
	v_add_f32_e32 v11, v11, v80
	v_add_f32_e32 v2, v2, v4
	v_mul_f32_e32 v86, v54, v15
	v_mul_f32_e32 v15, v55, v15
	v_fmac_f32_e32 v84, v51, v8
	v_fma_f32 v6, v52, v12, -v13
	v_add_f32_e32 v3, v11, v82
	v_add_f32_e32 v2, v2, v5
	s_waitcnt vmcnt(8) lgkmcnt(4)
	v_mul_f32_e32 v87, v56, v17
	v_mul_f32_e32 v17, v57, v17
	v_fmac_f32_e32 v85, v53, v12
	v_fma_f32 v7, v54, v14, -v15
	v_add_f32_e32 v3, v3, v84
	v_add_f32_e32 v2, v2, v6
	v_mul_f32_e32 v88, v58, v19
	v_mul_f32_e32 v19, v59, v19
	v_fmac_f32_e32 v86, v55, v14
	v_fma_f32 v8, v56, v16, -v17
	v_add_f32_e32 v3, v3, v85
	v_add_f32_e32 v2, v2, v7
	s_waitcnt vmcnt(7) lgkmcnt(3)
	v_mul_f32_e32 v89, v60, v21
	v_mul_f32_e32 v21, v61, v21
	v_fmac_f32_e32 v87, v57, v16
	v_fma_f32 v9, v58, v18, -v19
	v_add_f32_e32 v3, v3, v86
	v_add_f32_e32 v2, v2, v8
	v_mul_f32_e32 v90, v62, v23
	v_mul_f32_e32 v23, v63, v23
	v_fmac_f32_e32 v88, v59, v18
	v_fma_f32 v12, v60, v20, -v21
	v_add_f32_e32 v3, v3, v87
	v_add_f32_e32 v2, v2, v9
	s_waitcnt vmcnt(6) lgkmcnt(2)
	v_mul_f32_e32 v91, v64, v25
	v_mul_f32_e32 v25, v65, v25
	v_fmac_f32_e32 v89, v61, v20
	v_fma_f32 v13, v62, v22, -v23
	v_add_f32_e32 v3, v3, v88
	v_add_f32_e32 v2, v2, v12
	v_fmac_f32_e32 v90, v63, v22
	v_fma_f32 v14, v64, v24, -v25
	v_add_f32_e32 v3, v3, v89
	v_add_f32_e32 v2, v2, v13
	v_mul_f32_e32 v81, v66, v27
	v_fmac_f32_e32 v91, v65, v24
	v_add_f32_e32 v3, v3, v90
	v_add_f32_e32 v12, v2, v14
	v_mul_f32_e32 v2, v67, v27
	s_waitcnt vmcnt(5)
	v_mov_b32_e32 v16, v31
	s_waitcnt lgkmcnt(1)
	v_mul_f32_e32 v83, v68, v29
	v_fmac_f32_e32 v81, v67, v26
	v_add_f32_e32 v13, v3, v91
	v_fma_f32 v80, v66, v26, -v2
	v_mul_f32_e32 v2, v69, v29
	v_pk_mul_f32 v[16:17], v[70:71], v[16:17] op_sel:[1,0] op_sel_hi:[0,0]
	v_fmac_f32_e32 v83, v69, v28
	v_fma_f32 v82, v68, v28, -v2
	v_pk_add_f32 v[12:13], v[12:13], v[80:81]
	v_pk_fma_f32 v[18:19], v[70:71], v[30:31], v[16:17] neg_lo:[0,0,1] neg_hi:[0,0,1]
	v_pk_fma_f32 v[16:17], v[70:71], v[30:31], v[16:17] op_sel_hi:[1,0,1]
	v_pk_add_f32 v[12:13], v[12:13], v[82:83]
	v_mov_b32_e32 v19, v17
	s_waitcnt vmcnt(4) lgkmcnt(0)
	v_pk_mul_f32 v[16:17], v[72:73], v[32:33] op_sel:[1,1] op_sel_hi:[0,1]
	v_pk_add_f32 v[12:13], v[12:13], v[18:19]
	v_pk_fma_f32 v[18:19], v[72:73], v[32:33], v[16:17] neg_lo:[0,0,1] neg_hi:[0,0,1]
	v_pk_fma_f32 v[16:17], v[72:73], v[32:33], v[16:17] op_sel_hi:[1,0,1]
	ds_read_b128 v[2:5], v10 offset:816
	ds_read_b128 v[6:9], v10 offset:832
	ds_read_b64 v[14:15], v10 offset:848
	v_mov_b32_e32 v16, v35
	v_mov_b32_e32 v19, v17
	v_pk_mul_f32 v[16:17], v[74:75], v[16:17] op_sel:[1,0] op_sel_hi:[0,0]
	v_pk_add_f32 v[12:13], v[12:13], v[18:19]
	v_pk_fma_f32 v[18:19], v[74:75], v[34:35], v[16:17] neg_lo:[0,0,1] neg_hi:[0,0,1]
	v_pk_fma_f32 v[16:17], v[74:75], v[34:35], v[16:17] op_sel_hi:[1,0,1]
	s_nop 0
	v_mov_b32_e32 v19, v17
	s_waitcnt vmcnt(3) lgkmcnt(2)
	v_pk_mul_f32 v[16:17], v[2:3], v[36:37] op_sel:[1,1] op_sel_hi:[0,1]
	v_pk_add_f32 v[12:13], v[12:13], v[18:19]
	v_pk_fma_f32 v[18:19], v[2:3], v[36:37], v[16:17] neg_lo:[0,0,1] neg_hi:[0,0,1]
	v_pk_fma_f32 v[2:3], v[2:3], v[36:37], v[16:17] op_sel_hi:[1,0,1]
	s_nop 0
	v_mov_b32_e32 v19, v3
	v_pk_add_f32 v[2:3], v[12:13], v[18:19]
	v_mov_b32_e32 v12, v39
	v_pk_mul_f32 v[12:13], v[4:5], v[12:13] op_sel:[1,0] op_sel_hi:[0,0]
	v_pk_fma_f32 v[16:17], v[4:5], v[38:39], v[12:13] neg_lo:[0,0,1] neg_hi:[0,0,1]
	v_pk_fma_f32 v[4:5], v[4:5], v[38:39], v[12:13] op_sel_hi:[1,0,1]
	s_nop 0
	v_mov_b32_e32 v17, v5
	s_waitcnt vmcnt(2) lgkmcnt(1)
	v_pk_mul_f32 v[4:5], v[6:7], v[40:41] op_sel:[1,1] op_sel_hi:[0,1]
	v_pk_fma_f32 v[12:13], v[6:7], v[40:41], v[4:5] neg_lo:[0,0,1] neg_hi:[0,0,1]
	v_pk_fma_f32 v[4:5], v[6:7], v[40:41], v[4:5] op_sel_hi:[1,0,1]
	v_pk_add_f32 v[2:3], v[2:3], v[16:17]
	v_mov_b32_e32 v4, v43
	v_mov_b32_e32 v13, v5
	v_pk_mul_f32 v[4:5], v[8:9], v[4:5] op_sel:[1,0] op_sel_hi:[0,0]
	v_pk_fma_f32 v[6:7], v[8:9], v[42:43], v[4:5] neg_lo:[0,0,1] neg_hi:[0,0,1]
	v_pk_fma_f32 v[4:5], v[8:9], v[42:43], v[4:5] op_sel_hi:[1,0,1]
	v_pk_add_f32 v[2:3], v[2:3], v[12:13]
	v_mov_b32_e32 v7, v5
	s_waitcnt vmcnt(1) lgkmcnt(0)
	v_pk_mul_f32 v[4:5], v[14:15], v[76:77] op_sel:[1,1] op_sel_hi:[0,1]
	v_pk_add_f32 v[2:3], v[2:3], v[6:7]
	v_pk_fma_f32 v[6:7], v[14:15], v[76:77], v[4:5] neg_lo:[0,0,1] neg_hi:[0,0,1]
	v_pk_fma_f32 v[4:5], v[14:15], v[76:77], v[4:5] op_sel_hi:[1,0,1]
	s_nop 0
	v_mov_b32_e32 v7, v5
	v_pk_add_f32 v[2:3], v[2:3], v[6:7]
	s_waitcnt vmcnt(0)
	v_pk_add_f32 v[2:3], v[78:79], v[2:3] neg_lo:[0,1] neg_hi:[0,1]
	scratch_store_dwordx2 off, v[2:3], off offset:248
	s_and_saveexec_b64 s[0:1], vcc
	s_cbranch_execz .LBB52_271
; %bb.270:
	scratch_load_dwordx2 v[2:3], off, off offset:240
	v_mov_b32_e32 v11, v10
	scratch_store_dwordx2 off, v[10:11], off offset:240
	s_waitcnt vmcnt(1)
	ds_write_b64 v1, v[2:3]
.LBB52_271:
	s_or_b64 exec, exec, s[0:1]
	s_waitcnt lgkmcnt(0)
	; wave barrier
	scratch_load_dwordx4 v[6:9], off, off offset:248
	scratch_load_dwordx4 v[12:15], off, off offset:264
	;; [unrolled: 1-line block ×7, first 2 shown]
	ds_read2_b64 v[36:39], v10 offset0:85 offset1:86
	ds_read2_b64 v[40:43], v10 offset0:87 offset1:88
	;; [unrolled: 1-line block ×6, first 2 shown]
	scratch_load_dwordx4 v[60:63], off, off offset:360
	scratch_load_dwordx4 v[64:67], off, off offset:376
	;; [unrolled: 1-line block ×4, first 2 shown]
	ds_read2_b64 v[72:75], v10 offset0:97 offset1:98
	ds_read2_b64 v[76:79], v10 offset0:99 offset1:100
	scratch_load_dwordx2 v[80:81], off, off offset:240
	v_cmp_lt_u32_e32 vcc, 29, v0
	s_waitcnt vmcnt(11) lgkmcnt(7)
	v_mul_f32_e32 v11, v36, v7
	v_mul_f32_e32 v82, v38, v9
	;; [unrolled: 1-line block ×3, first 2 shown]
	v_fmac_f32_e32 v11, v37, v6
	s_waitcnt vmcnt(10) lgkmcnt(6)
	v_mul_f32_e32 v84, v40, v13
	v_mul_f32_e32 v9, v39, v9
	v_fmac_f32_e32 v82, v39, v8
	v_fma_f32 v6, v36, v6, -v7
	v_add_f32_e32 v11, 0, v11
	v_mul_f32_e32 v86, v42, v15
	v_fmac_f32_e32 v84, v41, v12
	v_fma_f32 v7, v38, v8, -v9
	v_add_f32_e32 v6, 0, v6
	v_add_f32_e32 v11, v11, v82
	s_waitcnt vmcnt(9) lgkmcnt(5)
	v_mul_f32_e32 v87, v44, v17
	v_mul_f32_e32 v13, v41, v13
	v_fmac_f32_e32 v86, v43, v14
	v_add_f32_e32 v6, v6, v7
	v_add_f32_e32 v7, v11, v84
	v_mul_f32_e32 v88, v46, v19
	v_mul_f32_e32 v15, v43, v15
	v_fmac_f32_e32 v87, v45, v16
	v_fma_f32 v8, v40, v12, -v13
	v_add_f32_e32 v7, v7, v86
	s_waitcnt vmcnt(8) lgkmcnt(4)
	v_mul_f32_e32 v89, v48, v21
	v_mul_f32_e32 v17, v45, v17
	v_fmac_f32_e32 v88, v47, v18
	v_fma_f32 v9, v42, v14, -v15
	v_add_f32_e32 v6, v6, v8
	v_add_f32_e32 v7, v7, v87
	v_mul_f32_e32 v90, v50, v23
	v_mul_f32_e32 v19, v47, v19
	v_fmac_f32_e32 v89, v49, v20
	v_fma_f32 v12, v44, v16, -v17
	v_add_f32_e32 v6, v6, v9
	v_add_f32_e32 v7, v7, v88
	s_waitcnt vmcnt(7) lgkmcnt(3)
	v_mul_f32_e32 v91, v52, v25
	v_mul_f32_e32 v21, v49, v21
	v_fmac_f32_e32 v90, v51, v22
	v_fma_f32 v13, v46, v18, -v19
	v_add_f32_e32 v6, v6, v12
	v_add_f32_e32 v7, v7, v89
	v_mul_f32_e32 v92, v54, v27
	v_mul_f32_e32 v23, v51, v23
	v_fmac_f32_e32 v91, v53, v24
	v_fma_f32 v14, v48, v20, -v21
	v_add_f32_e32 v6, v6, v13
	;; [unrolled: 13-line block ×3, first 2 shown]
	v_add_f32_e32 v7, v7, v92
	v_mul_f32_e32 v29, v57, v29
	v_fmac_f32_e32 v94, v59, v30
	v_fma_f32 v17, v54, v26, -v27
	v_add_f32_e32 v6, v6, v16
	v_add_f32_e32 v7, v7, v93
	v_fma_f32 v18, v56, v28, -v29
	v_add_f32_e32 v6, v6, v17
	v_add_f32_e32 v21, v7, v94
	v_mul_f32_e32 v7, v59, v31
	v_add_f32_e32 v6, v6, v18
	v_fma_f32 v7, v58, v30, -v7
	s_waitcnt vmcnt(5) lgkmcnt(1)
	v_mul_f32_e32 v83, v72, v33
	v_add_f32_e32 v20, v6, v7
	v_mul_f32_e32 v6, v73, v33
	v_fmac_f32_e32 v83, v73, v32
	v_fma_f32 v82, v72, v32, -v6
	v_mul_f32_e32 v6, v75, v35
	v_fma_f32 v84, v74, v34, -v6
	ds_read2_b64 v[6:9], v10 offset0:101 offset1:102
	ds_read2_b64 v[12:15], v10 offset0:103 offset1:104
	;; [unrolled: 1-line block ×3, first 2 shown]
	v_pk_add_f32 v[10:11], v[20:21], v[82:83]
	s_waitcnt vmcnt(4) lgkmcnt(3)
	v_pk_mul_f32 v[20:21], v[76:77], v[60:61] op_sel:[1,1] op_sel_hi:[0,1]
	v_mul_f32_e32 v85, v74, v35
	v_pk_fma_f32 v[22:23], v[76:77], v[60:61], v[20:21] neg_lo:[0,0,1] neg_hi:[0,0,1]
	v_pk_fma_f32 v[20:21], v[76:77], v[60:61], v[20:21] op_sel_hi:[1,0,1]
	v_fmac_f32_e32 v85, v75, v34
	v_mov_b32_e32 v20, v63
	v_pk_add_f32 v[10:11], v[10:11], v[84:85]
	v_mov_b32_e32 v23, v21
	v_pk_mul_f32 v[20:21], v[78:79], v[20:21] op_sel:[1,0] op_sel_hi:[0,0]
	v_pk_add_f32 v[10:11], v[10:11], v[22:23]
	v_pk_fma_f32 v[22:23], v[78:79], v[62:63], v[20:21] neg_lo:[0,0,1] neg_hi:[0,0,1]
	v_pk_fma_f32 v[20:21], v[78:79], v[62:63], v[20:21] op_sel_hi:[1,0,1]
	s_nop 0
	v_mov_b32_e32 v23, v21
	s_waitcnt vmcnt(3) lgkmcnt(2)
	v_pk_mul_f32 v[20:21], v[6:7], v[64:65] op_sel:[1,1] op_sel_hi:[0,1]
	v_pk_add_f32 v[10:11], v[10:11], v[22:23]
	v_pk_fma_f32 v[22:23], v[6:7], v[64:65], v[20:21] neg_lo:[0,0,1] neg_hi:[0,0,1]
	v_pk_fma_f32 v[6:7], v[6:7], v[64:65], v[20:21] op_sel_hi:[1,0,1]
	s_nop 0
	v_mov_b32_e32 v23, v7
	v_pk_add_f32 v[6:7], v[10:11], v[22:23]
	v_mov_b32_e32 v10, v67
	v_pk_mul_f32 v[10:11], v[8:9], v[10:11] op_sel:[1,0] op_sel_hi:[0,0]
	v_pk_fma_f32 v[20:21], v[8:9], v[66:67], v[10:11] neg_lo:[0,0,1] neg_hi:[0,0,1]
	v_pk_fma_f32 v[8:9], v[8:9], v[66:67], v[10:11] op_sel_hi:[1,0,1]
	s_nop 0
	v_mov_b32_e32 v21, v9
	s_waitcnt vmcnt(2) lgkmcnt(1)
	v_pk_mul_f32 v[8:9], v[12:13], v[68:69] op_sel:[1,1] op_sel_hi:[0,1]
	v_pk_fma_f32 v[10:11], v[12:13], v[68:69], v[8:9] neg_lo:[0,0,1] neg_hi:[0,0,1]
	v_pk_fma_f32 v[8:9], v[12:13], v[68:69], v[8:9] op_sel_hi:[1,0,1]
	v_pk_add_f32 v[6:7], v[6:7], v[20:21]
	v_mov_b32_e32 v8, v71
	v_mov_b32_e32 v11, v9
	v_pk_mul_f32 v[8:9], v[14:15], v[8:9] op_sel:[1,0] op_sel_hi:[0,0]
	v_pk_add_f32 v[6:7], v[6:7], v[10:11]
	v_pk_fma_f32 v[10:11], v[14:15], v[70:71], v[8:9] neg_lo:[0,0,1] neg_hi:[0,0,1]
	v_pk_fma_f32 v[8:9], v[14:15], v[70:71], v[8:9] op_sel_hi:[1,0,1]
	s_nop 0
	v_mov_b32_e32 v11, v9
	s_waitcnt vmcnt(1) lgkmcnt(0)
	v_pk_mul_f32 v[8:9], v[16:17], v[2:3] op_sel:[1,1] op_sel_hi:[0,1]
	v_pk_add_f32 v[6:7], v[6:7], v[10:11]
	v_pk_fma_f32 v[10:11], v[16:17], v[2:3], v[8:9] neg_lo:[0,0,1] neg_hi:[0,0,1]
	v_pk_fma_f32 v[2:3], v[16:17], v[2:3], v[8:9] op_sel_hi:[1,0,1]
	s_nop 0
	v_mov_b32_e32 v11, v3
	v_pk_add_f32 v[2:3], v[6:7], v[10:11]
	v_mov_b32_e32 v6, v5
	v_pk_mul_f32 v[6:7], v[18:19], v[6:7] op_sel:[1,0] op_sel_hi:[0,0]
	v_pk_fma_f32 v[8:9], v[18:19], v[4:5], v[6:7] neg_lo:[0,0,1] neg_hi:[0,0,1]
	v_pk_fma_f32 v[4:5], v[18:19], v[4:5], v[6:7] op_sel_hi:[1,0,1]
	s_nop 0
	v_mov_b32_e32 v9, v5
	v_pk_add_f32 v[2:3], v[2:3], v[8:9]
	s_waitcnt vmcnt(0)
	v_pk_add_f32 v[2:3], v[80:81], v[2:3] neg_lo:[0,1] neg_hi:[0,1]
	scratch_store_dwordx2 off, v[2:3], off offset:240
	s_and_saveexec_b64 s[0:1], vcc
	s_cbranch_execz .LBB52_273
; %bb.272:
	scratch_load_dwordx2 v[2:3], off, off offset:232
	v_mov_b32_e32 v4, 0
	v_mov_b32_e32 v5, v4
	scratch_store_dwordx2 off, v[4:5], off offset:232
	s_waitcnt vmcnt(1)
	ds_write_b64 v1, v[2:3]
.LBB52_273:
	s_or_b64 exec, exec, s[0:1]
	s_waitcnt lgkmcnt(0)
	; wave barrier
	scratch_load_dwordx4 v[6:9], off, off offset:240
	scratch_load_dwordx4 v[14:17], off, off offset:256
	;; [unrolled: 1-line block ×11, first 2 shown]
	scratch_load_dwordx2 v[22:23], off, off offset:416
	scratch_load_dwordx2 v[36:37], off, off offset:232
	v_mov_b32_e32 v38, 0
	ds_read_b128 v[52:55], v38 offset:672
	ds_read_b128 v[56:59], v38 offset:688
	;; [unrolled: 1-line block ×8, first 2 shown]
	v_cmp_lt_u32_e32 vcc, 28, v0
	s_waitcnt vmcnt(12) lgkmcnt(7)
	v_mul_f32_e32 v39, v52, v7
	v_mul_f32_e32 v84, v54, v9
	;; [unrolled: 1-line block ×3, first 2 shown]
	v_fmac_f32_e32 v39, v53, v6
	s_waitcnt vmcnt(8) lgkmcnt(3)
	v_mul_f32_e32 v93, v68, v19
	v_mul_f32_e32 v19, v69, v19
	;; [unrolled: 1-line block ×4, first 2 shown]
	v_fmac_f32_e32 v84, v55, v8
	v_fmac_f32_e32 v93, v69, v18
	v_fma_f32 v6, v52, v6, -v7
	v_fma_f32 v18, v68, v18, -v19
	v_add_f32_e32 v19, 0, v39
	v_mul_f32_e32 v88, v58, v17
	v_fmac_f32_e32 v86, v57, v14
	v_fma_f32 v7, v54, v8, -v9
	v_add_f32_e32 v6, 0, v6
	v_add_f32_e32 v19, v19, v84
	v_mul_f32_e32 v89, v60, v25
	v_fmac_f32_e32 v88, v59, v16
	v_add_f32_e32 v6, v6, v7
	v_add_f32_e32 v7, v19, v86
	v_mul_f32_e32 v90, v62, v27
	v_fmac_f32_e32 v89, v61, v24
	v_add_f32_e32 v7, v7, v88
	v_mul_f32_e32 v91, v64, v29
	v_mul_f32_e32 v15, v57, v15
	v_fmac_f32_e32 v90, v63, v26
	v_add_f32_e32 v7, v7, v89
	v_mul_f32_e32 v92, v66, v31
	v_mul_f32_e32 v17, v59, v17
	v_fmac_f32_e32 v91, v65, v28
	v_fma_f32 v8, v56, v14, -v15
	v_add_f32_e32 v7, v7, v90
	v_mul_f32_e32 v25, v61, v25
	v_fmac_f32_e32 v92, v67, v30
	v_fma_f32 v9, v58, v16, -v17
	v_add_f32_e32 v6, v6, v8
	v_add_f32_e32 v7, v7, v91
	v_mul_f32_e32 v94, v70, v21
	v_mul_f32_e32 v27, v63, v27
	v_fma_f32 v14, v60, v24, -v25
	v_add_f32_e32 v6, v6, v9
	v_add_f32_e32 v7, v7, v92
	s_waitcnt vmcnt(7) lgkmcnt(2)
	v_mul_f32_e32 v95, v72, v33
	v_mul_f32_e32 v29, v65, v29
	v_fmac_f32_e32 v94, v71, v20
	v_fma_f32 v15, v62, v26, -v27
	v_add_f32_e32 v6, v6, v14
	v_add_f32_e32 v7, v7, v93
	v_mul_f32_e32 v96, v74, v35
	v_mul_f32_e32 v31, v67, v31
	v_fmac_f32_e32 v95, v73, v32
	v_fma_f32 v16, v64, v28, -v29
	v_add_f32_e32 v6, v6, v15
	v_add_f32_e32 v7, v7, v94
	s_waitcnt vmcnt(6) lgkmcnt(1)
	v_mul_f32_e32 v97, v76, v41
	v_fmac_f32_e32 v96, v75, v34
	v_fma_f32 v17, v66, v30, -v31
	v_add_f32_e32 v6, v6, v16
	v_add_f32_e32 v7, v7, v95
	v_mul_f32_e32 v21, v71, v21
	v_fmac_f32_e32 v97, v77, v40
	v_add_f32_e32 v6, v6, v17
	v_add_f32_e32 v7, v7, v96
	;; [unrolled: 1-line block ×4, first 2 shown]
	v_fma_f32 v7, v70, v20, -v21
	v_add_f32_e32 v6, v6, v7
	v_mul_f32_e32 v7, v73, v33
	v_fma_f32 v7, v72, v32, -v7
	v_add_f32_e32 v6, v6, v7
	v_mul_f32_e32 v7, v75, v35
	;; [unrolled: 3-line block ×4, first 2 shown]
	v_mul_f32_e32 v85, v78, v43
	v_fma_f32 v84, v78, v42, -v6
	s_waitcnt vmcnt(5) lgkmcnt(0)
	v_mul_f32_e32 v6, v81, v45
	v_mov_b32_e32 v28, v47
	v_mul_f32_e32 v87, v80, v45
	v_fmac_f32_e32 v85, v79, v42
	v_fma_f32 v86, v80, v44, -v6
	ds_read_b128 v[6:9], v38 offset:800
	ds_read_b128 v[14:17], v38 offset:816
	;; [unrolled: 1-line block ×3, first 2 shown]
	ds_read_b64 v[26:27], v38 offset:848
	v_pk_mul_f32 v[28:29], v[82:83], v[28:29] op_sel:[1,0] op_sel_hi:[0,0]
	v_fmac_f32_e32 v87, v81, v44
	v_pk_add_f32 v[24:25], v[24:25], v[84:85]
	v_pk_fma_f32 v[30:31], v[82:83], v[46:47], v[28:29] neg_lo:[0,0,1] neg_hi:[0,0,1]
	v_pk_fma_f32 v[28:29], v[82:83], v[46:47], v[28:29] op_sel_hi:[1,0,1]
	v_pk_add_f32 v[24:25], v[24:25], v[86:87]
	v_mov_b32_e32 v31, v29
	s_waitcnt vmcnt(4) lgkmcnt(3)
	v_pk_mul_f32 v[28:29], v[6:7], v[48:49] op_sel:[1,1] op_sel_hi:[0,1]
	v_pk_add_f32 v[24:25], v[24:25], v[30:31]
	v_pk_fma_f32 v[30:31], v[6:7], v[48:49], v[28:29] neg_lo:[0,0,1] neg_hi:[0,0,1]
	v_pk_fma_f32 v[6:7], v[6:7], v[48:49], v[28:29] op_sel_hi:[1,0,1]
	s_nop 0
	v_mov_b32_e32 v31, v7
	v_pk_add_f32 v[6:7], v[24:25], v[30:31]
	v_mov_b32_e32 v24, v51
	v_pk_mul_f32 v[24:25], v[8:9], v[24:25] op_sel:[1,0] op_sel_hi:[0,0]
	v_pk_fma_f32 v[28:29], v[8:9], v[50:51], v[24:25] neg_lo:[0,0,1] neg_hi:[0,0,1]
	v_pk_fma_f32 v[8:9], v[8:9], v[50:51], v[24:25] op_sel_hi:[1,0,1]
	s_nop 0
	v_mov_b32_e32 v29, v9
	s_waitcnt vmcnt(3) lgkmcnt(2)
	v_pk_mul_f32 v[8:9], v[14:15], v[10:11] op_sel:[1,1] op_sel_hi:[0,1]
	v_pk_fma_f32 v[24:25], v[14:15], v[10:11], v[8:9] neg_lo:[0,0,1] neg_hi:[0,0,1]
	v_pk_fma_f32 v[8:9], v[14:15], v[10:11], v[8:9] op_sel_hi:[1,0,1]
	v_pk_add_f32 v[6:7], v[6:7], v[28:29]
	v_mov_b32_e32 v8, v13
	v_mov_b32_e32 v25, v9
	v_pk_mul_f32 v[8:9], v[16:17], v[8:9] op_sel:[1,0] op_sel_hi:[0,0]
	v_pk_fma_f32 v[10:11], v[16:17], v[12:13], v[8:9] neg_lo:[0,0,1] neg_hi:[0,0,1]
	v_pk_fma_f32 v[8:9], v[16:17], v[12:13], v[8:9] op_sel_hi:[1,0,1]
	v_pk_add_f32 v[6:7], v[6:7], v[24:25]
	v_mov_b32_e32 v11, v9
	s_waitcnt vmcnt(2) lgkmcnt(1)
	v_pk_mul_f32 v[8:9], v[18:19], v[2:3] op_sel:[1,1] op_sel_hi:[0,1]
	v_pk_add_f32 v[6:7], v[6:7], v[10:11]
	v_pk_fma_f32 v[10:11], v[18:19], v[2:3], v[8:9] neg_lo:[0,0,1] neg_hi:[0,0,1]
	v_pk_fma_f32 v[2:3], v[18:19], v[2:3], v[8:9] op_sel_hi:[1,0,1]
	s_nop 0
	v_mov_b32_e32 v11, v3
	v_pk_add_f32 v[2:3], v[6:7], v[10:11]
	v_mov_b32_e32 v6, v5
	v_pk_mul_f32 v[6:7], v[20:21], v[6:7] op_sel:[1,0] op_sel_hi:[0,0]
	v_pk_fma_f32 v[8:9], v[20:21], v[4:5], v[6:7] neg_lo:[0,0,1] neg_hi:[0,0,1]
	v_pk_fma_f32 v[4:5], v[20:21], v[4:5], v[6:7] op_sel_hi:[1,0,1]
	s_nop 0
	v_mov_b32_e32 v9, v5
	s_waitcnt vmcnt(1) lgkmcnt(0)
	v_pk_mul_f32 v[4:5], v[26:27], v[22:23] op_sel:[1,1] op_sel_hi:[0,1]
	v_pk_fma_f32 v[6:7], v[26:27], v[22:23], v[4:5] neg_lo:[0,0,1] neg_hi:[0,0,1]
	v_pk_fma_f32 v[4:5], v[26:27], v[22:23], v[4:5] op_sel_hi:[1,0,1]
	v_pk_add_f32 v[2:3], v[2:3], v[8:9]
	v_mov_b32_e32 v7, v5
	v_pk_add_f32 v[2:3], v[2:3], v[6:7]
	s_waitcnt vmcnt(0)
	v_pk_add_f32 v[2:3], v[36:37], v[2:3] neg_lo:[0,1] neg_hi:[0,1]
	scratch_store_dwordx2 off, v[2:3], off offset:232
	s_and_saveexec_b64 s[0:1], vcc
	s_cbranch_execz .LBB52_275
; %bb.274:
	scratch_load_dwordx2 v[2:3], off, off offset:224
	v_mov_b32_e32 v39, v38
	scratch_store_dwordx2 off, v[38:39], off offset:224
	s_waitcnt vmcnt(1)
	ds_write_b64 v1, v[2:3]
.LBB52_275:
	s_or_b64 exec, exec, s[0:1]
	s_waitcnt lgkmcnt(0)
	; wave barrier
	scratch_load_dwordx4 v[2:5], off, off offset:232
	scratch_load_dwordx4 v[14:17], off, off offset:248
	;; [unrolled: 1-line block ×8, first 2 shown]
	ds_read2_b64 v[48:51], v38 offset0:83 offset1:84
	ds_read2_b64 v[52:55], v38 offset0:85 offset1:86
	ds_read2_b64 v[56:59], v38 offset0:87 offset1:88
	ds_read2_b64 v[60:63], v38 offset0:89 offset1:90
	ds_read2_b64 v[64:67], v38 offset0:91 offset1:92
	ds_read2_b64 v[68:71], v38 offset0:93 offset1:94
	ds_read2_b64 v[72:75], v38 offset0:95 offset1:96
	ds_read2_b64 v[76:79], v38 offset0:97 offset1:98
	scratch_load_dwordx4 v[80:83], off, off offset:360
	scratch_load_dwordx4 v[26:29], off, off offset:376
	;; [unrolled: 1-line block ×4, first 2 shown]
	scratch_load_dwordx2 v[84:85], off, off offset:224
	v_cmp_lt_u32_e32 vcc, 27, v0
	s_waitcnt vmcnt(12) lgkmcnt(7)
	v_mul_f32_e32 v39, v48, v3
	v_mul_f32_e32 v86, v50, v5
	;; [unrolled: 1-line block ×3, first 2 shown]
	v_fmac_f32_e32 v39, v49, v2
	s_waitcnt vmcnt(8) lgkmcnt(3)
	v_mul_f32_e32 v95, v64, v19
	v_mul_f32_e32 v19, v65, v19
	;; [unrolled: 1-line block ×4, first 2 shown]
	v_fmac_f32_e32 v86, v51, v4
	v_fmac_f32_e32 v95, v65, v18
	v_fma_f32 v2, v48, v2, -v3
	v_fma_f32 v18, v64, v18, -v19
	v_add_f32_e32 v19, 0, v39
	v_mul_f32_e32 v90, v54, v17
	v_fmac_f32_e32 v88, v53, v14
	v_fma_f32 v3, v50, v4, -v5
	v_add_f32_e32 v2, 0, v2
	v_add_f32_e32 v19, v19, v86
	v_mul_f32_e32 v91, v56, v31
	v_fmac_f32_e32 v90, v55, v16
	v_add_f32_e32 v2, v2, v3
	v_add_f32_e32 v3, v19, v88
	v_mul_f32_e32 v92, v58, v33
	v_fmac_f32_e32 v91, v57, v30
	v_add_f32_e32 v3, v3, v90
	v_mul_f32_e32 v93, v60, v41
	v_fmac_f32_e32 v92, v59, v32
	;; [unrolled: 3-line block ×4, first 2 shown]
	v_add_f32_e32 v3, v3, v93
	v_mul_f32_e32 v96, v66, v21
	v_mul_f32_e32 v17, v55, v17
	v_fma_f32 v4, v52, v14, -v15
	v_add_f32_e32 v3, v3, v94
	s_waitcnt vmcnt(7) lgkmcnt(2)
	v_mul_f32_e32 v97, v68, v23
	v_mul_f32_e32 v31, v57, v31
	v_fmac_f32_e32 v96, v67, v20
	v_fma_f32 v5, v54, v16, -v17
	v_add_f32_e32 v2, v2, v4
	v_add_f32_e32 v3, v3, v95
	v_mul_f32_e32 v98, v70, v25
	v_mul_f32_e32 v33, v59, v33
	v_fmac_f32_e32 v97, v69, v22
	v_fma_f32 v14, v56, v30, -v31
	v_add_f32_e32 v2, v2, v5
	v_add_f32_e32 v3, v3, v96
	s_waitcnt vmcnt(6) lgkmcnt(1)
	v_mul_f32_e32 v99, v72, v35
	v_mul_f32_e32 v41, v61, v41
	v_fmac_f32_e32 v98, v71, v24
	v_fma_f32 v15, v58, v32, -v33
	v_add_f32_e32 v2, v2, v14
	v_add_f32_e32 v3, v3, v97
	v_mul_f32_e32 v100, v74, v37
	v_mul_f32_e32 v43, v63, v43
	v_fmac_f32_e32 v99, v73, v34
	v_fma_f32 v16, v60, v40, -v41
	v_add_f32_e32 v2, v2, v15
	v_add_f32_e32 v3, v3, v98
	v_fmac_f32_e32 v100, v75, v36
	v_fma_f32 v17, v62, v42, -v43
	v_add_f32_e32 v2, v2, v16
	v_add_f32_e32 v3, v3, v99
	;; [unrolled: 1-line block ×4, first 2 shown]
	v_mul_f32_e32 v3, v67, v21
	v_add_f32_e32 v2, v2, v18
	v_fma_f32 v3, v66, v20, -v3
	v_add_f32_e32 v2, v2, v3
	v_mul_f32_e32 v3, v69, v23
	v_fma_f32 v3, v68, v22, -v3
	v_add_f32_e32 v2, v2, v3
	v_mul_f32_e32 v3, v71, v25
	v_fma_f32 v3, v70, v24, -v3
	v_add_f32_e32 v2, v2, v3
	v_mul_f32_e32 v3, v73, v35
	v_fma_f32 v3, v72, v34, -v3
	v_add_f32_e32 v2, v2, v3
	v_mul_f32_e32 v3, v75, v37
	v_fma_f32 v3, v74, v36, -v3
	v_add_f32_e32 v30, v2, v3
	s_waitcnt vmcnt(5) lgkmcnt(0)
	v_mul_f32_e32 v2, v77, v45
	v_fma_f32 v86, v76, v44, -v2
	v_mul_f32_e32 v2, v79, v47
	v_fma_f32 v88, v78, v46, -v2
	ds_read2_b64 v[2:5], v38 offset0:99 offset1:100
	ds_read2_b64 v[14:17], v38 offset0:101 offset1:102
	;; [unrolled: 1-line block ×4, first 2 shown]
	v_mul_f32_e32 v87, v76, v45
	v_mul_f32_e32 v89, v78, v47
	v_fmac_f32_e32 v87, v77, v44
	s_waitcnt vmcnt(4) lgkmcnt(3)
	v_pk_mul_f32 v[32:33], v[2:3], v[80:81] op_sel:[1,1] op_sel_hi:[0,1]
	v_fmac_f32_e32 v89, v79, v46
	v_pk_add_f32 v[30:31], v[30:31], v[86:87]
	v_pk_fma_f32 v[34:35], v[2:3], v[80:81], v[32:33] neg_lo:[0,0,1] neg_hi:[0,0,1]
	v_pk_fma_f32 v[2:3], v[2:3], v[80:81], v[32:33] op_sel_hi:[1,0,1]
	v_pk_add_f32 v[30:31], v[30:31], v[88:89]
	v_mov_b32_e32 v35, v3
	v_pk_add_f32 v[2:3], v[30:31], v[34:35]
	v_mov_b32_e32 v30, v83
	v_pk_mul_f32 v[30:31], v[4:5], v[30:31] op_sel:[1,0] op_sel_hi:[0,0]
	v_pk_fma_f32 v[32:33], v[4:5], v[82:83], v[30:31] neg_lo:[0,0,1] neg_hi:[0,0,1]
	v_pk_fma_f32 v[4:5], v[4:5], v[82:83], v[30:31] op_sel_hi:[1,0,1]
	s_nop 0
	v_mov_b32_e32 v33, v5
	s_waitcnt vmcnt(3) lgkmcnt(2)
	v_pk_mul_f32 v[4:5], v[14:15], v[26:27] op_sel:[1,1] op_sel_hi:[0,1]
	v_pk_fma_f32 v[30:31], v[14:15], v[26:27], v[4:5] neg_lo:[0,0,1] neg_hi:[0,0,1]
	v_pk_fma_f32 v[4:5], v[14:15], v[26:27], v[4:5] op_sel_hi:[1,0,1]
	v_pk_add_f32 v[2:3], v[2:3], v[32:33]
	v_mov_b32_e32 v4, v29
	v_mov_b32_e32 v31, v5
	v_pk_mul_f32 v[4:5], v[16:17], v[4:5] op_sel:[1,0] op_sel_hi:[0,0]
	v_pk_fma_f32 v[14:15], v[16:17], v[28:29], v[4:5] neg_lo:[0,0,1] neg_hi:[0,0,1]
	v_pk_fma_f32 v[4:5], v[16:17], v[28:29], v[4:5] op_sel_hi:[1,0,1]
	v_pk_add_f32 v[2:3], v[2:3], v[30:31]
	v_mov_b32_e32 v15, v5
	s_waitcnt vmcnt(2) lgkmcnt(1)
	v_pk_mul_f32 v[4:5], v[18:19], v[10:11] op_sel:[1,1] op_sel_hi:[0,1]
	v_pk_add_f32 v[2:3], v[2:3], v[14:15]
	v_pk_fma_f32 v[14:15], v[18:19], v[10:11], v[4:5] neg_lo:[0,0,1] neg_hi:[0,0,1]
	v_pk_fma_f32 v[4:5], v[18:19], v[10:11], v[4:5] op_sel_hi:[1,0,1]
	s_nop 0
	v_mov_b32_e32 v4, v13
	v_mov_b32_e32 v15, v5
	v_pk_mul_f32 v[4:5], v[20:21], v[4:5] op_sel:[1,0] op_sel_hi:[0,0]
	v_pk_fma_f32 v[10:11], v[20:21], v[12:13], v[4:5] neg_lo:[0,0,1] neg_hi:[0,0,1]
	v_pk_fma_f32 v[4:5], v[20:21], v[12:13], v[4:5] op_sel_hi:[1,0,1]
	v_pk_add_f32 v[2:3], v[2:3], v[14:15]
	v_mov_b32_e32 v11, v5
	s_waitcnt vmcnt(1) lgkmcnt(0)
	v_pk_mul_f32 v[4:5], v[22:23], v[6:7] op_sel:[1,1] op_sel_hi:[0,1]
	v_pk_add_f32 v[2:3], v[2:3], v[10:11]
	v_pk_fma_f32 v[10:11], v[22:23], v[6:7], v[4:5] neg_lo:[0,0,1] neg_hi:[0,0,1]
	v_pk_fma_f32 v[4:5], v[22:23], v[6:7], v[4:5] op_sel_hi:[1,0,1]
	s_nop 0
	v_mov_b32_e32 v4, v9
	v_mov_b32_e32 v11, v5
	v_pk_mul_f32 v[4:5], v[24:25], v[4:5] op_sel:[1,0] op_sel_hi:[0,0]
	v_pk_fma_f32 v[6:7], v[24:25], v[8:9], v[4:5] neg_lo:[0,0,1] neg_hi:[0,0,1]
	v_pk_fma_f32 v[4:5], v[24:25], v[8:9], v[4:5] op_sel_hi:[1,0,1]
	v_pk_add_f32 v[2:3], v[2:3], v[10:11]
	v_mov_b32_e32 v7, v5
	v_pk_add_f32 v[2:3], v[2:3], v[6:7]
	s_waitcnt vmcnt(0)
	v_pk_add_f32 v[2:3], v[84:85], v[2:3] neg_lo:[0,1] neg_hi:[0,1]
	scratch_store_dwordx2 off, v[2:3], off offset:224
	s_and_saveexec_b64 s[0:1], vcc
	s_cbranch_execz .LBB52_277
; %bb.276:
	scratch_load_dwordx2 v[2:3], off, off offset:216
	v_mov_b32_e32 v4, 0
	v_mov_b32_e32 v5, v4
	scratch_store_dwordx2 off, v[4:5], off offset:216
	s_waitcnt vmcnt(1)
	ds_write_b64 v1, v[2:3]
.LBB52_277:
	s_or_b64 exec, exec, s[0:1]
	s_waitcnt lgkmcnt(0)
	; wave barrier
	scratch_load_dwordx4 v[10:13], off, off offset:224
	scratch_load_dwordx4 v[26:29], off, off offset:240
	;; [unrolled: 1-line block ×12, first 2 shown]
	scratch_load_dwordx2 v[50:51], off, off offset:416
	scratch_load_dwordx2 v[56:57], off, off offset:216
	v_mov_b32_e32 v58, 0
	ds_read_b128 v[52:55], v58 offset:656
	ds_read_b128 v[60:63], v58 offset:672
	;; [unrolled: 1-line block ×10, first 2 shown]
	v_cmp_lt_u32_e32 vcc, 26, v0
	s_waitcnt vmcnt(13) lgkmcnt(9)
	v_mul_f32_e32 v59, v52, v11
	v_mul_f32_e32 v96, v54, v13
	v_fmac_f32_e32 v59, v53, v10
	s_waitcnt vmcnt(10) lgkmcnt(6)
	v_mul_f32_e32 v103, v68, v7
	v_mul_f32_e32 v7, v69, v7
	;; [unrolled: 1-line block ×3, first 2 shown]
	v_fmac_f32_e32 v96, v55, v12
	v_fmac_f32_e32 v103, v69, v6
	v_fma_f32 v6, v68, v6, -v7
	v_add_f32_e32 v7, 0, v59
	v_mul_f32_e32 v100, v62, v29
	v_fmac_f32_e32 v98, v61, v26
	v_add_f32_e32 v7, v7, v96
	v_mul_f32_e32 v101, v64, v39
	v_fmac_f32_e32 v100, v63, v28
	;; [unrolled: 3-line block ×3, first 2 shown]
	v_add_f32_e32 v7, v7, v100
	v_fmac_f32_e32 v102, v67, v40
	v_add_f32_e32 v7, v7, v101
	v_mul_f32_e32 v104, v70, v9
	v_add_f32_e32 v7, v7, v102
	s_waitcnt vmcnt(9) lgkmcnt(5)
	v_mul_f32_e32 v105, v72, v15
	v_fmac_f32_e32 v104, v71, v8
	v_add_f32_e32 v7, v7, v103
	v_mul_f32_e32 v106, v74, v17
	v_mul_f32_e32 v11, v53, v11
	v_fmac_f32_e32 v105, v73, v14
	v_add_f32_e32 v7, v7, v104
	s_waitcnt vmcnt(8) lgkmcnt(4)
	v_mul_f32_e32 v107, v76, v23
	v_mul_f32_e32 v13, v55, v13
	v_fmac_f32_e32 v106, v75, v16
	v_fma_f32 v10, v52, v10, -v11
	v_add_f32_e32 v7, v7, v105
	v_mul_f32_e32 v108, v78, v25
	v_mul_f32_e32 v27, v61, v27
	v_fmac_f32_e32 v107, v77, v22
	v_fma_f32 v11, v54, v12, -v13
	v_add_f32_e32 v10, 0, v10
	v_add_f32_e32 v7, v7, v106
	s_waitcnt vmcnt(7) lgkmcnt(3)
	v_mul_f32_e32 v109, v80, v31
	v_mul_f32_e32 v29, v63, v29
	v_fmac_f32_e32 v108, v79, v24
	v_fma_f32 v12, v60, v26, -v27
	v_add_f32_e32 v10, v10, v11
	v_add_f32_e32 v7, v7, v107
	v_mul_f32_e32 v110, v82, v33
	v_mul_f32_e32 v39, v65, v39
	v_fmac_f32_e32 v109, v81, v30
	v_fma_f32 v13, v62, v28, -v29
	v_add_f32_e32 v10, v10, v12
	v_add_f32_e32 v7, v7, v108
	s_waitcnt vmcnt(6) lgkmcnt(2)
	v_mul_f32_e32 v111, v84, v43
	v_mul_f32_e32 v41, v67, v41
	v_fmac_f32_e32 v110, v83, v32
	v_fma_f32 v26, v64, v38, -v39
	v_add_f32_e32 v10, v10, v13
	v_add_f32_e32 v7, v7, v109
	v_fmac_f32_e32 v111, v85, v42
	v_fma_f32 v27, v66, v40, -v41
	v_add_f32_e32 v10, v10, v26
	v_add_f32_e32 v7, v7, v110
	;; [unrolled: 1-line block ×4, first 2 shown]
	v_mul_f32_e32 v7, v71, v9
	v_add_f32_e32 v6, v10, v6
	v_fma_f32 v7, v70, v8, -v7
	v_add_f32_e32 v6, v6, v7
	v_mul_f32_e32 v7, v73, v15
	v_fma_f32 v7, v72, v14, -v7
	v_add_f32_e32 v6, v6, v7
	v_mul_f32_e32 v7, v75, v17
	;; [unrolled: 3-line block ×7, first 2 shown]
	v_fma_f32 v7, v84, v42, -v7
	v_mul_f32_e32 v97, v86, v45
	v_add_f32_e32 v26, v6, v7
	v_mul_f32_e32 v6, v87, v45
	s_waitcnt vmcnt(5)
	v_mov_b32_e32 v22, v49
	s_waitcnt lgkmcnt(1)
	v_mul_f32_e32 v99, v88, v47
	v_fmac_f32_e32 v97, v87, v44
	v_fma_f32 v96, v86, v44, -v6
	v_mul_f32_e32 v6, v89, v47
	v_pk_mul_f32 v[22:23], v[90:91], v[22:23] op_sel:[1,0] op_sel_hi:[0,0]
	v_fmac_f32_e32 v99, v89, v46
	v_fma_f32 v98, v88, v46, -v6
	v_pk_add_f32 v[16:17], v[26:27], v[96:97]
	v_pk_fma_f32 v[24:25], v[90:91], v[48:49], v[22:23] neg_lo:[0,0,1] neg_hi:[0,0,1]
	v_pk_fma_f32 v[22:23], v[90:91], v[48:49], v[22:23] op_sel_hi:[1,0,1]
	v_pk_add_f32 v[16:17], v[16:17], v[98:99]
	v_mov_b32_e32 v25, v23
	s_waitcnt vmcnt(4) lgkmcnt(0)
	v_pk_mul_f32 v[22:23], v[92:93], v[34:35] op_sel:[1,1] op_sel_hi:[0,1]
	v_pk_add_f32 v[16:17], v[16:17], v[24:25]
	v_pk_fma_f32 v[24:25], v[92:93], v[34:35], v[22:23] neg_lo:[0,0,1] neg_hi:[0,0,1]
	v_pk_fma_f32 v[22:23], v[92:93], v[34:35], v[22:23] op_sel_hi:[1,0,1]
	ds_read_b128 v[6:9], v58 offset:816
	ds_read_b128 v[10:13], v58 offset:832
	ds_read_b64 v[14:15], v58 offset:848
	v_mov_b32_e32 v22, v37
	v_mov_b32_e32 v25, v23
	v_pk_mul_f32 v[22:23], v[94:95], v[22:23] op_sel:[1,0] op_sel_hi:[0,0]
	v_pk_add_f32 v[16:17], v[16:17], v[24:25]
	v_pk_fma_f32 v[24:25], v[94:95], v[36:37], v[22:23] neg_lo:[0,0,1] neg_hi:[0,0,1]
	v_pk_fma_f32 v[22:23], v[94:95], v[36:37], v[22:23] op_sel_hi:[1,0,1]
	s_nop 0
	v_mov_b32_e32 v25, v23
	s_waitcnt vmcnt(3) lgkmcnt(2)
	v_pk_mul_f32 v[22:23], v[6:7], v[18:19] op_sel:[1,1] op_sel_hi:[0,1]
	v_pk_add_f32 v[16:17], v[16:17], v[24:25]
	v_pk_fma_f32 v[24:25], v[6:7], v[18:19], v[22:23] neg_lo:[0,0,1] neg_hi:[0,0,1]
	v_pk_fma_f32 v[6:7], v[6:7], v[18:19], v[22:23] op_sel_hi:[1,0,1]
	s_nop 0
	v_mov_b32_e32 v25, v7
	v_pk_add_f32 v[6:7], v[16:17], v[24:25]
	v_mov_b32_e32 v16, v21
	v_pk_mul_f32 v[16:17], v[8:9], v[16:17] op_sel:[1,0] op_sel_hi:[0,0]
	v_pk_fma_f32 v[18:19], v[8:9], v[20:21], v[16:17] neg_lo:[0,0,1] neg_hi:[0,0,1]
	v_pk_fma_f32 v[8:9], v[8:9], v[20:21], v[16:17] op_sel_hi:[1,0,1]
	s_nop 0
	v_mov_b32_e32 v19, v9
	s_waitcnt vmcnt(2) lgkmcnt(1)
	v_pk_mul_f32 v[8:9], v[10:11], v[2:3] op_sel:[1,1] op_sel_hi:[0,1]
	v_pk_fma_f32 v[16:17], v[10:11], v[2:3], v[8:9] neg_lo:[0,0,1] neg_hi:[0,0,1]
	v_pk_fma_f32 v[2:3], v[10:11], v[2:3], v[8:9] op_sel_hi:[1,0,1]
	v_pk_add_f32 v[6:7], v[6:7], v[18:19]
	v_mov_b32_e32 v17, v3
	v_pk_add_f32 v[2:3], v[6:7], v[16:17]
	v_mov_b32_e32 v6, v5
	v_pk_mul_f32 v[6:7], v[12:13], v[6:7] op_sel:[1,0] op_sel_hi:[0,0]
	v_pk_fma_f32 v[8:9], v[12:13], v[4:5], v[6:7] neg_lo:[0,0,1] neg_hi:[0,0,1]
	v_pk_fma_f32 v[4:5], v[12:13], v[4:5], v[6:7] op_sel_hi:[1,0,1]
	s_nop 0
	v_mov_b32_e32 v9, v5
	s_waitcnt vmcnt(1) lgkmcnt(0)
	v_pk_mul_f32 v[4:5], v[14:15], v[50:51] op_sel:[1,1] op_sel_hi:[0,1]
	v_pk_fma_f32 v[6:7], v[14:15], v[50:51], v[4:5] neg_lo:[0,0,1] neg_hi:[0,0,1]
	v_pk_fma_f32 v[4:5], v[14:15], v[50:51], v[4:5] op_sel_hi:[1,0,1]
	v_pk_add_f32 v[2:3], v[2:3], v[8:9]
	v_mov_b32_e32 v7, v5
	v_pk_add_f32 v[2:3], v[2:3], v[6:7]
	s_waitcnt vmcnt(0)
	v_pk_add_f32 v[2:3], v[56:57], v[2:3] neg_lo:[0,1] neg_hi:[0,1]
	scratch_store_dwordx2 off, v[2:3], off offset:216
	s_and_saveexec_b64 s[0:1], vcc
	s_cbranch_execz .LBB52_279
; %bb.278:
	scratch_load_dwordx2 v[2:3], off, off offset:208
	v_mov_b32_e32 v59, v58
	scratch_store_dwordx2 off, v[58:59], off offset:208
	s_waitcnt vmcnt(1)
	ds_write_b64 v1, v[2:3]
.LBB52_279:
	s_or_b64 exec, exec, s[0:1]
	s_waitcnt lgkmcnt(0)
	; wave barrier
	scratch_load_dwordx4 v[2:5], off, off offset:216
	scratch_load_dwordx4 v[18:21], off, off offset:232
	;; [unrolled: 1-line block ×9, first 2 shown]
	ds_read2_b64 v[60:63], v58 offset0:81 offset1:82
	ds_read2_b64 v[64:67], v58 offset0:83 offset1:84
	ds_read2_b64 v[68:71], v58 offset0:85 offset1:86
	ds_read2_b64 v[72:75], v58 offset0:87 offset1:88
	ds_read2_b64 v[76:79], v58 offset0:89 offset1:90
	ds_read2_b64 v[80:83], v58 offset0:91 offset1:92
	ds_read2_b64 v[84:87], v58 offset0:93 offset1:94
	ds_read2_b64 v[54:57], v58 offset0:95 offset1:96
	scratch_load_dwordx4 v[50:53], off, off offset:360
	scratch_load_dwordx4 v[34:37], off, off offset:376
	;; [unrolled: 1-line block ×4, first 2 shown]
	ds_read2_b64 v[88:91], v58 offset0:97 offset1:98
	ds_read2_b64 v[92:95], v58 offset0:99 offset1:100
	scratch_load_dwordx2 v[96:97], off, off offset:208
	v_cmp_lt_u32_e32 vcc, 25, v0
	s_waitcnt vmcnt(13) lgkmcnt(9)
	v_mul_f32_e32 v59, v60, v3
	v_mul_f32_e32 v98, v62, v5
	;; [unrolled: 1-line block ×3, first 2 shown]
	s_waitcnt vmcnt(10) lgkmcnt(6)
	v_mul_f32_e32 v105, v72, v7
	v_mul_f32_e32 v7, v73, v7
	v_fmac_f32_e32 v59, v61, v2
	v_mul_f32_e32 v100, v64, v19
	v_mul_f32_e32 v5, v63, v5
	v_fmac_f32_e32 v98, v63, v4
	v_fmac_f32_e32 v105, v73, v6
	v_fma_f32 v2, v60, v2, -v3
	v_fma_f32 v6, v72, v6, -v7
	v_add_f32_e32 v7, 0, v59
	v_mul_f32_e32 v102, v66, v21
	v_fmac_f32_e32 v100, v65, v18
	v_fma_f32 v3, v62, v4, -v5
	v_add_f32_e32 v2, 0, v2
	v_add_f32_e32 v7, v7, v98
	v_mul_f32_e32 v103, v68, v39
	v_fmac_f32_e32 v102, v67, v20
	v_add_f32_e32 v2, v2, v3
	v_add_f32_e32 v3, v7, v100
	v_mul_f32_e32 v104, v70, v41
	v_fmac_f32_e32 v103, v69, v38
	v_add_f32_e32 v3, v3, v102
	v_fmac_f32_e32 v104, v71, v40
	v_add_f32_e32 v3, v3, v103
	v_mul_f32_e32 v106, v74, v9
	v_add_f32_e32 v3, v3, v104
	s_waitcnt vmcnt(9) lgkmcnt(5)
	v_mul_f32_e32 v107, v76, v15
	v_fmac_f32_e32 v106, v75, v8
	v_add_f32_e32 v3, v3, v105
	v_mul_f32_e32 v108, v78, v17
	v_fmac_f32_e32 v107, v77, v14
	v_add_f32_e32 v3, v3, v106
	s_waitcnt vmcnt(8) lgkmcnt(4)
	v_mul_f32_e32 v109, v80, v23
	v_fmac_f32_e32 v108, v79, v16
	v_add_f32_e32 v3, v3, v107
	v_mul_f32_e32 v110, v82, v25
	v_fmac_f32_e32 v109, v81, v22
	v_add_f32_e32 v3, v3, v108
	s_waitcnt vmcnt(7) lgkmcnt(3)
	v_mul_f32_e32 v111, v84, v31
	v_mul_f32_e32 v19, v65, v19
	v_fmac_f32_e32 v110, v83, v24
	v_add_f32_e32 v3, v3, v109
	v_mul_f32_e32 v112, v86, v33
	v_mul_f32_e32 v21, v67, v21
	v_fmac_f32_e32 v111, v85, v30
	v_fma_f32 v4, v64, v18, -v19
	v_add_f32_e32 v3, v3, v110
	s_waitcnt vmcnt(6) lgkmcnt(2)
	v_mul_f32_e32 v113, v54, v43
	v_mul_f32_e32 v39, v69, v39
	v_fmac_f32_e32 v112, v87, v32
	v_fma_f32 v5, v66, v20, -v21
	v_add_f32_e32 v2, v2, v4
	v_add_f32_e32 v3, v3, v111
	v_mul_f32_e32 v114, v56, v45
	v_mul_f32_e32 v41, v71, v41
	v_fmac_f32_e32 v113, v55, v42
	v_fma_f32 v18, v68, v38, -v39
	v_add_f32_e32 v2, v2, v5
	v_add_f32_e32 v3, v3, v112
	v_fmac_f32_e32 v114, v57, v44
	v_fma_f32 v19, v70, v40, -v41
	v_add_f32_e32 v2, v2, v18
	v_add_f32_e32 v3, v3, v113
	;; [unrolled: 1-line block ×4, first 2 shown]
	v_mul_f32_e32 v3, v75, v9
	v_add_f32_e32 v2, v2, v6
	v_fma_f32 v3, v74, v8, -v3
	v_add_f32_e32 v2, v2, v3
	v_mul_f32_e32 v3, v77, v15
	v_fma_f32 v3, v76, v14, -v3
	v_add_f32_e32 v2, v2, v3
	v_mul_f32_e32 v3, v79, v17
	;; [unrolled: 3-line block ×8, first 2 shown]
	v_fma_f32 v3, v56, v44, -v3
	s_waitcnt vmcnt(5) lgkmcnt(1)
	v_mul_f32_e32 v99, v88, v47
	v_add_f32_e32 v18, v2, v3
	v_mul_f32_e32 v2, v89, v47
	s_waitcnt vmcnt(4) lgkmcnt(0)
	v_pk_mul_f32 v[20:21], v[92:93], v[50:51] op_sel:[1,1] op_sel_hi:[0,1]
	v_mul_f32_e32 v101, v90, v49
	v_fmac_f32_e32 v99, v89, v46
	v_fma_f32 v98, v88, v46, -v2
	v_mul_f32_e32 v2, v91, v49
	v_pk_fma_f32 v[22:23], v[92:93], v[50:51], v[20:21] neg_lo:[0,0,1] neg_hi:[0,0,1]
	v_pk_fma_f32 v[20:21], v[92:93], v[50:51], v[20:21] op_sel_hi:[1,0,1]
	v_fmac_f32_e32 v101, v91, v48
	v_fma_f32 v100, v90, v48, -v2
	ds_read2_b64 v[2:5], v58 offset0:101 offset1:102
	ds_read2_b64 v[6:9], v58 offset0:103 offset1:104
	;; [unrolled: 1-line block ×3, first 2 shown]
	v_pk_add_f32 v[18:19], v[18:19], v[98:99]
	v_mov_b32_e32 v20, v53
	v_pk_add_f32 v[18:19], v[18:19], v[100:101]
	v_mov_b32_e32 v23, v21
	v_pk_mul_f32 v[20:21], v[94:95], v[20:21] op_sel:[1,0] op_sel_hi:[0,0]
	v_pk_add_f32 v[18:19], v[18:19], v[22:23]
	v_pk_fma_f32 v[22:23], v[94:95], v[52:53], v[20:21] neg_lo:[0,0,1] neg_hi:[0,0,1]
	v_pk_fma_f32 v[20:21], v[94:95], v[52:53], v[20:21] op_sel_hi:[1,0,1]
	s_nop 0
	v_mov_b32_e32 v23, v21
	s_waitcnt vmcnt(3) lgkmcnt(2)
	v_pk_mul_f32 v[20:21], v[2:3], v[34:35] op_sel:[1,1] op_sel_hi:[0,1]
	v_pk_add_f32 v[18:19], v[18:19], v[22:23]
	v_pk_fma_f32 v[22:23], v[2:3], v[34:35], v[20:21] neg_lo:[0,0,1] neg_hi:[0,0,1]
	v_pk_fma_f32 v[2:3], v[2:3], v[34:35], v[20:21] op_sel_hi:[1,0,1]
	s_nop 0
	v_mov_b32_e32 v23, v3
	v_pk_add_f32 v[2:3], v[18:19], v[22:23]
	v_mov_b32_e32 v18, v37
	v_pk_mul_f32 v[18:19], v[4:5], v[18:19] op_sel:[1,0] op_sel_hi:[0,0]
	v_pk_fma_f32 v[20:21], v[4:5], v[36:37], v[18:19] neg_lo:[0,0,1] neg_hi:[0,0,1]
	v_pk_fma_f32 v[4:5], v[4:5], v[36:37], v[18:19] op_sel_hi:[1,0,1]
	s_nop 0
	v_mov_b32_e32 v21, v5
	s_waitcnt vmcnt(2) lgkmcnt(1)
	v_pk_mul_f32 v[4:5], v[6:7], v[26:27] op_sel:[1,1] op_sel_hi:[0,1]
	v_pk_fma_f32 v[18:19], v[6:7], v[26:27], v[4:5] neg_lo:[0,0,1] neg_hi:[0,0,1]
	v_pk_fma_f32 v[4:5], v[6:7], v[26:27], v[4:5] op_sel_hi:[1,0,1]
	v_pk_add_f32 v[2:3], v[2:3], v[20:21]
	v_mov_b32_e32 v4, v29
	v_mov_b32_e32 v19, v5
	v_pk_mul_f32 v[4:5], v[8:9], v[4:5] op_sel:[1,0] op_sel_hi:[0,0]
	v_pk_fma_f32 v[6:7], v[8:9], v[28:29], v[4:5] neg_lo:[0,0,1] neg_hi:[0,0,1]
	v_pk_fma_f32 v[4:5], v[8:9], v[28:29], v[4:5] op_sel_hi:[1,0,1]
	v_pk_add_f32 v[2:3], v[2:3], v[18:19]
	v_mov_b32_e32 v7, v5
	s_waitcnt vmcnt(1) lgkmcnt(0)
	v_pk_mul_f32 v[4:5], v[14:15], v[10:11] op_sel:[1,1] op_sel_hi:[0,1]
	v_pk_add_f32 v[2:3], v[2:3], v[6:7]
	v_pk_fma_f32 v[6:7], v[14:15], v[10:11], v[4:5] neg_lo:[0,0,1] neg_hi:[0,0,1]
	v_pk_fma_f32 v[4:5], v[14:15], v[10:11], v[4:5] op_sel_hi:[1,0,1]
	s_nop 0
	v_mov_b32_e32 v4, v13
	v_mov_b32_e32 v7, v5
	v_pk_mul_f32 v[4:5], v[16:17], v[4:5] op_sel:[1,0] op_sel_hi:[0,0]
	v_pk_add_f32 v[2:3], v[2:3], v[6:7]
	v_pk_fma_f32 v[6:7], v[16:17], v[12:13], v[4:5] neg_lo:[0,0,1] neg_hi:[0,0,1]
	v_pk_fma_f32 v[4:5], v[16:17], v[12:13], v[4:5] op_sel_hi:[1,0,1]
	s_nop 0
	v_mov_b32_e32 v7, v5
	v_pk_add_f32 v[2:3], v[2:3], v[6:7]
	s_waitcnt vmcnt(0)
	v_pk_add_f32 v[2:3], v[96:97], v[2:3] neg_lo:[0,1] neg_hi:[0,1]
	scratch_store_dwordx2 off, v[2:3], off offset:208
	s_and_saveexec_b64 s[0:1], vcc
	s_cbranch_execz .LBB52_281
; %bb.280:
	scratch_load_dwordx2 v[2:3], off, off offset:200
	v_mov_b32_e32 v4, 0
	v_mov_b32_e32 v5, v4
	scratch_store_dwordx2 off, v[4:5], off offset:200
	s_waitcnt vmcnt(1)
	ds_write_b64 v1, v[2:3]
.LBB52_281:
	s_or_b64 exec, exec, s[0:1]
	s_waitcnt lgkmcnt(0)
	; wave barrier
	scratch_load_dwordx4 v[18:21], off, off offset:208
	scratch_load_dwordx4 v[30:33], off, off offset:224
	;; [unrolled: 1-line block ×13, first 2 shown]
	scratch_load_dwordx2 v[54:55], off, off offset:416
	scratch_load_dwordx2 v[80:81], off, off offset:200
	v_mov_b32_e32 v82, 0
	ds_read_b128 v[56:59], v82 offset:640
	ds_read_b128 v[60:63], v82 offset:656
	;; [unrolled: 1-line block ×10, first 2 shown]
	v_cmp_lt_u32_e32 vcc, 24, v0
	s_waitcnt vmcnt(14) lgkmcnt(9)
	v_mul_f32_e32 v83, v56, v19
	v_mul_f32_e32 v100, v58, v21
	s_waitcnt vmcnt(12) lgkmcnt(7)
	v_mul_f32_e32 v105, v64, v3
	v_mul_f32_e32 v3, v65, v3
	v_fmac_f32_e32 v83, v57, v18
	v_mul_f32_e32 v102, v60, v31
	v_fmac_f32_e32 v100, v59, v20
	v_fmac_f32_e32 v105, v65, v2
	v_fma_f32 v2, v64, v2, -v3
	v_add_f32_e32 v3, 0, v83
	v_mul_f32_e32 v104, v62, v33
	v_fmac_f32_e32 v102, v61, v30
	v_add_f32_e32 v3, v3, v100
	v_fmac_f32_e32 v104, v63, v32
	v_add_f32_e32 v3, v3, v102
	v_mul_f32_e32 v106, v66, v5
	v_add_f32_e32 v3, v3, v104
	s_waitcnt vmcnt(11) lgkmcnt(6)
	v_mul_f32_e32 v107, v68, v7
	v_fmac_f32_e32 v106, v67, v4
	v_add_f32_e32 v3, v3, v105
	v_mul_f32_e32 v108, v70, v9
	v_fmac_f32_e32 v107, v69, v6
	v_add_f32_e32 v3, v3, v106
	s_waitcnt vmcnt(10) lgkmcnt(5)
	v_mul_f32_e32 v109, v72, v15
	v_fmac_f32_e32 v108, v71, v8
	v_add_f32_e32 v3, v3, v107
	v_mul_f32_e32 v110, v74, v17
	v_fmac_f32_e32 v109, v73, v14
	;; [unrolled: 7-line block ×3, first 2 shown]
	v_add_f32_e32 v3, v3, v110
	s_waitcnt vmcnt(8) lgkmcnt(3)
	v_mul_f32_e32 v113, v84, v35
	v_mul_f32_e32 v19, v57, v19
	v_fmac_f32_e32 v112, v79, v24
	v_add_f32_e32 v3, v3, v111
	v_mul_f32_e32 v114, v86, v37
	v_mul_f32_e32 v21, v59, v21
	v_fmac_f32_e32 v113, v85, v34
	v_fma_f32 v18, v56, v18, -v19
	v_add_f32_e32 v3, v3, v112
	s_waitcnt vmcnt(7) lgkmcnt(2)
	v_mul_f32_e32 v115, v88, v39
	v_mul_f32_e32 v31, v61, v31
	v_fmac_f32_e32 v114, v87, v36
	v_fma_f32 v19, v58, v20, -v21
	v_add_f32_e32 v18, 0, v18
	v_add_f32_e32 v3, v3, v113
	v_mul_f32_e32 v116, v90, v41
	v_mul_f32_e32 v33, v63, v33
	v_fmac_f32_e32 v115, v89, v38
	v_fma_f32 v20, v60, v30, -v31
	v_add_f32_e32 v18, v18, v19
	v_add_f32_e32 v3, v3, v114
	s_waitcnt vmcnt(6) lgkmcnt(1)
	v_mul_f32_e32 v117, v92, v51
	v_fmac_f32_e32 v116, v91, v40
	v_fma_f32 v21, v62, v32, -v33
	v_add_f32_e32 v18, v18, v20
	v_add_f32_e32 v3, v3, v115
	v_mul_f32_e32 v5, v67, v5
	v_fmac_f32_e32 v117, v93, v50
	v_add_f32_e32 v18, v18, v21
	v_add_f32_e32 v3, v3, v116
	v_add_f32_e32 v2, v18, v2
	v_add_f32_e32 v19, v3, v117
	v_fma_f32 v3, v66, v4, -v5
	v_add_f32_e32 v2, v2, v3
	v_mul_f32_e32 v3, v69, v7
	v_fma_f32 v3, v68, v6, -v3
	v_add_f32_e32 v2, v2, v3
	v_mul_f32_e32 v3, v71, v9
	;; [unrolled: 3-line block ×12, first 2 shown]
	v_mul_f32_e32 v101, v94, v53
	v_fma_f32 v100, v94, v52, -v2
	s_waitcnt vmcnt(5) lgkmcnt(0)
	v_mul_f32_e32 v2, v97, v47
	v_mov_b32_e32 v22, v49
	v_mul_f32_e32 v103, v96, v47
	v_fmac_f32_e32 v101, v95, v52
	v_fma_f32 v102, v96, v46, -v2
	ds_read_b128 v[2:5], v82 offset:800
	ds_read_b128 v[6:9], v82 offset:816
	;; [unrolled: 1-line block ×3, first 2 shown]
	ds_read_b64 v[20:21], v82 offset:848
	v_pk_mul_f32 v[22:23], v[98:99], v[22:23] op_sel:[1,0] op_sel_hi:[0,0]
	v_fmac_f32_e32 v103, v97, v46
	v_pk_add_f32 v[18:19], v[18:19], v[100:101]
	v_pk_fma_f32 v[24:25], v[98:99], v[48:49], v[22:23] neg_lo:[0,0,1] neg_hi:[0,0,1]
	v_pk_fma_f32 v[22:23], v[98:99], v[48:49], v[22:23] op_sel_hi:[1,0,1]
	v_pk_add_f32 v[18:19], v[18:19], v[102:103]
	v_mov_b32_e32 v25, v23
	s_waitcnt vmcnt(4) lgkmcnt(3)
	v_pk_mul_f32 v[22:23], v[2:3], v[42:43] op_sel:[1,1] op_sel_hi:[0,1]
	v_pk_add_f32 v[18:19], v[18:19], v[24:25]
	v_pk_fma_f32 v[24:25], v[2:3], v[42:43], v[22:23] neg_lo:[0,0,1] neg_hi:[0,0,1]
	v_pk_fma_f32 v[2:3], v[2:3], v[42:43], v[22:23] op_sel_hi:[1,0,1]
	s_nop 0
	v_mov_b32_e32 v25, v3
	v_pk_add_f32 v[2:3], v[18:19], v[24:25]
	v_mov_b32_e32 v18, v45
	v_pk_mul_f32 v[18:19], v[4:5], v[18:19] op_sel:[1,0] op_sel_hi:[0,0]
	v_pk_fma_f32 v[22:23], v[4:5], v[44:45], v[18:19] neg_lo:[0,0,1] neg_hi:[0,0,1]
	v_pk_fma_f32 v[4:5], v[4:5], v[44:45], v[18:19] op_sel_hi:[1,0,1]
	s_nop 0
	v_mov_b32_e32 v23, v5
	s_waitcnt vmcnt(3) lgkmcnt(2)
	v_pk_mul_f32 v[4:5], v[6:7], v[26:27] op_sel:[1,1] op_sel_hi:[0,1]
	v_pk_fma_f32 v[18:19], v[6:7], v[26:27], v[4:5] neg_lo:[0,0,1] neg_hi:[0,0,1]
	v_pk_fma_f32 v[4:5], v[6:7], v[26:27], v[4:5] op_sel_hi:[1,0,1]
	v_pk_add_f32 v[2:3], v[2:3], v[22:23]
	v_mov_b32_e32 v4, v29
	v_mov_b32_e32 v19, v5
	v_pk_mul_f32 v[4:5], v[8:9], v[4:5] op_sel:[1,0] op_sel_hi:[0,0]
	v_pk_fma_f32 v[6:7], v[8:9], v[28:29], v[4:5] neg_lo:[0,0,1] neg_hi:[0,0,1]
	v_pk_fma_f32 v[4:5], v[8:9], v[28:29], v[4:5] op_sel_hi:[1,0,1]
	v_pk_add_f32 v[2:3], v[2:3], v[18:19]
	v_mov_b32_e32 v7, v5
	s_waitcnt vmcnt(2) lgkmcnt(1)
	v_pk_mul_f32 v[4:5], v[14:15], v[10:11] op_sel:[1,1] op_sel_hi:[0,1]
	v_pk_add_f32 v[2:3], v[2:3], v[6:7]
	v_pk_fma_f32 v[6:7], v[14:15], v[10:11], v[4:5] neg_lo:[0,0,1] neg_hi:[0,0,1]
	v_pk_fma_f32 v[4:5], v[14:15], v[10:11], v[4:5] op_sel_hi:[1,0,1]
	s_nop 0
	v_mov_b32_e32 v4, v13
	v_mov_b32_e32 v7, v5
	v_pk_mul_f32 v[4:5], v[16:17], v[4:5] op_sel:[1,0] op_sel_hi:[0,0]
	v_pk_add_f32 v[2:3], v[2:3], v[6:7]
	v_pk_fma_f32 v[6:7], v[16:17], v[12:13], v[4:5] neg_lo:[0,0,1] neg_hi:[0,0,1]
	v_pk_fma_f32 v[4:5], v[16:17], v[12:13], v[4:5] op_sel_hi:[1,0,1]
	s_nop 0
	v_mov_b32_e32 v7, v5
	s_waitcnt vmcnt(1) lgkmcnt(0)
	v_pk_mul_f32 v[4:5], v[20:21], v[54:55] op_sel:[1,1] op_sel_hi:[0,1]
	v_pk_add_f32 v[2:3], v[2:3], v[6:7]
	v_pk_fma_f32 v[6:7], v[20:21], v[54:55], v[4:5] neg_lo:[0,0,1] neg_hi:[0,0,1]
	v_pk_fma_f32 v[4:5], v[20:21], v[54:55], v[4:5] op_sel_hi:[1,0,1]
	s_nop 0
	v_mov_b32_e32 v7, v5
	v_pk_add_f32 v[2:3], v[2:3], v[6:7]
	s_waitcnt vmcnt(0)
	v_pk_add_f32 v[2:3], v[80:81], v[2:3] neg_lo:[0,1] neg_hi:[0,1]
	scratch_store_dwordx2 off, v[2:3], off offset:200
	s_and_saveexec_b64 s[0:1], vcc
	s_cbranch_execz .LBB52_283
; %bb.282:
	scratch_load_dwordx2 v[2:3], off, off offset:192
	v_mov_b32_e32 v83, v82
	scratch_store_dwordx2 off, v[82:83], off offset:192
	s_waitcnt vmcnt(1)
	ds_write_b64 v1, v[2:3]
.LBB52_283:
	s_or_b64 exec, exec, s[0:1]
	s_waitcnt lgkmcnt(0)
	; wave barrier
	scratch_load_dwordx4 v[10:13], off, off offset:200
	scratch_load_dwordx4 v[26:29], off, off offset:216
	;; [unrolled: 1-line block ×10, first 2 shown]
	ds_read2_b64 v[84:87], v82 offset0:79 offset1:80
	ds_read2_b64 v[88:91], v82 offset0:81 offset1:82
	;; [unrolled: 1-line block ×10, first 2 shown]
	scratch_load_dwordx4 v[54:57], off, off offset:360
	scratch_load_dwordx4 v[46:49], off, off offset:376
	;; [unrolled: 1-line block ×4, first 2 shown]
	scratch_load_dwordx2 v[100:101], off, off offset:192
	v_cmp_lt_u32_e32 vcc, 23, v0
	s_waitcnt vmcnt(14) lgkmcnt(9)
	v_mul_f32_e32 v83, v84, v11
	v_mul_f32_e32 v102, v86, v13
	s_waitcnt vmcnt(12) lgkmcnt(7)
	v_mul_f32_e32 v107, v92, v3
	v_mul_f32_e32 v3, v93, v3
	v_fmac_f32_e32 v83, v85, v10
	v_mul_f32_e32 v104, v88, v27
	v_fmac_f32_e32 v102, v87, v12
	v_fmac_f32_e32 v107, v93, v2
	v_fma_f32 v2, v92, v2, -v3
	v_add_f32_e32 v3, 0, v83
	v_mul_f32_e32 v106, v90, v29
	v_fmac_f32_e32 v104, v89, v26
	v_add_f32_e32 v3, v3, v102
	v_fmac_f32_e32 v106, v91, v28
	v_add_f32_e32 v3, v3, v104
	v_mul_f32_e32 v108, v94, v5
	v_add_f32_e32 v3, v3, v106
	s_waitcnt vmcnt(11) lgkmcnt(6)
	v_mul_f32_e32 v109, v96, v7
	v_fmac_f32_e32 v108, v95, v4
	v_add_f32_e32 v3, v3, v107
	v_mul_f32_e32 v110, v98, v9
	v_fmac_f32_e32 v109, v97, v6
	v_add_f32_e32 v3, v3, v108
	s_waitcnt vmcnt(10) lgkmcnt(5)
	v_mul_f32_e32 v111, v78, v15
	v_fmac_f32_e32 v110, v99, v8
	v_add_f32_e32 v3, v3, v109
	v_mul_f32_e32 v112, v80, v17
	v_fmac_f32_e32 v111, v79, v14
	;; [unrolled: 7-line block ×4, first 2 shown]
	v_add_f32_e32 v3, v3, v114
	s_waitcnt vmcnt(7) lgkmcnt(2)
	v_mul_f32_e32 v117, v66, v39
	v_mul_f32_e32 v11, v85, v11
	v_fmac_f32_e32 v116, v73, v32
	v_add_f32_e32 v3, v3, v115
	v_mul_f32_e32 v118, v68, v41
	v_mul_f32_e32 v13, v87, v13
	v_fmac_f32_e32 v117, v67, v38
	v_fma_f32 v10, v84, v10, -v11
	v_add_f32_e32 v3, v3, v116
	s_waitcnt vmcnt(6) lgkmcnt(1)
	v_mul_f32_e32 v119, v62, v43
	v_mul_f32_e32 v27, v89, v27
	v_fmac_f32_e32 v118, v69, v40
	v_fma_f32 v11, v86, v12, -v13
	v_add_f32_e32 v10, 0, v10
	v_add_f32_e32 v3, v3, v117
	v_mul_f32_e32 v120, v64, v45
	v_mul_f32_e32 v29, v91, v29
	v_fmac_f32_e32 v119, v63, v42
	v_fma_f32 v12, v88, v26, -v27
	v_add_f32_e32 v10, v10, v11
	v_add_f32_e32 v3, v3, v118
	v_fmac_f32_e32 v120, v65, v44
	v_fma_f32 v13, v90, v28, -v29
	v_add_f32_e32 v10, v10, v12
	v_add_f32_e32 v3, v3, v119
	;; [unrolled: 1-line block ×4, first 2 shown]
	v_mul_f32_e32 v3, v95, v5
	v_add_f32_e32 v2, v10, v2
	v_fma_f32 v3, v94, v4, -v3
	v_add_f32_e32 v2, v2, v3
	v_mul_f32_e32 v3, v97, v7
	v_fma_f32 v3, v96, v6, -v3
	v_add_f32_e32 v2, v2, v3
	v_mul_f32_e32 v3, v99, v9
	;; [unrolled: 3-line block ×12, first 2 shown]
	v_fma_f32 v3, v64, v44, -v3
	v_add_f32_e32 v26, v2, v3
	s_waitcnt vmcnt(5) lgkmcnt(0)
	v_mul_f32_e32 v2, v59, v51
	v_fma_f32 v102, v58, v50, -v2
	v_mul_f32_e32 v2, v61, v53
	v_fma_f32 v104, v60, v52, -v2
	ds_read2_b64 v[2:5], v82 offset0:99 offset1:100
	ds_read2_b64 v[6:9], v82 offset0:101 offset1:102
	;; [unrolled: 1-line block ×4, first 2 shown]
	v_mul_f32_e32 v103, v58, v51
	v_mul_f32_e32 v105, v60, v53
	v_fmac_f32_e32 v103, v59, v50
	s_waitcnt vmcnt(4) lgkmcnt(3)
	v_pk_mul_f32 v[24:25], v[2:3], v[54:55] op_sel:[1,1] op_sel_hi:[0,1]
	v_fmac_f32_e32 v105, v61, v52
	v_pk_add_f32 v[22:23], v[26:27], v[102:103]
	v_pk_fma_f32 v[26:27], v[2:3], v[54:55], v[24:25] neg_lo:[0,0,1] neg_hi:[0,0,1]
	v_pk_fma_f32 v[2:3], v[2:3], v[54:55], v[24:25] op_sel_hi:[1,0,1]
	v_pk_add_f32 v[22:23], v[22:23], v[104:105]
	v_mov_b32_e32 v27, v3
	v_pk_add_f32 v[2:3], v[22:23], v[26:27]
	v_mov_b32_e32 v22, v57
	v_pk_mul_f32 v[22:23], v[4:5], v[22:23] op_sel:[1,0] op_sel_hi:[0,0]
	v_pk_fma_f32 v[24:25], v[4:5], v[56:57], v[22:23] neg_lo:[0,0,1] neg_hi:[0,0,1]
	v_pk_fma_f32 v[4:5], v[4:5], v[56:57], v[22:23] op_sel_hi:[1,0,1]
	s_nop 0
	v_mov_b32_e32 v25, v5
	s_waitcnt vmcnt(3) lgkmcnt(2)
	v_pk_mul_f32 v[4:5], v[6:7], v[46:47] op_sel:[1,1] op_sel_hi:[0,1]
	v_pk_fma_f32 v[22:23], v[6:7], v[46:47], v[4:5] neg_lo:[0,0,1] neg_hi:[0,0,1]
	v_pk_fma_f32 v[4:5], v[6:7], v[46:47], v[4:5] op_sel_hi:[1,0,1]
	v_pk_add_f32 v[2:3], v[2:3], v[24:25]
	v_mov_b32_e32 v4, v49
	v_mov_b32_e32 v23, v5
	v_pk_mul_f32 v[4:5], v[8:9], v[4:5] op_sel:[1,0] op_sel_hi:[0,0]
	v_pk_fma_f32 v[6:7], v[8:9], v[48:49], v[4:5] neg_lo:[0,0,1] neg_hi:[0,0,1]
	v_pk_fma_f32 v[4:5], v[8:9], v[48:49], v[4:5] op_sel_hi:[1,0,1]
	v_pk_add_f32 v[2:3], v[2:3], v[22:23]
	v_mov_b32_e32 v7, v5
	s_waitcnt vmcnt(2) lgkmcnt(1)
	v_pk_mul_f32 v[4:5], v[10:11], v[34:35] op_sel:[1,1] op_sel_hi:[0,1]
	v_pk_add_f32 v[2:3], v[2:3], v[6:7]
	v_pk_fma_f32 v[6:7], v[10:11], v[34:35], v[4:5] neg_lo:[0,0,1] neg_hi:[0,0,1]
	v_pk_fma_f32 v[4:5], v[10:11], v[34:35], v[4:5] op_sel_hi:[1,0,1]
	s_nop 0
	v_mov_b32_e32 v4, v37
	v_mov_b32_e32 v7, v5
	v_pk_mul_f32 v[4:5], v[12:13], v[4:5] op_sel:[1,0] op_sel_hi:[0,0]
	v_pk_add_f32 v[2:3], v[2:3], v[6:7]
	v_pk_fma_f32 v[6:7], v[12:13], v[36:37], v[4:5] neg_lo:[0,0,1] neg_hi:[0,0,1]
	v_pk_fma_f32 v[4:5], v[12:13], v[36:37], v[4:5] op_sel_hi:[1,0,1]
	s_nop 0
	v_mov_b32_e32 v7, v5
	s_waitcnt vmcnt(1) lgkmcnt(0)
	v_pk_mul_f32 v[4:5], v[14:15], v[18:19] op_sel:[1,1] op_sel_hi:[0,1]
	v_pk_add_f32 v[2:3], v[2:3], v[6:7]
	v_pk_fma_f32 v[6:7], v[14:15], v[18:19], v[4:5] neg_lo:[0,0,1] neg_hi:[0,0,1]
	v_pk_fma_f32 v[4:5], v[14:15], v[18:19], v[4:5] op_sel_hi:[1,0,1]
	s_nop 0
	v_mov_b32_e32 v4, v21
	v_mov_b32_e32 v7, v5
	v_pk_mul_f32 v[4:5], v[16:17], v[4:5] op_sel:[1,0] op_sel_hi:[0,0]
	v_pk_add_f32 v[2:3], v[2:3], v[6:7]
	v_pk_fma_f32 v[6:7], v[16:17], v[20:21], v[4:5] neg_lo:[0,0,1] neg_hi:[0,0,1]
	v_pk_fma_f32 v[4:5], v[16:17], v[20:21], v[4:5] op_sel_hi:[1,0,1]
	s_nop 0
	v_mov_b32_e32 v7, v5
	v_pk_add_f32 v[2:3], v[2:3], v[6:7]
	s_waitcnt vmcnt(0)
	v_pk_add_f32 v[2:3], v[100:101], v[2:3] neg_lo:[0,1] neg_hi:[0,1]
	scratch_store_dwordx2 off, v[2:3], off offset:192
	s_and_saveexec_b64 s[0:1], vcc
	s_cbranch_execz .LBB52_285
; %bb.284:
	scratch_load_dwordx2 v[2:3], off, off offset:184
	v_mov_b32_e32 v4, 0
	v_mov_b32_e32 v5, v4
	scratch_store_dwordx2 off, v[4:5], off offset:184
	s_waitcnt vmcnt(1)
	ds_write_b64 v1, v[2:3]
.LBB52_285:
	s_or_b64 exec, exec, s[0:1]
	s_waitcnt lgkmcnt(0)
	; wave barrier
	scratch_load_dwordx4 v[26:29], off, off offset:192
	scratch_load_dwordx4 v[2:5], off, off offset:208
	;; [unrolled: 1-line block ×14, first 2 shown]
	scratch_load_dwordx2 v[58:59], off, off offset:416
	scratch_load_dwordx2 v[100:101], off, off offset:184
	v_mov_b32_e32 v102, 0
	ds_read_b128 v[60:63], v102 offset:624
	ds_read_b128 v[64:67], v102 offset:640
	;; [unrolled: 1-line block ×12, first 2 shown]
	v_cmp_lt_u32_e32 vcc, 22, v0
	s_waitcnt vmcnt(15) lgkmcnt(11)
	v_mul_f32_e32 v103, v60, v27
	v_mul_f32_e32 v112, v62, v29
	s_waitcnt vmcnt(14) lgkmcnt(10)
	v_mul_f32_e32 v114, v64, v3
	v_mul_f32_e32 v3, v65, v3
	v_fmac_f32_e32 v103, v61, v26
	v_fmac_f32_e32 v112, v63, v28
	;; [unrolled: 1-line block ×3, first 2 shown]
	v_fma_f32 v2, v64, v2, -v3
	v_add_f32_e32 v3, 0, v103
	v_mul_f32_e32 v116, v66, v5
	v_add_f32_e32 v3, v3, v112
	s_waitcnt vmcnt(13) lgkmcnt(9)
	v_mul_f32_e32 v117, v68, v7
	v_fmac_f32_e32 v116, v67, v4
	v_add_f32_e32 v3, v3, v114
	v_mul_f32_e32 v118, v70, v9
	v_fmac_f32_e32 v117, v69, v6
	v_add_f32_e32 v3, v3, v116
	s_waitcnt vmcnt(12) lgkmcnt(8)
	v_mul_f32_e32 v119, v72, v11
	v_fmac_f32_e32 v118, v71, v8
	v_add_f32_e32 v3, v3, v117
	v_mul_f32_e32 v120, v74, v13
	v_fmac_f32_e32 v119, v73, v10
	;; [unrolled: 7-line block ×6, first 2 shown]
	v_add_f32_e32 v3, v3, v126
	s_waitcnt vmcnt(7) lgkmcnt(3)
	v_mul_f32_e32 v129, v92, v43
	v_fmac_f32_e32 v128, v91, v40
	v_add_f32_e32 v3, v3, v127
	v_mul_f32_e32 v130, v94, v45
	v_mul_f32_e32 v27, v61, v27
	v_fmac_f32_e32 v129, v93, v42
	v_add_f32_e32 v3, v3, v128
	s_waitcnt vmcnt(6) lgkmcnt(2)
	v_mul_f32_e32 v131, v96, v51
	v_mul_f32_e32 v29, v63, v29
	v_fmac_f32_e32 v130, v95, v44
	v_fma_f32 v26, v60, v26, -v27
	v_add_f32_e32 v3, v3, v129
	v_fmac_f32_e32 v131, v97, v50
	v_fma_f32 v27, v62, v28, -v29
	v_add_f32_e32 v26, 0, v26
	v_add_f32_e32 v3, v3, v130
	;; [unrolled: 1-line block ×4, first 2 shown]
	v_mul_f32_e32 v3, v67, v5
	v_add_f32_e32 v2, v26, v2
	v_fma_f32 v3, v66, v4, -v3
	v_add_f32_e32 v2, v2, v3
	v_mul_f32_e32 v3, v69, v7
	v_fma_f32 v3, v68, v6, -v3
	v_add_f32_e32 v2, v2, v3
	v_mul_f32_e32 v3, v71, v9
	;; [unrolled: 3-line block ×15, first 2 shown]
	v_fma_f32 v3, v96, v50, -v3
	v_mul_f32_e32 v113, v98, v53
	v_add_f32_e32 v26, v2, v3
	v_mul_f32_e32 v2, v99, v53
	s_waitcnt vmcnt(5)
	v_mov_b32_e32 v14, v57
	s_waitcnt lgkmcnt(1)
	v_mul_f32_e32 v115, v104, v55
	v_fmac_f32_e32 v113, v99, v52
	v_fma_f32 v112, v98, v52, -v2
	v_mul_f32_e32 v2, v105, v55
	v_pk_mul_f32 v[14:15], v[106:107], v[14:15] op_sel:[1,0] op_sel_hi:[0,0]
	v_fmac_f32_e32 v115, v105, v54
	v_fma_f32 v114, v104, v54, -v2
	v_pk_add_f32 v[12:13], v[26:27], v[112:113]
	v_pk_fma_f32 v[16:17], v[106:107], v[56:57], v[14:15] neg_lo:[0,0,1] neg_hi:[0,0,1]
	v_pk_fma_f32 v[14:15], v[106:107], v[56:57], v[14:15] op_sel_hi:[1,0,1]
	v_pk_add_f32 v[12:13], v[12:13], v[114:115]
	v_mov_b32_e32 v17, v15
	s_waitcnt vmcnt(4) lgkmcnt(0)
	v_pk_mul_f32 v[14:15], v[108:109], v[46:47] op_sel:[1,1] op_sel_hi:[0,1]
	v_pk_add_f32 v[12:13], v[12:13], v[16:17]
	v_pk_fma_f32 v[16:17], v[108:109], v[46:47], v[14:15] neg_lo:[0,0,1] neg_hi:[0,0,1]
	v_pk_fma_f32 v[14:15], v[108:109], v[46:47], v[14:15] op_sel_hi:[1,0,1]
	ds_read_b128 v[2:5], v102 offset:816
	ds_read_b128 v[6:9], v102 offset:832
	ds_read_b64 v[10:11], v102 offset:848
	v_mov_b32_e32 v14, v49
	v_mov_b32_e32 v17, v15
	v_pk_mul_f32 v[14:15], v[110:111], v[14:15] op_sel:[1,0] op_sel_hi:[0,0]
	v_pk_add_f32 v[12:13], v[12:13], v[16:17]
	v_pk_fma_f32 v[16:17], v[110:111], v[48:49], v[14:15] neg_lo:[0,0,1] neg_hi:[0,0,1]
	v_pk_fma_f32 v[14:15], v[110:111], v[48:49], v[14:15] op_sel_hi:[1,0,1]
	s_nop 0
	v_mov_b32_e32 v17, v15
	s_waitcnt vmcnt(3) lgkmcnt(2)
	v_pk_mul_f32 v[14:15], v[2:3], v[34:35] op_sel:[1,1] op_sel_hi:[0,1]
	v_pk_add_f32 v[12:13], v[12:13], v[16:17]
	v_pk_fma_f32 v[16:17], v[2:3], v[34:35], v[14:15] neg_lo:[0,0,1] neg_hi:[0,0,1]
	v_pk_fma_f32 v[2:3], v[2:3], v[34:35], v[14:15] op_sel_hi:[1,0,1]
	s_nop 0
	v_mov_b32_e32 v17, v3
	v_pk_add_f32 v[2:3], v[12:13], v[16:17]
	v_mov_b32_e32 v12, v37
	v_pk_mul_f32 v[12:13], v[4:5], v[12:13] op_sel:[1,0] op_sel_hi:[0,0]
	v_pk_fma_f32 v[14:15], v[4:5], v[36:37], v[12:13] neg_lo:[0,0,1] neg_hi:[0,0,1]
	v_pk_fma_f32 v[4:5], v[4:5], v[36:37], v[12:13] op_sel_hi:[1,0,1]
	s_nop 0
	v_mov_b32_e32 v15, v5
	s_waitcnt vmcnt(2) lgkmcnt(1)
	v_pk_mul_f32 v[4:5], v[6:7], v[18:19] op_sel:[1,1] op_sel_hi:[0,1]
	v_pk_fma_f32 v[12:13], v[6:7], v[18:19], v[4:5] neg_lo:[0,0,1] neg_hi:[0,0,1]
	v_pk_fma_f32 v[4:5], v[6:7], v[18:19], v[4:5] op_sel_hi:[1,0,1]
	v_pk_add_f32 v[2:3], v[2:3], v[14:15]
	v_mov_b32_e32 v4, v21
	v_mov_b32_e32 v13, v5
	v_pk_mul_f32 v[4:5], v[8:9], v[4:5] op_sel:[1,0] op_sel_hi:[0,0]
	v_pk_fma_f32 v[6:7], v[8:9], v[20:21], v[4:5] neg_lo:[0,0,1] neg_hi:[0,0,1]
	v_pk_fma_f32 v[4:5], v[8:9], v[20:21], v[4:5] op_sel_hi:[1,0,1]
	v_pk_add_f32 v[2:3], v[2:3], v[12:13]
	v_mov_b32_e32 v7, v5
	s_waitcnt vmcnt(1) lgkmcnt(0)
	v_pk_mul_f32 v[4:5], v[10:11], v[58:59] op_sel:[1,1] op_sel_hi:[0,1]
	v_pk_add_f32 v[2:3], v[2:3], v[6:7]
	v_pk_fma_f32 v[6:7], v[10:11], v[58:59], v[4:5] neg_lo:[0,0,1] neg_hi:[0,0,1]
	v_pk_fma_f32 v[4:5], v[10:11], v[58:59], v[4:5] op_sel_hi:[1,0,1]
	s_nop 0
	v_mov_b32_e32 v7, v5
	v_pk_add_f32 v[2:3], v[2:3], v[6:7]
	s_waitcnt vmcnt(0)
	v_pk_add_f32 v[2:3], v[100:101], v[2:3] neg_lo:[0,1] neg_hi:[0,1]
	scratch_store_dwordx2 off, v[2:3], off offset:184
	s_and_saveexec_b64 s[0:1], vcc
	s_cbranch_execz .LBB52_287
; %bb.286:
	scratch_load_dwordx2 v[2:3], off, off offset:176
	v_mov_b32_e32 v103, v102
	scratch_store_dwordx2 off, v[102:103], off offset:176
	s_waitcnt vmcnt(1)
	ds_write_b64 v1, v[2:3]
.LBB52_287:
	s_or_b64 exec, exec, s[0:1]
	s_waitcnt lgkmcnt(0)
	; wave barrier
	scratch_load_dwordx4 v[18:21], off, off offset:184
	scratch_load_dwordx4 v[2:5], off, off offset:200
	;; [unrolled: 1-line block ×11, first 2 shown]
	ds_read2_b64 v[104:107], v102 offset0:77 offset1:78
	ds_read2_b64 v[98:101], v102 offset0:79 offset1:80
	;; [unrolled: 1-line block ×10, first 2 shown]
	scratch_load_dwordx4 v[58:61], off, off offset:360
	scratch_load_dwordx4 v[50:53], off, off offset:376
	;; [unrolled: 1-line block ×4, first 2 shown]
	ds_read2_b64 v[78:81], v102 offset0:97 offset1:98
	ds_read2_b64 v[108:111], v102 offset0:99 offset1:100
	scratch_load_dwordx2 v[112:113], off, off offset:176
	v_cmp_lt_u32_e32 vcc, 21, v0
	s_waitcnt vmcnt(15) lgkmcnt(11)
	v_mul_f32_e32 v103, v104, v19
	v_mul_f32_e32 v114, v106, v21
	s_waitcnt vmcnt(14) lgkmcnt(10)
	v_mul_f32_e32 v116, v98, v3
	v_mul_f32_e32 v3, v99, v3
	v_fmac_f32_e32 v103, v105, v18
	v_fmac_f32_e32 v114, v107, v20
	;; [unrolled: 1-line block ×3, first 2 shown]
	v_fma_f32 v2, v98, v2, -v3
	v_add_f32_e32 v3, 0, v103
	v_mul_f32_e32 v118, v100, v5
	v_add_f32_e32 v3, v3, v114
	s_waitcnt vmcnt(13) lgkmcnt(9)
	v_mul_f32_e32 v119, v94, v7
	v_fmac_f32_e32 v118, v101, v4
	v_add_f32_e32 v3, v3, v116
	v_mul_f32_e32 v120, v96, v9
	v_fmac_f32_e32 v119, v95, v6
	v_add_f32_e32 v3, v3, v118
	s_waitcnt vmcnt(12) lgkmcnt(8)
	v_mul_f32_e32 v121, v90, v11
	v_fmac_f32_e32 v120, v97, v8
	v_add_f32_e32 v3, v3, v119
	v_mul_f32_e32 v122, v92, v13
	v_fmac_f32_e32 v121, v91, v10
	;; [unrolled: 7-line block ×7, first 2 shown]
	v_add_f32_e32 v3, v3, v130
	s_waitcnt vmcnt(6) lgkmcnt(2)
	v_mul_f32_e32 v133, v62, v47
	v_mul_f32_e32 v19, v105, v19
	v_fmac_f32_e32 v132, v69, v44
	v_add_f32_e32 v3, v3, v131
	v_mul_f32_e32 v134, v64, v49
	v_mul_f32_e32 v21, v107, v21
	v_fmac_f32_e32 v133, v63, v46
	v_fma_f32 v18, v104, v18, -v19
	v_add_f32_e32 v3, v3, v132
	v_fmac_f32_e32 v134, v65, v48
	v_fma_f32 v19, v106, v20, -v21
	v_add_f32_e32 v18, 0, v18
	v_add_f32_e32 v3, v3, v133
	;; [unrolled: 1-line block ×4, first 2 shown]
	v_mul_f32_e32 v3, v101, v5
	v_add_f32_e32 v2, v18, v2
	v_fma_f32 v3, v100, v4, -v3
	v_add_f32_e32 v2, v2, v3
	v_mul_f32_e32 v3, v95, v7
	v_fma_f32 v3, v94, v6, -v3
	v_add_f32_e32 v2, v2, v3
	v_mul_f32_e32 v3, v97, v9
	;; [unrolled: 3-line block ×16, first 2 shown]
	v_fma_f32 v3, v64, v48, -v3
	s_waitcnt vmcnt(5) lgkmcnt(1)
	v_mul_f32_e32 v115, v78, v55
	v_add_f32_e32 v18, v2, v3
	v_mul_f32_e32 v2, v79, v55
	v_fmac_f32_e32 v115, v79, v54
	v_fma_f32 v114, v78, v54, -v2
	s_waitcnt vmcnt(4) lgkmcnt(0)
	v_pk_mul_f32 v[16:17], v[108:109], v[58:59] op_sel:[1,1] op_sel_hi:[0,1]
	v_mul_f32_e32 v117, v80, v57
	v_mul_f32_e32 v2, v81, v57
	v_pk_add_f32 v[14:15], v[18:19], v[114:115]
	v_pk_fma_f32 v[18:19], v[108:109], v[58:59], v[16:17] neg_lo:[0,0,1] neg_hi:[0,0,1]
	v_pk_fma_f32 v[16:17], v[108:109], v[58:59], v[16:17] op_sel_hi:[1,0,1]
	v_fmac_f32_e32 v117, v81, v56
	v_fma_f32 v116, v80, v56, -v2
	ds_read2_b64 v[2:5], v102 offset0:101 offset1:102
	ds_read2_b64 v[6:9], v102 offset0:103 offset1:104
	;; [unrolled: 1-line block ×3, first 2 shown]
	v_mov_b32_e32 v16, v61
	v_pk_add_f32 v[14:15], v[14:15], v[116:117]
	v_mov_b32_e32 v19, v17
	v_pk_mul_f32 v[16:17], v[110:111], v[16:17] op_sel:[1,0] op_sel_hi:[0,0]
	v_pk_add_f32 v[14:15], v[14:15], v[18:19]
	v_pk_fma_f32 v[18:19], v[110:111], v[60:61], v[16:17] neg_lo:[0,0,1] neg_hi:[0,0,1]
	v_pk_fma_f32 v[16:17], v[110:111], v[60:61], v[16:17] op_sel_hi:[1,0,1]
	s_nop 0
	v_mov_b32_e32 v19, v17
	s_waitcnt vmcnt(3) lgkmcnt(2)
	v_pk_mul_f32 v[16:17], v[2:3], v[50:51] op_sel:[1,1] op_sel_hi:[0,1]
	v_pk_add_f32 v[14:15], v[14:15], v[18:19]
	v_pk_fma_f32 v[18:19], v[2:3], v[50:51], v[16:17] neg_lo:[0,0,1] neg_hi:[0,0,1]
	v_pk_fma_f32 v[2:3], v[2:3], v[50:51], v[16:17] op_sel_hi:[1,0,1]
	s_nop 0
	v_mov_b32_e32 v19, v3
	v_pk_add_f32 v[2:3], v[14:15], v[18:19]
	v_mov_b32_e32 v14, v53
	v_pk_mul_f32 v[14:15], v[4:5], v[14:15] op_sel:[1,0] op_sel_hi:[0,0]
	v_pk_fma_f32 v[16:17], v[4:5], v[52:53], v[14:15] neg_lo:[0,0,1] neg_hi:[0,0,1]
	v_pk_fma_f32 v[4:5], v[4:5], v[52:53], v[14:15] op_sel_hi:[1,0,1]
	s_nop 0
	v_mov_b32_e32 v17, v5
	s_waitcnt vmcnt(2) lgkmcnt(1)
	v_pk_mul_f32 v[4:5], v[6:7], v[38:39] op_sel:[1,1] op_sel_hi:[0,1]
	v_pk_fma_f32 v[14:15], v[6:7], v[38:39], v[4:5] neg_lo:[0,0,1] neg_hi:[0,0,1]
	v_pk_fma_f32 v[4:5], v[6:7], v[38:39], v[4:5] op_sel_hi:[1,0,1]
	v_pk_add_f32 v[2:3], v[2:3], v[16:17]
	v_mov_b32_e32 v4, v41
	v_mov_b32_e32 v15, v5
	v_pk_mul_f32 v[4:5], v[8:9], v[4:5] op_sel:[1,0] op_sel_hi:[0,0]
	v_pk_fma_f32 v[6:7], v[8:9], v[40:41], v[4:5] neg_lo:[0,0,1] neg_hi:[0,0,1]
	v_pk_fma_f32 v[4:5], v[8:9], v[40:41], v[4:5] op_sel_hi:[1,0,1]
	v_pk_add_f32 v[2:3], v[2:3], v[14:15]
	v_mov_b32_e32 v7, v5
	s_waitcnt vmcnt(1) lgkmcnt(0)
	v_pk_mul_f32 v[4:5], v[10:11], v[26:27] op_sel:[1,1] op_sel_hi:[0,1]
	v_pk_add_f32 v[2:3], v[2:3], v[6:7]
	v_pk_fma_f32 v[6:7], v[10:11], v[26:27], v[4:5] neg_lo:[0,0,1] neg_hi:[0,0,1]
	v_pk_fma_f32 v[4:5], v[10:11], v[26:27], v[4:5] op_sel_hi:[1,0,1]
	s_nop 0
	v_mov_b32_e32 v4, v29
	v_mov_b32_e32 v7, v5
	v_pk_mul_f32 v[4:5], v[12:13], v[4:5] op_sel:[1,0] op_sel_hi:[0,0]
	v_pk_add_f32 v[2:3], v[2:3], v[6:7]
	v_pk_fma_f32 v[6:7], v[12:13], v[28:29], v[4:5] neg_lo:[0,0,1] neg_hi:[0,0,1]
	v_pk_fma_f32 v[4:5], v[12:13], v[28:29], v[4:5] op_sel_hi:[1,0,1]
	s_nop 0
	v_mov_b32_e32 v7, v5
	v_pk_add_f32 v[2:3], v[2:3], v[6:7]
	s_waitcnt vmcnt(0)
	v_pk_add_f32 v[2:3], v[112:113], v[2:3] neg_lo:[0,1] neg_hi:[0,1]
	scratch_store_dwordx2 off, v[2:3], off offset:176
	s_and_saveexec_b64 s[0:1], vcc
	s_cbranch_execz .LBB52_289
; %bb.288:
	scratch_load_dwordx2 v[2:3], off, off offset:168
	v_mov_b32_e32 v4, 0
	v_mov_b32_e32 v5, v4
	scratch_store_dwordx2 off, v[4:5], off offset:168
	s_waitcnt vmcnt(1)
	ds_write_b64 v1, v[2:3]
.LBB52_289:
	s_or_b64 exec, exec, s[0:1]
	s_waitcnt lgkmcnt(0)
	; wave barrier
	scratch_load_dwordx4 v[2:5], off, off offset:176
	scratch_load_dwordx4 v[6:9], off, off offset:192
	;; [unrolled: 1-line block ×15, first 2 shown]
	scratch_load_dwordx2 v[62:63], off, off offset:416
	scratch_load_dwordx2 v[112:113], off, off offset:168
	v_mov_b32_e32 v114, 0
	ds_read_b128 v[64:67], v114 offset:608
	ds_read_b128 v[68:71], v114 offset:624
	;; [unrolled: 1-line block ×12, first 2 shown]
	v_cmp_lt_u32_e32 vcc, 20, v0
	s_waitcnt vmcnt(16) lgkmcnt(11)
	v_mul_f32_e32 v115, v64, v3
	v_mul_f32_e32 v116, v66, v5
	;; [unrolled: 1-line block ×3, first 2 shown]
	v_fmac_f32_e32 v115, v65, v2
	s_waitcnt vmcnt(15) lgkmcnt(10)
	v_mul_f32_e32 v118, v68, v7
	v_fmac_f32_e32 v116, v67, v4
	v_fma_f32 v2, v64, v2, -v3
	v_add_f32_e32 v3, 0, v115
	v_mul_f32_e32 v120, v70, v9
	v_fmac_f32_e32 v118, v69, v6
	v_add_f32_e32 v3, v3, v116
	s_waitcnt vmcnt(14) lgkmcnt(9)
	v_mul_f32_e32 v121, v72, v11
	v_fmac_f32_e32 v120, v71, v8
	v_add_f32_e32 v3, v3, v118
	v_mul_f32_e32 v122, v74, v13
	v_fmac_f32_e32 v121, v73, v10
	v_add_f32_e32 v3, v3, v120
	s_waitcnt vmcnt(13) lgkmcnt(8)
	v_mul_f32_e32 v123, v76, v15
	v_fmac_f32_e32 v122, v75, v12
	;; [unrolled: 7-line block ×9, first 2 shown]
	v_add_f32_e32 v3, v3, v135
	v_mul_f32_e32 v5, v67, v5
	v_fmac_f32_e32 v137, v105, v58
	v_add_f32_e32 v3, v3, v136
	v_add_f32_e32 v2, 0, v2
	;; [unrolled: 1-line block ×3, first 2 shown]
	v_fma_f32 v3, v66, v4, -v5
	v_add_f32_e32 v2, v2, v3
	v_mul_f32_e32 v3, v69, v7
	v_fma_f32 v3, v68, v6, -v3
	v_add_f32_e32 v2, v2, v3
	v_mul_f32_e32 v3, v71, v9
	;; [unrolled: 3-line block ×20, first 2 shown]
	v_mul_f32_e32 v117, v106, v61
	v_fma_f32 v116, v106, v60, -v2
	s_waitcnt vmcnt(5) lgkmcnt(0)
	v_mul_f32_e32 v2, v109, v55
	v_mov_b32_e32 v18, v57
	v_mul_f32_e32 v119, v108, v55
	v_fmac_f32_e32 v117, v107, v60
	v_fma_f32 v118, v108, v54, -v2
	ds_read_b128 v[2:5], v114 offset:800
	ds_read_b128 v[6:9], v114 offset:816
	;; [unrolled: 1-line block ×3, first 2 shown]
	ds_read_b64 v[14:15], v114 offset:848
	v_pk_mul_f32 v[18:19], v[110:111], v[18:19] op_sel:[1,0] op_sel_hi:[0,0]
	v_fmac_f32_e32 v119, v109, v54
	v_pk_add_f32 v[16:17], v[64:65], v[116:117]
	v_pk_fma_f32 v[20:21], v[110:111], v[56:57], v[18:19] neg_lo:[0,0,1] neg_hi:[0,0,1]
	v_pk_fma_f32 v[18:19], v[110:111], v[56:57], v[18:19] op_sel_hi:[1,0,1]
	v_pk_add_f32 v[16:17], v[16:17], v[118:119]
	v_mov_b32_e32 v21, v19
	s_waitcnt vmcnt(4) lgkmcnt(3)
	v_pk_mul_f32 v[18:19], v[2:3], v[50:51] op_sel:[1,1] op_sel_hi:[0,1]
	v_pk_add_f32 v[16:17], v[16:17], v[20:21]
	v_pk_fma_f32 v[20:21], v[2:3], v[50:51], v[18:19] neg_lo:[0,0,1] neg_hi:[0,0,1]
	v_pk_fma_f32 v[2:3], v[2:3], v[50:51], v[18:19] op_sel_hi:[1,0,1]
	s_nop 0
	v_mov_b32_e32 v21, v3
	v_pk_add_f32 v[2:3], v[16:17], v[20:21]
	v_mov_b32_e32 v16, v53
	v_pk_mul_f32 v[16:17], v[4:5], v[16:17] op_sel:[1,0] op_sel_hi:[0,0]
	v_pk_fma_f32 v[18:19], v[4:5], v[52:53], v[16:17] neg_lo:[0,0,1] neg_hi:[0,0,1]
	v_pk_fma_f32 v[4:5], v[4:5], v[52:53], v[16:17] op_sel_hi:[1,0,1]
	s_nop 0
	v_mov_b32_e32 v19, v5
	s_waitcnt vmcnt(3) lgkmcnt(2)
	v_pk_mul_f32 v[4:5], v[6:7], v[38:39] op_sel:[1,1] op_sel_hi:[0,1]
	v_pk_fma_f32 v[16:17], v[6:7], v[38:39], v[4:5] neg_lo:[0,0,1] neg_hi:[0,0,1]
	v_pk_fma_f32 v[4:5], v[6:7], v[38:39], v[4:5] op_sel_hi:[1,0,1]
	v_pk_add_f32 v[2:3], v[2:3], v[18:19]
	v_mov_b32_e32 v4, v41
	v_mov_b32_e32 v17, v5
	v_pk_mul_f32 v[4:5], v[8:9], v[4:5] op_sel:[1,0] op_sel_hi:[0,0]
	v_pk_fma_f32 v[6:7], v[8:9], v[40:41], v[4:5] neg_lo:[0,0,1] neg_hi:[0,0,1]
	v_pk_fma_f32 v[4:5], v[8:9], v[40:41], v[4:5] op_sel_hi:[1,0,1]
	v_pk_add_f32 v[2:3], v[2:3], v[16:17]
	v_mov_b32_e32 v7, v5
	s_waitcnt vmcnt(2) lgkmcnt(1)
	v_pk_mul_f32 v[4:5], v[10:11], v[26:27] op_sel:[1,1] op_sel_hi:[0,1]
	v_pk_add_f32 v[2:3], v[2:3], v[6:7]
	v_pk_fma_f32 v[6:7], v[10:11], v[26:27], v[4:5] neg_lo:[0,0,1] neg_hi:[0,0,1]
	v_pk_fma_f32 v[4:5], v[10:11], v[26:27], v[4:5] op_sel_hi:[1,0,1]
	s_nop 0
	v_mov_b32_e32 v4, v29
	v_mov_b32_e32 v7, v5
	v_pk_mul_f32 v[4:5], v[12:13], v[4:5] op_sel:[1,0] op_sel_hi:[0,0]
	v_pk_add_f32 v[2:3], v[2:3], v[6:7]
	v_pk_fma_f32 v[6:7], v[12:13], v[28:29], v[4:5] neg_lo:[0,0,1] neg_hi:[0,0,1]
	v_pk_fma_f32 v[4:5], v[12:13], v[28:29], v[4:5] op_sel_hi:[1,0,1]
	s_nop 0
	v_mov_b32_e32 v7, v5
	s_waitcnt vmcnt(1) lgkmcnt(0)
	v_pk_mul_f32 v[4:5], v[14:15], v[62:63] op_sel:[1,1] op_sel_hi:[0,1]
	v_pk_add_f32 v[2:3], v[2:3], v[6:7]
	v_pk_fma_f32 v[6:7], v[14:15], v[62:63], v[4:5] neg_lo:[0,0,1] neg_hi:[0,0,1]
	v_pk_fma_f32 v[4:5], v[14:15], v[62:63], v[4:5] op_sel_hi:[1,0,1]
	s_nop 0
	v_mov_b32_e32 v7, v5
	v_pk_add_f32 v[2:3], v[2:3], v[6:7]
	s_waitcnt vmcnt(0)
	v_pk_add_f32 v[2:3], v[112:113], v[2:3] neg_lo:[0,1] neg_hi:[0,1]
	scratch_store_dwordx2 off, v[2:3], off offset:168
	s_and_saveexec_b64 s[0:1], vcc
	s_cbranch_execz .LBB52_291
; %bb.290:
	scratch_load_dwordx2 v[2:3], off, off offset:160
	v_mov_b32_e32 v115, v114
	scratch_store_dwordx2 off, v[114:115], off offset:160
	s_waitcnt vmcnt(1)
	ds_write_b64 v1, v[2:3]
.LBB52_291:
	s_or_b64 exec, exec, s[0:1]
	s_waitcnt lgkmcnt(0)
	; wave barrier
	scratch_load_dwordx4 v[2:5], off, off offset:168
	scratch_load_dwordx4 v[6:9], off, off offset:184
	;; [unrolled: 1-line block ×12, first 2 shown]
	ds_read2_b64 v[110:113], v114 offset0:75 offset1:76
	ds_read2_b64 v[106:109], v114 offset0:77 offset1:78
	ds_read2_b64 v[102:105], v114 offset0:79 offset1:80
	ds_read2_b64 v[98:101], v114 offset0:81 offset1:82
	ds_read2_b64 v[94:97], v114 offset0:83 offset1:84
	ds_read2_b64 v[90:93], v114 offset0:85 offset1:86
	ds_read2_b64 v[86:89], v114 offset0:87 offset1:88
	ds_read2_b64 v[82:85], v114 offset0:89 offset1:90
	ds_read2_b64 v[78:81], v114 offset0:91 offset1:92
	ds_read2_b64 v[74:77], v114 offset0:93 offset1:94
	ds_read2_b64 v[70:73], v114 offset0:95 offset1:96
	ds_read2_b64 v[66:69], v114 offset0:97 offset1:98
	scratch_load_dwordx4 v[62:65], off, off offset:360
	scratch_load_dwordx4 v[54:57], off, off offset:376
	;; [unrolled: 1-line block ×4, first 2 shown]
	scratch_load_dwordx2 v[116:117], off, off offset:160
	v_cmp_lt_u32_e32 vcc, 19, v0
	s_waitcnt vmcnt(16) lgkmcnt(11)
	v_mul_f32_e32 v115, v110, v3
	v_mul_f32_e32 v118, v112, v5
	;; [unrolled: 1-line block ×3, first 2 shown]
	v_fmac_f32_e32 v115, v111, v2
	s_waitcnt vmcnt(15) lgkmcnt(10)
	v_mul_f32_e32 v120, v106, v7
	v_fmac_f32_e32 v118, v113, v4
	v_fma_f32 v2, v110, v2, -v3
	v_add_f32_e32 v3, 0, v115
	v_mul_f32_e32 v122, v108, v9
	v_fmac_f32_e32 v120, v107, v6
	v_add_f32_e32 v3, v3, v118
	s_waitcnt vmcnt(14) lgkmcnt(9)
	v_mul_f32_e32 v123, v102, v11
	v_fmac_f32_e32 v122, v109, v8
	v_add_f32_e32 v3, v3, v120
	v_mul_f32_e32 v124, v104, v13
	v_fmac_f32_e32 v123, v103, v10
	v_add_f32_e32 v3, v3, v122
	s_waitcnt vmcnt(13) lgkmcnt(8)
	v_mul_f32_e32 v125, v98, v15
	v_fmac_f32_e32 v124, v105, v12
	;; [unrolled: 7-line block ×9, first 2 shown]
	v_add_f32_e32 v3, v3, v137
	v_mul_f32_e32 v140, v72, v53
	v_fmac_f32_e32 v139, v71, v50
	v_add_f32_e32 v3, v3, v138
	v_fmac_f32_e32 v140, v73, v52
	v_add_f32_e32 v3, v3, v139
	v_add_f32_e32 v111, v3, v140
	v_mul_f32_e32 v3, v113, v5
	v_add_f32_e32 v2, 0, v2
	v_fma_f32 v3, v112, v4, -v3
	v_add_f32_e32 v2, v2, v3
	v_mul_f32_e32 v3, v107, v7
	v_fma_f32 v3, v106, v6, -v3
	v_add_f32_e32 v2, v2, v3
	v_mul_f32_e32 v3, v109, v9
	;; [unrolled: 3-line block ×20, first 2 shown]
	v_fma_f32 v3, v72, v52, -v3
	v_add_f32_e32 v110, v2, v3
	s_waitcnt vmcnt(5) lgkmcnt(0)
	v_mul_f32_e32 v2, v67, v59
	v_fma_f32 v118, v66, v58, -v2
	v_mul_f32_e32 v2, v69, v61
	v_fma_f32 v120, v68, v60, -v2
	ds_read2_b64 v[2:5], v114 offset0:99 offset1:100
	ds_read2_b64 v[6:9], v114 offset0:101 offset1:102
	;; [unrolled: 1-line block ×4, first 2 shown]
	v_mul_f32_e32 v119, v66, v59
	v_mul_f32_e32 v121, v68, v61
	v_fmac_f32_e32 v119, v67, v58
	s_waitcnt vmcnt(4) lgkmcnt(3)
	v_pk_mul_f32 v[20:21], v[2:3], v[62:63] op_sel:[1,1] op_sel_hi:[0,1]
	v_fmac_f32_e32 v121, v69, v60
	v_pk_add_f32 v[18:19], v[110:111], v[118:119]
	v_pk_fma_f32 v[22:23], v[2:3], v[62:63], v[20:21] neg_lo:[0,0,1] neg_hi:[0,0,1]
	v_pk_fma_f32 v[2:3], v[2:3], v[62:63], v[20:21] op_sel_hi:[1,0,1]
	v_pk_add_f32 v[18:19], v[18:19], v[120:121]
	v_mov_b32_e32 v23, v3
	v_pk_add_f32 v[2:3], v[18:19], v[22:23]
	v_mov_b32_e32 v18, v65
	v_pk_mul_f32 v[18:19], v[4:5], v[18:19] op_sel:[1,0] op_sel_hi:[0,0]
	v_pk_fma_f32 v[20:21], v[4:5], v[64:65], v[18:19] neg_lo:[0,0,1] neg_hi:[0,0,1]
	v_pk_fma_f32 v[4:5], v[4:5], v[64:65], v[18:19] op_sel_hi:[1,0,1]
	s_nop 0
	v_mov_b32_e32 v21, v5
	s_waitcnt vmcnt(3) lgkmcnt(2)
	v_pk_mul_f32 v[4:5], v[6:7], v[54:55] op_sel:[1,1] op_sel_hi:[0,1]
	v_pk_fma_f32 v[18:19], v[6:7], v[54:55], v[4:5] neg_lo:[0,0,1] neg_hi:[0,0,1]
	v_pk_fma_f32 v[4:5], v[6:7], v[54:55], v[4:5] op_sel_hi:[1,0,1]
	v_pk_add_f32 v[2:3], v[2:3], v[20:21]
	v_mov_b32_e32 v4, v57
	v_mov_b32_e32 v19, v5
	v_pk_mul_f32 v[4:5], v[8:9], v[4:5] op_sel:[1,0] op_sel_hi:[0,0]
	v_pk_fma_f32 v[6:7], v[8:9], v[56:57], v[4:5] neg_lo:[0,0,1] neg_hi:[0,0,1]
	v_pk_fma_f32 v[4:5], v[8:9], v[56:57], v[4:5] op_sel_hi:[1,0,1]
	v_pk_add_f32 v[2:3], v[2:3], v[18:19]
	v_mov_b32_e32 v7, v5
	s_waitcnt vmcnt(2) lgkmcnt(1)
	v_pk_mul_f32 v[4:5], v[10:11], v[42:43] op_sel:[1,1] op_sel_hi:[0,1]
	v_pk_add_f32 v[2:3], v[2:3], v[6:7]
	v_pk_fma_f32 v[6:7], v[10:11], v[42:43], v[4:5] neg_lo:[0,0,1] neg_hi:[0,0,1]
	v_pk_fma_f32 v[4:5], v[10:11], v[42:43], v[4:5] op_sel_hi:[1,0,1]
	s_nop 0
	v_mov_b32_e32 v4, v45
	v_mov_b32_e32 v7, v5
	v_pk_mul_f32 v[4:5], v[12:13], v[4:5] op_sel:[1,0] op_sel_hi:[0,0]
	v_pk_add_f32 v[2:3], v[2:3], v[6:7]
	v_pk_fma_f32 v[6:7], v[12:13], v[44:45], v[4:5] neg_lo:[0,0,1] neg_hi:[0,0,1]
	v_pk_fma_f32 v[4:5], v[12:13], v[44:45], v[4:5] op_sel_hi:[1,0,1]
	s_nop 0
	v_mov_b32_e32 v7, v5
	s_waitcnt vmcnt(1) lgkmcnt(0)
	v_pk_mul_f32 v[4:5], v[14:15], v[34:35] op_sel:[1,1] op_sel_hi:[0,1]
	v_pk_add_f32 v[2:3], v[2:3], v[6:7]
	v_pk_fma_f32 v[6:7], v[14:15], v[34:35], v[4:5] neg_lo:[0,0,1] neg_hi:[0,0,1]
	v_pk_fma_f32 v[4:5], v[14:15], v[34:35], v[4:5] op_sel_hi:[1,0,1]
	s_nop 0
	v_mov_b32_e32 v4, v37
	v_mov_b32_e32 v7, v5
	v_pk_mul_f32 v[4:5], v[16:17], v[4:5] op_sel:[1,0] op_sel_hi:[0,0]
	v_pk_add_f32 v[2:3], v[2:3], v[6:7]
	v_pk_fma_f32 v[6:7], v[16:17], v[36:37], v[4:5] neg_lo:[0,0,1] neg_hi:[0,0,1]
	v_pk_fma_f32 v[4:5], v[16:17], v[36:37], v[4:5] op_sel_hi:[1,0,1]
	s_nop 0
	v_mov_b32_e32 v7, v5
	v_pk_add_f32 v[2:3], v[2:3], v[6:7]
	s_waitcnt vmcnt(0)
	v_pk_add_f32 v[2:3], v[116:117], v[2:3] neg_lo:[0,1] neg_hi:[0,1]
	scratch_store_dwordx2 off, v[2:3], off offset:160
	s_and_saveexec_b64 s[0:1], vcc
	s_cbranch_execz .LBB52_293
; %bb.292:
	scratch_load_dwordx2 v[2:3], off, off offset:152
	v_mov_b32_e32 v4, 0
	v_mov_b32_e32 v5, v4
	scratch_store_dwordx2 off, v[4:5], off offset:152
	s_waitcnt vmcnt(1)
	ds_write_b64 v1, v[2:3]
.LBB52_293:
	s_or_b64 exec, exec, s[0:1]
	s_waitcnt lgkmcnt(0)
	; wave barrier
	scratch_load_dwordx4 v[2:5], off, off offset:160
	scratch_load_dwordx4 v[6:9], off, off offset:176
	;; [unrolled: 1-line block ×13, first 2 shown]
	v_mov_b32_e32 v106, 0
	scratch_load_dwordx2 v[124:125], off, off offset:152
	ds_read_b128 v[54:57], v106 offset:592
	ds_read_b128 v[58:61], v106 offset:608
	;; [unrolled: 1-line block ×14, first 2 shown]
	v_cmp_lt_u32_e32 vcc, 18, v0
	s_waitcnt vmcnt(13) lgkmcnt(13)
	v_mul_f32_e32 v107, v54, v3
	v_mul_f32_e32 v112, v56, v5
	v_fmac_f32_e32 v107, v55, v2
	s_waitcnt vmcnt(12) lgkmcnt(12)
	v_mul_f32_e32 v113, v58, v7
	v_fmac_f32_e32 v112, v57, v4
	v_add_f32_e32 v107, 0, v107
	v_mul_f32_e32 v114, v60, v9
	v_fmac_f32_e32 v113, v59, v6
	v_add_f32_e32 v107, v107, v112
	s_waitcnt vmcnt(11) lgkmcnt(11)
	v_mul_f32_e32 v115, v62, v11
	v_fmac_f32_e32 v114, v61, v8
	v_add_f32_e32 v107, v107, v113
	v_mul_f32_e32 v116, v64, v13
	v_fmac_f32_e32 v115, v63, v10
	v_add_f32_e32 v107, v107, v114
	;; [unrolled: 7-line block ×8, first 2 shown]
	s_waitcnt vmcnt(4) lgkmcnt(4)
	v_mul_f32_e32 v133, v90, v39
	v_fmac_f32_e32 v132, v89, v36
	v_add_f32_e32 v107, v107, v131
	v_fmac_f32_e32 v133, v91, v38
	v_add_f32_e32 v107, v107, v132
	v_add_f32_e32 v107, v107, v133
	scratch_load_dwordx4 v[112:115], off, off offset:368
	scratch_load_dwordx4 v[116:119], off, off offset:384
	;; [unrolled: 1-line block ×3, first 2 shown]
	scratch_load_dwordx2 v[132:133], off, off offset:416
	v_mul_f32_e32 v3, v55, v3
	v_fma_f32 v2, v54, v2, -v3
	v_mul_f32_e32 v3, v57, v5
	v_add_f32_e32 v2, 0, v2
	v_fma_f32 v3, v56, v4, -v3
	v_add_f32_e32 v2, v2, v3
	v_mul_f32_e32 v3, v59, v7
	v_fma_f32 v3, v58, v6, -v3
	v_add_f32_e32 v2, v2, v3
	v_mul_f32_e32 v3, v61, v9
	;; [unrolled: 3-line block ×18, first 2 shown]
	v_fma_f32 v3, v92, v40, -v3
	v_add_f32_e32 v2, v2, v3
	s_waitcnt vmcnt(7) lgkmcnt(3)
	v_mul_f32_e32 v3, v95, v43
	v_fma_f32 v3, v94, v42, -v3
	v_mul_f32_e32 v134, v92, v41
	v_add_f32_e32 v2, v2, v3
	v_mul_f32_e32 v3, v97, v45
	v_mul_f32_e32 v135, v94, v43
	v_fmac_f32_e32 v134, v93, v40
	v_fma_f32 v3, v96, v44, -v3
	v_mul_f32_e32 v136, v96, v45
	v_fmac_f32_e32 v135, v95, v42
	v_add_f32_e32 v107, v107, v134
	v_add_f32_e32 v2, v2, v3
	s_waitcnt vmcnt(6) lgkmcnt(2)
	v_mul_f32_e32 v3, v99, v47
	v_mul_f32_e32 v137, v98, v47
	v_fmac_f32_e32 v136, v97, v44
	v_add_f32_e32 v107, v107, v135
	v_fma_f32 v3, v98, v46, -v3
	v_mul_f32_e32 v127, v100, v49
	v_fmac_f32_e32 v137, v99, v46
	v_add_f32_e32 v107, v107, v136
	v_add_f32_e32 v130, v2, v3
	v_mul_f32_e32 v2, v101, v49
	s_waitcnt vmcnt(5)
	v_mov_b32_e32 v14, v53
	s_waitcnt lgkmcnt(1)
	v_mul_f32_e32 v129, v102, v51
	v_fmac_f32_e32 v127, v101, v48
	v_add_f32_e32 v131, v107, v137
	v_fma_f32 v126, v100, v48, -v2
	v_mul_f32_e32 v2, v103, v51
	v_pk_mul_f32 v[14:15], v[104:105], v[14:15] op_sel:[1,0] op_sel_hi:[0,0]
	v_fmac_f32_e32 v129, v103, v50
	v_fma_f32 v128, v102, v50, -v2
	v_pk_add_f32 v[12:13], v[130:131], v[126:127]
	v_pk_fma_f32 v[16:17], v[104:105], v[52:53], v[14:15] neg_lo:[0,0,1] neg_hi:[0,0,1]
	v_pk_fma_f32 v[14:15], v[104:105], v[52:53], v[14:15] op_sel_hi:[1,0,1]
	v_pk_add_f32 v[12:13], v[12:13], v[128:129]
	v_mov_b32_e32 v17, v15
	s_waitcnt vmcnt(3) lgkmcnt(0)
	v_pk_mul_f32 v[14:15], v[108:109], v[112:113] op_sel:[1,1] op_sel_hi:[0,1]
	v_pk_add_f32 v[12:13], v[12:13], v[16:17]
	v_pk_fma_f32 v[16:17], v[108:109], v[112:113], v[14:15] neg_lo:[0,0,1] neg_hi:[0,0,1]
	v_pk_fma_f32 v[14:15], v[108:109], v[112:113], v[14:15] op_sel_hi:[1,0,1]
	ds_read_b128 v[2:5], v106 offset:816
	ds_read_b128 v[6:9], v106 offset:832
	ds_read_b64 v[10:11], v106 offset:848
	v_mov_b32_e32 v14, v115
	v_mov_b32_e32 v17, v15
	v_pk_mul_f32 v[14:15], v[110:111], v[14:15] op_sel:[1,0] op_sel_hi:[0,0]
	v_pk_add_f32 v[12:13], v[12:13], v[16:17]
	v_pk_fma_f32 v[16:17], v[110:111], v[114:115], v[14:15] neg_lo:[0,0,1] neg_hi:[0,0,1]
	v_pk_fma_f32 v[14:15], v[110:111], v[114:115], v[14:15] op_sel_hi:[1,0,1]
	s_nop 0
	v_mov_b32_e32 v17, v15
	s_waitcnt vmcnt(2) lgkmcnt(2)
	v_pk_mul_f32 v[14:15], v[2:3], v[116:117] op_sel:[1,1] op_sel_hi:[0,1]
	v_pk_add_f32 v[12:13], v[12:13], v[16:17]
	v_pk_fma_f32 v[16:17], v[2:3], v[116:117], v[14:15] neg_lo:[0,0,1] neg_hi:[0,0,1]
	v_pk_fma_f32 v[2:3], v[2:3], v[116:117], v[14:15] op_sel_hi:[1,0,1]
	s_nop 0
	v_mov_b32_e32 v17, v3
	v_pk_add_f32 v[2:3], v[12:13], v[16:17]
	v_mov_b32_e32 v12, v119
	v_pk_mul_f32 v[12:13], v[4:5], v[12:13] op_sel:[1,0] op_sel_hi:[0,0]
	v_pk_fma_f32 v[14:15], v[4:5], v[118:119], v[12:13] neg_lo:[0,0,1] neg_hi:[0,0,1]
	v_pk_fma_f32 v[4:5], v[4:5], v[118:119], v[12:13] op_sel_hi:[1,0,1]
	s_nop 0
	v_mov_b32_e32 v15, v5
	s_waitcnt vmcnt(1) lgkmcnt(1)
	v_pk_mul_f32 v[4:5], v[6:7], v[120:121] op_sel:[1,1] op_sel_hi:[0,1]
	v_pk_fma_f32 v[12:13], v[6:7], v[120:121], v[4:5] neg_lo:[0,0,1] neg_hi:[0,0,1]
	v_pk_fma_f32 v[4:5], v[6:7], v[120:121], v[4:5] op_sel_hi:[1,0,1]
	v_pk_add_f32 v[2:3], v[2:3], v[14:15]
	v_mov_b32_e32 v4, v123
	v_mov_b32_e32 v13, v5
	v_pk_mul_f32 v[4:5], v[8:9], v[4:5] op_sel:[1,0] op_sel_hi:[0,0]
	v_pk_fma_f32 v[6:7], v[8:9], v[122:123], v[4:5] neg_lo:[0,0,1] neg_hi:[0,0,1]
	v_pk_fma_f32 v[4:5], v[8:9], v[122:123], v[4:5] op_sel_hi:[1,0,1]
	v_pk_add_f32 v[2:3], v[2:3], v[12:13]
	v_mov_b32_e32 v7, v5
	s_waitcnt vmcnt(0) lgkmcnt(0)
	v_pk_mul_f32 v[4:5], v[10:11], v[132:133] op_sel:[1,1] op_sel_hi:[0,1]
	v_pk_add_f32 v[2:3], v[2:3], v[6:7]
	v_pk_fma_f32 v[6:7], v[10:11], v[132:133], v[4:5] neg_lo:[0,0,1] neg_hi:[0,0,1]
	v_pk_fma_f32 v[4:5], v[10:11], v[132:133], v[4:5] op_sel_hi:[1,0,1]
	s_nop 0
	v_mov_b32_e32 v7, v5
	v_pk_add_f32 v[2:3], v[2:3], v[6:7]
	s_nop 0
	v_pk_add_f32 v[2:3], v[124:125], v[2:3] neg_lo:[0,1] neg_hi:[0,1]
	scratch_store_dwordx2 off, v[2:3], off offset:152
	s_and_saveexec_b64 s[0:1], vcc
	s_cbranch_execz .LBB52_295
; %bb.294:
	scratch_load_dwordx2 v[2:3], off, off offset:144
	v_mov_b32_e32 v107, v106
	scratch_store_dwordx2 off, v[106:107], off offset:144
	s_waitcnt vmcnt(1)
	ds_write_b64 v1, v[2:3]
.LBB52_295:
	s_or_b64 exec, exec, s[0:1]
	s_waitcnt lgkmcnt(0)
	; wave barrier
	scratch_load_dwordx4 v[2:5], off, off offset:152
	scratch_load_dwordx4 v[6:9], off, off offset:168
	;; [unrolled: 1-line block ×13, first 2 shown]
	ds_read2_b64 v[102:105], v106 offset0:73 offset1:74
	ds_read2_b64 v[98:101], v106 offset0:75 offset1:76
	;; [unrolled: 1-line block ×14, first 2 shown]
	scratch_load_dwordx2 v[128:129], off, off offset:144
	v_cmp_lt_u32_e32 vcc, 17, v0
	s_waitcnt vmcnt(13) lgkmcnt(13)
	v_mul_f32_e32 v107, v102, v3
	v_mul_f32_e32 v112, v104, v5
	v_fmac_f32_e32 v107, v103, v2
	s_waitcnt vmcnt(12) lgkmcnt(12)
	v_mul_f32_e32 v113, v98, v7
	v_fmac_f32_e32 v112, v105, v4
	v_add_f32_e32 v107, 0, v107
	v_mul_f32_e32 v114, v100, v9
	v_fmac_f32_e32 v113, v99, v6
	v_add_f32_e32 v107, v107, v112
	s_waitcnt vmcnt(11) lgkmcnt(11)
	v_mul_f32_e32 v115, v94, v11
	v_fmac_f32_e32 v114, v101, v8
	v_add_f32_e32 v107, v107, v113
	v_mul_f32_e32 v116, v96, v13
	v_fmac_f32_e32 v115, v95, v10
	v_add_f32_e32 v107, v107, v114
	;; [unrolled: 7-line block ×7, first 2 shown]
	s_waitcnt vmcnt(5) lgkmcnt(5)
	v_mul_f32_e32 v127, v70, v35
	v_fmac_f32_e32 v126, v77, v32
	v_add_f32_e32 v107, v107, v125
	v_fmac_f32_e32 v127, v71, v34
	v_add_f32_e32 v107, v107, v126
	v_add_f32_e32 v107, v107, v127
	scratch_load_dwordx4 v[112:115], off, off offset:360
	scratch_load_dwordx4 v[116:119], off, off offset:376
	;; [unrolled: 1-line block ×4, first 2 shown]
	v_mul_f32_e32 v3, v103, v3
	v_fma_f32 v2, v102, v2, -v3
	v_mul_f32_e32 v3, v105, v5
	v_add_f32_e32 v2, 0, v2
	v_fma_f32 v3, v104, v4, -v3
	v_add_f32_e32 v2, v2, v3
	v_mul_f32_e32 v3, v99, v7
	v_fma_f32 v3, v98, v6, -v3
	v_add_f32_e32 v2, v2, v3
	v_mul_f32_e32 v3, v101, v9
	;; [unrolled: 3-line block ×16, first 2 shown]
	v_fma_f32 v3, v72, v36, -v3
	v_add_f32_e32 v2, v2, v3
	s_waitcnt vmcnt(8) lgkmcnt(4)
	v_mul_f32_e32 v3, v67, v39
	v_fma_f32 v3, v66, v38, -v3
	v_add_f32_e32 v2, v2, v3
	v_mul_f32_e32 v3, v69, v41
	v_fma_f32 v3, v68, v40, -v3
	v_add_f32_e32 v2, v2, v3
	s_waitcnt vmcnt(7) lgkmcnt(3)
	v_mul_f32_e32 v3, v63, v43
	v_mul_f32_e32 v130, v72, v37
	v_fma_f32 v3, v62, v42, -v3
	v_mul_f32_e32 v132, v66, v39
	v_fmac_f32_e32 v130, v73, v36
	v_add_f32_e32 v2, v2, v3
	v_mul_f32_e32 v3, v65, v45
	v_mul_f32_e32 v134, v68, v41
	v_fmac_f32_e32 v132, v67, v38
	v_add_f32_e32 v107, v107, v130
	v_fma_f32 v3, v64, v44, -v3
	v_mul_f32_e32 v135, v62, v43
	v_fmac_f32_e32 v134, v69, v40
	v_add_f32_e32 v107, v107, v132
	v_add_f32_e32 v2, v2, v3
	s_waitcnt vmcnt(6) lgkmcnt(2)
	v_mul_f32_e32 v3, v59, v47
	v_mul_f32_e32 v136, v64, v45
	v_fmac_f32_e32 v135, v63, v42
	v_add_f32_e32 v107, v107, v134
	v_fma_f32 v3, v58, v46, -v3
	v_mul_f32_e32 v137, v58, v47
	v_fmac_f32_e32 v136, v65, v44
	v_add_f32_e32 v107, v107, v135
	v_add_f32_e32 v2, v2, v3
	v_mul_f32_e32 v3, v61, v49
	v_mul_f32_e32 v138, v60, v49
	v_fmac_f32_e32 v137, v59, v46
	v_add_f32_e32 v107, v107, v136
	v_fma_f32 v3, v60, v48, -v3
	s_waitcnt vmcnt(5) lgkmcnt(1)
	v_mul_f32_e32 v131, v54, v51
	v_fmac_f32_e32 v138, v61, v48
	v_add_f32_e32 v107, v107, v137
	v_add_f32_e32 v134, v2, v3
	v_mul_f32_e32 v2, v55, v51
	s_waitcnt vmcnt(3) lgkmcnt(0)
	v_pk_mul_f32 v[16:17], v[108:109], v[112:113] op_sel:[1,1] op_sel_hi:[0,1]
	v_mul_f32_e32 v133, v56, v53
	v_fmac_f32_e32 v131, v55, v50
	v_add_f32_e32 v135, v107, v138
	v_fma_f32 v130, v54, v50, -v2
	v_mul_f32_e32 v2, v57, v53
	v_pk_fma_f32 v[18:19], v[108:109], v[112:113], v[16:17] neg_lo:[0,0,1] neg_hi:[0,0,1]
	v_pk_fma_f32 v[16:17], v[108:109], v[112:113], v[16:17] op_sel_hi:[1,0,1]
	v_fmac_f32_e32 v133, v57, v52
	v_fma_f32 v132, v56, v52, -v2
	ds_read2_b64 v[2:5], v106 offset0:101 offset1:102
	ds_read2_b64 v[6:9], v106 offset0:103 offset1:104
	;; [unrolled: 1-line block ×3, first 2 shown]
	v_pk_add_f32 v[14:15], v[134:135], v[130:131]
	v_mov_b32_e32 v16, v115
	v_pk_add_f32 v[14:15], v[14:15], v[132:133]
	v_mov_b32_e32 v19, v17
	v_pk_mul_f32 v[16:17], v[110:111], v[16:17] op_sel:[1,0] op_sel_hi:[0,0]
	v_pk_add_f32 v[14:15], v[14:15], v[18:19]
	v_pk_fma_f32 v[18:19], v[110:111], v[114:115], v[16:17] neg_lo:[0,0,1] neg_hi:[0,0,1]
	v_pk_fma_f32 v[16:17], v[110:111], v[114:115], v[16:17] op_sel_hi:[1,0,1]
	s_nop 0
	v_mov_b32_e32 v19, v17
	s_waitcnt vmcnt(2) lgkmcnt(2)
	v_pk_mul_f32 v[16:17], v[2:3], v[116:117] op_sel:[1,1] op_sel_hi:[0,1]
	v_pk_add_f32 v[14:15], v[14:15], v[18:19]
	v_pk_fma_f32 v[18:19], v[2:3], v[116:117], v[16:17] neg_lo:[0,0,1] neg_hi:[0,0,1]
	v_pk_fma_f32 v[2:3], v[2:3], v[116:117], v[16:17] op_sel_hi:[1,0,1]
	s_nop 0
	v_mov_b32_e32 v19, v3
	v_pk_add_f32 v[2:3], v[14:15], v[18:19]
	v_mov_b32_e32 v14, v119
	v_pk_mul_f32 v[14:15], v[4:5], v[14:15] op_sel:[1,0] op_sel_hi:[0,0]
	v_pk_fma_f32 v[16:17], v[4:5], v[118:119], v[14:15] neg_lo:[0,0,1] neg_hi:[0,0,1]
	v_pk_fma_f32 v[4:5], v[4:5], v[118:119], v[14:15] op_sel_hi:[1,0,1]
	s_nop 0
	v_mov_b32_e32 v17, v5
	s_waitcnt vmcnt(1) lgkmcnt(1)
	v_pk_mul_f32 v[4:5], v[6:7], v[120:121] op_sel:[1,1] op_sel_hi:[0,1]
	v_pk_fma_f32 v[14:15], v[6:7], v[120:121], v[4:5] neg_lo:[0,0,1] neg_hi:[0,0,1]
	v_pk_fma_f32 v[4:5], v[6:7], v[120:121], v[4:5] op_sel_hi:[1,0,1]
	v_pk_add_f32 v[2:3], v[2:3], v[16:17]
	v_mov_b32_e32 v4, v123
	v_mov_b32_e32 v15, v5
	v_pk_mul_f32 v[4:5], v[8:9], v[4:5] op_sel:[1,0] op_sel_hi:[0,0]
	v_pk_fma_f32 v[6:7], v[8:9], v[122:123], v[4:5] neg_lo:[0,0,1] neg_hi:[0,0,1]
	v_pk_fma_f32 v[4:5], v[8:9], v[122:123], v[4:5] op_sel_hi:[1,0,1]
	v_pk_add_f32 v[2:3], v[2:3], v[14:15]
	v_mov_b32_e32 v7, v5
	s_waitcnt vmcnt(0) lgkmcnt(0)
	v_pk_mul_f32 v[4:5], v[10:11], v[124:125] op_sel:[1,1] op_sel_hi:[0,1]
	v_pk_add_f32 v[2:3], v[2:3], v[6:7]
	v_pk_fma_f32 v[6:7], v[10:11], v[124:125], v[4:5] neg_lo:[0,0,1] neg_hi:[0,0,1]
	v_pk_fma_f32 v[4:5], v[10:11], v[124:125], v[4:5] op_sel_hi:[1,0,1]
	s_nop 0
	v_mov_b32_e32 v4, v127
	v_mov_b32_e32 v7, v5
	v_pk_mul_f32 v[4:5], v[12:13], v[4:5] op_sel:[1,0] op_sel_hi:[0,0]
	v_pk_add_f32 v[2:3], v[2:3], v[6:7]
	v_pk_fma_f32 v[6:7], v[12:13], v[126:127], v[4:5] neg_lo:[0,0,1] neg_hi:[0,0,1]
	v_pk_fma_f32 v[4:5], v[12:13], v[126:127], v[4:5] op_sel_hi:[1,0,1]
	s_nop 0
	v_mov_b32_e32 v7, v5
	v_pk_add_f32 v[2:3], v[2:3], v[6:7]
	s_nop 0
	v_pk_add_f32 v[2:3], v[128:129], v[2:3] neg_lo:[0,1] neg_hi:[0,1]
	scratch_store_dwordx2 off, v[2:3], off offset:144
	s_and_saveexec_b64 s[0:1], vcc
	s_cbranch_execz .LBB52_297
; %bb.296:
	scratch_load_dwordx2 v[2:3], off, off offset:136
	v_mov_b32_e32 v4, 0
	v_mov_b32_e32 v5, v4
	scratch_store_dwordx2 off, v[4:5], off offset:136
	s_waitcnt vmcnt(1)
	ds_write_b64 v1, v[2:3]
.LBB52_297:
	s_or_b64 exec, exec, s[0:1]
	s_waitcnt lgkmcnt(0)
	; wave barrier
	scratch_load_dwordx4 v[2:5], off, off offset:144
	scratch_load_dwordx4 v[6:9], off, off offset:160
	;; [unrolled: 1-line block ×13, first 2 shown]
	v_mov_b32_e32 v114, 0
	scratch_load_dwordx4 v[54:57], off, off offset:352
	scratch_load_dwordx2 v[128:129], off, off offset:136
	ds_read_b128 v[58:61], v114 offset:576
	ds_read_b128 v[62:65], v114 offset:592
	;; [unrolled: 1-line block ×14, first 2 shown]
	v_cmp_lt_u32_e32 vcc, 16, v0
	s_waitcnt vmcnt(14) lgkmcnt(13)
	v_mul_f32_e32 v115, v58, v3
	v_mul_f32_e32 v116, v60, v5
	v_fmac_f32_e32 v115, v59, v2
	s_waitcnt vmcnt(13) lgkmcnt(12)
	v_mul_f32_e32 v117, v62, v7
	v_fmac_f32_e32 v116, v61, v4
	v_add_f32_e32 v115, 0, v115
	v_mul_f32_e32 v118, v64, v9
	v_fmac_f32_e32 v117, v63, v6
	v_add_f32_e32 v115, v115, v116
	s_waitcnt vmcnt(12) lgkmcnt(11)
	v_mul_f32_e32 v119, v66, v11
	v_fmac_f32_e32 v118, v65, v8
	v_add_f32_e32 v115, v115, v117
	v_mul_f32_e32 v120, v68, v13
	v_fmac_f32_e32 v119, v67, v10
	v_add_f32_e32 v115, v115, v118
	;; [unrolled: 7-line block ×6, first 2 shown]
	s_waitcnt vmcnt(7) lgkmcnt(6)
	v_mul_f32_e32 v131, v86, v31
	v_fmac_f32_e32 v130, v85, v28
	v_add_f32_e32 v115, v115, v127
	scratch_load_dwordx4 v[116:119], off, off offset:368
	v_mul_f32_e32 v132, v88, v33
	v_fmac_f32_e32 v131, v87, v30
	v_add_f32_e32 v115, v115, v130
	s_waitcnt vmcnt(7) lgkmcnt(5)
	v_mul_f32_e32 v133, v90, v35
	v_fmac_f32_e32 v132, v89, v32
	v_add_f32_e32 v115, v115, v131
	v_mul_f32_e32 v134, v92, v37
	v_fmac_f32_e32 v133, v91, v34
	v_add_f32_e32 v115, v115, v132
	s_waitcnt vmcnt(6) lgkmcnt(4)
	v_mul_f32_e32 v135, v94, v39
	v_fmac_f32_e32 v134, v93, v36
	v_add_f32_e32 v115, v115, v133
	;; [unrolled: 7-line block ×3, first 2 shown]
	v_fmac_f32_e32 v137, v99, v42
	v_add_f32_e32 v115, v115, v136
	v_add_f32_e32 v115, v115, v137
	scratch_load_dwordx4 v[120:123], off, off offset:384
	scratch_load_dwordx4 v[124:127], off, off offset:400
	scratch_load_dwordx2 v[136:137], off, off offset:416
	v_mul_f32_e32 v3, v59, v3
	v_fma_f32 v2, v58, v2, -v3
	v_mul_f32_e32 v3, v61, v5
	v_add_f32_e32 v2, 0, v2
	v_fma_f32 v3, v60, v4, -v3
	v_add_f32_e32 v2, v2, v3
	v_mul_f32_e32 v3, v63, v7
	v_fma_f32 v3, v62, v6, -v3
	v_add_f32_e32 v2, v2, v3
	v_mul_f32_e32 v3, v65, v9
	;; [unrolled: 3-line block ×20, first 2 shown]
	v_fma_f32 v3, v100, v44, -v3
	v_add_f32_e32 v2, v2, v3
	s_waitcnt vmcnt(7) lgkmcnt(2)
	v_mul_f32_e32 v3, v103, v47
	v_fma_f32 v3, v102, v46, -v3
	v_add_f32_e32 v2, v2, v3
	v_mul_f32_e32 v3, v105, v49
	v_mul_f32_e32 v138, v100, v45
	v_fma_f32 v3, v104, v48, -v3
	v_mul_f32_e32 v139, v102, v47
	v_fmac_f32_e32 v138, v101, v44
	v_add_f32_e32 v2, v2, v3
	s_waitcnt vmcnt(6) lgkmcnt(1)
	v_mul_f32_e32 v3, v107, v51
	v_mul_f32_e32 v140, v104, v49
	v_fmac_f32_e32 v139, v103, v46
	v_add_f32_e32 v115, v115, v138
	v_fma_f32 v3, v106, v50, -v3
	v_mul_f32_e32 v141, v106, v51
	v_fmac_f32_e32 v140, v105, v48
	v_add_f32_e32 v115, v115, v139
	v_add_f32_e32 v130, v2, v3
	v_mul_f32_e32 v2, v109, v53
	v_fmac_f32_e32 v141, v107, v50
	v_add_f32_e32 v115, v115, v140
	v_mul_f32_e32 v133, v108, v53
	v_fma_f32 v132, v108, v52, -v2
	s_waitcnt vmcnt(5) lgkmcnt(0)
	v_mul_f32_e32 v2, v111, v55
	v_mov_b32_e32 v18, v57
	v_add_f32_e32 v131, v115, v141
	v_fmac_f32_e32 v133, v109, v52
	v_mul_f32_e32 v135, v110, v55
	v_fma_f32 v134, v110, v54, -v2
	ds_read_b128 v[2:5], v114 offset:800
	ds_read_b128 v[6:9], v114 offset:816
	;; [unrolled: 1-line block ×3, first 2 shown]
	ds_read_b64 v[14:15], v114 offset:848
	v_pk_mul_f32 v[18:19], v[112:113], v[18:19] op_sel:[1,0] op_sel_hi:[0,0]
	v_fmac_f32_e32 v135, v111, v54
	v_pk_add_f32 v[16:17], v[130:131], v[132:133]
	v_pk_fma_f32 v[20:21], v[112:113], v[56:57], v[18:19] neg_lo:[0,0,1] neg_hi:[0,0,1]
	v_pk_fma_f32 v[18:19], v[112:113], v[56:57], v[18:19] op_sel_hi:[1,0,1]
	v_pk_add_f32 v[16:17], v[16:17], v[134:135]
	v_mov_b32_e32 v21, v19
	s_waitcnt vmcnt(3) lgkmcnt(3)
	v_pk_mul_f32 v[18:19], v[2:3], v[116:117] op_sel:[1,1] op_sel_hi:[0,1]
	v_pk_add_f32 v[16:17], v[16:17], v[20:21]
	v_pk_fma_f32 v[20:21], v[2:3], v[116:117], v[18:19] neg_lo:[0,0,1] neg_hi:[0,0,1]
	v_pk_fma_f32 v[2:3], v[2:3], v[116:117], v[18:19] op_sel_hi:[1,0,1]
	s_nop 0
	v_mov_b32_e32 v21, v3
	v_pk_add_f32 v[2:3], v[16:17], v[20:21]
	v_mov_b32_e32 v16, v119
	v_pk_mul_f32 v[16:17], v[4:5], v[16:17] op_sel:[1,0] op_sel_hi:[0,0]
	v_pk_fma_f32 v[18:19], v[4:5], v[118:119], v[16:17] neg_lo:[0,0,1] neg_hi:[0,0,1]
	v_pk_fma_f32 v[4:5], v[4:5], v[118:119], v[16:17] op_sel_hi:[1,0,1]
	s_nop 0
	v_mov_b32_e32 v19, v5
	s_waitcnt vmcnt(2) lgkmcnt(2)
	v_pk_mul_f32 v[4:5], v[6:7], v[120:121] op_sel:[1,1] op_sel_hi:[0,1]
	v_pk_fma_f32 v[16:17], v[6:7], v[120:121], v[4:5] neg_lo:[0,0,1] neg_hi:[0,0,1]
	v_pk_fma_f32 v[4:5], v[6:7], v[120:121], v[4:5] op_sel_hi:[1,0,1]
	v_pk_add_f32 v[2:3], v[2:3], v[18:19]
	v_mov_b32_e32 v4, v123
	v_mov_b32_e32 v17, v5
	v_pk_mul_f32 v[4:5], v[8:9], v[4:5] op_sel:[1,0] op_sel_hi:[0,0]
	v_pk_fma_f32 v[6:7], v[8:9], v[122:123], v[4:5] neg_lo:[0,0,1] neg_hi:[0,0,1]
	v_pk_fma_f32 v[4:5], v[8:9], v[122:123], v[4:5] op_sel_hi:[1,0,1]
	v_pk_add_f32 v[2:3], v[2:3], v[16:17]
	v_mov_b32_e32 v7, v5
	s_waitcnt vmcnt(1) lgkmcnt(1)
	v_pk_mul_f32 v[4:5], v[10:11], v[124:125] op_sel:[1,1] op_sel_hi:[0,1]
	v_pk_add_f32 v[2:3], v[2:3], v[6:7]
	v_pk_fma_f32 v[6:7], v[10:11], v[124:125], v[4:5] neg_lo:[0,0,1] neg_hi:[0,0,1]
	v_pk_fma_f32 v[4:5], v[10:11], v[124:125], v[4:5] op_sel_hi:[1,0,1]
	s_nop 0
	v_mov_b32_e32 v4, v127
	v_mov_b32_e32 v7, v5
	v_pk_mul_f32 v[4:5], v[12:13], v[4:5] op_sel:[1,0] op_sel_hi:[0,0]
	v_pk_add_f32 v[2:3], v[2:3], v[6:7]
	v_pk_fma_f32 v[6:7], v[12:13], v[126:127], v[4:5] neg_lo:[0,0,1] neg_hi:[0,0,1]
	v_pk_fma_f32 v[4:5], v[12:13], v[126:127], v[4:5] op_sel_hi:[1,0,1]
	s_nop 0
	v_mov_b32_e32 v7, v5
	s_waitcnt vmcnt(0) lgkmcnt(0)
	v_pk_mul_f32 v[4:5], v[14:15], v[136:137] op_sel:[1,1] op_sel_hi:[0,1]
	v_pk_add_f32 v[2:3], v[2:3], v[6:7]
	v_pk_fma_f32 v[6:7], v[14:15], v[136:137], v[4:5] neg_lo:[0,0,1] neg_hi:[0,0,1]
	v_pk_fma_f32 v[4:5], v[14:15], v[136:137], v[4:5] op_sel_hi:[1,0,1]
	s_nop 0
	v_mov_b32_e32 v7, v5
	v_pk_add_f32 v[2:3], v[2:3], v[6:7]
	s_nop 0
	v_pk_add_f32 v[2:3], v[128:129], v[2:3] neg_lo:[0,1] neg_hi:[0,1]
	scratch_store_dwordx2 off, v[2:3], off offset:136
	s_and_saveexec_b64 s[0:1], vcc
	s_cbranch_execz .LBB52_299
; %bb.298:
	scratch_load_dwordx2 v[2:3], off, off offset:128
	v_mov_b32_e32 v115, v114
	scratch_store_dwordx2 off, v[114:115], off offset:128
	s_waitcnt vmcnt(1)
	ds_write_b64 v1, v[2:3]
.LBB52_299:
	s_or_b64 exec, exec, s[0:1]
	s_waitcnt lgkmcnt(0)
	; wave barrier
	scratch_load_dwordx4 v[2:5], off, off offset:136
	scratch_load_dwordx4 v[6:9], off, off offset:152
	;; [unrolled: 1-line block ×13, first 2 shown]
	ds_read2_b64 v[110:113], v114 offset0:71 offset1:72
	ds_read2_b64 v[106:109], v114 offset0:73 offset1:74
	;; [unrolled: 1-line block ×14, first 2 shown]
	scratch_load_dwordx4 v[66:69], off, off offset:344
	scratch_load_dwordx2 v[132:133], off, off offset:128
	v_cmp_lt_u32_e32 vcc, 15, v0
	s_waitcnt vmcnt(14) lgkmcnt(13)
	v_mul_f32_e32 v115, v110, v3
	v_mul_f32_e32 v116, v112, v5
	v_fmac_f32_e32 v115, v111, v2
	s_waitcnt vmcnt(13) lgkmcnt(12)
	v_mul_f32_e32 v117, v106, v7
	v_fmac_f32_e32 v116, v113, v4
	v_add_f32_e32 v115, 0, v115
	v_mul_f32_e32 v118, v108, v9
	v_fmac_f32_e32 v117, v107, v6
	v_add_f32_e32 v115, v115, v116
	s_waitcnt vmcnt(12) lgkmcnt(11)
	v_mul_f32_e32 v119, v102, v11
	v_fmac_f32_e32 v118, v109, v8
	v_add_f32_e32 v115, v115, v117
	v_mul_f32_e32 v120, v104, v13
	v_fmac_f32_e32 v119, v103, v10
	v_add_f32_e32 v115, v115, v118
	;; [unrolled: 7-line block ×4, first 2 shown]
	s_waitcnt vmcnt(9) lgkmcnt(8)
	v_mul_f32_e32 v125, v90, v23
	v_fmac_f32_e32 v124, v97, v20
	v_add_f32_e32 v115, v115, v123
	scratch_load_dwordx4 v[116:119], off, off offset:360
	v_mul_f32_e32 v126, v92, v25
	v_fmac_f32_e32 v125, v91, v22
	v_add_f32_e32 v115, v115, v124
	s_waitcnt vmcnt(9) lgkmcnt(7)
	v_mul_f32_e32 v127, v86, v27
	v_fmac_f32_e32 v126, v93, v24
	v_add_f32_e32 v115, v115, v125
	v_mul_f32_e32 v128, v88, v29
	v_fmac_f32_e32 v127, v87, v26
	v_add_f32_e32 v115, v115, v126
	s_waitcnt vmcnt(8) lgkmcnt(6)
	v_mul_f32_e32 v129, v82, v31
	v_fmac_f32_e32 v128, v89, v28
	v_add_f32_e32 v115, v115, v127
	;; [unrolled: 7-line block ×3, first 2 shown]
	v_fmac_f32_e32 v131, v79, v34
	v_add_f32_e32 v115, v115, v130
	v_add_f32_e32 v115, v115, v131
	scratch_load_dwordx4 v[120:123], off, off offset:376
	scratch_load_dwordx4 v[124:127], off, off offset:392
	scratch_load_dwordx4 v[128:131], off, off offset:408
	v_mul_f32_e32 v3, v111, v3
	v_fma_f32 v2, v110, v2, -v3
	v_mul_f32_e32 v3, v113, v5
	v_add_f32_e32 v2, 0, v2
	v_fma_f32 v3, v112, v4, -v3
	v_add_f32_e32 v2, v2, v3
	v_mul_f32_e32 v3, v107, v7
	v_fma_f32 v3, v106, v6, -v3
	v_add_f32_e32 v2, v2, v3
	v_mul_f32_e32 v3, v109, v9
	;; [unrolled: 3-line block ×16, first 2 shown]
	v_fma_f32 v3, v80, v36, -v3
	v_add_f32_e32 v2, v2, v3
	s_waitcnt vmcnt(9) lgkmcnt(4)
	v_mul_f32_e32 v3, v75, v39
	v_fma_f32 v3, v74, v38, -v3
	v_add_f32_e32 v2, v2, v3
	v_mul_f32_e32 v3, v77, v41
	v_fma_f32 v3, v76, v40, -v3
	v_add_f32_e32 v2, v2, v3
	s_waitcnt vmcnt(8) lgkmcnt(3)
	v_mul_f32_e32 v3, v71, v43
	v_fma_f32 v3, v70, v42, -v3
	v_add_f32_e32 v2, v2, v3
	v_mul_f32_e32 v3, v73, v45
	v_fma_f32 v3, v72, v44, -v3
	v_add_f32_e32 v2, v2, v3
	s_waitcnt vmcnt(7) lgkmcnt(2)
	v_mul_f32_e32 v3, v63, v47
	v_fma_f32 v3, v62, v46, -v3
	v_mul_f32_e32 v134, v80, v37
	v_add_f32_e32 v2, v2, v3
	v_mul_f32_e32 v3, v65, v49
	v_mul_f32_e32 v135, v74, v39
	v_fmac_f32_e32 v134, v81, v36
	v_fma_f32 v3, v64, v48, -v3
	v_mul_f32_e32 v136, v76, v41
	v_fmac_f32_e32 v135, v75, v38
	v_add_f32_e32 v115, v115, v134
	v_add_f32_e32 v2, v2, v3
	s_waitcnt vmcnt(6) lgkmcnt(1)
	v_mul_f32_e32 v3, v55, v51
	v_mul_f32_e32 v137, v70, v43
	v_fmac_f32_e32 v136, v77, v40
	v_add_f32_e32 v115, v115, v135
	v_fma_f32 v3, v54, v50, -v3
	v_mul_f32_e32 v138, v72, v45
	v_fmac_f32_e32 v137, v71, v42
	v_add_f32_e32 v115, v115, v136
	v_add_f32_e32 v2, v2, v3
	v_mul_f32_e32 v3, v57, v53
	v_mul_f32_e32 v139, v62, v47
	v_fmac_f32_e32 v138, v73, v44
	v_add_f32_e32 v115, v115, v137
	v_fma_f32 v3, v56, v52, -v3
	v_mul_f32_e32 v140, v64, v49
	v_fmac_f32_e32 v139, v63, v46
	v_add_f32_e32 v115, v115, v138
	v_add_f32_e32 v134, v2, v3
	s_waitcnt vmcnt(5) lgkmcnt(0)
	v_mul_f32_e32 v2, v59, v67
	v_mul_f32_e32 v141, v54, v51
	v_fmac_f32_e32 v140, v65, v48
	v_add_f32_e32 v115, v115, v139
	v_fma_f32 v136, v58, v66, -v2
	v_mul_f32_e32 v2, v61, v69
	v_mul_f32_e32 v142, v56, v53
	v_fmac_f32_e32 v141, v55, v50
	v_add_f32_e32 v115, v115, v140
	v_fma_f32 v138, v60, v68, -v2
	ds_read2_b64 v[2:5], v114 offset0:99 offset1:100
	ds_read2_b64 v[6:9], v114 offset0:101 offset1:102
	;; [unrolled: 1-line block ×4, first 2 shown]
	v_add_f32_e32 v115, v115, v141
	v_fmac_f32_e32 v142, v57, v52
	v_mul_f32_e32 v137, v58, v67
	v_add_f32_e32 v135, v115, v142
	v_fmac_f32_e32 v137, v59, v66
	v_mul_f32_e32 v139, v60, v69
	s_waitcnt vmcnt(3) lgkmcnt(3)
	v_pk_mul_f32 v[20:21], v[2:3], v[116:117] op_sel:[1,1] op_sel_hi:[0,1]
	v_fmac_f32_e32 v139, v61, v68
	v_pk_add_f32 v[18:19], v[134:135], v[136:137]
	v_pk_fma_f32 v[22:23], v[2:3], v[116:117], v[20:21] neg_lo:[0,0,1] neg_hi:[0,0,1]
	v_pk_fma_f32 v[2:3], v[2:3], v[116:117], v[20:21] op_sel_hi:[1,0,1]
	v_pk_add_f32 v[18:19], v[18:19], v[138:139]
	v_mov_b32_e32 v23, v3
	v_pk_add_f32 v[2:3], v[18:19], v[22:23]
	v_mov_b32_e32 v18, v119
	v_pk_mul_f32 v[18:19], v[4:5], v[18:19] op_sel:[1,0] op_sel_hi:[0,0]
	v_pk_fma_f32 v[20:21], v[4:5], v[118:119], v[18:19] neg_lo:[0,0,1] neg_hi:[0,0,1]
	v_pk_fma_f32 v[4:5], v[4:5], v[118:119], v[18:19] op_sel_hi:[1,0,1]
	s_nop 0
	v_mov_b32_e32 v21, v5
	s_waitcnt vmcnt(2) lgkmcnt(2)
	v_pk_mul_f32 v[4:5], v[6:7], v[120:121] op_sel:[1,1] op_sel_hi:[0,1]
	v_pk_fma_f32 v[18:19], v[6:7], v[120:121], v[4:5] neg_lo:[0,0,1] neg_hi:[0,0,1]
	v_pk_fma_f32 v[4:5], v[6:7], v[120:121], v[4:5] op_sel_hi:[1,0,1]
	v_pk_add_f32 v[2:3], v[2:3], v[20:21]
	v_mov_b32_e32 v4, v123
	v_mov_b32_e32 v19, v5
	v_pk_mul_f32 v[4:5], v[8:9], v[4:5] op_sel:[1,0] op_sel_hi:[0,0]
	v_pk_fma_f32 v[6:7], v[8:9], v[122:123], v[4:5] neg_lo:[0,0,1] neg_hi:[0,0,1]
	v_pk_fma_f32 v[4:5], v[8:9], v[122:123], v[4:5] op_sel_hi:[1,0,1]
	v_pk_add_f32 v[2:3], v[2:3], v[18:19]
	v_mov_b32_e32 v7, v5
	s_waitcnt vmcnt(1) lgkmcnt(1)
	v_pk_mul_f32 v[4:5], v[10:11], v[124:125] op_sel:[1,1] op_sel_hi:[0,1]
	v_pk_add_f32 v[2:3], v[2:3], v[6:7]
	v_pk_fma_f32 v[6:7], v[10:11], v[124:125], v[4:5] neg_lo:[0,0,1] neg_hi:[0,0,1]
	v_pk_fma_f32 v[4:5], v[10:11], v[124:125], v[4:5] op_sel_hi:[1,0,1]
	s_nop 0
	v_mov_b32_e32 v4, v127
	v_mov_b32_e32 v7, v5
	v_pk_mul_f32 v[4:5], v[12:13], v[4:5] op_sel:[1,0] op_sel_hi:[0,0]
	v_pk_add_f32 v[2:3], v[2:3], v[6:7]
	v_pk_fma_f32 v[6:7], v[12:13], v[126:127], v[4:5] neg_lo:[0,0,1] neg_hi:[0,0,1]
	v_pk_fma_f32 v[4:5], v[12:13], v[126:127], v[4:5] op_sel_hi:[1,0,1]
	s_nop 0
	v_mov_b32_e32 v7, v5
	s_waitcnt vmcnt(0) lgkmcnt(0)
	v_pk_mul_f32 v[4:5], v[14:15], v[128:129] op_sel:[1,1] op_sel_hi:[0,1]
	v_pk_add_f32 v[2:3], v[2:3], v[6:7]
	v_pk_fma_f32 v[6:7], v[14:15], v[128:129], v[4:5] neg_lo:[0,0,1] neg_hi:[0,0,1]
	v_pk_fma_f32 v[4:5], v[14:15], v[128:129], v[4:5] op_sel_hi:[1,0,1]
	s_nop 0
	v_mov_b32_e32 v4, v131
	v_mov_b32_e32 v7, v5
	v_pk_mul_f32 v[4:5], v[16:17], v[4:5] op_sel:[1,0] op_sel_hi:[0,0]
	v_pk_add_f32 v[2:3], v[2:3], v[6:7]
	v_pk_fma_f32 v[6:7], v[16:17], v[130:131], v[4:5] neg_lo:[0,0,1] neg_hi:[0,0,1]
	v_pk_fma_f32 v[4:5], v[16:17], v[130:131], v[4:5] op_sel_hi:[1,0,1]
	s_nop 0
	v_mov_b32_e32 v7, v5
	v_pk_add_f32 v[2:3], v[2:3], v[6:7]
	s_nop 0
	v_pk_add_f32 v[2:3], v[132:133], v[2:3] neg_lo:[0,1] neg_hi:[0,1]
	scratch_store_dwordx2 off, v[2:3], off offset:128
	s_and_saveexec_b64 s[0:1], vcc
	s_cbranch_execz .LBB52_301
; %bb.300:
	scratch_load_dwordx2 v[2:3], off, off offset:120
	v_mov_b32_e32 v4, 0
	v_mov_b32_e32 v5, v4
	scratch_store_dwordx2 off, v[4:5], off offset:120
	s_waitcnt vmcnt(1)
	ds_write_b64 v1, v[2:3]
.LBB52_301:
	s_or_b64 exec, exec, s[0:1]
	s_waitcnt lgkmcnt(0)
	; wave barrier
	scratch_load_dwordx4 v[2:5], off, off offset:128
	scratch_load_dwordx4 v[6:9], off, off offset:144
	;; [unrolled: 1-line block ×15, first 2 shown]
	scratch_load_dwordx2 v[140:141], off, off offset:120
	v_mov_b32_e32 v118, 0
	ds_read_b128 v[62:65], v118 offset:560
	ds_read_b128 v[66:69], v118 offset:576
	ds_read_b128 v[70:73], v118 offset:592
	ds_read_b128 v[74:77], v118 offset:608
	ds_read_b128 v[78:81], v118 offset:624
	ds_read_b128 v[82:85], v118 offset:640
	ds_read_b128 v[86:89], v118 offset:656
	ds_read_b128 v[90:93], v118 offset:672
	ds_read_b128 v[94:97], v118 offset:688
	ds_read_b128 v[98:101], v118 offset:704
	ds_read_b128 v[102:105], v118 offset:720
	ds_read_b128 v[106:109], v118 offset:736
	ds_read_b128 v[110:113], v118 offset:752
	ds_read_b128 v[114:117], v118 offset:768
	v_cmp_lt_u32_e32 vcc, 14, v0
	s_waitcnt vmcnt(15) lgkmcnt(13)
	v_mul_f32_e32 v119, v62, v3
	v_mul_f32_e32 v120, v64, v5
	v_fmac_f32_e32 v119, v63, v2
	s_waitcnt vmcnt(14) lgkmcnt(12)
	v_mul_f32_e32 v121, v66, v7
	v_fmac_f32_e32 v120, v65, v4
	v_add_f32_e32 v119, 0, v119
	v_mul_f32_e32 v122, v68, v9
	v_fmac_f32_e32 v121, v67, v6
	v_add_f32_e32 v119, v119, v120
	s_waitcnt vmcnt(13) lgkmcnt(11)
	v_mul_f32_e32 v123, v70, v11
	v_fmac_f32_e32 v122, v69, v8
	v_add_f32_e32 v119, v119, v121
	v_mul_f32_e32 v124, v72, v13
	v_fmac_f32_e32 v123, v71, v10
	v_add_f32_e32 v119, v119, v122
	;; [unrolled: 7-line block ×11, first 2 shown]
	s_waitcnt vmcnt(3) lgkmcnt(1)
	v_mul_f32_e32 v145, v110, v51
	v_fmac_f32_e32 v144, v109, v48
	v_add_f32_e32 v119, v119, v143
	v_add_f32_e32 v119, v119, v144
	v_fmac_f32_e32 v145, v111, v50
	v_mul_f32_e32 v120, v112, v53
	v_add_f32_e32 v119, v119, v145
	v_fmac_f32_e32 v120, v113, v52
	s_waitcnt vmcnt(2) lgkmcnt(0)
	v_mul_f32_e32 v124, v114, v55
	v_add_f32_e32 v119, v119, v120
	v_fmac_f32_e32 v124, v115, v54
	ds_read_b128 v[120:123], v118 offset:784
	v_add_f32_e32 v143, v119, v124
	ds_read_b128 v[124:127], v118 offset:800
	scratch_load_dwordx4 v[128:131], off, off offset:368
	scratch_load_dwordx4 v[132:135], off, off offset:384
	;; [unrolled: 1-line block ×3, first 2 shown]
	scratch_load_dwordx2 v[148:149], off, off offset:416
	v_mul_f32_e32 v3, v63, v3
	v_fma_f32 v2, v62, v2, -v3
	v_mul_f32_e32 v3, v65, v5
	v_add_f32_e32 v2, 0, v2
	v_fma_f32 v3, v64, v4, -v3
	v_add_f32_e32 v2, v2, v3
	v_mul_f32_e32 v3, v67, v7
	v_fma_f32 v3, v66, v6, -v3
	v_add_f32_e32 v2, v2, v3
	v_mul_f32_e32 v3, v69, v9
	;; [unrolled: 3-line block ×25, first 2 shown]
	v_fma_f32 v3, v114, v54, -v3
	v_mul_f32_e32 v145, v116, v57
	v_add_f32_e32 v142, v2, v3
	v_mul_f32_e32 v2, v117, v57
	s_waitcnt vmcnt(5)
	v_mov_b32_e32 v14, v61
	v_fmac_f32_e32 v145, v117, v56
	s_waitcnt lgkmcnt(1)
	v_mul_f32_e32 v147, v120, v59
	v_fma_f32 v144, v116, v56, -v2
	v_mul_f32_e32 v2, v121, v59
	v_pk_mul_f32 v[14:15], v[122:123], v[14:15] op_sel:[1,0] op_sel_hi:[0,0]
	v_fmac_f32_e32 v147, v121, v58
	v_fma_f32 v146, v120, v58, -v2
	v_pk_add_f32 v[12:13], v[142:143], v[144:145]
	v_pk_fma_f32 v[16:17], v[122:123], v[60:61], v[14:15] neg_lo:[0,0,1] neg_hi:[0,0,1]
	v_pk_fma_f32 v[14:15], v[122:123], v[60:61], v[14:15] op_sel_hi:[1,0,1]
	v_pk_add_f32 v[12:13], v[12:13], v[146:147]
	v_mov_b32_e32 v17, v15
	s_waitcnt vmcnt(3) lgkmcnt(0)
	v_pk_mul_f32 v[14:15], v[124:125], v[128:129] op_sel:[1,1] op_sel_hi:[0,1]
	v_pk_add_f32 v[12:13], v[12:13], v[16:17]
	v_pk_fma_f32 v[16:17], v[124:125], v[128:129], v[14:15] neg_lo:[0,0,1] neg_hi:[0,0,1]
	v_pk_fma_f32 v[14:15], v[124:125], v[128:129], v[14:15] op_sel_hi:[1,0,1]
	ds_read_b128 v[2:5], v118 offset:816
	ds_read_b128 v[6:9], v118 offset:832
	ds_read_b64 v[10:11], v118 offset:848
	v_mov_b32_e32 v14, v131
	v_mov_b32_e32 v17, v15
	v_pk_mul_f32 v[14:15], v[126:127], v[14:15] op_sel:[1,0] op_sel_hi:[0,0]
	v_pk_add_f32 v[12:13], v[12:13], v[16:17]
	v_pk_fma_f32 v[16:17], v[126:127], v[130:131], v[14:15] neg_lo:[0,0,1] neg_hi:[0,0,1]
	v_pk_fma_f32 v[14:15], v[126:127], v[130:131], v[14:15] op_sel_hi:[1,0,1]
	s_nop 0
	v_mov_b32_e32 v17, v15
	s_waitcnt vmcnt(2) lgkmcnt(2)
	v_pk_mul_f32 v[14:15], v[2:3], v[132:133] op_sel:[1,1] op_sel_hi:[0,1]
	v_pk_add_f32 v[12:13], v[12:13], v[16:17]
	v_pk_fma_f32 v[16:17], v[2:3], v[132:133], v[14:15] neg_lo:[0,0,1] neg_hi:[0,0,1]
	v_pk_fma_f32 v[2:3], v[2:3], v[132:133], v[14:15] op_sel_hi:[1,0,1]
	s_nop 0
	v_mov_b32_e32 v17, v3
	v_pk_add_f32 v[2:3], v[12:13], v[16:17]
	v_mov_b32_e32 v12, v135
	v_pk_mul_f32 v[12:13], v[4:5], v[12:13] op_sel:[1,0] op_sel_hi:[0,0]
	v_pk_fma_f32 v[14:15], v[4:5], v[134:135], v[12:13] neg_lo:[0,0,1] neg_hi:[0,0,1]
	v_pk_fma_f32 v[4:5], v[4:5], v[134:135], v[12:13] op_sel_hi:[1,0,1]
	s_nop 0
	v_mov_b32_e32 v15, v5
	s_waitcnt vmcnt(1) lgkmcnt(1)
	v_pk_mul_f32 v[4:5], v[6:7], v[136:137] op_sel:[1,1] op_sel_hi:[0,1]
	v_pk_fma_f32 v[12:13], v[6:7], v[136:137], v[4:5] neg_lo:[0,0,1] neg_hi:[0,0,1]
	v_pk_fma_f32 v[4:5], v[6:7], v[136:137], v[4:5] op_sel_hi:[1,0,1]
	v_pk_add_f32 v[2:3], v[2:3], v[14:15]
	v_mov_b32_e32 v4, v139
	v_mov_b32_e32 v13, v5
	v_pk_mul_f32 v[4:5], v[8:9], v[4:5] op_sel:[1,0] op_sel_hi:[0,0]
	v_pk_fma_f32 v[6:7], v[8:9], v[138:139], v[4:5] neg_lo:[0,0,1] neg_hi:[0,0,1]
	v_pk_fma_f32 v[4:5], v[8:9], v[138:139], v[4:5] op_sel_hi:[1,0,1]
	v_pk_add_f32 v[2:3], v[2:3], v[12:13]
	v_mov_b32_e32 v7, v5
	s_waitcnt vmcnt(0) lgkmcnt(0)
	v_pk_mul_f32 v[4:5], v[10:11], v[148:149] op_sel:[1,1] op_sel_hi:[0,1]
	v_pk_add_f32 v[2:3], v[2:3], v[6:7]
	v_pk_fma_f32 v[6:7], v[10:11], v[148:149], v[4:5] neg_lo:[0,0,1] neg_hi:[0,0,1]
	v_pk_fma_f32 v[4:5], v[10:11], v[148:149], v[4:5] op_sel_hi:[1,0,1]
	s_nop 0
	v_mov_b32_e32 v7, v5
	v_pk_add_f32 v[2:3], v[2:3], v[6:7]
	s_nop 0
	v_pk_add_f32 v[2:3], v[140:141], v[2:3] neg_lo:[0,1] neg_hi:[0,1]
	scratch_store_dwordx2 off, v[2:3], off offset:120
	s_and_saveexec_b64 s[0:1], vcc
	s_cbranch_execz .LBB52_303
; %bb.302:
	scratch_load_dwordx2 v[2:3], off, off offset:112
	v_mov_b32_e32 v119, v118
	scratch_store_dwordx2 off, v[118:119], off offset:112
	s_waitcnt vmcnt(1)
	ds_write_b64 v1, v[2:3]
.LBB52_303:
	s_or_b64 exec, exec, s[0:1]
	s_waitcnt lgkmcnt(0)
	; wave barrier
	scratch_load_dwordx4 v[2:5], off, off offset:120
	scratch_load_dwordx4 v[6:9], off, off offset:136
	;; [unrolled: 1-line block ×13, first 2 shown]
	ds_read2_b64 v[114:117], v118 offset0:69 offset1:70
	ds_read2_b64 v[110:113], v118 offset0:71 offset1:72
	;; [unrolled: 1-line block ×14, first 2 shown]
	scratch_load_dwordx4 v[62:65], off, off offset:328
	scratch_load_dwordx4 v[70:73], off, off offset:344
	scratch_load_dwordx2 v[140:141], off, off offset:112
	v_cmp_lt_u32_e32 vcc, 13, v0
	s_waitcnt vmcnt(15) lgkmcnt(13)
	v_mul_f32_e32 v119, v114, v3
	v_mul_f32_e32 v120, v116, v5
	v_fmac_f32_e32 v119, v115, v2
	s_waitcnt vmcnt(14) lgkmcnt(12)
	v_mul_f32_e32 v121, v110, v7
	v_fmac_f32_e32 v120, v117, v4
	v_add_f32_e32 v119, 0, v119
	v_mul_f32_e32 v122, v112, v9
	v_fmac_f32_e32 v121, v111, v6
	v_add_f32_e32 v119, v119, v120
	s_waitcnt vmcnt(13) lgkmcnt(11)
	v_mul_f32_e32 v123, v106, v11
	v_fmac_f32_e32 v122, v113, v8
	v_add_f32_e32 v119, v119, v121
	v_mul_f32_e32 v124, v108, v13
	v_fmac_f32_e32 v123, v107, v10
	v_add_f32_e32 v119, v119, v122
	;; [unrolled: 7-line block ×11, first 2 shown]
	s_waitcnt vmcnt(3) lgkmcnt(1)
	v_mul_f32_e32 v145, v54, v51
	v_fmac_f32_e32 v144, v69, v48
	v_add_f32_e32 v119, v119, v143
	v_fmac_f32_e32 v145, v55, v50
	v_add_f32_e32 v119, v119, v144
	v_mul_f32_e32 v120, v56, v53
	v_add_f32_e32 v119, v119, v145
	v_fmac_f32_e32 v120, v57, v52
	v_add_f32_e32 v119, v119, v120
	s_waitcnt vmcnt(2) lgkmcnt(0)
	v_mul_f32_e32 v120, v58, v63
	v_fmac_f32_e32 v120, v59, v62
	v_mul_f32_e32 v124, v60, v65
	v_add_f32_e32 v119, v119, v120
	v_fmac_f32_e32 v124, v61, v64
	ds_read2_b64 v[120:123], v118 offset0:97 offset1:98
	v_add_f32_e32 v143, v119, v124
	ds_read2_b64 v[124:127], v118 offset0:99 offset1:100
	scratch_load_dwordx4 v[128:131], off, off offset:360
	scratch_load_dwordx4 v[132:135], off, off offset:376
	;; [unrolled: 1-line block ×4, first 2 shown]
	v_mul_f32_e32 v3, v115, v3
	v_fma_f32 v2, v114, v2, -v3
	v_mul_f32_e32 v3, v117, v5
	v_add_f32_e32 v2, 0, v2
	v_fma_f32 v3, v116, v4, -v3
	v_add_f32_e32 v2, v2, v3
	v_mul_f32_e32 v3, v111, v7
	v_fma_f32 v3, v110, v6, -v3
	v_add_f32_e32 v2, v2, v3
	v_mul_f32_e32 v3, v113, v9
	;; [unrolled: 3-line block ×26, first 2 shown]
	v_fma_f32 v3, v60, v64, -v3
	s_waitcnt vmcnt(5) lgkmcnt(1)
	v_mul_f32_e32 v145, v120, v71
	v_add_f32_e32 v142, v2, v3
	v_mul_f32_e32 v2, v121, v71
	s_waitcnt vmcnt(3) lgkmcnt(0)
	v_pk_mul_f32 v[16:17], v[124:125], v[128:129] op_sel:[1,1] op_sel_hi:[0,1]
	v_fmac_f32_e32 v145, v121, v70
	v_mul_f32_e32 v147, v122, v73
	v_fma_f32 v144, v120, v70, -v2
	v_mul_f32_e32 v2, v123, v73
	v_pk_fma_f32 v[18:19], v[124:125], v[128:129], v[16:17] neg_lo:[0,0,1] neg_hi:[0,0,1]
	v_pk_fma_f32 v[16:17], v[124:125], v[128:129], v[16:17] op_sel_hi:[1,0,1]
	v_fmac_f32_e32 v147, v123, v72
	v_fma_f32 v146, v122, v72, -v2
	ds_read2_b64 v[2:5], v118 offset0:101 offset1:102
	ds_read2_b64 v[6:9], v118 offset0:103 offset1:104
	;; [unrolled: 1-line block ×3, first 2 shown]
	v_pk_add_f32 v[14:15], v[142:143], v[144:145]
	v_mov_b32_e32 v16, v131
	v_pk_add_f32 v[14:15], v[14:15], v[146:147]
	v_mov_b32_e32 v19, v17
	v_pk_mul_f32 v[16:17], v[126:127], v[16:17] op_sel:[1,0] op_sel_hi:[0,0]
	v_pk_add_f32 v[14:15], v[14:15], v[18:19]
	v_pk_fma_f32 v[18:19], v[126:127], v[130:131], v[16:17] neg_lo:[0,0,1] neg_hi:[0,0,1]
	v_pk_fma_f32 v[16:17], v[126:127], v[130:131], v[16:17] op_sel_hi:[1,0,1]
	s_nop 0
	v_mov_b32_e32 v19, v17
	s_waitcnt vmcnt(2) lgkmcnt(2)
	v_pk_mul_f32 v[16:17], v[2:3], v[132:133] op_sel:[1,1] op_sel_hi:[0,1]
	v_pk_add_f32 v[14:15], v[14:15], v[18:19]
	v_pk_fma_f32 v[18:19], v[2:3], v[132:133], v[16:17] neg_lo:[0,0,1] neg_hi:[0,0,1]
	v_pk_fma_f32 v[2:3], v[2:3], v[132:133], v[16:17] op_sel_hi:[1,0,1]
	s_nop 0
	v_mov_b32_e32 v19, v3
	v_pk_add_f32 v[2:3], v[14:15], v[18:19]
	v_mov_b32_e32 v14, v135
	v_pk_mul_f32 v[14:15], v[4:5], v[14:15] op_sel:[1,0] op_sel_hi:[0,0]
	v_pk_fma_f32 v[16:17], v[4:5], v[134:135], v[14:15] neg_lo:[0,0,1] neg_hi:[0,0,1]
	v_pk_fma_f32 v[4:5], v[4:5], v[134:135], v[14:15] op_sel_hi:[1,0,1]
	s_nop 0
	v_mov_b32_e32 v17, v5
	s_waitcnt vmcnt(1) lgkmcnt(1)
	v_pk_mul_f32 v[4:5], v[6:7], v[136:137] op_sel:[1,1] op_sel_hi:[0,1]
	v_pk_fma_f32 v[14:15], v[6:7], v[136:137], v[4:5] neg_lo:[0,0,1] neg_hi:[0,0,1]
	v_pk_fma_f32 v[4:5], v[6:7], v[136:137], v[4:5] op_sel_hi:[1,0,1]
	v_pk_add_f32 v[2:3], v[2:3], v[16:17]
	v_mov_b32_e32 v4, v139
	v_mov_b32_e32 v15, v5
	v_pk_mul_f32 v[4:5], v[8:9], v[4:5] op_sel:[1,0] op_sel_hi:[0,0]
	v_pk_fma_f32 v[6:7], v[8:9], v[138:139], v[4:5] neg_lo:[0,0,1] neg_hi:[0,0,1]
	v_pk_fma_f32 v[4:5], v[8:9], v[138:139], v[4:5] op_sel_hi:[1,0,1]
	v_pk_add_f32 v[2:3], v[2:3], v[14:15]
	v_mov_b32_e32 v7, v5
	s_waitcnt vmcnt(0) lgkmcnt(0)
	v_pk_mul_f32 v[4:5], v[10:11], v[248:249] op_sel:[1,1] op_sel_hi:[0,1]
	v_pk_add_f32 v[2:3], v[2:3], v[6:7]
	v_pk_fma_f32 v[6:7], v[10:11], v[248:249], v[4:5] neg_lo:[0,0,1] neg_hi:[0,0,1]
	v_pk_fma_f32 v[4:5], v[10:11], v[248:249], v[4:5] op_sel_hi:[1,0,1]
	s_nop 0
	v_mov_b32_e32 v4, v251
	v_mov_b32_e32 v7, v5
	v_pk_mul_f32 v[4:5], v[12:13], v[4:5] op_sel:[1,0] op_sel_hi:[0,0]
	v_pk_add_f32 v[2:3], v[2:3], v[6:7]
	v_pk_fma_f32 v[6:7], v[12:13], v[250:251], v[4:5] neg_lo:[0,0,1] neg_hi:[0,0,1]
	v_pk_fma_f32 v[4:5], v[12:13], v[250:251], v[4:5] op_sel_hi:[1,0,1]
	s_nop 0
	v_mov_b32_e32 v7, v5
	v_pk_add_f32 v[2:3], v[2:3], v[6:7]
	s_nop 0
	v_pk_add_f32 v[2:3], v[140:141], v[2:3] neg_lo:[0,1] neg_hi:[0,1]
	scratch_store_dwordx2 off, v[2:3], off offset:112
	s_and_saveexec_b64 s[0:1], vcc
	s_cbranch_execz .LBB52_305
; %bb.304:
	scratch_load_dwordx2 v[2:3], off, off offset:104
	v_mov_b32_e32 v4, 0
	v_mov_b32_e32 v5, v4
	scratch_store_dwordx2 off, v[4:5], off offset:104
	s_waitcnt vmcnt(1)
	ds_write_b64 v1, v[2:3]
.LBB52_305:
	s_or_b64 exec, exec, s[0:1]
	s_waitcnt lgkmcnt(0)
	; wave barrier
	scratch_load_dwordx4 v[62:65], off, off offset:112
	scratch_load_dwordx4 v[66:69], off, off offset:128
	;; [unrolled: 1-line block ×16, first 2 shown]
	v_mov_b32_e32 v102, 0
	ds_read_b128 v[112:115], v102 offset:544
	ds_read_b128 v[116:119], v102 offset:560
	;; [unrolled: 1-line block ×13, first 2 shown]
	v_cmp_lt_u32_e32 vcc, 12, v0
	s_waitcnt vmcnt(15) lgkmcnt(12)
	v_mul_f32_e32 v38, v112, v63
	v_mul_f32_e32 v39, v114, v65
	v_fmac_f32_e32 v38, v113, v62
	s_waitcnt vmcnt(14) lgkmcnt(11)
	v_mul_f32_e32 v40, v116, v67
	v_fmac_f32_e32 v39, v115, v64
	v_add_f32_e32 v38, 0, v38
	v_mul_f32_e32 v41, v118, v69
	v_fmac_f32_e32 v40, v117, v66
	v_add_f32_e32 v38, v38, v39
	s_waitcnt vmcnt(13) lgkmcnt(10)
	v_mul_f32_e32 v42, v120, v71
	v_fmac_f32_e32 v41, v119, v68
	v_add_f32_e32 v38, v38, v40
	v_mul_f32_e32 v43, v122, v73
	v_fmac_f32_e32 v42, v121, v70
	v_add_f32_e32 v38, v38, v41
	;; [unrolled: 7-line block ×10, first 2 shown]
	s_waitcnt vmcnt(4) lgkmcnt(1)
	v_mul_f32_e32 v60, v30, v7
	v_fmac_f32_e32 v59, v37, v4
	v_add_f32_e32 v38, v38, v58
	ds_read_b128 v[54:57], v102 offset:752
	v_mul_f32_e32 v61, v32, v9
	v_fmac_f32_e32 v60, v31, v6
	v_add_f32_e32 v38, v38, v59
	s_waitcnt vmcnt(3) lgkmcnt(1)
	v_mul_f32_e32 v103, v26, v11
	v_fmac_f32_e32 v61, v33, v8
	v_add_f32_e32 v38, v38, v60
	v_fmac_f32_e32 v103, v27, v10
	v_add_f32_e32 v38, v38, v61
	v_mul_f32_e32 v39, v28, v13
	v_add_f32_e32 v38, v38, v103
	v_fmac_f32_e32 v39, v29, v12
	ds_read_b128 v[58:61], v102 offset:768
	v_add_f32_e32 v38, v38, v39
	s_waitcnt vmcnt(2) lgkmcnt(1)
	v_mul_f32_e32 v39, v54, v15
	v_fmac_f32_e32 v39, v55, v14
	v_add_f32_e32 v38, v38, v39
	v_mul_f32_e32 v39, v56, v17
	v_fmac_f32_e32 v39, v57, v16
	v_add_f32_e32 v38, v38, v39
	s_waitcnt vmcnt(1) lgkmcnt(0)
	v_mul_f32_e32 v39, v58, v19
	v_fmac_f32_e32 v39, v59, v18
	ds_read_b128 v[50:53], v102 offset:784
	v_add_f32_e32 v107, v38, v39
	scratch_load_dwordx4 v[46:49], off, off offset:368
	scratch_load_dwordx4 v[42:45], off, off offset:384
	;; [unrolled: 1-line block ×3, first 2 shown]
	scratch_load_dwordx2 v[104:105], off, off offset:416
	v_mul_f32_e32 v3, v35, v3
	v_fma_f32 v34, v34, v2, -v3
	scratch_load_dwordx2 v[2:3], off, off offset:104
	v_mul_f32_e32 v63, v113, v63
	v_fma_f32 v62, v112, v62, -v63
	v_mul_f32_e32 v63, v115, v65
	v_add_f32_e32 v62, 0, v62
	v_fma_f32 v63, v114, v64, -v63
	v_add_f32_e32 v62, v62, v63
	v_mul_f32_e32 v63, v117, v67
	v_fma_f32 v63, v116, v66, -v63
	v_add_f32_e32 v62, v62, v63
	v_mul_f32_e32 v63, v119, v69
	v_fma_f32 v63, v118, v68, -v63
	v_add_f32_e32 v62, v62, v63
	v_mul_f32_e32 v63, v121, v71
	v_fma_f32 v63, v120, v70, -v63
	v_add_f32_e32 v62, v62, v63
	v_mul_f32_e32 v63, v123, v73
	v_fma_f32 v63, v122, v72, -v63
	v_add_f32_e32 v62, v62, v63
	v_mul_f32_e32 v63, v125, v75
	v_fma_f32 v63, v124, v74, -v63
	v_add_f32_e32 v62, v62, v63
	v_mul_f32_e32 v63, v127, v77
	v_fma_f32 v63, v126, v76, -v63
	v_add_f32_e32 v62, v62, v63
	v_mul_f32_e32 v63, v129, v79
	v_fma_f32 v63, v128, v78, -v63
	v_add_f32_e32 v62, v62, v63
	v_mul_f32_e32 v63, v131, v81
	v_fma_f32 v63, v130, v80, -v63
	v_add_f32_e32 v62, v62, v63
	v_mul_f32_e32 v63, v133, v83
	v_fma_f32 v63, v132, v82, -v63
	v_add_f32_e32 v62, v62, v63
	v_mul_f32_e32 v63, v135, v85
	v_fma_f32 v63, v134, v84, -v63
	v_add_f32_e32 v62, v62, v63
	v_mul_f32_e32 v63, v137, v87
	v_fma_f32 v63, v136, v86, -v63
	v_add_f32_e32 v62, v62, v63
	v_mul_f32_e32 v63, v139, v89
	v_fma_f32 v63, v138, v88, -v63
	v_add_f32_e32 v62, v62, v63
	v_mul_f32_e32 v63, v249, v91
	v_fma_f32 v63, v248, v90, -v63
	v_add_f32_e32 v62, v62, v63
	v_mul_f32_e32 v63, v251, v93
	v_fma_f32 v63, v250, v92, -v63
	v_add_f32_e32 v62, v62, v63
	v_mul_f32_e32 v63, v253, v95
	v_fma_f32 v63, v252, v94, -v63
	v_add_f32_e32 v62, v62, v63
	v_mul_f32_e32 v63, v255, v97
	v_fma_f32 v63, v254, v96, -v63
	v_add_f32_e32 v62, v62, v63
	v_mul_f32_e32 v63, v141, v99
	v_fma_f32 v63, v140, v98, -v63
	v_add_f32_e32 v62, v62, v63
	v_mul_f32_e32 v63, v143, v101
	v_fma_f32 v63, v142, v100, -v63
	v_add_f32_e32 v62, v62, v63
	v_mul_f32_e32 v5, v37, v5
	v_add_f32_e32 v34, v62, v34
	v_fma_f32 v4, v36, v4, -v5
	v_mul_f32_e32 v5, v31, v7
	v_add_f32_e32 v4, v34, v4
	v_fma_f32 v5, v30, v6, -v5
	v_add_f32_e32 v4, v4, v5
	v_mul_f32_e32 v5, v33, v9
	v_fma_f32 v5, v32, v8, -v5
	v_add_f32_e32 v4, v4, v5
	v_mul_f32_e32 v5, v27, v11
	;; [unrolled: 3-line block ×6, first 2 shown]
	v_fma_f32 v5, v58, v18, -v5
	v_mul_f32_e32 v109, v60, v21
	v_add_f32_e32 v106, v4, v5
	v_mul_f32_e32 v4, v61, v21
	v_fmac_f32_e32 v109, v61, v20
	v_fma_f32 v108, v60, v20, -v4
	s_waitcnt vmcnt(5) lgkmcnt(0)
	v_mul_f32_e32 v4, v51, v23
	v_mov_b32_e32 v20, v25
	v_mul_f32_e32 v111, v50, v23
	v_fma_f32 v110, v50, v22, -v4
	ds_read_b128 v[4:7], v102 offset:800
	ds_read_b128 v[8:11], v102 offset:816
	;; [unrolled: 1-line block ×3, first 2 shown]
	ds_read_b64 v[16:17], v102 offset:848
	v_pk_mul_f32 v[20:21], v[52:53], v[20:21] op_sel:[1,0] op_sel_hi:[0,0]
	v_fmac_f32_e32 v111, v51, v22
	v_pk_add_f32 v[18:19], v[106:107], v[108:109]
	v_pk_fma_f32 v[22:23], v[52:53], v[24:25], v[20:21] neg_lo:[0,0,1] neg_hi:[0,0,1]
	v_pk_fma_f32 v[20:21], v[52:53], v[24:25], v[20:21] op_sel_hi:[1,0,1]
	v_pk_add_f32 v[18:19], v[18:19], v[110:111]
	v_mov_b32_e32 v23, v21
	s_waitcnt vmcnt(4) lgkmcnt(3)
	v_pk_mul_f32 v[20:21], v[4:5], v[46:47] op_sel:[1,1] op_sel_hi:[0,1]
	v_pk_add_f32 v[18:19], v[18:19], v[22:23]
	v_pk_fma_f32 v[22:23], v[4:5], v[46:47], v[20:21] neg_lo:[0,0,1] neg_hi:[0,0,1]
	v_pk_fma_f32 v[4:5], v[4:5], v[46:47], v[20:21] op_sel_hi:[1,0,1]
	s_nop 0
	v_mov_b32_e32 v23, v5
	v_pk_add_f32 v[4:5], v[18:19], v[22:23]
	v_mov_b32_e32 v18, v49
	v_pk_mul_f32 v[18:19], v[6:7], v[18:19] op_sel:[1,0] op_sel_hi:[0,0]
	v_pk_fma_f32 v[20:21], v[6:7], v[48:49], v[18:19] neg_lo:[0,0,1] neg_hi:[0,0,1]
	v_pk_fma_f32 v[6:7], v[6:7], v[48:49], v[18:19] op_sel_hi:[1,0,1]
	s_nop 0
	v_mov_b32_e32 v21, v7
	s_waitcnt vmcnt(3) lgkmcnt(2)
	v_pk_mul_f32 v[6:7], v[8:9], v[42:43] op_sel:[1,1] op_sel_hi:[0,1]
	v_pk_fma_f32 v[18:19], v[8:9], v[42:43], v[6:7] neg_lo:[0,0,1] neg_hi:[0,0,1]
	v_pk_fma_f32 v[6:7], v[8:9], v[42:43], v[6:7] op_sel_hi:[1,0,1]
	v_pk_add_f32 v[4:5], v[4:5], v[20:21]
	v_mov_b32_e32 v6, v45
	v_mov_b32_e32 v19, v7
	v_pk_mul_f32 v[6:7], v[10:11], v[6:7] op_sel:[1,0] op_sel_hi:[0,0]
	v_pk_fma_f32 v[8:9], v[10:11], v[44:45], v[6:7] neg_lo:[0,0,1] neg_hi:[0,0,1]
	v_pk_fma_f32 v[6:7], v[10:11], v[44:45], v[6:7] op_sel_hi:[1,0,1]
	v_pk_add_f32 v[4:5], v[4:5], v[18:19]
	v_mov_b32_e32 v9, v7
	s_waitcnt vmcnt(2) lgkmcnt(1)
	v_pk_mul_f32 v[6:7], v[12:13], v[38:39] op_sel:[1,1] op_sel_hi:[0,1]
	v_pk_add_f32 v[4:5], v[4:5], v[8:9]
	v_pk_fma_f32 v[8:9], v[12:13], v[38:39], v[6:7] neg_lo:[0,0,1] neg_hi:[0,0,1]
	v_pk_fma_f32 v[6:7], v[12:13], v[38:39], v[6:7] op_sel_hi:[1,0,1]
	s_nop 0
	v_mov_b32_e32 v6, v41
	v_mov_b32_e32 v9, v7
	v_pk_mul_f32 v[6:7], v[14:15], v[6:7] op_sel:[1,0] op_sel_hi:[0,0]
	v_pk_add_f32 v[4:5], v[4:5], v[8:9]
	v_pk_fma_f32 v[8:9], v[14:15], v[40:41], v[6:7] neg_lo:[0,0,1] neg_hi:[0,0,1]
	v_pk_fma_f32 v[6:7], v[14:15], v[40:41], v[6:7] op_sel_hi:[1,0,1]
	s_nop 0
	v_mov_b32_e32 v9, v7
	s_waitcnt vmcnt(1) lgkmcnt(0)
	v_pk_mul_f32 v[6:7], v[16:17], v[104:105] op_sel:[1,1] op_sel_hi:[0,1]
	v_pk_add_f32 v[4:5], v[4:5], v[8:9]
	v_pk_fma_f32 v[8:9], v[16:17], v[104:105], v[6:7] neg_lo:[0,0,1] neg_hi:[0,0,1]
	v_pk_fma_f32 v[6:7], v[16:17], v[104:105], v[6:7] op_sel_hi:[1,0,1]
	s_nop 0
	v_mov_b32_e32 v9, v7
	v_pk_add_f32 v[4:5], v[4:5], v[8:9]
	s_waitcnt vmcnt(0)
	v_pk_add_f32 v[2:3], v[2:3], v[4:5] neg_lo:[0,1] neg_hi:[0,1]
	scratch_store_dwordx2 off, v[2:3], off offset:104
	s_and_saveexec_b64 s[0:1], vcc
	s_cbranch_execz .LBB52_307
; %bb.306:
	scratch_load_dwordx2 v[2:3], off, off offset:96
	v_mov_b32_e32 v103, v102
	scratch_store_dwordx2 off, v[102:103], off offset:96
	s_waitcnt vmcnt(1)
	ds_write_b64 v1, v[2:3]
.LBB52_307:
	s_or_b64 exec, exec, s[0:1]
	s_waitcnt lgkmcnt(0)
	; wave barrier
	scratch_load_dwordx4 v[6:9], off, off offset:104
	scratch_load_dwordx4 v[14:17], off, off offset:120
	;; [unrolled: 1-line block ×10, first 2 shown]
	ds_read2_b64 v[2:5], v102 offset0:67 offset1:68
	scratch_load_dwordx4 v[86:89], off, off offset:264
	scratch_load_dwordx4 v[94:97], off, off offset:280
	;; [unrolled: 1-line block ×6, first 2 shown]
	v_cmp_lt_u32_e32 vcc, 11, v0
	s_waitcnt vmcnt(15) lgkmcnt(0)
	v_mul_f32_e32 v10, v2, v7
	v_fmac_f32_e32 v10, v3, v6
	v_mul_f32_e32 v11, v4, v9
	v_add_f32_e32 v10, 0, v10
	v_fmac_f32_e32 v11, v5, v8
	v_add_f32_e32 v18, v10, v11
	ds_read2_b64 v[10:13], v102 offset0:69 offset1:70
	v_mul_f32_e32 v3, v3, v7
	v_fma_f32 v2, v2, v6, -v3
	v_mul_f32_e32 v3, v5, v9
	v_add_f32_e32 v2, 0, v2
	s_waitcnt vmcnt(14) lgkmcnt(0)
	v_mul_f32_e32 v19, v10, v15
	v_fmac_f32_e32 v19, v11, v14
	v_add_f32_e32 v18, v18, v19
	v_mul_f32_e32 v19, v12, v17
	v_fmac_f32_e32 v19, v13, v16
	v_add_f32_e32 v26, v18, v19
	ds_read2_b64 v[18:21], v102 offset0:71 offset1:72
	v_fma_f32 v3, v4, v8, -v3
	v_add_f32_e32 v2, v2, v3
	v_mul_f32_e32 v3, v11, v15
	v_fma_f32 v3, v10, v14, -v3
	s_waitcnt vmcnt(13) lgkmcnt(0)
	v_mul_f32_e32 v27, v18, v23
	v_fmac_f32_e32 v27, v19, v22
	v_add_f32_e32 v26, v26, v27
	v_mul_f32_e32 v27, v20, v25
	v_fmac_f32_e32 v27, v21, v24
	v_add_f32_e32 v34, v26, v27
	ds_read2_b64 v[26:29], v102 offset0:73 offset1:74
	v_add_f32_e32 v2, v2, v3
	v_mul_f32_e32 v3, v13, v17
	v_fma_f32 v3, v12, v16, -v3
	v_add_f32_e32 v2, v2, v3
	s_waitcnt vmcnt(12) lgkmcnt(0)
	v_mul_f32_e32 v35, v26, v31
	v_fmac_f32_e32 v35, v27, v30
	v_add_f32_e32 v34, v34, v35
	v_mul_f32_e32 v35, v28, v33
	v_fmac_f32_e32 v35, v29, v32
	v_add_f32_e32 v42, v34, v35
	ds_read2_b64 v[34:37], v102 offset0:75 offset1:76
	v_mul_f32_e32 v3, v19, v23
	v_fma_f32 v3, v18, v22, -v3
	v_add_f32_e32 v2, v2, v3
	v_mul_f32_e32 v3, v21, v25
	s_waitcnt vmcnt(11) lgkmcnt(0)
	v_mul_f32_e32 v43, v34, v39
	v_fmac_f32_e32 v43, v35, v38
	v_add_f32_e32 v42, v42, v43
	v_mul_f32_e32 v43, v36, v41
	v_fmac_f32_e32 v43, v37, v40
	v_add_f32_e32 v50, v42, v43
	ds_read2_b64 v[42:45], v102 offset0:77 offset1:78
	v_fma_f32 v3, v20, v24, -v3
	v_add_f32_e32 v2, v2, v3
	v_mul_f32_e32 v3, v27, v31
	v_fma_f32 v3, v26, v30, -v3
	s_waitcnt vmcnt(10) lgkmcnt(0)
	v_mul_f32_e32 v51, v42, v47
	v_fmac_f32_e32 v51, v43, v46
	v_add_f32_e32 v50, v50, v51
	v_mul_f32_e32 v51, v44, v49
	v_fmac_f32_e32 v51, v45, v48
	v_add_f32_e32 v58, v50, v51
	ds_read2_b64 v[50:53], v102 offset0:79 offset1:80
	v_add_f32_e32 v2, v2, v3
	v_mul_f32_e32 v3, v29, v33
	v_fma_f32 v3, v28, v32, -v3
	v_add_f32_e32 v2, v2, v3
	s_waitcnt vmcnt(9) lgkmcnt(0)
	v_mul_f32_e32 v59, v50, v55
	v_fmac_f32_e32 v59, v51, v54
	v_add_f32_e32 v58, v58, v59
	v_mul_f32_e32 v59, v52, v57
	v_fmac_f32_e32 v59, v53, v56
	v_add_f32_e32 v66, v58, v59
	ds_read2_b64 v[58:61], v102 offset0:81 offset1:82
	v_mul_f32_e32 v3, v35, v39
	v_fma_f32 v3, v34, v38, -v3
	v_add_f32_e32 v2, v2, v3
	v_mul_f32_e32 v3, v37, v41
	;; [unrolled: 36-line block ×4, first 2 shown]
	s_waitcnt vmcnt(2) lgkmcnt(0)
	v_mul_f32_e32 v116, v108, v113
	v_fmac_f32_e32 v116, v109, v112
	v_add_f32_e32 v103, v103, v116
	v_mul_f32_e32 v116, v110, v115
	v_fmac_f32_e32 v116, v111, v114
	v_add_f32_e32 v103, v103, v116
	ds_read2_b64 v[116:119], v102 offset0:95 offset1:96
	v_fma_f32 v3, v68, v72, -v3
	v_add_f32_e32 v2, v2, v3
	v_mul_f32_e32 v3, v75, v79
	v_fma_f32 v3, v74, v78, -v3
	s_waitcnt vmcnt(1) lgkmcnt(0)
	v_mul_f32_e32 v124, v116, v121
	v_fmac_f32_e32 v124, v117, v120
	v_add_f32_e32 v103, v103, v124
	v_mul_f32_e32 v124, v118, v123
	v_fmac_f32_e32 v124, v119, v122
	v_add_f32_e32 v145, v103, v124
	ds_read2_b64 v[124:127], v102 offset0:97 offset1:98
	scratch_load_dwordx4 v[132:135], off, off offset:360
	scratch_load_dwordx4 v[136:139], off, off offset:376
	;; [unrolled: 1-line block ×4, first 2 shown]
	v_add_f32_e32 v2, v2, v3
	v_mul_f32_e32 v3, v77, v81
	v_fma_f32 v3, v76, v80, -v3
	v_add_f32_e32 v2, v2, v3
	v_mul_f32_e32 v3, v83, v87
	v_fma_f32 v3, v82, v86, -v3
	;; [unrolled: 3-line block ×11, first 2 shown]
	v_add_f32_e32 v144, v2, v3
	s_waitcnt vmcnt(4) lgkmcnt(0)
	v_mul_f32_e32 v2, v125, v129
	v_fma_f32 v146, v124, v128, -v2
	v_mul_f32_e32 v2, v127, v131
	v_fma_f32 v148, v126, v130, -v2
	ds_read2_b64 v[2:5], v102 offset0:99 offset1:100
	ds_read2_b64 v[6:9], v102 offset0:101 offset1:102
	;; [unrolled: 1-line block ×4, first 2 shown]
	v_mul_f32_e32 v147, v124, v129
	v_fmac_f32_e32 v147, v125, v128
	v_mul_f32_e32 v149, v126, v131
	v_fmac_f32_e32 v149, v127, v130
	v_pk_add_f32 v[18:19], v[144:145], v[146:147]
	s_waitcnt vmcnt(3) lgkmcnt(3)
	v_pk_mul_f32 v[20:21], v[2:3], v[132:133] op_sel:[1,1] op_sel_hi:[0,1]
	v_pk_fma_f32 v[22:23], v[2:3], v[132:133], v[20:21] neg_lo:[0,0,1] neg_hi:[0,0,1]
	v_pk_fma_f32 v[2:3], v[2:3], v[132:133], v[20:21] op_sel_hi:[1,0,1]
	v_pk_add_f32 v[18:19], v[18:19], v[148:149]
	v_mov_b32_e32 v23, v3
	v_pk_add_f32 v[2:3], v[18:19], v[22:23]
	v_mov_b32_e32 v18, v135
	v_pk_mul_f32 v[18:19], v[4:5], v[18:19] op_sel:[1,0] op_sel_hi:[0,0]
	v_pk_fma_f32 v[20:21], v[4:5], v[134:135], v[18:19] neg_lo:[0,0,1] neg_hi:[0,0,1]
	v_pk_fma_f32 v[4:5], v[4:5], v[134:135], v[18:19] op_sel_hi:[1,0,1]
	s_nop 0
	v_mov_b32_e32 v21, v5
	s_waitcnt vmcnt(2) lgkmcnt(2)
	v_pk_mul_f32 v[4:5], v[6:7], v[136:137] op_sel:[1,1] op_sel_hi:[0,1]
	v_pk_fma_f32 v[18:19], v[6:7], v[136:137], v[4:5] neg_lo:[0,0,1] neg_hi:[0,0,1]
	v_pk_fma_f32 v[4:5], v[6:7], v[136:137], v[4:5] op_sel_hi:[1,0,1]
	v_pk_add_f32 v[2:3], v[2:3], v[20:21]
	v_mov_b32_e32 v4, v139
	v_mov_b32_e32 v19, v5
	v_pk_mul_f32 v[4:5], v[8:9], v[4:5] op_sel:[1,0] op_sel_hi:[0,0]
	v_pk_fma_f32 v[6:7], v[8:9], v[138:139], v[4:5] neg_lo:[0,0,1] neg_hi:[0,0,1]
	v_pk_fma_f32 v[4:5], v[8:9], v[138:139], v[4:5] op_sel_hi:[1,0,1]
	v_pk_add_f32 v[2:3], v[2:3], v[18:19]
	v_mov_b32_e32 v7, v5
	s_waitcnt vmcnt(1) lgkmcnt(1)
	v_pk_mul_f32 v[4:5], v[10:11], v[140:141] op_sel:[1,1] op_sel_hi:[0,1]
	v_pk_add_f32 v[2:3], v[2:3], v[6:7]
	v_pk_fma_f32 v[6:7], v[10:11], v[140:141], v[4:5] neg_lo:[0,0,1] neg_hi:[0,0,1]
	v_pk_fma_f32 v[4:5], v[10:11], v[140:141], v[4:5] op_sel_hi:[1,0,1]
	s_nop 0
	v_mov_b32_e32 v4, v143
	v_mov_b32_e32 v7, v5
	v_pk_mul_f32 v[4:5], v[12:13], v[4:5] op_sel:[1,0] op_sel_hi:[0,0]
	v_pk_add_f32 v[2:3], v[2:3], v[6:7]
	v_pk_fma_f32 v[6:7], v[12:13], v[142:143], v[4:5] neg_lo:[0,0,1] neg_hi:[0,0,1]
	v_pk_fma_f32 v[4:5], v[12:13], v[142:143], v[4:5] op_sel_hi:[1,0,1]
	s_nop 0
	v_mov_b32_e32 v7, v5
	s_waitcnt vmcnt(0) lgkmcnt(0)
	v_pk_mul_f32 v[4:5], v[14:15], v[248:249] op_sel:[1,1] op_sel_hi:[0,1]
	v_pk_add_f32 v[2:3], v[2:3], v[6:7]
	v_pk_fma_f32 v[6:7], v[14:15], v[248:249], v[4:5] neg_lo:[0,0,1] neg_hi:[0,0,1]
	v_pk_fma_f32 v[4:5], v[14:15], v[248:249], v[4:5] op_sel_hi:[1,0,1]
	s_nop 0
	v_mov_b32_e32 v4, v251
	v_mov_b32_e32 v7, v5
	v_pk_mul_f32 v[4:5], v[16:17], v[4:5] op_sel:[1,0] op_sel_hi:[0,0]
	v_pk_add_f32 v[2:3], v[2:3], v[6:7]
	v_pk_fma_f32 v[6:7], v[16:17], v[250:251], v[4:5] neg_lo:[0,0,1] neg_hi:[0,0,1]
	v_pk_fma_f32 v[4:5], v[16:17], v[250:251], v[4:5] op_sel_hi:[1,0,1]
	s_nop 0
	v_mov_b32_e32 v7, v5
	scratch_load_dwordx2 v[4:5], off, off offset:96
	v_pk_add_f32 v[2:3], v[2:3], v[6:7]
	s_waitcnt vmcnt(0)
	v_pk_add_f32 v[2:3], v[4:5], v[2:3] neg_lo:[0,1] neg_hi:[0,1]
	scratch_store_dwordx2 off, v[2:3], off offset:96
	s_and_saveexec_b64 s[0:1], vcc
	s_cbranch_execz .LBB52_309
; %bb.308:
	scratch_load_dwordx2 v[2:3], off, off offset:88
	v_mov_b32_e32 v4, 0
	v_mov_b32_e32 v5, v4
	scratch_store_dwordx2 off, v[4:5], off offset:88
	s_waitcnt vmcnt(1)
	ds_write_b64 v1, v[2:3]
.LBB52_309:
	s_or_b64 exec, exec, s[0:1]
	v_mov_b32_e32 v102, 0
	s_waitcnt lgkmcnt(0)
	; wave barrier
	ds_read_b128 v[14:17], v102 offset:528
	ds_read_b128 v[10:13], v102 offset:544
	;; [unrolled: 1-line block ×4, first 2 shown]
	scratch_load_dwordx4 v[18:21], off, off offset:96
	scratch_load_dwordx4 v[38:41], off, off offset:160
	;; [unrolled: 1-line block ×11, first 2 shown]
	v_cmp_lt_u32_e32 vcc, 10, v0
	scratch_load_dwordx4 v[46:49], off, off offset:176
	scratch_load_dwordx4 v[54:57], off, off offset:192
	;; [unrolled: 1-line block ×3, first 2 shown]
	s_waitcnt vmcnt(13) lgkmcnt(3)
	v_mul_f32_e32 v22, v14, v19
	v_fmac_f32_e32 v22, v15, v18
	v_mul_f32_e32 v23, v16, v21
	v_add_f32_e32 v22, 0, v22
	v_fmac_f32_e32 v23, v17, v20
	v_add_f32_e32 v26, v22, v23
	scratch_load_dwordx4 v[22:25], off, off offset:112
	v_mul_f32_e32 v15, v15, v19
	v_fma_f32 v14, v14, v18, -v15
	v_mul_f32_e32 v15, v17, v21
	v_add_f32_e32 v14, 0, v14
	v_fma_f32 v15, v16, v20, -v15
	v_add_f32_e32 v14, v14, v15
	s_waitcnt vmcnt(4)
	v_mov_b32_e32 v18, v139
	s_waitcnt vmcnt(0) lgkmcnt(2)
	v_mul_f32_e32 v27, v10, v23
	v_fmac_f32_e32 v27, v11, v22
	v_add_f32_e32 v26, v26, v27
	v_mul_f32_e32 v27, v12, v25
	v_fmac_f32_e32 v27, v13, v24
	v_add_f32_e32 v30, v26, v27
	scratch_load_dwordx4 v[26:29], off, off offset:128
	v_mul_f32_e32 v11, v11, v23
	v_fma_f32 v10, v10, v22, -v11
	v_mul_f32_e32 v11, v13, v25
	v_add_f32_e32 v10, v14, v10
	v_fma_f32 v11, v12, v24, -v11
	v_add_f32_e32 v10, v10, v11
	s_waitcnt vmcnt(0) lgkmcnt(1)
	v_mul_f32_e32 v31, v6, v27
	v_fmac_f32_e32 v31, v7, v26
	v_add_f32_e32 v30, v30, v31
	v_mul_f32_e32 v31, v8, v29
	v_fmac_f32_e32 v31, v9, v28
	v_add_f32_e32 v34, v30, v31
	scratch_load_dwordx4 v[30:33], off, off offset:144
	v_mul_f32_e32 v7, v7, v27
	v_fma_f32 v6, v6, v26, -v7
	v_mul_f32_e32 v7, v9, v29
	v_add_f32_e32 v6, v10, v6
	v_fma_f32 v7, v8, v28, -v7
	v_add_f32_e32 v6, v6, v7
	s_waitcnt vmcnt(0) lgkmcnt(0)
	v_mul_f32_e32 v35, v2, v31
	v_fmac_f32_e32 v35, v3, v30
	v_add_f32_e32 v34, v34, v35
	v_mul_f32_e32 v35, v4, v33
	v_fmac_f32_e32 v35, v5, v32
	v_add_f32_e32 v42, v34, v35
	ds_read_b128 v[34:37], v102 offset:592
	v_mul_f32_e32 v3, v3, v31
	v_fma_f32 v2, v2, v30, -v3
	v_mul_f32_e32 v3, v5, v33
	v_add_f32_e32 v2, v6, v2
	s_waitcnt lgkmcnt(0)
	v_mul_f32_e32 v43, v34, v39
	v_fmac_f32_e32 v43, v35, v38
	v_add_f32_e32 v42, v42, v43
	v_mul_f32_e32 v43, v36, v41
	v_fmac_f32_e32 v43, v37, v40
	v_add_f32_e32 v50, v42, v43
	ds_read_b128 v[42:45], v102 offset:608
	v_fma_f32 v3, v4, v32, -v3
	v_add_f32_e32 v2, v2, v3
	v_mul_f32_e32 v3, v35, v39
	v_fma_f32 v3, v34, v38, -v3
	s_waitcnt lgkmcnt(0)
	v_mul_f32_e32 v51, v42, v47
	v_fmac_f32_e32 v51, v43, v46
	v_add_f32_e32 v50, v50, v51
	v_mul_f32_e32 v51, v44, v49
	v_fmac_f32_e32 v51, v45, v48
	v_add_f32_e32 v58, v50, v51
	ds_read_b128 v[50:53], v102 offset:624
	v_add_f32_e32 v2, v2, v3
	v_mul_f32_e32 v3, v37, v41
	v_fma_f32 v3, v36, v40, -v3
	v_add_f32_e32 v2, v2, v3
	s_waitcnt lgkmcnt(0)
	v_mul_f32_e32 v59, v50, v55
	v_fmac_f32_e32 v59, v51, v54
	v_add_f32_e32 v58, v58, v59
	v_mul_f32_e32 v59, v52, v57
	v_fmac_f32_e32 v59, v53, v56
	v_add_f32_e32 v66, v58, v59
	ds_read_b128 v[58:61], v102 offset:640
	v_mul_f32_e32 v3, v43, v47
	v_fma_f32 v3, v42, v46, -v3
	v_add_f32_e32 v2, v2, v3
	v_mul_f32_e32 v3, v45, v49
	s_waitcnt lgkmcnt(0)
	v_mul_f32_e32 v67, v58, v63
	v_fmac_f32_e32 v67, v59, v62
	v_add_f32_e32 v66, v66, v67
	v_mul_f32_e32 v67, v60, v65
	v_fmac_f32_e32 v67, v61, v64
	v_add_f32_e32 v74, v66, v67
	ds_read_b128 v[66:69], v102 offset:656
	v_fma_f32 v3, v44, v48, -v3
	v_add_f32_e32 v2, v2, v3
	v_mul_f32_e32 v3, v51, v55
	v_fma_f32 v3, v50, v54, -v3
	s_waitcnt lgkmcnt(0)
	v_mul_f32_e32 v75, v66, v71
	v_fmac_f32_e32 v75, v67, v70
	v_add_f32_e32 v74, v74, v75
	v_mul_f32_e32 v75, v68, v73
	v_fmac_f32_e32 v75, v69, v72
	v_add_f32_e32 v82, v74, v75
	ds_read_b128 v[74:77], v102 offset:672
	v_add_f32_e32 v2, v2, v3
	v_mul_f32_e32 v3, v53, v57
	v_fma_f32 v3, v52, v56, -v3
	v_add_f32_e32 v2, v2, v3
	s_waitcnt lgkmcnt(0)
	v_mul_f32_e32 v83, v74, v79
	v_fmac_f32_e32 v83, v75, v78
	v_add_f32_e32 v82, v82, v83
	v_mul_f32_e32 v83, v76, v81
	v_fmac_f32_e32 v83, v77, v80
	v_add_f32_e32 v90, v82, v83
	ds_read_b128 v[82:85], v102 offset:688
	v_mul_f32_e32 v3, v59, v63
	v_fma_f32 v3, v58, v62, -v3
	v_add_f32_e32 v2, v2, v3
	v_mul_f32_e32 v3, v61, v65
	;; [unrolled: 36-line block ×3, first 2 shown]
	s_waitcnt lgkmcnt(0)
	v_mul_f32_e32 v116, v108, v113
	v_fmac_f32_e32 v116, v109, v112
	v_add_f32_e32 v103, v103, v116
	v_mul_f32_e32 v116, v110, v115
	v_fmac_f32_e32 v116, v111, v114
	v_add_f32_e32 v103, v103, v116
	ds_read_b128 v[116:119], v102 offset:752
	v_fma_f32 v3, v76, v80, -v3
	v_add_f32_e32 v2, v2, v3
	v_mul_f32_e32 v3, v83, v87
	v_fma_f32 v3, v82, v86, -v3
	s_waitcnt lgkmcnt(0)
	v_mul_f32_e32 v124, v116, v121
	v_fmac_f32_e32 v124, v117, v120
	v_add_f32_e32 v103, v103, v124
	v_mul_f32_e32 v124, v118, v123
	v_fmac_f32_e32 v124, v119, v122
	v_add_f32_e32 v103, v103, v124
	ds_read_b128 v[124:127], v102 offset:768
	v_add_f32_e32 v2, v2, v3
	v_mul_f32_e32 v3, v85, v89
	v_fma_f32 v3, v84, v88, -v3
	v_add_f32_e32 v2, v2, v3
	s_waitcnt lgkmcnt(0)
	v_mul_f32_e32 v132, v124, v129
	v_fmac_f32_e32 v132, v125, v128
	v_add_f32_e32 v145, v103, v132
	ds_read_b128 v[132:135], v102 offset:784
	scratch_load_dwordx4 v[140:143], off, off offset:368
	scratch_load_dwordx4 v[248:251], off, off offset:384
	;; [unrolled: 1-line block ×3, first 2 shown]
	scratch_load_dwordx2 v[150:151], off, off offset:416
	v_mul_f32_e32 v3, v91, v95
	v_fma_f32 v3, v90, v94, -v3
	v_add_f32_e32 v2, v2, v3
	v_mul_f32_e32 v3, v93, v97
	v_fma_f32 v3, v92, v96, -v3
	v_add_f32_e32 v2, v2, v3
	v_mul_f32_e32 v3, v99, v105
	v_fma_f32 v3, v98, v104, -v3
	v_add_f32_e32 v2, v2, v3
	v_mul_f32_e32 v3, v101, v107
	v_fma_f32 v3, v100, v106, -v3
	v_add_f32_e32 v2, v2, v3
	v_mul_f32_e32 v3, v109, v113
	v_fma_f32 v3, v108, v112, -v3
	v_add_f32_e32 v2, v2, v3
	v_mul_f32_e32 v3, v111, v115
	v_fma_f32 v3, v110, v114, -v3
	v_add_f32_e32 v2, v2, v3
	v_mul_f32_e32 v3, v117, v121
	v_fma_f32 v3, v116, v120, -v3
	v_add_f32_e32 v2, v2, v3
	v_mul_f32_e32 v3, v119, v123
	v_fma_f32 v3, v118, v122, -v3
	v_add_f32_e32 v2, v2, v3
	v_mul_f32_e32 v3, v125, v129
	v_fma_f32 v3, v124, v128, -v3
	v_add_f32_e32 v144, v2, v3
	v_mul_f32_e32 v2, v127, v131
	v_mul_f32_e32 v147, v126, v131
	v_fma_f32 v146, v126, v130, -v2
	s_waitcnt lgkmcnt(0)
	v_mul_f32_e32 v2, v133, v137
	v_fmac_f32_e32 v147, v127, v130
	v_mul_f32_e32 v149, v132, v137
	v_fma_f32 v148, v132, v136, -v2
	ds_read_b128 v[2:5], v102 offset:800
	ds_read_b128 v[6:9], v102 offset:816
	;; [unrolled: 1-line block ×3, first 2 shown]
	ds_read_b64 v[14:15], v102 offset:848
	v_pk_mul_f32 v[18:19], v[134:135], v[18:19] op_sel:[1,0] op_sel_hi:[0,0]
	v_fmac_f32_e32 v149, v133, v136
	v_pk_add_f32 v[16:17], v[144:145], v[146:147]
	v_pk_fma_f32 v[20:21], v[134:135], v[138:139], v[18:19] neg_lo:[0,0,1] neg_hi:[0,0,1]
	v_pk_fma_f32 v[18:19], v[134:135], v[138:139], v[18:19] op_sel_hi:[1,0,1]
	v_pk_add_f32 v[16:17], v[16:17], v[148:149]
	v_mov_b32_e32 v21, v19
	v_pk_add_f32 v[16:17], v[16:17], v[20:21]
	s_waitcnt vmcnt(3) lgkmcnt(3)
	v_pk_mul_f32 v[18:19], v[2:3], v[140:141] op_sel:[1,1] op_sel_hi:[0,1]
	v_pk_fma_f32 v[20:21], v[2:3], v[140:141], v[18:19] neg_lo:[0,0,1] neg_hi:[0,0,1]
	v_pk_fma_f32 v[2:3], v[2:3], v[140:141], v[18:19] op_sel_hi:[1,0,1]
	s_nop 0
	v_mov_b32_e32 v21, v3
	v_pk_add_f32 v[2:3], v[16:17], v[20:21]
	v_mov_b32_e32 v16, v143
	v_pk_mul_f32 v[16:17], v[4:5], v[16:17] op_sel:[1,0] op_sel_hi:[0,0]
	v_pk_fma_f32 v[18:19], v[4:5], v[142:143], v[16:17] neg_lo:[0,0,1] neg_hi:[0,0,1]
	v_pk_fma_f32 v[4:5], v[4:5], v[142:143], v[16:17] op_sel_hi:[1,0,1]
	s_nop 0
	v_mov_b32_e32 v19, v5
	s_waitcnt vmcnt(2) lgkmcnt(2)
	v_pk_mul_f32 v[4:5], v[6:7], v[248:249] op_sel:[1,1] op_sel_hi:[0,1]
	v_pk_fma_f32 v[16:17], v[6:7], v[248:249], v[4:5] neg_lo:[0,0,1] neg_hi:[0,0,1]
	v_pk_fma_f32 v[4:5], v[6:7], v[248:249], v[4:5] op_sel_hi:[1,0,1]
	v_pk_add_f32 v[2:3], v[2:3], v[18:19]
	v_mov_b32_e32 v4, v251
	v_mov_b32_e32 v17, v5
	v_pk_mul_f32 v[4:5], v[8:9], v[4:5] op_sel:[1,0] op_sel_hi:[0,0]
	v_pk_fma_f32 v[6:7], v[8:9], v[250:251], v[4:5] neg_lo:[0,0,1] neg_hi:[0,0,1]
	v_pk_fma_f32 v[4:5], v[8:9], v[250:251], v[4:5] op_sel_hi:[1,0,1]
	v_pk_add_f32 v[2:3], v[2:3], v[16:17]
	v_mov_b32_e32 v7, v5
	s_waitcnt vmcnt(1) lgkmcnt(1)
	v_pk_mul_f32 v[4:5], v[10:11], v[252:253] op_sel:[1,1] op_sel_hi:[0,1]
	v_pk_add_f32 v[2:3], v[2:3], v[6:7]
	v_pk_fma_f32 v[6:7], v[10:11], v[252:253], v[4:5] neg_lo:[0,0,1] neg_hi:[0,0,1]
	v_pk_fma_f32 v[4:5], v[10:11], v[252:253], v[4:5] op_sel_hi:[1,0,1]
	s_nop 0
	v_mov_b32_e32 v4, v255
	v_mov_b32_e32 v7, v5
	v_pk_mul_f32 v[4:5], v[12:13], v[4:5] op_sel:[1,0] op_sel_hi:[0,0]
	v_pk_add_f32 v[2:3], v[2:3], v[6:7]
	v_pk_fma_f32 v[6:7], v[12:13], v[254:255], v[4:5] neg_lo:[0,0,1] neg_hi:[0,0,1]
	v_pk_fma_f32 v[4:5], v[12:13], v[254:255], v[4:5] op_sel_hi:[1,0,1]
	s_nop 0
	v_mov_b32_e32 v7, v5
	s_waitcnt vmcnt(0) lgkmcnt(0)
	v_pk_mul_f32 v[4:5], v[14:15], v[150:151] op_sel:[1,1] op_sel_hi:[0,1]
	v_pk_add_f32 v[2:3], v[2:3], v[6:7]
	v_pk_fma_f32 v[6:7], v[14:15], v[150:151], v[4:5] neg_lo:[0,0,1] neg_hi:[0,0,1]
	v_pk_fma_f32 v[4:5], v[14:15], v[150:151], v[4:5] op_sel_hi:[1,0,1]
	s_nop 0
	v_mov_b32_e32 v7, v5
	scratch_load_dwordx2 v[4:5], off, off offset:88
	v_pk_add_f32 v[2:3], v[2:3], v[6:7]
	s_waitcnt vmcnt(0)
	v_pk_add_f32 v[2:3], v[4:5], v[2:3] neg_lo:[0,1] neg_hi:[0,1]
	scratch_store_dwordx2 off, v[2:3], off offset:88
	s_and_saveexec_b64 s[0:1], vcc
	s_cbranch_execz .LBB52_311
; %bb.310:
	scratch_load_dwordx2 v[2:3], off, off offset:80
	v_mov_b32_e32 v103, v102
	scratch_store_dwordx2 off, v[102:103], off offset:80
	s_waitcnt vmcnt(1)
	ds_write_b64 v1, v[2:3]
.LBB52_311:
	s_or_b64 exec, exec, s[0:1]
	s_waitcnt lgkmcnt(0)
	; wave barrier
	scratch_load_dwordx4 v[6:9], off, off offset:88
	scratch_load_dwordx4 v[14:17], off, off offset:104
	;; [unrolled: 1-line block ×10, first 2 shown]
	ds_read2_b64 v[2:5], v102 offset0:65 offset1:66
	scratch_load_dwordx4 v[86:89], off, off offset:248
	scratch_load_dwordx4 v[94:97], off, off offset:264
	;; [unrolled: 1-line block ×7, first 2 shown]
	v_cmp_lt_u32_e32 vcc, 9, v0
	s_waitcnt vmcnt(16) lgkmcnt(0)
	v_mul_f32_e32 v10, v2, v7
	v_fmac_f32_e32 v10, v3, v6
	v_mul_f32_e32 v11, v4, v9
	v_add_f32_e32 v10, 0, v10
	v_fmac_f32_e32 v11, v5, v8
	v_add_f32_e32 v18, v10, v11
	ds_read2_b64 v[10:13], v102 offset0:67 offset1:68
	v_mul_f32_e32 v3, v3, v7
	v_fma_f32 v2, v2, v6, -v3
	v_mul_f32_e32 v3, v5, v9
	v_add_f32_e32 v2, 0, v2
	s_waitcnt vmcnt(15) lgkmcnt(0)
	v_mul_f32_e32 v19, v10, v15
	v_fmac_f32_e32 v19, v11, v14
	v_add_f32_e32 v18, v18, v19
	v_mul_f32_e32 v19, v12, v17
	v_fmac_f32_e32 v19, v13, v16
	v_add_f32_e32 v26, v18, v19
	ds_read2_b64 v[18:21], v102 offset0:69 offset1:70
	v_fma_f32 v3, v4, v8, -v3
	v_add_f32_e32 v2, v2, v3
	v_mul_f32_e32 v3, v11, v15
	v_fma_f32 v3, v10, v14, -v3
	s_waitcnt vmcnt(14) lgkmcnt(0)
	v_mul_f32_e32 v27, v18, v23
	v_fmac_f32_e32 v27, v19, v22
	v_add_f32_e32 v26, v26, v27
	v_mul_f32_e32 v27, v20, v25
	v_fmac_f32_e32 v27, v21, v24
	v_add_f32_e32 v34, v26, v27
	ds_read2_b64 v[26:29], v102 offset0:71 offset1:72
	v_add_f32_e32 v2, v2, v3
	v_mul_f32_e32 v3, v13, v17
	v_fma_f32 v3, v12, v16, -v3
	v_add_f32_e32 v2, v2, v3
	s_waitcnt vmcnt(13) lgkmcnt(0)
	v_mul_f32_e32 v35, v26, v31
	v_fmac_f32_e32 v35, v27, v30
	v_add_f32_e32 v34, v34, v35
	v_mul_f32_e32 v35, v28, v33
	v_fmac_f32_e32 v35, v29, v32
	v_add_f32_e32 v42, v34, v35
	ds_read2_b64 v[34:37], v102 offset0:73 offset1:74
	v_mul_f32_e32 v3, v19, v23
	v_fma_f32 v3, v18, v22, -v3
	v_add_f32_e32 v2, v2, v3
	v_mul_f32_e32 v3, v21, v25
	s_waitcnt vmcnt(12) lgkmcnt(0)
	v_mul_f32_e32 v43, v34, v39
	v_fmac_f32_e32 v43, v35, v38
	v_add_f32_e32 v42, v42, v43
	v_mul_f32_e32 v43, v36, v41
	v_fmac_f32_e32 v43, v37, v40
	v_add_f32_e32 v50, v42, v43
	ds_read2_b64 v[42:45], v102 offset0:75 offset1:76
	v_fma_f32 v3, v20, v24, -v3
	v_add_f32_e32 v2, v2, v3
	v_mul_f32_e32 v3, v27, v31
	v_fma_f32 v3, v26, v30, -v3
	s_waitcnt vmcnt(11) lgkmcnt(0)
	v_mul_f32_e32 v51, v42, v47
	v_fmac_f32_e32 v51, v43, v46
	v_add_f32_e32 v50, v50, v51
	v_mul_f32_e32 v51, v44, v49
	v_fmac_f32_e32 v51, v45, v48
	v_add_f32_e32 v58, v50, v51
	ds_read2_b64 v[50:53], v102 offset0:77 offset1:78
	v_add_f32_e32 v2, v2, v3
	v_mul_f32_e32 v3, v29, v33
	v_fma_f32 v3, v28, v32, -v3
	v_add_f32_e32 v2, v2, v3
	s_waitcnt vmcnt(10) lgkmcnt(0)
	v_mul_f32_e32 v59, v50, v55
	v_fmac_f32_e32 v59, v51, v54
	v_add_f32_e32 v58, v58, v59
	v_mul_f32_e32 v59, v52, v57
	v_fmac_f32_e32 v59, v53, v56
	v_add_f32_e32 v66, v58, v59
	ds_read2_b64 v[58:61], v102 offset0:79 offset1:80
	v_mul_f32_e32 v3, v35, v39
	v_fma_f32 v3, v34, v38, -v3
	v_add_f32_e32 v2, v2, v3
	v_mul_f32_e32 v3, v37, v41
	;; [unrolled: 36-line block ×4, first 2 shown]
	s_waitcnt vmcnt(3) lgkmcnt(0)
	v_mul_f32_e32 v116, v108, v113
	v_fmac_f32_e32 v116, v109, v112
	v_add_f32_e32 v103, v103, v116
	v_mul_f32_e32 v116, v110, v115
	v_fmac_f32_e32 v116, v111, v114
	v_add_f32_e32 v103, v103, v116
	ds_read2_b64 v[116:119], v102 offset0:93 offset1:94
	v_fma_f32 v3, v68, v72, -v3
	v_add_f32_e32 v2, v2, v3
	v_mul_f32_e32 v3, v75, v79
	v_fma_f32 v3, v74, v78, -v3
	s_waitcnt vmcnt(2) lgkmcnt(0)
	v_mul_f32_e32 v124, v116, v121
	v_fmac_f32_e32 v124, v117, v120
	v_add_f32_e32 v103, v103, v124
	v_mul_f32_e32 v124, v118, v123
	v_fmac_f32_e32 v124, v119, v122
	v_add_f32_e32 v103, v103, v124
	ds_read2_b64 v[124:127], v102 offset0:95 offset1:96
	v_add_f32_e32 v2, v2, v3
	v_mul_f32_e32 v3, v77, v81
	v_fma_f32 v3, v76, v80, -v3
	v_add_f32_e32 v2, v2, v3
	s_waitcnt vmcnt(1) lgkmcnt(0)
	v_mul_f32_e32 v132, v124, v129
	v_fmac_f32_e32 v132, v125, v128
	v_add_f32_e32 v103, v103, v132
	v_mul_f32_e32 v132, v126, v131
	v_fmac_f32_e32 v132, v127, v130
	v_add_f32_e32 v149, v103, v132
	ds_read2_b64 v[132:135], v102 offset0:97 offset1:98
	scratch_load_dwordx4 v[140:143], off, off offset:360
	scratch_load_dwordx4 v[248:251], off, off offset:376
	;; [unrolled: 1-line block ×4, first 2 shown]
	v_mul_f32_e32 v3, v83, v87
	v_fma_f32 v3, v82, v86, -v3
	v_add_f32_e32 v2, v2, v3
	v_mul_f32_e32 v3, v85, v89
	v_fma_f32 v3, v84, v88, -v3
	v_add_f32_e32 v2, v2, v3
	;; [unrolled: 3-line block ×12, first 2 shown]
	s_waitcnt vmcnt(4) lgkmcnt(0)
	v_mul_f32_e32 v2, v133, v137
	v_fma_f32 v150, v132, v136, -v2
	v_mul_f32_e32 v2, v135, v139
	v_fma_f32 v152, v134, v138, -v2
	ds_read2_b64 v[2:5], v102 offset0:99 offset1:100
	ds_read2_b64 v[6:9], v102 offset0:101 offset1:102
	;; [unrolled: 1-line block ×4, first 2 shown]
	v_mul_f32_e32 v151, v132, v137
	v_fmac_f32_e32 v151, v133, v136
	v_mul_f32_e32 v153, v134, v139
	v_fmac_f32_e32 v153, v135, v138
	v_pk_add_f32 v[18:19], v[148:149], v[150:151]
	s_waitcnt vmcnt(3) lgkmcnt(3)
	v_pk_mul_f32 v[20:21], v[2:3], v[140:141] op_sel:[1,1] op_sel_hi:[0,1]
	v_pk_fma_f32 v[22:23], v[2:3], v[140:141], v[20:21] neg_lo:[0,0,1] neg_hi:[0,0,1]
	v_pk_fma_f32 v[2:3], v[2:3], v[140:141], v[20:21] op_sel_hi:[1,0,1]
	v_pk_add_f32 v[18:19], v[18:19], v[152:153]
	v_mov_b32_e32 v23, v3
	v_pk_add_f32 v[2:3], v[18:19], v[22:23]
	v_mov_b32_e32 v18, v143
	v_pk_mul_f32 v[18:19], v[4:5], v[18:19] op_sel:[1,0] op_sel_hi:[0,0]
	v_pk_fma_f32 v[20:21], v[4:5], v[142:143], v[18:19] neg_lo:[0,0,1] neg_hi:[0,0,1]
	v_pk_fma_f32 v[4:5], v[4:5], v[142:143], v[18:19] op_sel_hi:[1,0,1]
	s_nop 0
	v_mov_b32_e32 v21, v5
	s_waitcnt vmcnt(2) lgkmcnt(2)
	v_pk_mul_f32 v[4:5], v[6:7], v[248:249] op_sel:[1,1] op_sel_hi:[0,1]
	v_pk_fma_f32 v[18:19], v[6:7], v[248:249], v[4:5] neg_lo:[0,0,1] neg_hi:[0,0,1]
	v_pk_fma_f32 v[4:5], v[6:7], v[248:249], v[4:5] op_sel_hi:[1,0,1]
	v_pk_add_f32 v[2:3], v[2:3], v[20:21]
	v_mov_b32_e32 v4, v251
	v_mov_b32_e32 v19, v5
	v_pk_mul_f32 v[4:5], v[8:9], v[4:5] op_sel:[1,0] op_sel_hi:[0,0]
	v_pk_fma_f32 v[6:7], v[8:9], v[250:251], v[4:5] neg_lo:[0,0,1] neg_hi:[0,0,1]
	v_pk_fma_f32 v[4:5], v[8:9], v[250:251], v[4:5] op_sel_hi:[1,0,1]
	v_pk_add_f32 v[2:3], v[2:3], v[18:19]
	v_mov_b32_e32 v7, v5
	s_waitcnt vmcnt(1) lgkmcnt(1)
	v_pk_mul_f32 v[4:5], v[10:11], v[252:253] op_sel:[1,1] op_sel_hi:[0,1]
	v_pk_add_f32 v[2:3], v[2:3], v[6:7]
	v_pk_fma_f32 v[6:7], v[10:11], v[252:253], v[4:5] neg_lo:[0,0,1] neg_hi:[0,0,1]
	v_pk_fma_f32 v[4:5], v[10:11], v[252:253], v[4:5] op_sel_hi:[1,0,1]
	s_nop 0
	v_mov_b32_e32 v4, v255
	v_mov_b32_e32 v7, v5
	v_pk_mul_f32 v[4:5], v[12:13], v[4:5] op_sel:[1,0] op_sel_hi:[0,0]
	v_pk_add_f32 v[2:3], v[2:3], v[6:7]
	v_pk_fma_f32 v[6:7], v[12:13], v[254:255], v[4:5] neg_lo:[0,0,1] neg_hi:[0,0,1]
	v_pk_fma_f32 v[4:5], v[12:13], v[254:255], v[4:5] op_sel_hi:[1,0,1]
	s_nop 0
	v_mov_b32_e32 v7, v5
	s_waitcnt vmcnt(0) lgkmcnt(0)
	v_pk_mul_f32 v[4:5], v[14:15], v[144:145] op_sel:[1,1] op_sel_hi:[0,1]
	v_pk_add_f32 v[2:3], v[2:3], v[6:7]
	v_pk_fma_f32 v[6:7], v[14:15], v[144:145], v[4:5] neg_lo:[0,0,1] neg_hi:[0,0,1]
	v_pk_fma_f32 v[4:5], v[14:15], v[144:145], v[4:5] op_sel_hi:[1,0,1]
	s_nop 0
	v_mov_b32_e32 v4, v147
	v_mov_b32_e32 v7, v5
	v_pk_mul_f32 v[4:5], v[16:17], v[4:5] op_sel:[1,0] op_sel_hi:[0,0]
	v_pk_add_f32 v[2:3], v[2:3], v[6:7]
	v_pk_fma_f32 v[6:7], v[16:17], v[146:147], v[4:5] neg_lo:[0,0,1] neg_hi:[0,0,1]
	v_pk_fma_f32 v[4:5], v[16:17], v[146:147], v[4:5] op_sel_hi:[1,0,1]
	s_nop 0
	v_mov_b32_e32 v7, v5
	scratch_load_dwordx2 v[4:5], off, off offset:80
	v_pk_add_f32 v[2:3], v[2:3], v[6:7]
	s_waitcnt vmcnt(0)
	v_pk_add_f32 v[2:3], v[4:5], v[2:3] neg_lo:[0,1] neg_hi:[0,1]
	scratch_store_dwordx2 off, v[2:3], off offset:80
	s_and_saveexec_b64 s[0:1], vcc
	s_cbranch_execz .LBB52_313
; %bb.312:
	scratch_load_dwordx2 v[2:3], off, off offset:72
	v_mov_b32_e32 v4, 0
	v_mov_b32_e32 v5, v4
	scratch_store_dwordx2 off, v[4:5], off offset:72
	s_waitcnt vmcnt(1)
	ds_write_b64 v1, v[2:3]
.LBB52_313:
	s_or_b64 exec, exec, s[0:1]
	v_mov_b32_e32 v102, 0
	s_waitcnt lgkmcnt(0)
	; wave barrier
	ds_read_b128 v[14:17], v102 offset:512
	ds_read_b128 v[10:13], v102 offset:528
	;; [unrolled: 1-line block ×4, first 2 shown]
	scratch_load_dwordx4 v[18:21], off, off offset:80
	scratch_load_dwordx4 v[38:41], off, off offset:144
	;; [unrolled: 1-line block ×12, first 2 shown]
	v_cmp_lt_u32_e32 vcc, 8, v0
	scratch_load_dwordx4 v[46:49], off, off offset:160
	scratch_load_dwordx4 v[54:57], off, off offset:176
	;; [unrolled: 1-line block ×3, first 2 shown]
	s_waitcnt vmcnt(14) lgkmcnt(3)
	v_mul_f32_e32 v22, v14, v19
	v_fmac_f32_e32 v22, v15, v18
	v_mul_f32_e32 v23, v16, v21
	v_add_f32_e32 v22, 0, v22
	v_fmac_f32_e32 v23, v17, v20
	v_add_f32_e32 v26, v22, v23
	scratch_load_dwordx4 v[22:25], off, off offset:96
	v_mul_f32_e32 v15, v15, v19
	v_fma_f32 v14, v14, v18, -v15
	v_mul_f32_e32 v15, v17, v21
	v_add_f32_e32 v14, 0, v14
	v_fma_f32 v15, v16, v20, -v15
	v_add_f32_e32 v14, v14, v15
	s_waitcnt vmcnt(4)
	v_mov_b32_e32 v18, v147
	s_waitcnt vmcnt(0) lgkmcnt(2)
	v_mul_f32_e32 v27, v10, v23
	v_fmac_f32_e32 v27, v11, v22
	v_add_f32_e32 v26, v26, v27
	v_mul_f32_e32 v27, v12, v25
	v_fmac_f32_e32 v27, v13, v24
	v_add_f32_e32 v30, v26, v27
	scratch_load_dwordx4 v[26:29], off, off offset:112
	v_mul_f32_e32 v11, v11, v23
	v_fma_f32 v10, v10, v22, -v11
	v_mul_f32_e32 v11, v13, v25
	v_add_f32_e32 v10, v14, v10
	v_fma_f32 v11, v12, v24, -v11
	v_add_f32_e32 v10, v10, v11
	s_waitcnt vmcnt(0) lgkmcnt(1)
	v_mul_f32_e32 v31, v6, v27
	v_fmac_f32_e32 v31, v7, v26
	v_add_f32_e32 v30, v30, v31
	v_mul_f32_e32 v31, v8, v29
	v_fmac_f32_e32 v31, v9, v28
	v_add_f32_e32 v34, v30, v31
	scratch_load_dwordx4 v[30:33], off, off offset:128
	v_mul_f32_e32 v7, v7, v27
	v_fma_f32 v6, v6, v26, -v7
	v_mul_f32_e32 v7, v9, v29
	v_add_f32_e32 v6, v10, v6
	v_fma_f32 v7, v8, v28, -v7
	v_add_f32_e32 v6, v6, v7
	s_waitcnt vmcnt(0) lgkmcnt(0)
	v_mul_f32_e32 v35, v2, v31
	v_fmac_f32_e32 v35, v3, v30
	v_add_f32_e32 v34, v34, v35
	v_mul_f32_e32 v35, v4, v33
	v_fmac_f32_e32 v35, v5, v32
	v_add_f32_e32 v42, v34, v35
	ds_read_b128 v[34:37], v102 offset:576
	v_mul_f32_e32 v3, v3, v31
	v_fma_f32 v2, v2, v30, -v3
	v_mul_f32_e32 v3, v5, v33
	v_add_f32_e32 v2, v6, v2
	s_waitcnt lgkmcnt(0)
	v_mul_f32_e32 v43, v34, v39
	v_fmac_f32_e32 v43, v35, v38
	v_add_f32_e32 v42, v42, v43
	v_mul_f32_e32 v43, v36, v41
	v_fmac_f32_e32 v43, v37, v40
	v_add_f32_e32 v50, v42, v43
	ds_read_b128 v[42:45], v102 offset:592
	v_fma_f32 v3, v4, v32, -v3
	v_add_f32_e32 v2, v2, v3
	v_mul_f32_e32 v3, v35, v39
	v_fma_f32 v3, v34, v38, -v3
	s_waitcnt lgkmcnt(0)
	v_mul_f32_e32 v51, v42, v47
	v_fmac_f32_e32 v51, v43, v46
	v_add_f32_e32 v50, v50, v51
	v_mul_f32_e32 v51, v44, v49
	v_fmac_f32_e32 v51, v45, v48
	v_add_f32_e32 v58, v50, v51
	ds_read_b128 v[50:53], v102 offset:608
	v_add_f32_e32 v2, v2, v3
	v_mul_f32_e32 v3, v37, v41
	v_fma_f32 v3, v36, v40, -v3
	v_add_f32_e32 v2, v2, v3
	s_waitcnt lgkmcnt(0)
	v_mul_f32_e32 v59, v50, v55
	v_fmac_f32_e32 v59, v51, v54
	v_add_f32_e32 v58, v58, v59
	v_mul_f32_e32 v59, v52, v57
	v_fmac_f32_e32 v59, v53, v56
	v_add_f32_e32 v66, v58, v59
	ds_read_b128 v[58:61], v102 offset:624
	v_mul_f32_e32 v3, v43, v47
	v_fma_f32 v3, v42, v46, -v3
	v_add_f32_e32 v2, v2, v3
	v_mul_f32_e32 v3, v45, v49
	s_waitcnt lgkmcnt(0)
	v_mul_f32_e32 v67, v58, v63
	v_fmac_f32_e32 v67, v59, v62
	v_add_f32_e32 v66, v66, v67
	v_mul_f32_e32 v67, v60, v65
	v_fmac_f32_e32 v67, v61, v64
	v_add_f32_e32 v74, v66, v67
	ds_read_b128 v[66:69], v102 offset:640
	v_fma_f32 v3, v44, v48, -v3
	v_add_f32_e32 v2, v2, v3
	v_mul_f32_e32 v3, v51, v55
	v_fma_f32 v3, v50, v54, -v3
	s_waitcnt lgkmcnt(0)
	v_mul_f32_e32 v75, v66, v71
	v_fmac_f32_e32 v75, v67, v70
	v_add_f32_e32 v74, v74, v75
	v_mul_f32_e32 v75, v68, v73
	v_fmac_f32_e32 v75, v69, v72
	v_add_f32_e32 v82, v74, v75
	ds_read_b128 v[74:77], v102 offset:656
	v_add_f32_e32 v2, v2, v3
	v_mul_f32_e32 v3, v53, v57
	v_fma_f32 v3, v52, v56, -v3
	v_add_f32_e32 v2, v2, v3
	s_waitcnt lgkmcnt(0)
	v_mul_f32_e32 v83, v74, v79
	v_fmac_f32_e32 v83, v75, v78
	v_add_f32_e32 v82, v82, v83
	v_mul_f32_e32 v83, v76, v81
	v_fmac_f32_e32 v83, v77, v80
	v_add_f32_e32 v90, v82, v83
	ds_read_b128 v[82:85], v102 offset:672
	v_mul_f32_e32 v3, v59, v63
	v_fma_f32 v3, v58, v62, -v3
	v_add_f32_e32 v2, v2, v3
	v_mul_f32_e32 v3, v61, v65
	;; [unrolled: 36-line block ×4, first 2 shown]
	s_waitcnt lgkmcnt(0)
	v_mul_f32_e32 v140, v132, v137
	v_fmac_f32_e32 v140, v133, v136
	v_add_f32_e32 v153, v103, v140
	ds_read_b128 v[140:143], v102 offset:784
	scratch_load_dwordx4 v[248:251], off, off offset:368
	scratch_load_dwordx4 v[252:255], off, off offset:384
	;; [unrolled: 1-line block ×3, first 2 shown]
	scratch_load_dwordx2 v[158:159], off, off offset:416
	v_fma_f32 v3, v92, v96, -v3
	v_add_f32_e32 v2, v2, v3
	v_mul_f32_e32 v3, v99, v105
	v_fma_f32 v3, v98, v104, -v3
	v_add_f32_e32 v2, v2, v3
	v_mul_f32_e32 v3, v101, v107
	;; [unrolled: 3-line block ×10, first 2 shown]
	v_mul_f32_e32 v155, v134, v139
	v_fma_f32 v154, v134, v138, -v2
	s_waitcnt lgkmcnt(0)
	v_mul_f32_e32 v2, v141, v145
	v_fmac_f32_e32 v155, v135, v138
	v_mul_f32_e32 v157, v140, v145
	v_fma_f32 v156, v140, v144, -v2
	ds_read_b128 v[2:5], v102 offset:800
	ds_read_b128 v[6:9], v102 offset:816
	;; [unrolled: 1-line block ×3, first 2 shown]
	ds_read_b64 v[14:15], v102 offset:848
	v_pk_mul_f32 v[18:19], v[142:143], v[18:19] op_sel:[1,0] op_sel_hi:[0,0]
	v_fmac_f32_e32 v157, v141, v144
	v_pk_add_f32 v[16:17], v[152:153], v[154:155]
	v_pk_fma_f32 v[20:21], v[142:143], v[146:147], v[18:19] neg_lo:[0,0,1] neg_hi:[0,0,1]
	v_pk_fma_f32 v[18:19], v[142:143], v[146:147], v[18:19] op_sel_hi:[1,0,1]
	v_pk_add_f32 v[16:17], v[16:17], v[156:157]
	v_mov_b32_e32 v21, v19
	v_pk_add_f32 v[16:17], v[16:17], v[20:21]
	s_waitcnt vmcnt(3) lgkmcnt(3)
	v_pk_mul_f32 v[18:19], v[2:3], v[248:249] op_sel:[1,1] op_sel_hi:[0,1]
	v_pk_fma_f32 v[20:21], v[2:3], v[248:249], v[18:19] neg_lo:[0,0,1] neg_hi:[0,0,1]
	v_pk_fma_f32 v[2:3], v[2:3], v[248:249], v[18:19] op_sel_hi:[1,0,1]
	s_nop 0
	v_mov_b32_e32 v21, v3
	v_pk_add_f32 v[2:3], v[16:17], v[20:21]
	v_mov_b32_e32 v16, v251
	v_pk_mul_f32 v[16:17], v[4:5], v[16:17] op_sel:[1,0] op_sel_hi:[0,0]
	v_pk_fma_f32 v[18:19], v[4:5], v[250:251], v[16:17] neg_lo:[0,0,1] neg_hi:[0,0,1]
	v_pk_fma_f32 v[4:5], v[4:5], v[250:251], v[16:17] op_sel_hi:[1,0,1]
	s_nop 0
	v_mov_b32_e32 v19, v5
	s_waitcnt vmcnt(2) lgkmcnt(2)
	v_pk_mul_f32 v[4:5], v[6:7], v[252:253] op_sel:[1,1] op_sel_hi:[0,1]
	v_pk_fma_f32 v[16:17], v[6:7], v[252:253], v[4:5] neg_lo:[0,0,1] neg_hi:[0,0,1]
	v_pk_fma_f32 v[4:5], v[6:7], v[252:253], v[4:5] op_sel_hi:[1,0,1]
	v_pk_add_f32 v[2:3], v[2:3], v[18:19]
	v_mov_b32_e32 v4, v255
	v_mov_b32_e32 v17, v5
	v_pk_mul_f32 v[4:5], v[8:9], v[4:5] op_sel:[1,0] op_sel_hi:[0,0]
	v_pk_fma_f32 v[6:7], v[8:9], v[254:255], v[4:5] neg_lo:[0,0,1] neg_hi:[0,0,1]
	v_pk_fma_f32 v[4:5], v[8:9], v[254:255], v[4:5] op_sel_hi:[1,0,1]
	v_pk_add_f32 v[2:3], v[2:3], v[16:17]
	v_mov_b32_e32 v7, v5
	s_waitcnt vmcnt(1) lgkmcnt(1)
	v_pk_mul_f32 v[4:5], v[10:11], v[148:149] op_sel:[1,1] op_sel_hi:[0,1]
	v_pk_add_f32 v[2:3], v[2:3], v[6:7]
	v_pk_fma_f32 v[6:7], v[10:11], v[148:149], v[4:5] neg_lo:[0,0,1] neg_hi:[0,0,1]
	v_pk_fma_f32 v[4:5], v[10:11], v[148:149], v[4:5] op_sel_hi:[1,0,1]
	s_nop 0
	v_mov_b32_e32 v4, v151
	v_mov_b32_e32 v7, v5
	v_pk_mul_f32 v[4:5], v[12:13], v[4:5] op_sel:[1,0] op_sel_hi:[0,0]
	v_pk_add_f32 v[2:3], v[2:3], v[6:7]
	v_pk_fma_f32 v[6:7], v[12:13], v[150:151], v[4:5] neg_lo:[0,0,1] neg_hi:[0,0,1]
	v_pk_fma_f32 v[4:5], v[12:13], v[150:151], v[4:5] op_sel_hi:[1,0,1]
	s_nop 0
	v_mov_b32_e32 v7, v5
	s_waitcnt vmcnt(0) lgkmcnt(0)
	v_pk_mul_f32 v[4:5], v[14:15], v[158:159] op_sel:[1,1] op_sel_hi:[0,1]
	v_pk_add_f32 v[2:3], v[2:3], v[6:7]
	v_pk_fma_f32 v[6:7], v[14:15], v[158:159], v[4:5] neg_lo:[0,0,1] neg_hi:[0,0,1]
	v_pk_fma_f32 v[4:5], v[14:15], v[158:159], v[4:5] op_sel_hi:[1,0,1]
	s_nop 0
	v_mov_b32_e32 v7, v5
	scratch_load_dwordx2 v[4:5], off, off offset:72
	v_pk_add_f32 v[2:3], v[2:3], v[6:7]
	s_waitcnt vmcnt(0)
	v_pk_add_f32 v[2:3], v[4:5], v[2:3] neg_lo:[0,1] neg_hi:[0,1]
	scratch_store_dwordx2 off, v[2:3], off offset:72
	s_and_saveexec_b64 s[0:1], vcc
	s_cbranch_execz .LBB52_315
; %bb.314:
	scratch_load_dwordx2 v[2:3], off, off offset:64
	v_mov_b32_e32 v103, v102
	scratch_store_dwordx2 off, v[102:103], off offset:64
	s_waitcnt vmcnt(1)
	ds_write_b64 v1, v[2:3]
.LBB52_315:
	s_or_b64 exec, exec, s[0:1]
	s_waitcnt lgkmcnt(0)
	; wave barrier
	scratch_load_dwordx4 v[6:9], off, off offset:72
	scratch_load_dwordx4 v[14:17], off, off offset:88
	;; [unrolled: 1-line block ×10, first 2 shown]
	ds_read2_b64 v[2:5], v102 offset0:63 offset1:64
	scratch_load_dwordx4 v[86:89], off, off offset:232
	scratch_load_dwordx4 v[94:97], off, off offset:248
	;; [unrolled: 1-line block ×8, first 2 shown]
	v_cmp_lt_u32_e32 vcc, 7, v0
	s_waitcnt vmcnt(17) lgkmcnt(0)
	v_mul_f32_e32 v10, v2, v7
	v_fmac_f32_e32 v10, v3, v6
	v_mul_f32_e32 v11, v4, v9
	v_add_f32_e32 v10, 0, v10
	v_fmac_f32_e32 v11, v5, v8
	v_add_f32_e32 v18, v10, v11
	ds_read2_b64 v[10:13], v102 offset0:65 offset1:66
	v_mul_f32_e32 v3, v3, v7
	v_fma_f32 v2, v2, v6, -v3
	v_mul_f32_e32 v3, v5, v9
	v_add_f32_e32 v2, 0, v2
	s_waitcnt vmcnt(16) lgkmcnt(0)
	v_mul_f32_e32 v19, v10, v15
	v_fmac_f32_e32 v19, v11, v14
	v_add_f32_e32 v18, v18, v19
	v_mul_f32_e32 v19, v12, v17
	v_fmac_f32_e32 v19, v13, v16
	v_add_f32_e32 v26, v18, v19
	ds_read2_b64 v[18:21], v102 offset0:67 offset1:68
	v_fma_f32 v3, v4, v8, -v3
	v_add_f32_e32 v2, v2, v3
	v_mul_f32_e32 v3, v11, v15
	v_fma_f32 v3, v10, v14, -v3
	s_waitcnt vmcnt(15) lgkmcnt(0)
	v_mul_f32_e32 v27, v18, v23
	v_fmac_f32_e32 v27, v19, v22
	v_add_f32_e32 v26, v26, v27
	v_mul_f32_e32 v27, v20, v25
	v_fmac_f32_e32 v27, v21, v24
	v_add_f32_e32 v34, v26, v27
	ds_read2_b64 v[26:29], v102 offset0:69 offset1:70
	v_add_f32_e32 v2, v2, v3
	v_mul_f32_e32 v3, v13, v17
	v_fma_f32 v3, v12, v16, -v3
	v_add_f32_e32 v2, v2, v3
	s_waitcnt vmcnt(14) lgkmcnt(0)
	v_mul_f32_e32 v35, v26, v31
	v_fmac_f32_e32 v35, v27, v30
	v_add_f32_e32 v34, v34, v35
	v_mul_f32_e32 v35, v28, v33
	v_fmac_f32_e32 v35, v29, v32
	v_add_f32_e32 v42, v34, v35
	ds_read2_b64 v[34:37], v102 offset0:71 offset1:72
	v_mul_f32_e32 v3, v19, v23
	v_fma_f32 v3, v18, v22, -v3
	v_add_f32_e32 v2, v2, v3
	v_mul_f32_e32 v3, v21, v25
	s_waitcnt vmcnt(13) lgkmcnt(0)
	v_mul_f32_e32 v43, v34, v39
	v_fmac_f32_e32 v43, v35, v38
	v_add_f32_e32 v42, v42, v43
	v_mul_f32_e32 v43, v36, v41
	v_fmac_f32_e32 v43, v37, v40
	v_add_f32_e32 v50, v42, v43
	ds_read2_b64 v[42:45], v102 offset0:73 offset1:74
	v_fma_f32 v3, v20, v24, -v3
	v_add_f32_e32 v2, v2, v3
	v_mul_f32_e32 v3, v27, v31
	v_fma_f32 v3, v26, v30, -v3
	s_waitcnt vmcnt(12) lgkmcnt(0)
	v_mul_f32_e32 v51, v42, v47
	v_fmac_f32_e32 v51, v43, v46
	v_add_f32_e32 v50, v50, v51
	v_mul_f32_e32 v51, v44, v49
	v_fmac_f32_e32 v51, v45, v48
	v_add_f32_e32 v58, v50, v51
	ds_read2_b64 v[50:53], v102 offset0:75 offset1:76
	v_add_f32_e32 v2, v2, v3
	v_mul_f32_e32 v3, v29, v33
	v_fma_f32 v3, v28, v32, -v3
	v_add_f32_e32 v2, v2, v3
	s_waitcnt vmcnt(11) lgkmcnt(0)
	v_mul_f32_e32 v59, v50, v55
	v_fmac_f32_e32 v59, v51, v54
	v_add_f32_e32 v58, v58, v59
	v_mul_f32_e32 v59, v52, v57
	v_fmac_f32_e32 v59, v53, v56
	v_add_f32_e32 v66, v58, v59
	ds_read2_b64 v[58:61], v102 offset0:77 offset1:78
	v_mul_f32_e32 v3, v35, v39
	v_fma_f32 v3, v34, v38, -v3
	v_add_f32_e32 v2, v2, v3
	v_mul_f32_e32 v3, v37, v41
	;; [unrolled: 36-line block ×5, first 2 shown]
	s_waitcnt vmcnt(1) lgkmcnt(0)
	v_mul_f32_e32 v140, v132, v137
	v_fmac_f32_e32 v140, v133, v136
	v_add_f32_e32 v103, v103, v140
	v_mul_f32_e32 v140, v134, v139
	v_fmac_f32_e32 v140, v135, v138
	v_add_f32_e32 v157, v103, v140
	ds_read2_b64 v[140:143], v102 offset0:97 offset1:98
	scratch_load_dwordx4 v[148:151], off, off offset:360
	scratch_load_dwordx4 v[248:251], off, off offset:376
	;; [unrolled: 1-line block ×4, first 2 shown]
	v_fma_f32 v3, v84, v88, -v3
	v_add_f32_e32 v2, v2, v3
	v_mul_f32_e32 v3, v91, v95
	v_fma_f32 v3, v90, v94, -v3
	v_add_f32_e32 v2, v2, v3
	v_mul_f32_e32 v3, v93, v97
	;; [unrolled: 3-line block ×12, first 2 shown]
	v_fma_f32 v3, v134, v138, -v3
	v_add_f32_e32 v156, v2, v3
	s_waitcnt vmcnt(4) lgkmcnt(0)
	v_mul_f32_e32 v2, v141, v145
	v_fma_f32 v158, v140, v144, -v2
	v_mul_f32_e32 v2, v143, v147
	v_fma_f32 v160, v142, v146, -v2
	ds_read2_b64 v[2:5], v102 offset0:99 offset1:100
	ds_read2_b64 v[6:9], v102 offset0:101 offset1:102
	;; [unrolled: 1-line block ×4, first 2 shown]
	v_mul_f32_e32 v159, v140, v145
	v_fmac_f32_e32 v159, v141, v144
	v_mul_f32_e32 v161, v142, v147
	v_fmac_f32_e32 v161, v143, v146
	v_pk_add_f32 v[18:19], v[156:157], v[158:159]
	s_waitcnt vmcnt(3) lgkmcnt(3)
	v_pk_mul_f32 v[20:21], v[2:3], v[148:149] op_sel:[1,1] op_sel_hi:[0,1]
	v_pk_fma_f32 v[22:23], v[2:3], v[148:149], v[20:21] neg_lo:[0,0,1] neg_hi:[0,0,1]
	v_pk_fma_f32 v[2:3], v[2:3], v[148:149], v[20:21] op_sel_hi:[1,0,1]
	v_pk_add_f32 v[18:19], v[18:19], v[160:161]
	v_mov_b32_e32 v23, v3
	v_pk_add_f32 v[2:3], v[18:19], v[22:23]
	v_mov_b32_e32 v18, v151
	v_pk_mul_f32 v[18:19], v[4:5], v[18:19] op_sel:[1,0] op_sel_hi:[0,0]
	v_pk_fma_f32 v[20:21], v[4:5], v[150:151], v[18:19] neg_lo:[0,0,1] neg_hi:[0,0,1]
	v_pk_fma_f32 v[4:5], v[4:5], v[150:151], v[18:19] op_sel_hi:[1,0,1]
	s_nop 0
	v_mov_b32_e32 v21, v5
	s_waitcnt vmcnt(2) lgkmcnt(2)
	v_pk_mul_f32 v[4:5], v[6:7], v[248:249] op_sel:[1,1] op_sel_hi:[0,1]
	v_pk_fma_f32 v[18:19], v[6:7], v[248:249], v[4:5] neg_lo:[0,0,1] neg_hi:[0,0,1]
	v_pk_fma_f32 v[4:5], v[6:7], v[248:249], v[4:5] op_sel_hi:[1,0,1]
	v_pk_add_f32 v[2:3], v[2:3], v[20:21]
	v_mov_b32_e32 v4, v251
	v_mov_b32_e32 v19, v5
	v_pk_mul_f32 v[4:5], v[8:9], v[4:5] op_sel:[1,0] op_sel_hi:[0,0]
	v_pk_fma_f32 v[6:7], v[8:9], v[250:251], v[4:5] neg_lo:[0,0,1] neg_hi:[0,0,1]
	v_pk_fma_f32 v[4:5], v[8:9], v[250:251], v[4:5] op_sel_hi:[1,0,1]
	v_pk_add_f32 v[2:3], v[2:3], v[18:19]
	v_mov_b32_e32 v7, v5
	s_waitcnt vmcnt(1) lgkmcnt(1)
	v_pk_mul_f32 v[4:5], v[10:11], v[252:253] op_sel:[1,1] op_sel_hi:[0,1]
	v_pk_add_f32 v[2:3], v[2:3], v[6:7]
	v_pk_fma_f32 v[6:7], v[10:11], v[252:253], v[4:5] neg_lo:[0,0,1] neg_hi:[0,0,1]
	v_pk_fma_f32 v[4:5], v[10:11], v[252:253], v[4:5] op_sel_hi:[1,0,1]
	s_nop 0
	v_mov_b32_e32 v4, v255
	v_mov_b32_e32 v7, v5
	v_pk_mul_f32 v[4:5], v[12:13], v[4:5] op_sel:[1,0] op_sel_hi:[0,0]
	v_pk_add_f32 v[2:3], v[2:3], v[6:7]
	v_pk_fma_f32 v[6:7], v[12:13], v[254:255], v[4:5] neg_lo:[0,0,1] neg_hi:[0,0,1]
	v_pk_fma_f32 v[4:5], v[12:13], v[254:255], v[4:5] op_sel_hi:[1,0,1]
	s_nop 0
	v_mov_b32_e32 v7, v5
	s_waitcnt vmcnt(0) lgkmcnt(0)
	v_pk_mul_f32 v[4:5], v[14:15], v[152:153] op_sel:[1,1] op_sel_hi:[0,1]
	v_pk_add_f32 v[2:3], v[2:3], v[6:7]
	v_pk_fma_f32 v[6:7], v[14:15], v[152:153], v[4:5] neg_lo:[0,0,1] neg_hi:[0,0,1]
	v_pk_fma_f32 v[4:5], v[14:15], v[152:153], v[4:5] op_sel_hi:[1,0,1]
	s_nop 0
	v_mov_b32_e32 v4, v155
	v_mov_b32_e32 v7, v5
	v_pk_mul_f32 v[4:5], v[16:17], v[4:5] op_sel:[1,0] op_sel_hi:[0,0]
	v_pk_add_f32 v[2:3], v[2:3], v[6:7]
	v_pk_fma_f32 v[6:7], v[16:17], v[154:155], v[4:5] neg_lo:[0,0,1] neg_hi:[0,0,1]
	v_pk_fma_f32 v[4:5], v[16:17], v[154:155], v[4:5] op_sel_hi:[1,0,1]
	s_nop 0
	v_mov_b32_e32 v7, v5
	scratch_load_dwordx2 v[4:5], off, off offset:64
	v_pk_add_f32 v[2:3], v[2:3], v[6:7]
	s_waitcnt vmcnt(0)
	v_pk_add_f32 v[2:3], v[4:5], v[2:3] neg_lo:[0,1] neg_hi:[0,1]
	scratch_store_dwordx2 off, v[2:3], off offset:64
	s_and_saveexec_b64 s[0:1], vcc
	s_cbranch_execz .LBB52_317
; %bb.316:
	scratch_load_dwordx2 v[2:3], off, off offset:56
	v_mov_b32_e32 v4, 0
	v_mov_b32_e32 v5, v4
	scratch_store_dwordx2 off, v[4:5], off offset:56
	s_waitcnt vmcnt(1)
	ds_write_b64 v1, v[2:3]
.LBB52_317:
	s_or_b64 exec, exec, s[0:1]
	v_mov_b32_e32 v110, 0
	s_waitcnt lgkmcnt(0)
	; wave barrier
	ds_read_b128 v[14:17], v110 offset:496
	ds_read_b128 v[10:13], v110 offset:512
	;; [unrolled: 1-line block ×4, first 2 shown]
	scratch_load_dwordx4 v[18:21], off, off offset:64
	scratch_load_dwordx4 v[38:41], off, off offset:128
	scratch_load_dwordx4 v[70:73], off, off offset:192
	scratch_load_dwordx4 v[78:81], off, off offset:208
	scratch_load_dwordx4 v[86:89], off, off offset:224
	scratch_load_dwordx4 v[94:97], off, off offset:240
	scratch_load_dwordx4 v[102:105], off, off offset:256
	scratch_load_dwordx4 v[112:115], off, off offset:272
	scratch_load_dwordx4 v[120:123], off, off offset:288
	scratch_load_dwordx4 v[128:131], off, off offset:304
	scratch_load_dwordx4 v[136:139], off, off offset:320
	scratch_load_dwordx4 v[144:147], off, off offset:336
	scratch_load_dwordx4 v[152:155], off, off offset:352
	v_cmp_lt_u32_e32 vcc, 6, v0
	scratch_load_dwordx4 v[46:49], off, off offset:144
	scratch_load_dwordx4 v[54:57], off, off offset:160
	;; [unrolled: 1-line block ×3, first 2 shown]
	s_waitcnt vmcnt(15) lgkmcnt(3)
	v_mul_f32_e32 v22, v14, v19
	v_fmac_f32_e32 v22, v15, v18
	v_mul_f32_e32 v23, v16, v21
	v_add_f32_e32 v22, 0, v22
	v_fmac_f32_e32 v23, v17, v20
	v_add_f32_e32 v26, v22, v23
	scratch_load_dwordx4 v[22:25], off, off offset:80
	v_mul_f32_e32 v15, v15, v19
	v_fma_f32 v14, v14, v18, -v15
	v_mul_f32_e32 v15, v17, v21
	v_add_f32_e32 v14, 0, v14
	v_fma_f32 v15, v16, v20, -v15
	v_add_f32_e32 v14, v14, v15
	s_waitcnt vmcnt(4)
	v_mov_b32_e32 v18, v155
	s_waitcnt vmcnt(0) lgkmcnt(2)
	v_mul_f32_e32 v27, v10, v23
	v_fmac_f32_e32 v27, v11, v22
	v_add_f32_e32 v26, v26, v27
	v_mul_f32_e32 v27, v12, v25
	v_fmac_f32_e32 v27, v13, v24
	v_add_f32_e32 v30, v26, v27
	scratch_load_dwordx4 v[26:29], off, off offset:96
	v_mul_f32_e32 v11, v11, v23
	v_fma_f32 v10, v10, v22, -v11
	v_mul_f32_e32 v11, v13, v25
	v_add_f32_e32 v10, v14, v10
	v_fma_f32 v11, v12, v24, -v11
	v_add_f32_e32 v10, v10, v11
	s_waitcnt vmcnt(0) lgkmcnt(1)
	v_mul_f32_e32 v31, v6, v27
	v_fmac_f32_e32 v31, v7, v26
	v_add_f32_e32 v30, v30, v31
	v_mul_f32_e32 v31, v8, v29
	v_fmac_f32_e32 v31, v9, v28
	v_add_f32_e32 v34, v30, v31
	scratch_load_dwordx4 v[30:33], off, off offset:112
	v_mul_f32_e32 v7, v7, v27
	v_fma_f32 v6, v6, v26, -v7
	v_mul_f32_e32 v7, v9, v29
	v_add_f32_e32 v6, v10, v6
	v_fma_f32 v7, v8, v28, -v7
	v_add_f32_e32 v6, v6, v7
	s_waitcnt vmcnt(0) lgkmcnt(0)
	v_mul_f32_e32 v35, v2, v31
	v_fmac_f32_e32 v35, v3, v30
	v_add_f32_e32 v34, v34, v35
	v_mul_f32_e32 v35, v4, v33
	v_fmac_f32_e32 v35, v5, v32
	v_add_f32_e32 v42, v34, v35
	ds_read_b128 v[34:37], v110 offset:560
	v_mul_f32_e32 v3, v3, v31
	v_fma_f32 v2, v2, v30, -v3
	v_mul_f32_e32 v3, v5, v33
	v_add_f32_e32 v2, v6, v2
	s_waitcnt lgkmcnt(0)
	v_mul_f32_e32 v43, v34, v39
	v_fmac_f32_e32 v43, v35, v38
	v_add_f32_e32 v42, v42, v43
	v_mul_f32_e32 v43, v36, v41
	v_fmac_f32_e32 v43, v37, v40
	v_add_f32_e32 v50, v42, v43
	ds_read_b128 v[42:45], v110 offset:576
	v_fma_f32 v3, v4, v32, -v3
	v_add_f32_e32 v2, v2, v3
	v_mul_f32_e32 v3, v35, v39
	v_fma_f32 v3, v34, v38, -v3
	s_waitcnt lgkmcnt(0)
	v_mul_f32_e32 v51, v42, v47
	v_fmac_f32_e32 v51, v43, v46
	v_add_f32_e32 v50, v50, v51
	v_mul_f32_e32 v51, v44, v49
	v_fmac_f32_e32 v51, v45, v48
	v_add_f32_e32 v58, v50, v51
	ds_read_b128 v[50:53], v110 offset:592
	v_add_f32_e32 v2, v2, v3
	v_mul_f32_e32 v3, v37, v41
	v_fma_f32 v3, v36, v40, -v3
	v_add_f32_e32 v2, v2, v3
	s_waitcnt lgkmcnt(0)
	v_mul_f32_e32 v59, v50, v55
	v_fmac_f32_e32 v59, v51, v54
	v_add_f32_e32 v58, v58, v59
	v_mul_f32_e32 v59, v52, v57
	v_fmac_f32_e32 v59, v53, v56
	v_add_f32_e32 v66, v58, v59
	ds_read_b128 v[58:61], v110 offset:608
	v_mul_f32_e32 v3, v43, v47
	v_fma_f32 v3, v42, v46, -v3
	v_add_f32_e32 v2, v2, v3
	v_mul_f32_e32 v3, v45, v49
	s_waitcnt lgkmcnt(0)
	v_mul_f32_e32 v67, v58, v63
	v_fmac_f32_e32 v67, v59, v62
	v_add_f32_e32 v66, v66, v67
	v_mul_f32_e32 v67, v60, v65
	v_fmac_f32_e32 v67, v61, v64
	v_add_f32_e32 v74, v66, v67
	ds_read_b128 v[66:69], v110 offset:624
	v_fma_f32 v3, v44, v48, -v3
	v_add_f32_e32 v2, v2, v3
	v_mul_f32_e32 v3, v51, v55
	v_fma_f32 v3, v50, v54, -v3
	s_waitcnt lgkmcnt(0)
	v_mul_f32_e32 v75, v66, v71
	v_fmac_f32_e32 v75, v67, v70
	v_add_f32_e32 v74, v74, v75
	v_mul_f32_e32 v75, v68, v73
	v_fmac_f32_e32 v75, v69, v72
	v_add_f32_e32 v82, v74, v75
	ds_read_b128 v[74:77], v110 offset:640
	v_add_f32_e32 v2, v2, v3
	v_mul_f32_e32 v3, v53, v57
	v_fma_f32 v3, v52, v56, -v3
	v_add_f32_e32 v2, v2, v3
	s_waitcnt lgkmcnt(0)
	v_mul_f32_e32 v83, v74, v79
	v_fmac_f32_e32 v83, v75, v78
	v_add_f32_e32 v82, v82, v83
	v_mul_f32_e32 v83, v76, v81
	v_fmac_f32_e32 v83, v77, v80
	v_add_f32_e32 v90, v82, v83
	ds_read_b128 v[82:85], v110 offset:656
	v_mul_f32_e32 v3, v59, v63
	v_fma_f32 v3, v58, v62, -v3
	v_add_f32_e32 v2, v2, v3
	v_mul_f32_e32 v3, v61, v65
	;; [unrolled: 36-line block ×4, first 2 shown]
	s_waitcnt lgkmcnt(0)
	v_mul_f32_e32 v140, v132, v137
	v_fmac_f32_e32 v140, v133, v136
	v_add_f32_e32 v111, v111, v140
	v_mul_f32_e32 v140, v134, v139
	v_fmac_f32_e32 v140, v135, v138
	v_add_f32_e32 v111, v111, v140
	ds_read_b128 v[140:143], v110 offset:768
	v_fma_f32 v3, v92, v96, -v3
	v_add_f32_e32 v2, v2, v3
	v_mul_f32_e32 v3, v99, v103
	v_fma_f32 v3, v98, v102, -v3
	s_waitcnt lgkmcnt(0)
	v_mul_f32_e32 v148, v140, v145
	v_fmac_f32_e32 v148, v141, v144
	v_add_f32_e32 v161, v111, v148
	ds_read_b128 v[148:151], v110 offset:784
	scratch_load_dwordx4 v[248:251], off, off offset:368
	scratch_load_dwordx4 v[252:255], off, off offset:384
	;; [unrolled: 1-line block ×3, first 2 shown]
	scratch_load_dwordx2 v[166:167], off, off offset:416
	v_add_f32_e32 v2, v2, v3
	v_mul_f32_e32 v3, v101, v105
	v_fma_f32 v3, v100, v104, -v3
	v_add_f32_e32 v2, v2, v3
	v_mul_f32_e32 v3, v107, v113
	v_fma_f32 v3, v106, v112, -v3
	;; [unrolled: 3-line block ×10, first 2 shown]
	v_add_f32_e32 v160, v2, v3
	v_mul_f32_e32 v2, v143, v147
	v_mul_f32_e32 v163, v142, v147
	v_fma_f32 v162, v142, v146, -v2
	s_waitcnt lgkmcnt(0)
	v_mul_f32_e32 v2, v149, v153
	v_fmac_f32_e32 v163, v143, v146
	v_mul_f32_e32 v165, v148, v153
	v_fma_f32 v164, v148, v152, -v2
	ds_read_b128 v[2:5], v110 offset:800
	ds_read_b128 v[6:9], v110 offset:816
	;; [unrolled: 1-line block ×3, first 2 shown]
	ds_read_b64 v[14:15], v110 offset:848
	v_pk_mul_f32 v[18:19], v[150:151], v[18:19] op_sel:[1,0] op_sel_hi:[0,0]
	v_fmac_f32_e32 v165, v149, v152
	v_pk_add_f32 v[16:17], v[160:161], v[162:163]
	v_pk_fma_f32 v[20:21], v[150:151], v[154:155], v[18:19] neg_lo:[0,0,1] neg_hi:[0,0,1]
	v_pk_fma_f32 v[18:19], v[150:151], v[154:155], v[18:19] op_sel_hi:[1,0,1]
	v_pk_add_f32 v[16:17], v[16:17], v[164:165]
	v_mov_b32_e32 v21, v19
	v_pk_add_f32 v[16:17], v[16:17], v[20:21]
	s_waitcnt vmcnt(3) lgkmcnt(3)
	v_pk_mul_f32 v[18:19], v[2:3], v[248:249] op_sel:[1,1] op_sel_hi:[0,1]
	v_pk_fma_f32 v[20:21], v[2:3], v[248:249], v[18:19] neg_lo:[0,0,1] neg_hi:[0,0,1]
	v_pk_fma_f32 v[2:3], v[2:3], v[248:249], v[18:19] op_sel_hi:[1,0,1]
	s_nop 0
	v_mov_b32_e32 v21, v3
	v_pk_add_f32 v[2:3], v[16:17], v[20:21]
	v_mov_b32_e32 v16, v251
	v_pk_mul_f32 v[16:17], v[4:5], v[16:17] op_sel:[1,0] op_sel_hi:[0,0]
	v_pk_fma_f32 v[18:19], v[4:5], v[250:251], v[16:17] neg_lo:[0,0,1] neg_hi:[0,0,1]
	v_pk_fma_f32 v[4:5], v[4:5], v[250:251], v[16:17] op_sel_hi:[1,0,1]
	s_nop 0
	v_mov_b32_e32 v19, v5
	s_waitcnt vmcnt(2) lgkmcnt(2)
	v_pk_mul_f32 v[4:5], v[6:7], v[252:253] op_sel:[1,1] op_sel_hi:[0,1]
	v_pk_fma_f32 v[16:17], v[6:7], v[252:253], v[4:5] neg_lo:[0,0,1] neg_hi:[0,0,1]
	v_pk_fma_f32 v[4:5], v[6:7], v[252:253], v[4:5] op_sel_hi:[1,0,1]
	v_pk_add_f32 v[2:3], v[2:3], v[18:19]
	v_mov_b32_e32 v4, v255
	v_mov_b32_e32 v17, v5
	v_pk_mul_f32 v[4:5], v[8:9], v[4:5] op_sel:[1,0] op_sel_hi:[0,0]
	v_pk_fma_f32 v[6:7], v[8:9], v[254:255], v[4:5] neg_lo:[0,0,1] neg_hi:[0,0,1]
	v_pk_fma_f32 v[4:5], v[8:9], v[254:255], v[4:5] op_sel_hi:[1,0,1]
	v_pk_add_f32 v[2:3], v[2:3], v[16:17]
	v_mov_b32_e32 v7, v5
	s_waitcnt vmcnt(1) lgkmcnt(1)
	v_pk_mul_f32 v[4:5], v[10:11], v[156:157] op_sel:[1,1] op_sel_hi:[0,1]
	v_pk_add_f32 v[2:3], v[2:3], v[6:7]
	v_pk_fma_f32 v[6:7], v[10:11], v[156:157], v[4:5] neg_lo:[0,0,1] neg_hi:[0,0,1]
	v_pk_fma_f32 v[4:5], v[10:11], v[156:157], v[4:5] op_sel_hi:[1,0,1]
	s_nop 0
	v_mov_b32_e32 v4, v159
	v_mov_b32_e32 v7, v5
	v_pk_mul_f32 v[4:5], v[12:13], v[4:5] op_sel:[1,0] op_sel_hi:[0,0]
	v_pk_add_f32 v[2:3], v[2:3], v[6:7]
	v_pk_fma_f32 v[6:7], v[12:13], v[158:159], v[4:5] neg_lo:[0,0,1] neg_hi:[0,0,1]
	v_pk_fma_f32 v[4:5], v[12:13], v[158:159], v[4:5] op_sel_hi:[1,0,1]
	s_nop 0
	v_mov_b32_e32 v7, v5
	s_waitcnt vmcnt(0) lgkmcnt(0)
	v_pk_mul_f32 v[4:5], v[14:15], v[166:167] op_sel:[1,1] op_sel_hi:[0,1]
	v_pk_add_f32 v[2:3], v[2:3], v[6:7]
	v_pk_fma_f32 v[6:7], v[14:15], v[166:167], v[4:5] neg_lo:[0,0,1] neg_hi:[0,0,1]
	v_pk_fma_f32 v[4:5], v[14:15], v[166:167], v[4:5] op_sel_hi:[1,0,1]
	s_nop 0
	v_mov_b32_e32 v7, v5
	scratch_load_dwordx2 v[4:5], off, off offset:56
	v_pk_add_f32 v[2:3], v[2:3], v[6:7]
	s_waitcnt vmcnt(0)
	v_pk_add_f32 v[2:3], v[4:5], v[2:3] neg_lo:[0,1] neg_hi:[0,1]
	scratch_store_dwordx2 off, v[2:3], off offset:56
	s_and_saveexec_b64 s[0:1], vcc
	s_cbranch_execz .LBB52_319
; %bb.318:
	scratch_load_dwordx2 v[2:3], off, off offset:48
	v_mov_b32_e32 v111, v110
	scratch_store_dwordx2 off, v[110:111], off offset:48
	s_waitcnt vmcnt(1)
	ds_write_b64 v1, v[2:3]
.LBB52_319:
	s_or_b64 exec, exec, s[0:1]
	s_waitcnt lgkmcnt(0)
	; wave barrier
	scratch_load_dwordx4 v[6:9], off, off offset:56
	scratch_load_dwordx4 v[14:17], off, off offset:72
	;; [unrolled: 1-line block ×10, first 2 shown]
	ds_read2_b64 v[2:5], v110 offset0:61 offset1:62
	scratch_load_dwordx4 v[86:89], off, off offset:216
	scratch_load_dwordx4 v[94:97], off, off offset:232
	;; [unrolled: 1-line block ×9, first 2 shown]
	v_cmp_lt_u32_e32 vcc, 5, v0
	s_waitcnt vmcnt(18) lgkmcnt(0)
	v_mul_f32_e32 v10, v2, v7
	v_fmac_f32_e32 v10, v3, v6
	v_mul_f32_e32 v11, v4, v9
	v_add_f32_e32 v10, 0, v10
	v_fmac_f32_e32 v11, v5, v8
	v_add_f32_e32 v18, v10, v11
	ds_read2_b64 v[10:13], v110 offset0:63 offset1:64
	v_mul_f32_e32 v3, v3, v7
	v_fma_f32 v2, v2, v6, -v3
	v_mul_f32_e32 v3, v5, v9
	v_add_f32_e32 v2, 0, v2
	s_waitcnt vmcnt(17) lgkmcnt(0)
	v_mul_f32_e32 v19, v10, v15
	v_fmac_f32_e32 v19, v11, v14
	v_add_f32_e32 v18, v18, v19
	v_mul_f32_e32 v19, v12, v17
	v_fmac_f32_e32 v19, v13, v16
	v_add_f32_e32 v26, v18, v19
	ds_read2_b64 v[18:21], v110 offset0:65 offset1:66
	v_fma_f32 v3, v4, v8, -v3
	v_add_f32_e32 v2, v2, v3
	v_mul_f32_e32 v3, v11, v15
	v_fma_f32 v3, v10, v14, -v3
	s_waitcnt vmcnt(16) lgkmcnt(0)
	v_mul_f32_e32 v27, v18, v23
	v_fmac_f32_e32 v27, v19, v22
	v_add_f32_e32 v26, v26, v27
	v_mul_f32_e32 v27, v20, v25
	v_fmac_f32_e32 v27, v21, v24
	v_add_f32_e32 v34, v26, v27
	ds_read2_b64 v[26:29], v110 offset0:67 offset1:68
	v_add_f32_e32 v2, v2, v3
	v_mul_f32_e32 v3, v13, v17
	v_fma_f32 v3, v12, v16, -v3
	v_add_f32_e32 v2, v2, v3
	s_waitcnt vmcnt(15) lgkmcnt(0)
	v_mul_f32_e32 v35, v26, v31
	v_fmac_f32_e32 v35, v27, v30
	v_add_f32_e32 v34, v34, v35
	v_mul_f32_e32 v35, v28, v33
	v_fmac_f32_e32 v35, v29, v32
	v_add_f32_e32 v42, v34, v35
	ds_read2_b64 v[34:37], v110 offset0:69 offset1:70
	v_mul_f32_e32 v3, v19, v23
	v_fma_f32 v3, v18, v22, -v3
	v_add_f32_e32 v2, v2, v3
	v_mul_f32_e32 v3, v21, v25
	s_waitcnt vmcnt(14) lgkmcnt(0)
	v_mul_f32_e32 v43, v34, v39
	v_fmac_f32_e32 v43, v35, v38
	v_add_f32_e32 v42, v42, v43
	v_mul_f32_e32 v43, v36, v41
	v_fmac_f32_e32 v43, v37, v40
	v_add_f32_e32 v50, v42, v43
	ds_read2_b64 v[42:45], v110 offset0:71 offset1:72
	v_fma_f32 v3, v20, v24, -v3
	v_add_f32_e32 v2, v2, v3
	v_mul_f32_e32 v3, v27, v31
	v_fma_f32 v3, v26, v30, -v3
	s_waitcnt vmcnt(13) lgkmcnt(0)
	v_mul_f32_e32 v51, v42, v47
	v_fmac_f32_e32 v51, v43, v46
	v_add_f32_e32 v50, v50, v51
	v_mul_f32_e32 v51, v44, v49
	v_fmac_f32_e32 v51, v45, v48
	v_add_f32_e32 v58, v50, v51
	ds_read2_b64 v[50:53], v110 offset0:73 offset1:74
	v_add_f32_e32 v2, v2, v3
	v_mul_f32_e32 v3, v29, v33
	v_fma_f32 v3, v28, v32, -v3
	v_add_f32_e32 v2, v2, v3
	s_waitcnt vmcnt(12) lgkmcnt(0)
	v_mul_f32_e32 v59, v50, v55
	v_fmac_f32_e32 v59, v51, v54
	v_add_f32_e32 v58, v58, v59
	v_mul_f32_e32 v59, v52, v57
	v_fmac_f32_e32 v59, v53, v56
	v_add_f32_e32 v66, v58, v59
	ds_read2_b64 v[58:61], v110 offset0:75 offset1:76
	v_mul_f32_e32 v3, v35, v39
	v_fma_f32 v3, v34, v38, -v3
	v_add_f32_e32 v2, v2, v3
	v_mul_f32_e32 v3, v37, v41
	;; [unrolled: 36-line block ×5, first 2 shown]
	s_waitcnt vmcnt(2) lgkmcnt(0)
	v_mul_f32_e32 v140, v132, v137
	v_fmac_f32_e32 v140, v133, v136
	v_add_f32_e32 v111, v111, v140
	v_mul_f32_e32 v140, v134, v139
	v_fmac_f32_e32 v140, v135, v138
	v_add_f32_e32 v111, v111, v140
	ds_read2_b64 v[140:143], v110 offset0:95 offset1:96
	v_fma_f32 v3, v84, v88, -v3
	v_add_f32_e32 v2, v2, v3
	v_mul_f32_e32 v3, v91, v95
	v_fma_f32 v3, v90, v94, -v3
	s_waitcnt vmcnt(1) lgkmcnt(0)
	v_mul_f32_e32 v148, v140, v145
	v_fmac_f32_e32 v148, v141, v144
	v_add_f32_e32 v111, v111, v148
	v_mul_f32_e32 v148, v142, v147
	v_fmac_f32_e32 v148, v143, v146
	v_add_f32_e32 v165, v111, v148
	ds_read2_b64 v[148:151], v110 offset0:97 offset1:98
	scratch_load_dwordx4 v[156:159], off, off offset:360
	scratch_load_dwordx4 v[248:251], off, off offset:376
	;; [unrolled: 1-line block ×4, first 2 shown]
	v_add_f32_e32 v2, v2, v3
	v_mul_f32_e32 v3, v93, v97
	v_fma_f32 v3, v92, v96, -v3
	v_add_f32_e32 v2, v2, v3
	v_mul_f32_e32 v3, v99, v103
	v_fma_f32 v3, v98, v102, -v3
	;; [unrolled: 3-line block ×13, first 2 shown]
	v_add_f32_e32 v164, v2, v3
	s_waitcnt vmcnt(4) lgkmcnt(0)
	v_mul_f32_e32 v2, v149, v153
	v_fma_f32 v166, v148, v152, -v2
	v_mul_f32_e32 v2, v151, v155
	v_fma_f32 v168, v150, v154, -v2
	ds_read2_b64 v[2:5], v110 offset0:99 offset1:100
	ds_read2_b64 v[6:9], v110 offset0:101 offset1:102
	;; [unrolled: 1-line block ×4, first 2 shown]
	v_mul_f32_e32 v167, v148, v153
	v_fmac_f32_e32 v167, v149, v152
	v_mul_f32_e32 v169, v150, v155
	v_fmac_f32_e32 v169, v151, v154
	v_pk_add_f32 v[18:19], v[164:165], v[166:167]
	s_waitcnt vmcnt(3) lgkmcnt(3)
	v_pk_mul_f32 v[20:21], v[2:3], v[156:157] op_sel:[1,1] op_sel_hi:[0,1]
	v_pk_fma_f32 v[22:23], v[2:3], v[156:157], v[20:21] neg_lo:[0,0,1] neg_hi:[0,0,1]
	v_pk_fma_f32 v[2:3], v[2:3], v[156:157], v[20:21] op_sel_hi:[1,0,1]
	v_pk_add_f32 v[18:19], v[18:19], v[168:169]
	v_mov_b32_e32 v23, v3
	v_pk_add_f32 v[2:3], v[18:19], v[22:23]
	v_mov_b32_e32 v18, v159
	v_pk_mul_f32 v[18:19], v[4:5], v[18:19] op_sel:[1,0] op_sel_hi:[0,0]
	v_pk_fma_f32 v[20:21], v[4:5], v[158:159], v[18:19] neg_lo:[0,0,1] neg_hi:[0,0,1]
	v_pk_fma_f32 v[4:5], v[4:5], v[158:159], v[18:19] op_sel_hi:[1,0,1]
	s_nop 0
	v_mov_b32_e32 v21, v5
	s_waitcnt vmcnt(2) lgkmcnt(2)
	v_pk_mul_f32 v[4:5], v[6:7], v[248:249] op_sel:[1,1] op_sel_hi:[0,1]
	v_pk_fma_f32 v[18:19], v[6:7], v[248:249], v[4:5] neg_lo:[0,0,1] neg_hi:[0,0,1]
	v_pk_fma_f32 v[4:5], v[6:7], v[248:249], v[4:5] op_sel_hi:[1,0,1]
	v_pk_add_f32 v[2:3], v[2:3], v[20:21]
	v_mov_b32_e32 v4, v251
	v_mov_b32_e32 v19, v5
	v_pk_mul_f32 v[4:5], v[8:9], v[4:5] op_sel:[1,0] op_sel_hi:[0,0]
	v_pk_fma_f32 v[6:7], v[8:9], v[250:251], v[4:5] neg_lo:[0,0,1] neg_hi:[0,0,1]
	v_pk_fma_f32 v[4:5], v[8:9], v[250:251], v[4:5] op_sel_hi:[1,0,1]
	v_pk_add_f32 v[2:3], v[2:3], v[18:19]
	v_mov_b32_e32 v7, v5
	s_waitcnt vmcnt(1) lgkmcnt(1)
	v_pk_mul_f32 v[4:5], v[10:11], v[252:253] op_sel:[1,1] op_sel_hi:[0,1]
	v_pk_add_f32 v[2:3], v[2:3], v[6:7]
	v_pk_fma_f32 v[6:7], v[10:11], v[252:253], v[4:5] neg_lo:[0,0,1] neg_hi:[0,0,1]
	v_pk_fma_f32 v[4:5], v[10:11], v[252:253], v[4:5] op_sel_hi:[1,0,1]
	s_nop 0
	v_mov_b32_e32 v4, v255
	v_mov_b32_e32 v7, v5
	v_pk_mul_f32 v[4:5], v[12:13], v[4:5] op_sel:[1,0] op_sel_hi:[0,0]
	v_pk_add_f32 v[2:3], v[2:3], v[6:7]
	v_pk_fma_f32 v[6:7], v[12:13], v[254:255], v[4:5] neg_lo:[0,0,1] neg_hi:[0,0,1]
	v_pk_fma_f32 v[4:5], v[12:13], v[254:255], v[4:5] op_sel_hi:[1,0,1]
	s_nop 0
	v_mov_b32_e32 v7, v5
	s_waitcnt vmcnt(0) lgkmcnt(0)
	v_pk_mul_f32 v[4:5], v[14:15], v[160:161] op_sel:[1,1] op_sel_hi:[0,1]
	v_pk_add_f32 v[2:3], v[2:3], v[6:7]
	v_pk_fma_f32 v[6:7], v[14:15], v[160:161], v[4:5] neg_lo:[0,0,1] neg_hi:[0,0,1]
	v_pk_fma_f32 v[4:5], v[14:15], v[160:161], v[4:5] op_sel_hi:[1,0,1]
	s_nop 0
	v_mov_b32_e32 v4, v163
	v_mov_b32_e32 v7, v5
	v_pk_mul_f32 v[4:5], v[16:17], v[4:5] op_sel:[1,0] op_sel_hi:[0,0]
	v_pk_add_f32 v[2:3], v[2:3], v[6:7]
	v_pk_fma_f32 v[6:7], v[16:17], v[162:163], v[4:5] neg_lo:[0,0,1] neg_hi:[0,0,1]
	v_pk_fma_f32 v[4:5], v[16:17], v[162:163], v[4:5] op_sel_hi:[1,0,1]
	s_nop 0
	v_mov_b32_e32 v7, v5
	scratch_load_dwordx2 v[4:5], off, off offset:48
	v_pk_add_f32 v[2:3], v[2:3], v[6:7]
	s_waitcnt vmcnt(0)
	v_pk_add_f32 v[2:3], v[4:5], v[2:3] neg_lo:[0,1] neg_hi:[0,1]
	scratch_store_dwordx2 off, v[2:3], off offset:48
	s_and_saveexec_b64 s[0:1], vcc
	s_cbranch_execz .LBB52_321
; %bb.320:
	scratch_load_dwordx2 v[2:3], off, off offset:40
	v_mov_b32_e32 v4, 0
	v_mov_b32_e32 v5, v4
	scratch_store_dwordx2 off, v[4:5], off offset:40
	s_waitcnt vmcnt(1)
	ds_write_b64 v1, v[2:3]
.LBB52_321:
	s_or_b64 exec, exec, s[0:1]
	v_mov_b32_e32 v118, 0
	s_waitcnt lgkmcnt(0)
	; wave barrier
	ds_read_b128 v[14:17], v118 offset:480
	ds_read_b128 v[10:13], v118 offset:496
	;; [unrolled: 1-line block ×4, first 2 shown]
	scratch_load_dwordx4 v[18:21], off, off offset:48
	scratch_load_dwordx4 v[38:41], off, off offset:112
	;; [unrolled: 1-line block ×14, first 2 shown]
	v_cmp_lt_u32_e32 vcc, 4, v0
	scratch_load_dwordx4 v[46:49], off, off offset:128
	scratch_load_dwordx4 v[54:57], off, off offset:144
	scratch_load_dwordx4 v[62:65], off, off offset:160
	s_waitcnt vmcnt(16) lgkmcnt(3)
	v_mul_f32_e32 v22, v14, v19
	v_fmac_f32_e32 v22, v15, v18
	v_mul_f32_e32 v23, v16, v21
	v_add_f32_e32 v22, 0, v22
	v_fmac_f32_e32 v23, v17, v20
	v_add_f32_e32 v26, v22, v23
	scratch_load_dwordx4 v[22:25], off, off offset:64
	v_mul_f32_e32 v15, v15, v19
	v_fma_f32 v14, v14, v18, -v15
	v_mul_f32_e32 v15, v17, v21
	v_add_f32_e32 v14, 0, v14
	v_fma_f32 v15, v16, v20, -v15
	v_add_f32_e32 v14, v14, v15
	s_waitcnt vmcnt(4)
	v_mov_b32_e32 v18, v163
	s_waitcnt vmcnt(0) lgkmcnt(2)
	v_mul_f32_e32 v27, v10, v23
	v_fmac_f32_e32 v27, v11, v22
	v_add_f32_e32 v26, v26, v27
	v_mul_f32_e32 v27, v12, v25
	v_fmac_f32_e32 v27, v13, v24
	v_add_f32_e32 v30, v26, v27
	scratch_load_dwordx4 v[26:29], off, off offset:80
	v_mul_f32_e32 v11, v11, v23
	v_fma_f32 v10, v10, v22, -v11
	v_mul_f32_e32 v11, v13, v25
	v_add_f32_e32 v10, v14, v10
	v_fma_f32 v11, v12, v24, -v11
	v_add_f32_e32 v10, v10, v11
	s_waitcnt vmcnt(0) lgkmcnt(1)
	v_mul_f32_e32 v31, v6, v27
	v_fmac_f32_e32 v31, v7, v26
	v_add_f32_e32 v30, v30, v31
	v_mul_f32_e32 v31, v8, v29
	v_fmac_f32_e32 v31, v9, v28
	v_add_f32_e32 v34, v30, v31
	scratch_load_dwordx4 v[30:33], off, off offset:96
	v_mul_f32_e32 v7, v7, v27
	v_fma_f32 v6, v6, v26, -v7
	v_mul_f32_e32 v7, v9, v29
	v_add_f32_e32 v6, v10, v6
	v_fma_f32 v7, v8, v28, -v7
	v_add_f32_e32 v6, v6, v7
	s_waitcnt vmcnt(0) lgkmcnt(0)
	v_mul_f32_e32 v35, v2, v31
	v_fmac_f32_e32 v35, v3, v30
	v_add_f32_e32 v34, v34, v35
	v_mul_f32_e32 v35, v4, v33
	v_fmac_f32_e32 v35, v5, v32
	v_add_f32_e32 v42, v34, v35
	ds_read_b128 v[34:37], v118 offset:544
	v_mul_f32_e32 v3, v3, v31
	v_fma_f32 v2, v2, v30, -v3
	v_mul_f32_e32 v3, v5, v33
	v_add_f32_e32 v2, v6, v2
	s_waitcnt lgkmcnt(0)
	v_mul_f32_e32 v43, v34, v39
	v_fmac_f32_e32 v43, v35, v38
	v_add_f32_e32 v42, v42, v43
	v_mul_f32_e32 v43, v36, v41
	v_fmac_f32_e32 v43, v37, v40
	v_add_f32_e32 v50, v42, v43
	ds_read_b128 v[42:45], v118 offset:560
	v_fma_f32 v3, v4, v32, -v3
	v_add_f32_e32 v2, v2, v3
	v_mul_f32_e32 v3, v35, v39
	v_fma_f32 v3, v34, v38, -v3
	s_waitcnt lgkmcnt(0)
	v_mul_f32_e32 v51, v42, v47
	v_fmac_f32_e32 v51, v43, v46
	v_add_f32_e32 v50, v50, v51
	v_mul_f32_e32 v51, v44, v49
	v_fmac_f32_e32 v51, v45, v48
	v_add_f32_e32 v58, v50, v51
	ds_read_b128 v[50:53], v118 offset:576
	v_add_f32_e32 v2, v2, v3
	v_mul_f32_e32 v3, v37, v41
	v_fma_f32 v3, v36, v40, -v3
	v_add_f32_e32 v2, v2, v3
	s_waitcnt lgkmcnt(0)
	v_mul_f32_e32 v59, v50, v55
	v_fmac_f32_e32 v59, v51, v54
	v_add_f32_e32 v58, v58, v59
	v_mul_f32_e32 v59, v52, v57
	v_fmac_f32_e32 v59, v53, v56
	v_add_f32_e32 v66, v58, v59
	ds_read_b128 v[58:61], v118 offset:592
	v_mul_f32_e32 v3, v43, v47
	v_fma_f32 v3, v42, v46, -v3
	v_add_f32_e32 v2, v2, v3
	v_mul_f32_e32 v3, v45, v49
	s_waitcnt lgkmcnt(0)
	v_mul_f32_e32 v67, v58, v63
	v_fmac_f32_e32 v67, v59, v62
	v_add_f32_e32 v66, v66, v67
	v_mul_f32_e32 v67, v60, v65
	v_fmac_f32_e32 v67, v61, v64
	v_add_f32_e32 v74, v66, v67
	ds_read_b128 v[66:69], v118 offset:608
	v_fma_f32 v3, v44, v48, -v3
	v_add_f32_e32 v2, v2, v3
	v_mul_f32_e32 v3, v51, v55
	v_fma_f32 v3, v50, v54, -v3
	s_waitcnt lgkmcnt(0)
	v_mul_f32_e32 v75, v66, v71
	v_fmac_f32_e32 v75, v67, v70
	v_add_f32_e32 v74, v74, v75
	v_mul_f32_e32 v75, v68, v73
	v_fmac_f32_e32 v75, v69, v72
	v_add_f32_e32 v82, v74, v75
	ds_read_b128 v[74:77], v118 offset:624
	v_add_f32_e32 v2, v2, v3
	v_mul_f32_e32 v3, v53, v57
	v_fma_f32 v3, v52, v56, -v3
	v_add_f32_e32 v2, v2, v3
	s_waitcnt lgkmcnt(0)
	v_mul_f32_e32 v83, v74, v79
	v_fmac_f32_e32 v83, v75, v78
	v_add_f32_e32 v82, v82, v83
	v_mul_f32_e32 v83, v76, v81
	v_fmac_f32_e32 v83, v77, v80
	v_add_f32_e32 v90, v82, v83
	ds_read_b128 v[82:85], v118 offset:640
	v_mul_f32_e32 v3, v59, v63
	v_fma_f32 v3, v58, v62, -v3
	v_add_f32_e32 v2, v2, v3
	v_mul_f32_e32 v3, v61, v65
	;; [unrolled: 36-line block ×4, first 2 shown]
	s_waitcnt lgkmcnt(0)
	v_mul_f32_e32 v140, v132, v137
	v_fmac_f32_e32 v140, v133, v136
	v_add_f32_e32 v119, v119, v140
	v_mul_f32_e32 v140, v134, v139
	v_fmac_f32_e32 v140, v135, v138
	v_add_f32_e32 v119, v119, v140
	ds_read_b128 v[140:143], v118 offset:752
	v_fma_f32 v3, v92, v96, -v3
	v_add_f32_e32 v2, v2, v3
	v_mul_f32_e32 v3, v99, v103
	v_fma_f32 v3, v98, v102, -v3
	s_waitcnt lgkmcnt(0)
	v_mul_f32_e32 v148, v140, v145
	v_fmac_f32_e32 v148, v141, v144
	v_add_f32_e32 v119, v119, v148
	v_mul_f32_e32 v148, v142, v147
	v_fmac_f32_e32 v148, v143, v146
	v_add_f32_e32 v119, v119, v148
	ds_read_b128 v[148:151], v118 offset:768
	v_add_f32_e32 v2, v2, v3
	v_mul_f32_e32 v3, v101, v105
	v_fma_f32 v3, v100, v104, -v3
	v_add_f32_e32 v2, v2, v3
	s_waitcnt lgkmcnt(0)
	v_mul_f32_e32 v156, v148, v153
	v_fmac_f32_e32 v156, v149, v152
	v_add_f32_e32 v169, v119, v156
	ds_read_b128 v[156:159], v118 offset:784
	scratch_load_dwordx4 v[248:251], off, off offset:368
	scratch_load_dwordx4 v[252:255], off, off offset:384
	;; [unrolled: 1-line block ×3, first 2 shown]
	scratch_load_dwordx2 v[174:175], off, off offset:416
	v_mul_f32_e32 v3, v107, v111
	v_fma_f32 v3, v106, v110, -v3
	v_add_f32_e32 v2, v2, v3
	v_mul_f32_e32 v3, v109, v113
	v_fma_f32 v3, v108, v112, -v3
	v_add_f32_e32 v2, v2, v3
	;; [unrolled: 3-line block ×11, first 2 shown]
	v_mul_f32_e32 v2, v151, v155
	v_mul_f32_e32 v171, v150, v155
	v_fma_f32 v170, v150, v154, -v2
	s_waitcnt lgkmcnt(0)
	v_mul_f32_e32 v2, v157, v161
	v_fmac_f32_e32 v171, v151, v154
	v_mul_f32_e32 v173, v156, v161
	v_fma_f32 v172, v156, v160, -v2
	ds_read_b128 v[2:5], v118 offset:800
	ds_read_b128 v[6:9], v118 offset:816
	ds_read_b128 v[10:13], v118 offset:832
	ds_read_b64 v[14:15], v118 offset:848
	v_pk_mul_f32 v[18:19], v[158:159], v[18:19] op_sel:[1,0] op_sel_hi:[0,0]
	v_fmac_f32_e32 v173, v157, v160
	v_pk_add_f32 v[16:17], v[168:169], v[170:171]
	v_pk_fma_f32 v[20:21], v[158:159], v[162:163], v[18:19] neg_lo:[0,0,1] neg_hi:[0,0,1]
	v_pk_fma_f32 v[18:19], v[158:159], v[162:163], v[18:19] op_sel_hi:[1,0,1]
	v_pk_add_f32 v[16:17], v[16:17], v[172:173]
	v_mov_b32_e32 v21, v19
	v_pk_add_f32 v[16:17], v[16:17], v[20:21]
	s_waitcnt vmcnt(3) lgkmcnt(3)
	v_pk_mul_f32 v[18:19], v[2:3], v[248:249] op_sel:[1,1] op_sel_hi:[0,1]
	v_pk_fma_f32 v[20:21], v[2:3], v[248:249], v[18:19] neg_lo:[0,0,1] neg_hi:[0,0,1]
	v_pk_fma_f32 v[2:3], v[2:3], v[248:249], v[18:19] op_sel_hi:[1,0,1]
	s_nop 0
	v_mov_b32_e32 v21, v3
	v_pk_add_f32 v[2:3], v[16:17], v[20:21]
	v_mov_b32_e32 v16, v251
	v_pk_mul_f32 v[16:17], v[4:5], v[16:17] op_sel:[1,0] op_sel_hi:[0,0]
	v_pk_fma_f32 v[18:19], v[4:5], v[250:251], v[16:17] neg_lo:[0,0,1] neg_hi:[0,0,1]
	v_pk_fma_f32 v[4:5], v[4:5], v[250:251], v[16:17] op_sel_hi:[1,0,1]
	s_nop 0
	v_mov_b32_e32 v19, v5
	s_waitcnt vmcnt(2) lgkmcnt(2)
	v_pk_mul_f32 v[4:5], v[6:7], v[252:253] op_sel:[1,1] op_sel_hi:[0,1]
	v_pk_fma_f32 v[16:17], v[6:7], v[252:253], v[4:5] neg_lo:[0,0,1] neg_hi:[0,0,1]
	v_pk_fma_f32 v[4:5], v[6:7], v[252:253], v[4:5] op_sel_hi:[1,0,1]
	v_pk_add_f32 v[2:3], v[2:3], v[18:19]
	v_mov_b32_e32 v4, v255
	v_mov_b32_e32 v17, v5
	v_pk_mul_f32 v[4:5], v[8:9], v[4:5] op_sel:[1,0] op_sel_hi:[0,0]
	v_pk_fma_f32 v[6:7], v[8:9], v[254:255], v[4:5] neg_lo:[0,0,1] neg_hi:[0,0,1]
	v_pk_fma_f32 v[4:5], v[8:9], v[254:255], v[4:5] op_sel_hi:[1,0,1]
	v_pk_add_f32 v[2:3], v[2:3], v[16:17]
	v_mov_b32_e32 v7, v5
	s_waitcnt vmcnt(1) lgkmcnt(1)
	v_pk_mul_f32 v[4:5], v[10:11], v[164:165] op_sel:[1,1] op_sel_hi:[0,1]
	v_pk_add_f32 v[2:3], v[2:3], v[6:7]
	v_pk_fma_f32 v[6:7], v[10:11], v[164:165], v[4:5] neg_lo:[0,0,1] neg_hi:[0,0,1]
	v_pk_fma_f32 v[4:5], v[10:11], v[164:165], v[4:5] op_sel_hi:[1,0,1]
	s_nop 0
	v_mov_b32_e32 v4, v167
	v_mov_b32_e32 v7, v5
	v_pk_mul_f32 v[4:5], v[12:13], v[4:5] op_sel:[1,0] op_sel_hi:[0,0]
	v_pk_add_f32 v[2:3], v[2:3], v[6:7]
	v_pk_fma_f32 v[6:7], v[12:13], v[166:167], v[4:5] neg_lo:[0,0,1] neg_hi:[0,0,1]
	v_pk_fma_f32 v[4:5], v[12:13], v[166:167], v[4:5] op_sel_hi:[1,0,1]
	s_nop 0
	v_mov_b32_e32 v7, v5
	s_waitcnt vmcnt(0) lgkmcnt(0)
	v_pk_mul_f32 v[4:5], v[14:15], v[174:175] op_sel:[1,1] op_sel_hi:[0,1]
	v_pk_add_f32 v[2:3], v[2:3], v[6:7]
	v_pk_fma_f32 v[6:7], v[14:15], v[174:175], v[4:5] neg_lo:[0,0,1] neg_hi:[0,0,1]
	v_pk_fma_f32 v[4:5], v[14:15], v[174:175], v[4:5] op_sel_hi:[1,0,1]
	s_nop 0
	v_mov_b32_e32 v7, v5
	scratch_load_dwordx2 v[4:5], off, off offset:40
	v_pk_add_f32 v[2:3], v[2:3], v[6:7]
	s_waitcnt vmcnt(0)
	v_pk_add_f32 v[2:3], v[4:5], v[2:3] neg_lo:[0,1] neg_hi:[0,1]
	scratch_store_dwordx2 off, v[2:3], off offset:40
	s_and_saveexec_b64 s[0:1], vcc
	s_cbranch_execz .LBB52_323
; %bb.322:
	scratch_load_dwordx2 v[2:3], off, off offset:32
	v_mov_b32_e32 v119, v118
	scratch_store_dwordx2 off, v[118:119], off offset:32
	s_waitcnt vmcnt(1)
	ds_write_b64 v1, v[2:3]
.LBB52_323:
	s_or_b64 exec, exec, s[0:1]
	s_waitcnt lgkmcnt(0)
	; wave barrier
	scratch_load_dwordx4 v[6:9], off, off offset:40
	scratch_load_dwordx4 v[14:17], off, off offset:56
	;; [unrolled: 1-line block ×10, first 2 shown]
	ds_read2_b64 v[2:5], v118 offset0:59 offset1:60
	scratch_load_dwordx4 v[86:89], off, off offset:200
	scratch_load_dwordx4 v[94:97], off, off offset:216
	;; [unrolled: 1-line block ×10, first 2 shown]
	v_cmp_lt_u32_e32 vcc, 3, v0
	s_waitcnt vmcnt(19) lgkmcnt(0)
	v_mul_f32_e32 v10, v2, v7
	v_fmac_f32_e32 v10, v3, v6
	v_mul_f32_e32 v11, v4, v9
	v_add_f32_e32 v10, 0, v10
	v_fmac_f32_e32 v11, v5, v8
	v_add_f32_e32 v18, v10, v11
	ds_read2_b64 v[10:13], v118 offset0:61 offset1:62
	v_mul_f32_e32 v3, v3, v7
	v_fma_f32 v2, v2, v6, -v3
	v_mul_f32_e32 v3, v5, v9
	v_add_f32_e32 v2, 0, v2
	s_waitcnt vmcnt(18) lgkmcnt(0)
	v_mul_f32_e32 v19, v10, v15
	v_fmac_f32_e32 v19, v11, v14
	v_add_f32_e32 v18, v18, v19
	v_mul_f32_e32 v19, v12, v17
	v_fmac_f32_e32 v19, v13, v16
	v_add_f32_e32 v26, v18, v19
	ds_read2_b64 v[18:21], v118 offset0:63 offset1:64
	v_fma_f32 v3, v4, v8, -v3
	v_add_f32_e32 v2, v2, v3
	v_mul_f32_e32 v3, v11, v15
	v_fma_f32 v3, v10, v14, -v3
	s_waitcnt vmcnt(17) lgkmcnt(0)
	v_mul_f32_e32 v27, v18, v23
	v_fmac_f32_e32 v27, v19, v22
	v_add_f32_e32 v26, v26, v27
	v_mul_f32_e32 v27, v20, v25
	v_fmac_f32_e32 v27, v21, v24
	v_add_f32_e32 v34, v26, v27
	ds_read2_b64 v[26:29], v118 offset0:65 offset1:66
	v_add_f32_e32 v2, v2, v3
	v_mul_f32_e32 v3, v13, v17
	v_fma_f32 v3, v12, v16, -v3
	v_add_f32_e32 v2, v2, v3
	s_waitcnt vmcnt(16) lgkmcnt(0)
	v_mul_f32_e32 v35, v26, v31
	v_fmac_f32_e32 v35, v27, v30
	v_add_f32_e32 v34, v34, v35
	v_mul_f32_e32 v35, v28, v33
	v_fmac_f32_e32 v35, v29, v32
	v_add_f32_e32 v42, v34, v35
	ds_read2_b64 v[34:37], v118 offset0:67 offset1:68
	v_mul_f32_e32 v3, v19, v23
	v_fma_f32 v3, v18, v22, -v3
	v_add_f32_e32 v2, v2, v3
	v_mul_f32_e32 v3, v21, v25
	s_waitcnt vmcnt(15) lgkmcnt(0)
	v_mul_f32_e32 v43, v34, v39
	v_fmac_f32_e32 v43, v35, v38
	v_add_f32_e32 v42, v42, v43
	v_mul_f32_e32 v43, v36, v41
	v_fmac_f32_e32 v43, v37, v40
	v_add_f32_e32 v50, v42, v43
	ds_read2_b64 v[42:45], v118 offset0:69 offset1:70
	v_fma_f32 v3, v20, v24, -v3
	v_add_f32_e32 v2, v2, v3
	v_mul_f32_e32 v3, v27, v31
	v_fma_f32 v3, v26, v30, -v3
	s_waitcnt vmcnt(14) lgkmcnt(0)
	v_mul_f32_e32 v51, v42, v47
	v_fmac_f32_e32 v51, v43, v46
	v_add_f32_e32 v50, v50, v51
	v_mul_f32_e32 v51, v44, v49
	v_fmac_f32_e32 v51, v45, v48
	v_add_f32_e32 v58, v50, v51
	ds_read2_b64 v[50:53], v118 offset0:71 offset1:72
	v_add_f32_e32 v2, v2, v3
	v_mul_f32_e32 v3, v29, v33
	v_fma_f32 v3, v28, v32, -v3
	v_add_f32_e32 v2, v2, v3
	s_waitcnt vmcnt(13) lgkmcnt(0)
	v_mul_f32_e32 v59, v50, v55
	v_fmac_f32_e32 v59, v51, v54
	v_add_f32_e32 v58, v58, v59
	v_mul_f32_e32 v59, v52, v57
	v_fmac_f32_e32 v59, v53, v56
	v_add_f32_e32 v66, v58, v59
	ds_read2_b64 v[58:61], v118 offset0:73 offset1:74
	v_mul_f32_e32 v3, v35, v39
	v_fma_f32 v3, v34, v38, -v3
	v_add_f32_e32 v2, v2, v3
	v_mul_f32_e32 v3, v37, v41
	;; [unrolled: 36-line block ×5, first 2 shown]
	s_waitcnt vmcnt(3) lgkmcnt(0)
	v_mul_f32_e32 v140, v132, v137
	v_fmac_f32_e32 v140, v133, v136
	v_add_f32_e32 v119, v119, v140
	v_mul_f32_e32 v140, v134, v139
	v_fmac_f32_e32 v140, v135, v138
	v_add_f32_e32 v119, v119, v140
	ds_read2_b64 v[140:143], v118 offset0:93 offset1:94
	v_fma_f32 v3, v84, v88, -v3
	v_add_f32_e32 v2, v2, v3
	v_mul_f32_e32 v3, v91, v95
	v_fma_f32 v3, v90, v94, -v3
	s_waitcnt vmcnt(2) lgkmcnt(0)
	v_mul_f32_e32 v148, v140, v145
	v_fmac_f32_e32 v148, v141, v144
	v_add_f32_e32 v119, v119, v148
	v_mul_f32_e32 v148, v142, v147
	v_fmac_f32_e32 v148, v143, v146
	v_add_f32_e32 v119, v119, v148
	ds_read2_b64 v[148:151], v118 offset0:95 offset1:96
	v_add_f32_e32 v2, v2, v3
	v_mul_f32_e32 v3, v93, v97
	v_fma_f32 v3, v92, v96, -v3
	v_add_f32_e32 v2, v2, v3
	s_waitcnt vmcnt(1) lgkmcnt(0)
	v_mul_f32_e32 v156, v148, v153
	v_fmac_f32_e32 v156, v149, v152
	v_add_f32_e32 v119, v119, v156
	v_mul_f32_e32 v156, v150, v155
	v_fmac_f32_e32 v156, v151, v154
	v_add_f32_e32 v173, v119, v156
	ds_read2_b64 v[156:159], v118 offset0:97 offset1:98
	scratch_load_dwordx4 v[164:167], off, off offset:360
	scratch_load_dwordx4 v[248:251], off, off offset:376
	;; [unrolled: 1-line block ×4, first 2 shown]
	v_mul_f32_e32 v3, v99, v103
	v_fma_f32 v3, v98, v102, -v3
	v_add_f32_e32 v2, v2, v3
	v_mul_f32_e32 v3, v101, v105
	v_fma_f32 v3, v100, v104, -v3
	v_add_f32_e32 v2, v2, v3
	;; [unrolled: 3-line block ×14, first 2 shown]
	s_waitcnt vmcnt(4) lgkmcnt(0)
	v_mul_f32_e32 v2, v157, v161
	v_fma_f32 v174, v156, v160, -v2
	v_mul_f32_e32 v2, v159, v163
	v_fma_f32 v176, v158, v162, -v2
	ds_read2_b64 v[2:5], v118 offset0:99 offset1:100
	ds_read2_b64 v[6:9], v118 offset0:101 offset1:102
	;; [unrolled: 1-line block ×4, first 2 shown]
	v_mul_f32_e32 v175, v156, v161
	v_fmac_f32_e32 v175, v157, v160
	v_mul_f32_e32 v177, v158, v163
	v_fmac_f32_e32 v177, v159, v162
	v_pk_add_f32 v[18:19], v[172:173], v[174:175]
	s_waitcnt vmcnt(3) lgkmcnt(3)
	v_pk_mul_f32 v[20:21], v[2:3], v[164:165] op_sel:[1,1] op_sel_hi:[0,1]
	v_pk_fma_f32 v[22:23], v[2:3], v[164:165], v[20:21] neg_lo:[0,0,1] neg_hi:[0,0,1]
	v_pk_fma_f32 v[2:3], v[2:3], v[164:165], v[20:21] op_sel_hi:[1,0,1]
	v_pk_add_f32 v[18:19], v[18:19], v[176:177]
	v_mov_b32_e32 v23, v3
	v_pk_add_f32 v[2:3], v[18:19], v[22:23]
	v_mov_b32_e32 v18, v167
	v_pk_mul_f32 v[18:19], v[4:5], v[18:19] op_sel:[1,0] op_sel_hi:[0,0]
	v_pk_fma_f32 v[20:21], v[4:5], v[166:167], v[18:19] neg_lo:[0,0,1] neg_hi:[0,0,1]
	v_pk_fma_f32 v[4:5], v[4:5], v[166:167], v[18:19] op_sel_hi:[1,0,1]
	s_nop 0
	v_mov_b32_e32 v21, v5
	s_waitcnt vmcnt(2) lgkmcnt(2)
	v_pk_mul_f32 v[4:5], v[6:7], v[248:249] op_sel:[1,1] op_sel_hi:[0,1]
	v_pk_fma_f32 v[18:19], v[6:7], v[248:249], v[4:5] neg_lo:[0,0,1] neg_hi:[0,0,1]
	v_pk_fma_f32 v[4:5], v[6:7], v[248:249], v[4:5] op_sel_hi:[1,0,1]
	v_pk_add_f32 v[2:3], v[2:3], v[20:21]
	v_mov_b32_e32 v4, v251
	v_mov_b32_e32 v19, v5
	v_pk_mul_f32 v[4:5], v[8:9], v[4:5] op_sel:[1,0] op_sel_hi:[0,0]
	v_pk_fma_f32 v[6:7], v[8:9], v[250:251], v[4:5] neg_lo:[0,0,1] neg_hi:[0,0,1]
	v_pk_fma_f32 v[4:5], v[8:9], v[250:251], v[4:5] op_sel_hi:[1,0,1]
	v_pk_add_f32 v[2:3], v[2:3], v[18:19]
	v_mov_b32_e32 v7, v5
	s_waitcnt vmcnt(1) lgkmcnt(1)
	v_pk_mul_f32 v[4:5], v[10:11], v[252:253] op_sel:[1,1] op_sel_hi:[0,1]
	v_pk_add_f32 v[2:3], v[2:3], v[6:7]
	v_pk_fma_f32 v[6:7], v[10:11], v[252:253], v[4:5] neg_lo:[0,0,1] neg_hi:[0,0,1]
	v_pk_fma_f32 v[4:5], v[10:11], v[252:253], v[4:5] op_sel_hi:[1,0,1]
	s_nop 0
	v_mov_b32_e32 v4, v255
	v_mov_b32_e32 v7, v5
	v_pk_mul_f32 v[4:5], v[12:13], v[4:5] op_sel:[1,0] op_sel_hi:[0,0]
	v_pk_add_f32 v[2:3], v[2:3], v[6:7]
	v_pk_fma_f32 v[6:7], v[12:13], v[254:255], v[4:5] neg_lo:[0,0,1] neg_hi:[0,0,1]
	v_pk_fma_f32 v[4:5], v[12:13], v[254:255], v[4:5] op_sel_hi:[1,0,1]
	s_nop 0
	v_mov_b32_e32 v7, v5
	s_waitcnt vmcnt(0) lgkmcnt(0)
	v_pk_mul_f32 v[4:5], v[14:15], v[168:169] op_sel:[1,1] op_sel_hi:[0,1]
	v_pk_add_f32 v[2:3], v[2:3], v[6:7]
	v_pk_fma_f32 v[6:7], v[14:15], v[168:169], v[4:5] neg_lo:[0,0,1] neg_hi:[0,0,1]
	v_pk_fma_f32 v[4:5], v[14:15], v[168:169], v[4:5] op_sel_hi:[1,0,1]
	s_nop 0
	v_mov_b32_e32 v4, v171
	v_mov_b32_e32 v7, v5
	v_pk_mul_f32 v[4:5], v[16:17], v[4:5] op_sel:[1,0] op_sel_hi:[0,0]
	v_pk_add_f32 v[2:3], v[2:3], v[6:7]
	v_pk_fma_f32 v[6:7], v[16:17], v[170:171], v[4:5] neg_lo:[0,0,1] neg_hi:[0,0,1]
	v_pk_fma_f32 v[4:5], v[16:17], v[170:171], v[4:5] op_sel_hi:[1,0,1]
	s_nop 0
	v_mov_b32_e32 v7, v5
	scratch_load_dwordx2 v[4:5], off, off offset:32
	v_pk_add_f32 v[2:3], v[2:3], v[6:7]
	s_waitcnt vmcnt(0)
	v_pk_add_f32 v[2:3], v[4:5], v[2:3] neg_lo:[0,1] neg_hi:[0,1]
	scratch_store_dwordx2 off, v[2:3], off offset:32
	s_and_saveexec_b64 s[0:1], vcc
	s_cbranch_execz .LBB52_325
; %bb.324:
	scratch_load_dwordx2 v[2:3], off, off offset:24
	v_mov_b32_e32 v4, 0
	v_mov_b32_e32 v5, v4
	scratch_store_dwordx2 off, v[4:5], off offset:24
	s_waitcnt vmcnt(1)
	ds_write_b64 v1, v[2:3]
.LBB52_325:
	s_or_b64 exec, exec, s[0:1]
	v_mov_b32_e32 v134, 0
	s_waitcnt lgkmcnt(0)
	; wave barrier
	ds_read_b128 v[14:17], v134 offset:464
	ds_read_b128 v[10:13], v134 offset:480
	;; [unrolled: 1-line block ×4, first 2 shown]
	scratch_load_dwordx4 v[18:21], off, off offset:32
	scratch_load_dwordx4 v[38:41], off, off offset:96
	;; [unrolled: 1-line block ×15, first 2 shown]
	v_cmp_lt_u32_e32 vcc, 2, v0
	scratch_load_dwordx4 v[46:49], off, off offset:112
	scratch_load_dwordx4 v[54:57], off, off offset:128
	;; [unrolled: 1-line block ×3, first 2 shown]
	s_waitcnt vmcnt(17) lgkmcnt(3)
	v_mul_f32_e32 v22, v14, v19
	v_fmac_f32_e32 v22, v15, v18
	v_mul_f32_e32 v23, v16, v21
	v_add_f32_e32 v22, 0, v22
	v_fmac_f32_e32 v23, v17, v20
	v_add_f32_e32 v26, v22, v23
	scratch_load_dwordx4 v[22:25], off, off offset:48
	v_mul_f32_e32 v15, v15, v19
	v_fma_f32 v14, v14, v18, -v15
	v_mul_f32_e32 v15, v17, v21
	v_add_f32_e32 v14, 0, v14
	v_fma_f32 v15, v16, v20, -v15
	v_add_f32_e32 v14, v14, v15
	s_waitcnt vmcnt(4)
	v_mov_b32_e32 v18, v171
	s_waitcnt vmcnt(0) lgkmcnt(2)
	v_mul_f32_e32 v27, v10, v23
	v_fmac_f32_e32 v27, v11, v22
	v_add_f32_e32 v26, v26, v27
	v_mul_f32_e32 v27, v12, v25
	v_fmac_f32_e32 v27, v13, v24
	v_add_f32_e32 v30, v26, v27
	scratch_load_dwordx4 v[26:29], off, off offset:64
	v_mul_f32_e32 v11, v11, v23
	v_fma_f32 v10, v10, v22, -v11
	v_mul_f32_e32 v11, v13, v25
	v_add_f32_e32 v10, v14, v10
	v_fma_f32 v11, v12, v24, -v11
	v_add_f32_e32 v10, v10, v11
	s_waitcnt vmcnt(0) lgkmcnt(1)
	v_mul_f32_e32 v31, v6, v27
	v_fmac_f32_e32 v31, v7, v26
	v_add_f32_e32 v30, v30, v31
	v_mul_f32_e32 v31, v8, v29
	v_fmac_f32_e32 v31, v9, v28
	v_add_f32_e32 v34, v30, v31
	scratch_load_dwordx4 v[30:33], off, off offset:80
	v_mul_f32_e32 v7, v7, v27
	v_fma_f32 v6, v6, v26, -v7
	v_mul_f32_e32 v7, v9, v29
	v_add_f32_e32 v6, v10, v6
	v_fma_f32 v7, v8, v28, -v7
	v_add_f32_e32 v6, v6, v7
	s_waitcnt vmcnt(0) lgkmcnt(0)
	v_mul_f32_e32 v35, v2, v31
	v_fmac_f32_e32 v35, v3, v30
	v_add_f32_e32 v34, v34, v35
	v_mul_f32_e32 v35, v4, v33
	v_fmac_f32_e32 v35, v5, v32
	v_add_f32_e32 v42, v34, v35
	ds_read_b128 v[34:37], v134 offset:528
	v_mul_f32_e32 v3, v3, v31
	v_fma_f32 v2, v2, v30, -v3
	v_mul_f32_e32 v3, v5, v33
	v_add_f32_e32 v2, v6, v2
	s_waitcnt lgkmcnt(0)
	v_mul_f32_e32 v43, v34, v39
	v_fmac_f32_e32 v43, v35, v38
	v_add_f32_e32 v42, v42, v43
	v_mul_f32_e32 v43, v36, v41
	v_fmac_f32_e32 v43, v37, v40
	v_add_f32_e32 v50, v42, v43
	ds_read_b128 v[42:45], v134 offset:544
	v_fma_f32 v3, v4, v32, -v3
	v_add_f32_e32 v2, v2, v3
	v_mul_f32_e32 v3, v35, v39
	v_fma_f32 v3, v34, v38, -v3
	s_waitcnt lgkmcnt(0)
	v_mul_f32_e32 v51, v42, v47
	v_fmac_f32_e32 v51, v43, v46
	v_add_f32_e32 v50, v50, v51
	v_mul_f32_e32 v51, v44, v49
	v_fmac_f32_e32 v51, v45, v48
	v_add_f32_e32 v58, v50, v51
	ds_read_b128 v[50:53], v134 offset:560
	v_add_f32_e32 v2, v2, v3
	v_mul_f32_e32 v3, v37, v41
	v_fma_f32 v3, v36, v40, -v3
	v_add_f32_e32 v2, v2, v3
	s_waitcnt lgkmcnt(0)
	v_mul_f32_e32 v59, v50, v55
	v_fmac_f32_e32 v59, v51, v54
	v_add_f32_e32 v58, v58, v59
	v_mul_f32_e32 v59, v52, v57
	v_fmac_f32_e32 v59, v53, v56
	v_add_f32_e32 v66, v58, v59
	ds_read_b128 v[58:61], v134 offset:576
	v_mul_f32_e32 v3, v43, v47
	v_fma_f32 v3, v42, v46, -v3
	v_add_f32_e32 v2, v2, v3
	v_mul_f32_e32 v3, v45, v49
	s_waitcnt lgkmcnt(0)
	v_mul_f32_e32 v67, v58, v63
	v_fmac_f32_e32 v67, v59, v62
	v_add_f32_e32 v66, v66, v67
	v_mul_f32_e32 v67, v60, v65
	v_fmac_f32_e32 v67, v61, v64
	v_add_f32_e32 v74, v66, v67
	ds_read_b128 v[66:69], v134 offset:592
	v_fma_f32 v3, v44, v48, -v3
	v_add_f32_e32 v2, v2, v3
	v_mul_f32_e32 v3, v51, v55
	v_fma_f32 v3, v50, v54, -v3
	s_waitcnt lgkmcnt(0)
	v_mul_f32_e32 v75, v66, v71
	v_fmac_f32_e32 v75, v67, v70
	v_add_f32_e32 v74, v74, v75
	v_mul_f32_e32 v75, v68, v73
	v_fmac_f32_e32 v75, v69, v72
	v_add_f32_e32 v82, v74, v75
	ds_read_b128 v[74:77], v134 offset:608
	v_add_f32_e32 v2, v2, v3
	v_mul_f32_e32 v3, v53, v57
	v_fma_f32 v3, v52, v56, -v3
	v_add_f32_e32 v2, v2, v3
	s_waitcnt lgkmcnt(0)
	v_mul_f32_e32 v83, v74, v79
	v_fmac_f32_e32 v83, v75, v78
	v_add_f32_e32 v82, v82, v83
	v_mul_f32_e32 v83, v76, v81
	v_fmac_f32_e32 v83, v77, v80
	v_add_f32_e32 v90, v82, v83
	ds_read_b128 v[82:85], v134 offset:624
	v_mul_f32_e32 v3, v59, v63
	v_fma_f32 v3, v58, v62, -v3
	v_add_f32_e32 v2, v2, v3
	v_mul_f32_e32 v3, v61, v65
	;; [unrolled: 36-line block ×5, first 2 shown]
	s_waitcnt lgkmcnt(0)
	v_mul_f32_e32 v164, v156, v161
	v_fmac_f32_e32 v164, v157, v160
	v_add_f32_e32 v177, v135, v164
	ds_read_b128 v[164:167], v134 offset:784
	scratch_load_dwordx4 v[248:251], off, off offset:368
	scratch_load_dwordx4 v[252:255], off, off offset:384
	;; [unrolled: 1-line block ×3, first 2 shown]
	scratch_load_dwordx2 v[182:183], off, off offset:416
	v_fma_f32 v3, v108, v112, -v3
	v_add_f32_e32 v2, v2, v3
	v_mul_f32_e32 v3, v115, v119
	v_fma_f32 v3, v114, v118, -v3
	v_add_f32_e32 v2, v2, v3
	v_mul_f32_e32 v3, v117, v121
	;; [unrolled: 3-line block ×12, first 2 shown]
	v_mul_f32_e32 v179, v158, v163
	v_fma_f32 v178, v158, v162, -v2
	s_waitcnt lgkmcnt(0)
	v_mul_f32_e32 v2, v165, v169
	v_fmac_f32_e32 v179, v159, v162
	v_mul_f32_e32 v181, v164, v169
	v_fma_f32 v180, v164, v168, -v2
	ds_read_b128 v[2:5], v134 offset:800
	ds_read_b128 v[6:9], v134 offset:816
	;; [unrolled: 1-line block ×3, first 2 shown]
	ds_read_b64 v[14:15], v134 offset:848
	v_pk_mul_f32 v[18:19], v[166:167], v[18:19] op_sel:[1,0] op_sel_hi:[0,0]
	v_fmac_f32_e32 v181, v165, v168
	v_pk_add_f32 v[16:17], v[176:177], v[178:179]
	v_pk_fma_f32 v[20:21], v[166:167], v[170:171], v[18:19] neg_lo:[0,0,1] neg_hi:[0,0,1]
	v_pk_fma_f32 v[18:19], v[166:167], v[170:171], v[18:19] op_sel_hi:[1,0,1]
	v_pk_add_f32 v[16:17], v[16:17], v[180:181]
	v_mov_b32_e32 v21, v19
	v_pk_add_f32 v[16:17], v[16:17], v[20:21]
	s_waitcnt vmcnt(3) lgkmcnt(3)
	v_pk_mul_f32 v[18:19], v[2:3], v[248:249] op_sel:[1,1] op_sel_hi:[0,1]
	v_pk_fma_f32 v[20:21], v[2:3], v[248:249], v[18:19] neg_lo:[0,0,1] neg_hi:[0,0,1]
	v_pk_fma_f32 v[2:3], v[2:3], v[248:249], v[18:19] op_sel_hi:[1,0,1]
	s_nop 0
	v_mov_b32_e32 v21, v3
	v_pk_add_f32 v[2:3], v[16:17], v[20:21]
	v_mov_b32_e32 v16, v251
	v_pk_mul_f32 v[16:17], v[4:5], v[16:17] op_sel:[1,0] op_sel_hi:[0,0]
	v_pk_fma_f32 v[18:19], v[4:5], v[250:251], v[16:17] neg_lo:[0,0,1] neg_hi:[0,0,1]
	v_pk_fma_f32 v[4:5], v[4:5], v[250:251], v[16:17] op_sel_hi:[1,0,1]
	s_nop 0
	v_mov_b32_e32 v19, v5
	s_waitcnt vmcnt(2) lgkmcnt(2)
	v_pk_mul_f32 v[4:5], v[6:7], v[252:253] op_sel:[1,1] op_sel_hi:[0,1]
	v_pk_fma_f32 v[16:17], v[6:7], v[252:253], v[4:5] neg_lo:[0,0,1] neg_hi:[0,0,1]
	v_pk_fma_f32 v[4:5], v[6:7], v[252:253], v[4:5] op_sel_hi:[1,0,1]
	v_pk_add_f32 v[2:3], v[2:3], v[18:19]
	v_mov_b32_e32 v4, v255
	v_mov_b32_e32 v17, v5
	v_pk_mul_f32 v[4:5], v[8:9], v[4:5] op_sel:[1,0] op_sel_hi:[0,0]
	v_pk_fma_f32 v[6:7], v[8:9], v[254:255], v[4:5] neg_lo:[0,0,1] neg_hi:[0,0,1]
	v_pk_fma_f32 v[4:5], v[8:9], v[254:255], v[4:5] op_sel_hi:[1,0,1]
	v_pk_add_f32 v[2:3], v[2:3], v[16:17]
	v_mov_b32_e32 v7, v5
	s_waitcnt vmcnt(1) lgkmcnt(1)
	v_pk_mul_f32 v[4:5], v[10:11], v[172:173] op_sel:[1,1] op_sel_hi:[0,1]
	v_pk_add_f32 v[2:3], v[2:3], v[6:7]
	v_pk_fma_f32 v[6:7], v[10:11], v[172:173], v[4:5] neg_lo:[0,0,1] neg_hi:[0,0,1]
	v_pk_fma_f32 v[4:5], v[10:11], v[172:173], v[4:5] op_sel_hi:[1,0,1]
	s_nop 0
	v_mov_b32_e32 v4, v175
	v_mov_b32_e32 v7, v5
	v_pk_mul_f32 v[4:5], v[12:13], v[4:5] op_sel:[1,0] op_sel_hi:[0,0]
	v_pk_add_f32 v[2:3], v[2:3], v[6:7]
	v_pk_fma_f32 v[6:7], v[12:13], v[174:175], v[4:5] neg_lo:[0,0,1] neg_hi:[0,0,1]
	v_pk_fma_f32 v[4:5], v[12:13], v[174:175], v[4:5] op_sel_hi:[1,0,1]
	s_nop 0
	v_mov_b32_e32 v7, v5
	s_waitcnt vmcnt(0) lgkmcnt(0)
	v_pk_mul_f32 v[4:5], v[14:15], v[182:183] op_sel:[1,1] op_sel_hi:[0,1]
	v_pk_add_f32 v[2:3], v[2:3], v[6:7]
	v_pk_fma_f32 v[6:7], v[14:15], v[182:183], v[4:5] neg_lo:[0,0,1] neg_hi:[0,0,1]
	v_pk_fma_f32 v[4:5], v[14:15], v[182:183], v[4:5] op_sel_hi:[1,0,1]
	s_nop 0
	v_mov_b32_e32 v7, v5
	scratch_load_dwordx2 v[4:5], off, off offset:24
	v_pk_add_f32 v[2:3], v[2:3], v[6:7]
	s_waitcnt vmcnt(0)
	v_pk_add_f32 v[2:3], v[4:5], v[2:3] neg_lo:[0,1] neg_hi:[0,1]
	scratch_store_dwordx2 off, v[2:3], off offset:24
	s_and_saveexec_b64 s[0:1], vcc
	s_cbranch_execz .LBB52_327
; %bb.326:
	scratch_load_dwordx2 v[2:3], off, off offset:16
	v_mov_b32_e32 v135, v134
	scratch_store_dwordx2 off, v[134:135], off offset:16
	s_waitcnt vmcnt(1)
	ds_write_b64 v1, v[2:3]
.LBB52_327:
	s_or_b64 exec, exec, s[0:1]
	s_waitcnt lgkmcnt(0)
	; wave barrier
	scratch_load_dwordx4 v[6:9], off, off offset:24
	scratch_load_dwordx4 v[14:17], off, off offset:40
	;; [unrolled: 1-line block ×10, first 2 shown]
	ds_read2_b64 v[2:5], v134 offset0:57 offset1:58
	scratch_load_dwordx4 v[86:89], off, off offset:184
	scratch_load_dwordx4 v[94:97], off, off offset:200
	;; [unrolled: 1-line block ×11, first 2 shown]
	v_cmp_lt_u32_e32 vcc, 1, v0
	s_waitcnt vmcnt(20) lgkmcnt(0)
	v_mul_f32_e32 v10, v2, v7
	v_fmac_f32_e32 v10, v3, v6
	v_mul_f32_e32 v11, v4, v9
	v_add_f32_e32 v10, 0, v10
	v_fmac_f32_e32 v11, v5, v8
	v_add_f32_e32 v18, v10, v11
	ds_read2_b64 v[10:13], v134 offset0:59 offset1:60
	v_mul_f32_e32 v3, v3, v7
	v_fma_f32 v2, v2, v6, -v3
	v_mul_f32_e32 v3, v5, v9
	v_add_f32_e32 v2, 0, v2
	s_waitcnt vmcnt(19) lgkmcnt(0)
	v_mul_f32_e32 v19, v10, v15
	v_fmac_f32_e32 v19, v11, v14
	v_add_f32_e32 v18, v18, v19
	v_mul_f32_e32 v19, v12, v17
	v_fmac_f32_e32 v19, v13, v16
	v_add_f32_e32 v26, v18, v19
	ds_read2_b64 v[18:21], v134 offset0:61 offset1:62
	v_fma_f32 v3, v4, v8, -v3
	v_add_f32_e32 v2, v2, v3
	v_mul_f32_e32 v3, v11, v15
	v_fma_f32 v3, v10, v14, -v3
	s_waitcnt vmcnt(18) lgkmcnt(0)
	v_mul_f32_e32 v27, v18, v23
	v_fmac_f32_e32 v27, v19, v22
	v_add_f32_e32 v26, v26, v27
	v_mul_f32_e32 v27, v20, v25
	v_fmac_f32_e32 v27, v21, v24
	v_add_f32_e32 v34, v26, v27
	ds_read2_b64 v[26:29], v134 offset0:63 offset1:64
	v_add_f32_e32 v2, v2, v3
	v_mul_f32_e32 v3, v13, v17
	v_fma_f32 v3, v12, v16, -v3
	v_add_f32_e32 v2, v2, v3
	s_waitcnt vmcnt(17) lgkmcnt(0)
	v_mul_f32_e32 v35, v26, v31
	v_fmac_f32_e32 v35, v27, v30
	v_add_f32_e32 v34, v34, v35
	v_mul_f32_e32 v35, v28, v33
	v_fmac_f32_e32 v35, v29, v32
	v_add_f32_e32 v42, v34, v35
	ds_read2_b64 v[34:37], v134 offset0:65 offset1:66
	v_mul_f32_e32 v3, v19, v23
	v_fma_f32 v3, v18, v22, -v3
	v_add_f32_e32 v2, v2, v3
	v_mul_f32_e32 v3, v21, v25
	s_waitcnt vmcnt(16) lgkmcnt(0)
	v_mul_f32_e32 v43, v34, v39
	v_fmac_f32_e32 v43, v35, v38
	v_add_f32_e32 v42, v42, v43
	v_mul_f32_e32 v43, v36, v41
	v_fmac_f32_e32 v43, v37, v40
	v_add_f32_e32 v50, v42, v43
	ds_read2_b64 v[42:45], v134 offset0:67 offset1:68
	v_fma_f32 v3, v20, v24, -v3
	v_add_f32_e32 v2, v2, v3
	v_mul_f32_e32 v3, v27, v31
	v_fma_f32 v3, v26, v30, -v3
	s_waitcnt vmcnt(15) lgkmcnt(0)
	v_mul_f32_e32 v51, v42, v47
	v_fmac_f32_e32 v51, v43, v46
	v_add_f32_e32 v50, v50, v51
	v_mul_f32_e32 v51, v44, v49
	v_fmac_f32_e32 v51, v45, v48
	v_add_f32_e32 v58, v50, v51
	ds_read2_b64 v[50:53], v134 offset0:69 offset1:70
	v_add_f32_e32 v2, v2, v3
	v_mul_f32_e32 v3, v29, v33
	v_fma_f32 v3, v28, v32, -v3
	v_add_f32_e32 v2, v2, v3
	s_waitcnt vmcnt(14) lgkmcnt(0)
	v_mul_f32_e32 v59, v50, v55
	v_fmac_f32_e32 v59, v51, v54
	v_add_f32_e32 v58, v58, v59
	v_mul_f32_e32 v59, v52, v57
	v_fmac_f32_e32 v59, v53, v56
	v_add_f32_e32 v66, v58, v59
	ds_read2_b64 v[58:61], v134 offset0:71 offset1:72
	v_mul_f32_e32 v3, v35, v39
	v_fma_f32 v3, v34, v38, -v3
	v_add_f32_e32 v2, v2, v3
	v_mul_f32_e32 v3, v37, v41
	;; [unrolled: 36-line block ×6, first 2 shown]
	s_waitcnt vmcnt(1) lgkmcnt(0)
	v_mul_f32_e32 v164, v156, v161
	v_fmac_f32_e32 v164, v157, v160
	v_add_f32_e32 v135, v135, v164
	v_mul_f32_e32 v164, v158, v163
	v_fmac_f32_e32 v164, v159, v162
	v_add_f32_e32 v181, v135, v164
	ds_read2_b64 v[164:167], v134 offset0:97 offset1:98
	scratch_load_dwordx4 v[172:175], off, off offset:360
	scratch_load_dwordx4 v[248:251], off, off offset:376
	;; [unrolled: 1-line block ×4, first 2 shown]
	v_fma_f32 v3, v100, v104, -v3
	v_add_f32_e32 v2, v2, v3
	v_mul_f32_e32 v3, v107, v111
	v_fma_f32 v3, v106, v110, -v3
	v_add_f32_e32 v2, v2, v3
	v_mul_f32_e32 v3, v109, v113
	;; [unrolled: 3-line block ×14, first 2 shown]
	v_fma_f32 v3, v158, v162, -v3
	v_add_f32_e32 v180, v2, v3
	s_waitcnt vmcnt(4) lgkmcnt(0)
	v_mul_f32_e32 v2, v165, v169
	v_fma_f32 v182, v164, v168, -v2
	v_mul_f32_e32 v2, v167, v171
	v_fma_f32 v184, v166, v170, -v2
	ds_read2_b64 v[2:5], v134 offset0:99 offset1:100
	ds_read2_b64 v[6:9], v134 offset0:101 offset1:102
	;; [unrolled: 1-line block ×4, first 2 shown]
	v_mul_f32_e32 v183, v164, v169
	v_fmac_f32_e32 v183, v165, v168
	v_mul_f32_e32 v185, v166, v171
	v_fmac_f32_e32 v185, v167, v170
	v_pk_add_f32 v[18:19], v[180:181], v[182:183]
	s_waitcnt vmcnt(3) lgkmcnt(3)
	v_pk_mul_f32 v[20:21], v[2:3], v[172:173] op_sel:[1,1] op_sel_hi:[0,1]
	v_pk_fma_f32 v[22:23], v[2:3], v[172:173], v[20:21] neg_lo:[0,0,1] neg_hi:[0,0,1]
	v_pk_fma_f32 v[2:3], v[2:3], v[172:173], v[20:21] op_sel_hi:[1,0,1]
	v_pk_add_f32 v[18:19], v[18:19], v[184:185]
	v_mov_b32_e32 v23, v3
	v_pk_add_f32 v[2:3], v[18:19], v[22:23]
	v_mov_b32_e32 v18, v175
	v_pk_mul_f32 v[18:19], v[4:5], v[18:19] op_sel:[1,0] op_sel_hi:[0,0]
	v_pk_fma_f32 v[20:21], v[4:5], v[174:175], v[18:19] neg_lo:[0,0,1] neg_hi:[0,0,1]
	v_pk_fma_f32 v[4:5], v[4:5], v[174:175], v[18:19] op_sel_hi:[1,0,1]
	s_nop 0
	v_mov_b32_e32 v21, v5
	s_waitcnt vmcnt(2) lgkmcnt(2)
	v_pk_mul_f32 v[4:5], v[6:7], v[248:249] op_sel:[1,1] op_sel_hi:[0,1]
	v_pk_fma_f32 v[18:19], v[6:7], v[248:249], v[4:5] neg_lo:[0,0,1] neg_hi:[0,0,1]
	v_pk_fma_f32 v[4:5], v[6:7], v[248:249], v[4:5] op_sel_hi:[1,0,1]
	v_pk_add_f32 v[2:3], v[2:3], v[20:21]
	v_mov_b32_e32 v4, v251
	v_mov_b32_e32 v19, v5
	v_pk_mul_f32 v[4:5], v[8:9], v[4:5] op_sel:[1,0] op_sel_hi:[0,0]
	v_pk_fma_f32 v[6:7], v[8:9], v[250:251], v[4:5] neg_lo:[0,0,1] neg_hi:[0,0,1]
	v_pk_fma_f32 v[4:5], v[8:9], v[250:251], v[4:5] op_sel_hi:[1,0,1]
	v_pk_add_f32 v[2:3], v[2:3], v[18:19]
	v_mov_b32_e32 v7, v5
	s_waitcnt vmcnt(1) lgkmcnt(1)
	v_pk_mul_f32 v[4:5], v[10:11], v[252:253] op_sel:[1,1] op_sel_hi:[0,1]
	v_pk_add_f32 v[2:3], v[2:3], v[6:7]
	v_pk_fma_f32 v[6:7], v[10:11], v[252:253], v[4:5] neg_lo:[0,0,1] neg_hi:[0,0,1]
	v_pk_fma_f32 v[4:5], v[10:11], v[252:253], v[4:5] op_sel_hi:[1,0,1]
	s_nop 0
	v_mov_b32_e32 v4, v255
	v_mov_b32_e32 v7, v5
	v_pk_mul_f32 v[4:5], v[12:13], v[4:5] op_sel:[1,0] op_sel_hi:[0,0]
	v_pk_add_f32 v[2:3], v[2:3], v[6:7]
	v_pk_fma_f32 v[6:7], v[12:13], v[254:255], v[4:5] neg_lo:[0,0,1] neg_hi:[0,0,1]
	v_pk_fma_f32 v[4:5], v[12:13], v[254:255], v[4:5] op_sel_hi:[1,0,1]
	s_nop 0
	v_mov_b32_e32 v7, v5
	s_waitcnt vmcnt(0) lgkmcnt(0)
	v_pk_mul_f32 v[4:5], v[14:15], v[176:177] op_sel:[1,1] op_sel_hi:[0,1]
	v_pk_add_f32 v[2:3], v[2:3], v[6:7]
	v_pk_fma_f32 v[6:7], v[14:15], v[176:177], v[4:5] neg_lo:[0,0,1] neg_hi:[0,0,1]
	v_pk_fma_f32 v[4:5], v[14:15], v[176:177], v[4:5] op_sel_hi:[1,0,1]
	s_nop 0
	v_mov_b32_e32 v4, v179
	v_mov_b32_e32 v7, v5
	v_pk_mul_f32 v[4:5], v[16:17], v[4:5] op_sel:[1,0] op_sel_hi:[0,0]
	v_pk_add_f32 v[2:3], v[2:3], v[6:7]
	v_pk_fma_f32 v[6:7], v[16:17], v[178:179], v[4:5] neg_lo:[0,0,1] neg_hi:[0,0,1]
	v_pk_fma_f32 v[4:5], v[16:17], v[178:179], v[4:5] op_sel_hi:[1,0,1]
	s_nop 0
	v_mov_b32_e32 v7, v5
	scratch_load_dwordx2 v[4:5], off, off offset:16
	v_pk_add_f32 v[2:3], v[2:3], v[6:7]
	s_waitcnt vmcnt(0)
	v_pk_add_f32 v[2:3], v[4:5], v[2:3] neg_lo:[0,1] neg_hi:[0,1]
	scratch_store_dwordx2 off, v[2:3], off offset:16
	s_and_saveexec_b64 s[0:1], vcc
	s_cbranch_execz .LBB52_329
; %bb.328:
	scratch_load_dwordx2 v[2:3], off, off offset:8
	v_mov_b32_e32 v4, 0
	v_mov_b32_e32 v5, v4
	scratch_store_dwordx2 off, v[4:5], off offset:8
	s_waitcnt vmcnt(1)
	ds_write_b64 v1, v[2:3]
.LBB52_329:
	s_or_b64 exec, exec, s[0:1]
	v_mov_b32_e32 v248, 0
	s_waitcnt lgkmcnt(0)
	; wave barrier
	ds_read_b128 v[14:17], v248 offset:448
	ds_read_b128 v[10:13], v248 offset:464
	;; [unrolled: 1-line block ×4, first 2 shown]
	scratch_load_dwordx4 v[18:21], off, off offset:16
	scratch_load_dwordx4 v[38:41], off, off offset:80
	;; [unrolled: 1-line block ×16, first 2 shown]
	v_cmp_ne_u32_e32 vcc, 0, v0
	scratch_load_dwordx4 v[46:49], off, off offset:96
	scratch_load_dwordx4 v[54:57], off, off offset:112
	;; [unrolled: 1-line block ×3, first 2 shown]
	s_waitcnt vmcnt(18) lgkmcnt(3)
	v_mul_f32_e32 v22, v14, v19
	v_fmac_f32_e32 v22, v15, v18
	v_mul_f32_e32 v23, v16, v21
	v_add_f32_e32 v22, 0, v22
	v_fmac_f32_e32 v23, v17, v20
	v_add_f32_e32 v26, v22, v23
	scratch_load_dwordx4 v[22:25], off, off offset:32
	v_mul_f32_e32 v15, v15, v19
	v_fma_f32 v14, v14, v18, -v15
	v_mul_f32_e32 v15, v17, v21
	v_add_f32_e32 v14, 0, v14
	v_fma_f32 v15, v16, v20, -v15
	v_add_f32_e32 v14, v14, v15
	s_waitcnt vmcnt(4)
	v_mov_b32_e32 v18, v177
	s_waitcnt vmcnt(0) lgkmcnt(2)
	v_mul_f32_e32 v27, v10, v23
	v_fmac_f32_e32 v27, v11, v22
	v_add_f32_e32 v26, v26, v27
	v_mul_f32_e32 v27, v12, v25
	v_fmac_f32_e32 v27, v13, v24
	v_add_f32_e32 v30, v26, v27
	scratch_load_dwordx4 v[26:29], off, off offset:48
	v_mul_f32_e32 v11, v11, v23
	v_fma_f32 v10, v10, v22, -v11
	v_mul_f32_e32 v11, v13, v25
	v_add_f32_e32 v10, v14, v10
	v_fma_f32 v11, v12, v24, -v11
	v_add_f32_e32 v10, v10, v11
	s_waitcnt vmcnt(0) lgkmcnt(1)
	v_mul_f32_e32 v31, v6, v27
	v_fmac_f32_e32 v31, v7, v26
	v_add_f32_e32 v30, v30, v31
	v_mul_f32_e32 v31, v8, v29
	v_fmac_f32_e32 v31, v9, v28
	v_add_f32_e32 v34, v30, v31
	scratch_load_dwordx4 v[30:33], off, off offset:64
	v_mul_f32_e32 v7, v7, v27
	v_fma_f32 v6, v6, v26, -v7
	v_mul_f32_e32 v7, v9, v29
	v_add_f32_e32 v6, v10, v6
	v_fma_f32 v7, v8, v28, -v7
	v_add_f32_e32 v6, v6, v7
	s_waitcnt vmcnt(0) lgkmcnt(0)
	v_mul_f32_e32 v35, v2, v31
	v_fmac_f32_e32 v35, v3, v30
	v_add_f32_e32 v34, v34, v35
	v_mul_f32_e32 v35, v4, v33
	v_fmac_f32_e32 v35, v5, v32
	v_add_f32_e32 v42, v34, v35
	ds_read_b128 v[34:37], v248 offset:512
	v_mul_f32_e32 v3, v3, v31
	v_fma_f32 v2, v2, v30, -v3
	v_mul_f32_e32 v3, v5, v33
	v_add_f32_e32 v2, v6, v2
	s_waitcnt lgkmcnt(0)
	v_mul_f32_e32 v43, v34, v39
	v_fmac_f32_e32 v43, v35, v38
	v_add_f32_e32 v42, v42, v43
	v_mul_f32_e32 v43, v36, v41
	v_fmac_f32_e32 v43, v37, v40
	v_add_f32_e32 v50, v42, v43
	ds_read_b128 v[42:45], v248 offset:528
	v_fma_f32 v3, v4, v32, -v3
	v_add_f32_e32 v2, v2, v3
	v_mul_f32_e32 v3, v35, v39
	v_fma_f32 v3, v34, v38, -v3
	s_waitcnt lgkmcnt(0)
	v_mul_f32_e32 v51, v42, v47
	v_fmac_f32_e32 v51, v43, v46
	v_add_f32_e32 v50, v50, v51
	v_mul_f32_e32 v51, v44, v49
	v_fmac_f32_e32 v51, v45, v48
	v_add_f32_e32 v58, v50, v51
	ds_read_b128 v[50:53], v248 offset:544
	v_add_f32_e32 v2, v2, v3
	v_mul_f32_e32 v3, v37, v41
	v_fma_f32 v3, v36, v40, -v3
	v_add_f32_e32 v2, v2, v3
	s_waitcnt lgkmcnt(0)
	v_mul_f32_e32 v59, v50, v55
	v_fmac_f32_e32 v59, v51, v54
	v_add_f32_e32 v58, v58, v59
	v_mul_f32_e32 v59, v52, v57
	v_fmac_f32_e32 v59, v53, v56
	v_add_f32_e32 v66, v58, v59
	ds_read_b128 v[58:61], v248 offset:560
	v_mul_f32_e32 v3, v43, v47
	v_fma_f32 v3, v42, v46, -v3
	v_add_f32_e32 v2, v2, v3
	v_mul_f32_e32 v3, v45, v49
	s_waitcnt lgkmcnt(0)
	v_mul_f32_e32 v67, v58, v63
	v_fmac_f32_e32 v67, v59, v62
	v_add_f32_e32 v66, v66, v67
	v_mul_f32_e32 v67, v60, v65
	v_fmac_f32_e32 v67, v61, v64
	v_add_f32_e32 v74, v66, v67
	ds_read_b128 v[66:69], v248 offset:576
	v_fma_f32 v3, v44, v48, -v3
	v_add_f32_e32 v2, v2, v3
	v_mul_f32_e32 v3, v51, v55
	v_fma_f32 v3, v50, v54, -v3
	s_waitcnt lgkmcnt(0)
	v_mul_f32_e32 v75, v66, v71
	v_fmac_f32_e32 v75, v67, v70
	v_add_f32_e32 v74, v74, v75
	v_mul_f32_e32 v75, v68, v73
	v_fmac_f32_e32 v75, v69, v72
	v_add_f32_e32 v82, v74, v75
	ds_read_b128 v[74:77], v248 offset:592
	v_add_f32_e32 v2, v2, v3
	v_mul_f32_e32 v3, v53, v57
	v_fma_f32 v3, v52, v56, -v3
	v_add_f32_e32 v2, v2, v3
	s_waitcnt lgkmcnt(0)
	v_mul_f32_e32 v83, v74, v79
	v_fmac_f32_e32 v83, v75, v78
	v_add_f32_e32 v82, v82, v83
	v_mul_f32_e32 v83, v76, v81
	v_fmac_f32_e32 v83, v77, v80
	v_add_f32_e32 v90, v82, v83
	ds_read_b128 v[82:85], v248 offset:608
	v_mul_f32_e32 v3, v59, v63
	v_fma_f32 v3, v58, v62, -v3
	v_add_f32_e32 v2, v2, v3
	v_mul_f32_e32 v3, v61, v65
	;; [unrolled: 36-line block ×5, first 2 shown]
	s_waitcnt lgkmcnt(0)
	v_mul_f32_e32 v163, v154, v159
	v_fmac_f32_e32 v163, v155, v158
	v_add_f32_e32 v162, v162, v163
	v_mul_f32_e32 v163, v156, v161
	v_fmac_f32_e32 v163, v157, v160
	v_add_f32_e32 v170, v162, v163
	ds_read_b128 v[162:165], v248 offset:768
	v_fma_f32 v3, v108, v112, -v3
	v_add_f32_e32 v2, v2, v3
	v_mul_f32_e32 v3, v115, v119
	v_fma_f32 v3, v114, v118, -v3
	s_waitcnt lgkmcnt(0)
	v_mul_f32_e32 v171, v162, v167
	v_fmac_f32_e32 v171, v163, v166
	v_add_f32_e32 v187, v170, v171
	ds_read_b128 v[170:173], v248 offset:784
	scratch_load_dwordx4 v[250:253], off, off offset:368
	scratch_load_dwordx4 v[178:181], off, off offset:384
	;; [unrolled: 1-line block ×3, first 2 shown]
	scratch_load_dwordx2 v[190:191], off, off offset:416
	v_add_f32_e32 v2, v2, v3
	v_mul_f32_e32 v3, v117, v121
	v_fma_f32 v3, v116, v120, -v3
	v_add_f32_e32 v2, v2, v3
	v_mul_f32_e32 v3, v123, v127
	v_fma_f32 v3, v122, v126, -v3
	;; [unrolled: 3-line block ×12, first 2 shown]
	v_add_f32_e32 v186, v2, v3
	v_mul_f32_e32 v2, v165, v169
	v_mul_f32_e32 v255, v164, v169
	v_fma_f32 v254, v164, v168, -v2
	s_waitcnt lgkmcnt(0)
	v_mul_f32_e32 v2, v171, v175
	v_fmac_f32_e32 v255, v165, v168
	v_mul_f32_e32 v189, v170, v175
	v_fma_f32 v188, v170, v174, -v2
	ds_read_b128 v[2:5], v248 offset:800
	ds_read_b128 v[6:9], v248 offset:816
	;; [unrolled: 1-line block ×3, first 2 shown]
	ds_read_b64 v[14:15], v248 offset:848
	v_pk_mul_f32 v[18:19], v[172:173], v[18:19] op_sel:[1,0] op_sel_hi:[0,0]
	v_fmac_f32_e32 v189, v171, v174
	v_pk_add_f32 v[16:17], v[186:187], v[254:255]
	v_pk_fma_f32 v[20:21], v[172:173], v[176:177], v[18:19] neg_lo:[0,0,1] neg_hi:[0,0,1]
	v_pk_fma_f32 v[18:19], v[172:173], v[176:177], v[18:19] op_sel_hi:[1,0,1]
	v_pk_add_f32 v[16:17], v[16:17], v[188:189]
	v_mov_b32_e32 v21, v19
	v_pk_add_f32 v[16:17], v[16:17], v[20:21]
	s_waitcnt vmcnt(3) lgkmcnt(3)
	v_pk_mul_f32 v[18:19], v[2:3], v[250:251] op_sel:[1,1] op_sel_hi:[0,1]
	v_pk_fma_f32 v[20:21], v[2:3], v[250:251], v[18:19] neg_lo:[0,0,1] neg_hi:[0,0,1]
	v_pk_fma_f32 v[2:3], v[2:3], v[250:251], v[18:19] op_sel_hi:[1,0,1]
	s_nop 0
	v_mov_b32_e32 v21, v3
	v_pk_add_f32 v[2:3], v[16:17], v[20:21]
	v_mov_b32_e32 v16, v253
	v_pk_mul_f32 v[16:17], v[4:5], v[16:17] op_sel:[1,0] op_sel_hi:[0,0]
	v_pk_fma_f32 v[18:19], v[4:5], v[252:253], v[16:17] neg_lo:[0,0,1] neg_hi:[0,0,1]
	v_pk_fma_f32 v[4:5], v[4:5], v[252:253], v[16:17] op_sel_hi:[1,0,1]
	s_nop 0
	v_mov_b32_e32 v19, v5
	s_waitcnt vmcnt(2) lgkmcnt(2)
	v_pk_mul_f32 v[4:5], v[6:7], v[178:179] op_sel:[1,1] op_sel_hi:[0,1]
	v_pk_fma_f32 v[16:17], v[6:7], v[178:179], v[4:5] neg_lo:[0,0,1] neg_hi:[0,0,1]
	v_pk_fma_f32 v[4:5], v[6:7], v[178:179], v[4:5] op_sel_hi:[1,0,1]
	v_pk_add_f32 v[2:3], v[2:3], v[18:19]
	v_mov_b32_e32 v4, v181
	v_mov_b32_e32 v17, v5
	v_pk_mul_f32 v[4:5], v[8:9], v[4:5] op_sel:[1,0] op_sel_hi:[0,0]
	v_pk_fma_f32 v[6:7], v[8:9], v[180:181], v[4:5] neg_lo:[0,0,1] neg_hi:[0,0,1]
	v_pk_fma_f32 v[4:5], v[8:9], v[180:181], v[4:5] op_sel_hi:[1,0,1]
	v_pk_add_f32 v[2:3], v[2:3], v[16:17]
	v_mov_b32_e32 v7, v5
	s_waitcnt vmcnt(1) lgkmcnt(1)
	v_pk_mul_f32 v[4:5], v[10:11], v[182:183] op_sel:[1,1] op_sel_hi:[0,1]
	v_pk_add_f32 v[2:3], v[2:3], v[6:7]
	v_pk_fma_f32 v[6:7], v[10:11], v[182:183], v[4:5] neg_lo:[0,0,1] neg_hi:[0,0,1]
	v_pk_fma_f32 v[4:5], v[10:11], v[182:183], v[4:5] op_sel_hi:[1,0,1]
	s_nop 0
	v_mov_b32_e32 v4, v185
	v_mov_b32_e32 v7, v5
	v_pk_mul_f32 v[4:5], v[12:13], v[4:5] op_sel:[1,0] op_sel_hi:[0,0]
	v_pk_add_f32 v[2:3], v[2:3], v[6:7]
	v_pk_fma_f32 v[6:7], v[12:13], v[184:185], v[4:5] neg_lo:[0,0,1] neg_hi:[0,0,1]
	v_pk_fma_f32 v[4:5], v[12:13], v[184:185], v[4:5] op_sel_hi:[1,0,1]
	s_nop 0
	v_mov_b32_e32 v7, v5
	s_waitcnt vmcnt(0) lgkmcnt(0)
	v_pk_mul_f32 v[4:5], v[14:15], v[190:191] op_sel:[1,1] op_sel_hi:[0,1]
	v_pk_add_f32 v[2:3], v[2:3], v[6:7]
	v_pk_fma_f32 v[6:7], v[14:15], v[190:191], v[4:5] neg_lo:[0,0,1] neg_hi:[0,0,1]
	v_pk_fma_f32 v[4:5], v[14:15], v[190:191], v[4:5] op_sel_hi:[1,0,1]
	s_nop 0
	v_mov_b32_e32 v7, v5
	scratch_load_dwordx2 v[4:5], off, off offset:8
	v_pk_add_f32 v[2:3], v[2:3], v[6:7]
	s_waitcnt vmcnt(0)
	v_pk_add_f32 v[2:3], v[4:5], v[2:3] neg_lo:[0,1] neg_hi:[0,1]
	scratch_store_dwordx2 off, v[2:3], off offset:8
	s_and_saveexec_b64 s[0:1], vcc
	s_cbranch_execz .LBB52_331
; %bb.330:
	scratch_load_dwordx2 v[2:3], off, off
	v_mov_b32_e32 v249, v248
	scratch_store_dwordx2 off, v[248:249], off
	s_waitcnt vmcnt(1)
	ds_write_b64 v1, v[2:3]
.LBB52_331:
	s_or_b64 exec, exec, s[0:1]
	s_waitcnt lgkmcnt(0)
	; wave barrier
	scratch_load_dwordx4 v[4:7], off, off offset:8
	scratch_load_dwordx4 v[12:15], off, off offset:24
	;; [unrolled: 1-line block ×10, first 2 shown]
	ds_read2_b64 v[0:3], v248 offset0:55 offset1:56
	scratch_load_dwordx4 v[84:87], off, off offset:168
	scratch_load_dwordx4 v[92:95], off, off offset:184
	;; [unrolled: 1-line block ×12, first 2 shown]
	s_and_b64 vcc, exec, s[18:19]
	s_waitcnt vmcnt(21) lgkmcnt(0)
	v_mul_f32_e32 v8, v0, v5
	v_fmac_f32_e32 v8, v1, v4
	v_mul_f32_e32 v9, v2, v7
	v_add_f32_e32 v8, 0, v8
	v_fmac_f32_e32 v9, v3, v6
	v_add_f32_e32 v16, v8, v9
	ds_read2_b64 v[8:11], v248 offset0:57 offset1:58
	v_mul_f32_e32 v1, v1, v5
	v_fma_f32 v0, v0, v4, -v1
	v_mul_f32_e32 v1, v3, v7
	v_add_f32_e32 v0, 0, v0
	s_waitcnt vmcnt(20) lgkmcnt(0)
	v_mul_f32_e32 v17, v8, v13
	v_fmac_f32_e32 v17, v9, v12
	v_add_f32_e32 v16, v16, v17
	v_mul_f32_e32 v17, v10, v15
	v_fmac_f32_e32 v17, v11, v14
	v_add_f32_e32 v24, v16, v17
	ds_read2_b64 v[16:19], v248 offset0:59 offset1:60
	v_fma_f32 v1, v2, v6, -v1
	v_add_f32_e32 v0, v0, v1
	v_mul_f32_e32 v1, v9, v13
	v_fma_f32 v1, v8, v12, -v1
	s_waitcnt vmcnt(19) lgkmcnt(0)
	v_mul_f32_e32 v25, v16, v21
	v_fmac_f32_e32 v25, v17, v20
	v_add_f32_e32 v24, v24, v25
	v_mul_f32_e32 v25, v18, v23
	v_fmac_f32_e32 v25, v19, v22
	v_add_f32_e32 v32, v24, v25
	ds_read2_b64 v[24:27], v248 offset0:61 offset1:62
	v_add_f32_e32 v0, v0, v1
	v_mul_f32_e32 v1, v11, v15
	v_fma_f32 v1, v10, v14, -v1
	v_add_f32_e32 v0, v0, v1
	s_waitcnt vmcnt(18) lgkmcnt(0)
	v_mul_f32_e32 v33, v24, v29
	v_fmac_f32_e32 v33, v25, v28
	v_add_f32_e32 v32, v32, v33
	v_mul_f32_e32 v33, v26, v31
	v_fmac_f32_e32 v33, v27, v30
	v_add_f32_e32 v40, v32, v33
	ds_read2_b64 v[32:35], v248 offset0:63 offset1:64
	v_mul_f32_e32 v1, v17, v21
	v_fma_f32 v1, v16, v20, -v1
	v_add_f32_e32 v0, v0, v1
	v_mul_f32_e32 v1, v19, v23
	s_waitcnt vmcnt(17) lgkmcnt(0)
	v_mul_f32_e32 v41, v32, v37
	v_fmac_f32_e32 v41, v33, v36
	v_add_f32_e32 v40, v40, v41
	v_mul_f32_e32 v41, v34, v39
	v_fmac_f32_e32 v41, v35, v38
	v_add_f32_e32 v48, v40, v41
	ds_read2_b64 v[40:43], v248 offset0:65 offset1:66
	v_fma_f32 v1, v18, v22, -v1
	v_add_f32_e32 v0, v0, v1
	v_mul_f32_e32 v1, v25, v29
	v_fma_f32 v1, v24, v28, -v1
	s_waitcnt vmcnt(16) lgkmcnt(0)
	v_mul_f32_e32 v49, v40, v45
	v_fmac_f32_e32 v49, v41, v44
	v_add_f32_e32 v48, v48, v49
	v_mul_f32_e32 v49, v42, v47
	v_fmac_f32_e32 v49, v43, v46
	v_add_f32_e32 v56, v48, v49
	ds_read2_b64 v[48:51], v248 offset0:67 offset1:68
	v_add_f32_e32 v0, v0, v1
	v_mul_f32_e32 v1, v27, v31
	v_fma_f32 v1, v26, v30, -v1
	v_add_f32_e32 v0, v0, v1
	s_waitcnt vmcnt(15) lgkmcnt(0)
	v_mul_f32_e32 v57, v48, v53
	v_fmac_f32_e32 v57, v49, v52
	v_add_f32_e32 v56, v56, v57
	v_mul_f32_e32 v57, v50, v55
	v_fmac_f32_e32 v57, v51, v54
	v_add_f32_e32 v64, v56, v57
	ds_read2_b64 v[56:59], v248 offset0:69 offset1:70
	v_mul_f32_e32 v1, v33, v37
	v_fma_f32 v1, v32, v36, -v1
	v_add_f32_e32 v0, v0, v1
	v_mul_f32_e32 v1, v35, v39
	;; [unrolled: 36-line block ×6, first 2 shown]
	s_waitcnt vmcnt(2) lgkmcnt(0)
	v_mul_f32_e32 v161, v152, v157
	v_fmac_f32_e32 v161, v153, v156
	v_add_f32_e32 v160, v160, v161
	v_mul_f32_e32 v161, v154, v159
	v_fmac_f32_e32 v161, v155, v158
	v_add_f32_e32 v168, v160, v161
	ds_read2_b64 v[160:163], v248 offset0:95 offset1:96
	v_fma_f32 v1, v98, v102, -v1
	v_add_f32_e32 v0, v0, v1
	v_mul_f32_e32 v1, v105, v109
	v_fma_f32 v1, v104, v108, -v1
	s_waitcnt vmcnt(1) lgkmcnt(0)
	v_mul_f32_e32 v169, v160, v165
	v_fmac_f32_e32 v169, v161, v164
	v_add_f32_e32 v168, v168, v169
	v_mul_f32_e32 v169, v162, v167
	v_fmac_f32_e32 v169, v163, v166
	v_add_f32_e32 v189, v168, v169
	ds_read2_b64 v[168:171], v248 offset0:97 offset1:98
	scratch_load_dwordx4 v[176:179], off, off offset:360
	scratch_load_dwordx4 v[180:183], off, off offset:376
	;; [unrolled: 1-line block ×4, first 2 shown]
	v_add_f32_e32 v0, v0, v1
	v_mul_f32_e32 v1, v107, v111
	v_fma_f32 v1, v106, v110, -v1
	v_add_f32_e32 v0, v0, v1
	v_mul_f32_e32 v1, v113, v117
	v_fma_f32 v1, v112, v116, -v1
	;; [unrolled: 3-line block ×15, first 2 shown]
	v_add_f32_e32 v188, v0, v1
	s_waitcnt vmcnt(4) lgkmcnt(0)
	v_mul_f32_e32 v0, v169, v173
	v_fma_f32 v190, v168, v172, -v0
	v_mul_f32_e32 v0, v171, v175
	v_fma_f32 v254, v170, v174, -v0
	ds_read2_b64 v[0:3], v248 offset0:99 offset1:100
	ds_read2_b64 v[4:7], v248 offset0:101 offset1:102
	;; [unrolled: 1-line block ×4, first 2 shown]
	v_mul_f32_e32 v191, v168, v173
	v_fmac_f32_e32 v191, v169, v172
	v_mul_f32_e32 v255, v170, v175
	v_fmac_f32_e32 v255, v171, v174
	v_pk_add_f32 v[16:17], v[188:189], v[190:191]
	s_waitcnt vmcnt(3) lgkmcnt(3)
	v_pk_mul_f32 v[18:19], v[0:1], v[176:177] op_sel:[1,1] op_sel_hi:[0,1]
	v_pk_fma_f32 v[20:21], v[0:1], v[176:177], v[18:19] neg_lo:[0,0,1] neg_hi:[0,0,1]
	v_pk_fma_f32 v[0:1], v[0:1], v[176:177], v[18:19] op_sel_hi:[1,0,1]
	v_pk_add_f32 v[16:17], v[16:17], v[254:255]
	v_mov_b32_e32 v21, v1
	v_pk_add_f32 v[0:1], v[16:17], v[20:21]
	v_mov_b32_e32 v16, v179
	v_pk_mul_f32 v[16:17], v[2:3], v[16:17] op_sel:[1,0] op_sel_hi:[0,0]
	v_pk_fma_f32 v[18:19], v[2:3], v[178:179], v[16:17] neg_lo:[0,0,1] neg_hi:[0,0,1]
	v_pk_fma_f32 v[2:3], v[2:3], v[178:179], v[16:17] op_sel_hi:[1,0,1]
	s_nop 0
	v_mov_b32_e32 v19, v3
	s_waitcnt vmcnt(2) lgkmcnt(2)
	v_pk_mul_f32 v[2:3], v[4:5], v[180:181] op_sel:[1,1] op_sel_hi:[0,1]
	v_pk_fma_f32 v[16:17], v[4:5], v[180:181], v[2:3] neg_lo:[0,0,1] neg_hi:[0,0,1]
	v_pk_fma_f32 v[2:3], v[4:5], v[180:181], v[2:3] op_sel_hi:[1,0,1]
	v_pk_add_f32 v[0:1], v[0:1], v[18:19]
	v_mov_b32_e32 v2, v183
	v_mov_b32_e32 v17, v3
	v_pk_mul_f32 v[2:3], v[6:7], v[2:3] op_sel:[1,0] op_sel_hi:[0,0]
	v_pk_fma_f32 v[4:5], v[6:7], v[182:183], v[2:3] neg_lo:[0,0,1] neg_hi:[0,0,1]
	v_pk_fma_f32 v[2:3], v[6:7], v[182:183], v[2:3] op_sel_hi:[1,0,1]
	v_pk_add_f32 v[0:1], v[0:1], v[16:17]
	v_mov_b32_e32 v5, v3
	s_waitcnt vmcnt(1) lgkmcnt(1)
	v_pk_mul_f32 v[2:3], v[8:9], v[250:251] op_sel:[1,1] op_sel_hi:[0,1]
	v_pk_add_f32 v[0:1], v[0:1], v[4:5]
	v_pk_fma_f32 v[4:5], v[8:9], v[250:251], v[2:3] neg_lo:[0,0,1] neg_hi:[0,0,1]
	v_pk_fma_f32 v[2:3], v[8:9], v[250:251], v[2:3] op_sel_hi:[1,0,1]
	s_nop 0
	v_mov_b32_e32 v2, v253
	v_mov_b32_e32 v5, v3
	v_pk_mul_f32 v[2:3], v[10:11], v[2:3] op_sel:[1,0] op_sel_hi:[0,0]
	v_pk_add_f32 v[0:1], v[0:1], v[4:5]
	v_pk_fma_f32 v[4:5], v[10:11], v[252:253], v[2:3] neg_lo:[0,0,1] neg_hi:[0,0,1]
	v_pk_fma_f32 v[2:3], v[10:11], v[252:253], v[2:3] op_sel_hi:[1,0,1]
	s_nop 0
	v_mov_b32_e32 v5, v3
	s_waitcnt vmcnt(0) lgkmcnt(0)
	v_pk_mul_f32 v[2:3], v[12:13], v[184:185] op_sel:[1,1] op_sel_hi:[0,1]
	v_pk_add_f32 v[0:1], v[0:1], v[4:5]
	v_pk_fma_f32 v[4:5], v[12:13], v[184:185], v[2:3] neg_lo:[0,0,1] neg_hi:[0,0,1]
	v_pk_fma_f32 v[2:3], v[12:13], v[184:185], v[2:3] op_sel_hi:[1,0,1]
	s_nop 0
	v_mov_b32_e32 v2, v187
	v_mov_b32_e32 v5, v3
	v_pk_mul_f32 v[2:3], v[14:15], v[2:3] op_sel:[1,0] op_sel_hi:[0,0]
	v_pk_add_f32 v[0:1], v[0:1], v[4:5]
	v_pk_fma_f32 v[4:5], v[14:15], v[186:187], v[2:3] neg_lo:[0,0,1] neg_hi:[0,0,1]
	v_pk_fma_f32 v[2:3], v[14:15], v[186:187], v[2:3] op_sel_hi:[1,0,1]
	s_nop 0
	v_mov_b32_e32 v5, v3
	scratch_load_dwordx2 v[2:3], off, off
	v_pk_add_f32 v[0:1], v[0:1], v[4:5]
	s_waitcnt vmcnt(0)
	v_pk_add_f32 v[0:1], v[2:3], v[0:1] neg_lo:[0,1] neg_hi:[0,1]
	scratch_store_dwordx2 off, v[0:1], off
	s_cbranch_vccz .LBB52_436
; %bb.332:
	v_mov_b32_e32 v0, 0
	global_load_dword v1, v0, s[16:17] offset:204
	s_waitcnt vmcnt(0)
	v_readfirstlane_b32 s0, v1
	s_add_i32 s0, s0, -1
	s_cmp_lg_u32 s0, 51
	s_cbranch_scc0 .LBB52_334
; %bb.333:
	s_lshl_b32 s0, s0, 3
	s_nop 0
	scratch_load_dwordx2 v[2:3], off, s0
	scratch_load_dwordx2 v[4:5], off, off offset:408
	s_waitcnt vmcnt(1)
	scratch_store_dwordx2 off, v[2:3], off offset:408
	s_waitcnt vmcnt(1)
	scratch_store_dwordx2 off, v[4:5], s0
.LBB52_334:
	global_load_dword v0, v0, s[16:17] offset:200
	s_waitcnt vmcnt(0)
	v_readfirstlane_b32 s0, v0
	s_add_i32 s0, s0, -1
	s_cmp_eq_u32 s0, 50
	s_cbranch_scc1 .LBB52_336
; %bb.335:
	s_lshl_b32 s0, s0, 3
	s_nop 0
	scratch_load_dwordx2 v[0:1], off, s0
	scratch_load_dwordx2 v[2:3], off, off offset:400
	s_waitcnt vmcnt(1)
	scratch_store_dwordx2 off, v[0:1], off offset:400
	s_waitcnt vmcnt(1)
	scratch_store_dwordx2 off, v[2:3], s0
.LBB52_336:
	v_mov_b32_e32 v0, 0
	global_load_dword v1, v0, s[16:17] offset:196
	s_waitcnt vmcnt(0)
	v_readfirstlane_b32 s0, v1
	s_add_i32 s0, s0, -1
	s_cmp_eq_u32 s0, 49
	s_cbranch_scc1 .LBB52_338
; %bb.337:
	s_lshl_b32 s0, s0, 3
	s_nop 0
	scratch_load_dwordx2 v[2:3], off, s0
	scratch_load_dwordx2 v[4:5], off, off offset:392
	s_waitcnt vmcnt(1)
	scratch_store_dwordx2 off, v[2:3], off offset:392
	s_waitcnt vmcnt(1)
	scratch_store_dwordx2 off, v[4:5], s0
.LBB52_338:
	global_load_dword v0, v0, s[16:17] offset:192
	s_waitcnt vmcnt(0)
	v_readfirstlane_b32 s0, v0
	s_add_i32 s0, s0, -1
	s_cmp_eq_u32 s0, 48
	s_cbranch_scc1 .LBB52_340
; %bb.339:
	s_lshl_b32 s0, s0, 3
	s_nop 0
	scratch_load_dwordx2 v[0:1], off, s0
	scratch_load_dwordx2 v[2:3], off, off offset:384
	s_waitcnt vmcnt(1)
	scratch_store_dwordx2 off, v[0:1], off offset:384
	s_waitcnt vmcnt(1)
	scratch_store_dwordx2 off, v[2:3], s0
.LBB52_340:
	v_mov_b32_e32 v0, 0
	global_load_dword v1, v0, s[16:17] offset:188
	s_waitcnt vmcnt(0)
	v_readfirstlane_b32 s0, v1
	s_add_i32 s0, s0, -1
	s_cmp_eq_u32 s0, 47
	s_cbranch_scc1 .LBB52_342
; %bb.341:
	s_lshl_b32 s0, s0, 3
	s_nop 0
	scratch_load_dwordx2 v[2:3], off, s0
	scratch_load_dwordx2 v[4:5], off, off offset:376
	s_waitcnt vmcnt(1)
	scratch_store_dwordx2 off, v[2:3], off offset:376
	s_waitcnt vmcnt(1)
	scratch_store_dwordx2 off, v[4:5], s0
.LBB52_342:
	;; [unrolled: 33-line block ×25, first 2 shown]
	global_load_dword v2, v0, s[16:17]
	s_nop 0
	scratch_load_dwordx2 v[0:1], off, off
	s_waitcnt vmcnt(1)
	v_readfirstlane_b32 s0, v2
	s_add_i32 s0, s0, -1
	s_cmp_eq_u32 s0, 0
	s_cbranch_scc1 .LBB52_436
; %bb.435:
	s_lshl_b32 s0, s0, 3
	s_nop 0
	scratch_load_dwordx2 v[2:3], off, s0
	s_waitcnt vmcnt(0)
	scratch_store_dwordx2 off, v[2:3], off
	scratch_store_dwordx2 off, v[0:1], s0
	scratch_load_dwordx2 v[0:1], off, off
.LBB52_436:
	s_nop 0
	scratch_load_dwordx4 v[2:5], off, off offset:8
	scratch_load_dwordx4 v[6:9], off, off offset:24
	;; [unrolled: 1-line block ×26, first 2 shown]
	v_accvgpr_read_b32 v107, a1
	v_accvgpr_read_b32 v106, a0
	s_waitcnt vmcnt(26)
	global_store_dwordx2 v[106:107], v[0:1], off
	v_accvgpr_read_b32 v0, a2
	v_accvgpr_read_b32 v1, a3
	s_waitcnt vmcnt(26)
	global_store_dwordx2 v[0:1], v[2:3], off
	v_accvgpr_read_b32 v0, a4
	v_accvgpr_read_b32 v1, a5
	global_store_dwordx2 v[0:1], v[4:5], off
	v_accvgpr_read_b32 v0, a6
	v_accvgpr_read_b32 v1, a7
	s_waitcnt vmcnt(27)
	global_store_dwordx2 v[0:1], v[6:7], off
	v_accvgpr_read_b32 v0, a8
	v_accvgpr_read_b32 v1, a9
	global_store_dwordx2 v[0:1], v[8:9], off
	v_accvgpr_read_b32 v0, a10
	v_accvgpr_read_b32 v1, a11
	s_waitcnt vmcnt(28)
	global_store_dwordx2 v[0:1], v[10:11], off
	v_accvgpr_read_b32 v0, a12
	v_accvgpr_read_b32 v1, a13
	global_store_dwordx2 v[0:1], v[12:13], off
	v_accvgpr_read_b32 v0, a14
	v_accvgpr_read_b32 v1, a15
	s_waitcnt vmcnt(29)
	global_store_dwordx2 v[0:1], v[14:15], off
	v_accvgpr_read_b32 v0, a16
	v_accvgpr_read_b32 v1, a17
	global_store_dwordx2 v[0:1], v[16:17], off
	v_accvgpr_read_b32 v0, a18
	v_accvgpr_read_b32 v1, a19
	s_waitcnt vmcnt(30)
	global_store_dwordx2 v[0:1], v[18:19], off
	v_accvgpr_read_b32 v0, a20
	v_accvgpr_read_b32 v1, a21
	global_store_dwordx2 v[0:1], v[20:21], off
	v_accvgpr_read_b32 v0, a22
	v_accvgpr_read_b32 v1, a23
	s_waitcnt vmcnt(31)
	global_store_dwordx2 v[0:1], v[22:23], off
	v_accvgpr_read_b32 v0, a24
	v_accvgpr_read_b32 v1, a25
	global_store_dwordx2 v[0:1], v[24:25], off
	v_accvgpr_read_b32 v0, a26
	v_accvgpr_read_b32 v1, a27
	s_waitcnt vmcnt(32)
	global_store_dwordx2 v[0:1], v[26:27], off
	v_accvgpr_read_b32 v0, a28
	v_accvgpr_read_b32 v1, a29
	global_store_dwordx2 v[0:1], v[28:29], off
	v_accvgpr_read_b32 v0, a30
	v_accvgpr_read_b32 v1, a31
	s_waitcnt vmcnt(33)
	global_store_dwordx2 v[0:1], v[30:31], off
	v_accvgpr_read_b32 v0, a32
	v_accvgpr_read_b32 v1, a33
	global_store_dwordx2 v[0:1], v[32:33], off
	v_accvgpr_read_b32 v0, a34
	v_accvgpr_read_b32 v1, a35
	s_waitcnt vmcnt(34)
	global_store_dwordx2 v[0:1], v[34:35], off
	v_accvgpr_read_b32 v0, a36
	v_accvgpr_read_b32 v1, a37
	global_store_dwordx2 v[0:1], v[36:37], off
	v_accvgpr_read_b32 v0, a38
	v_accvgpr_read_b32 v1, a39
	s_waitcnt vmcnt(35)
	global_store_dwordx2 v[0:1], v[38:39], off
	v_accvgpr_read_b32 v0, a40
	v_accvgpr_read_b32 v1, a41
	global_store_dwordx2 v[0:1], v[40:41], off
	v_accvgpr_read_b32 v0, a42
	v_accvgpr_read_b32 v1, a43
	s_waitcnt vmcnt(36)
	global_store_dwordx2 v[0:1], v[42:43], off
	v_accvgpr_read_b32 v0, a44
	v_accvgpr_read_b32 v1, a45
	global_store_dwordx2 v[0:1], v[44:45], off
	v_accvgpr_read_b32 v0, a46
	v_accvgpr_read_b32 v1, a47
	s_waitcnt vmcnt(37)
	global_store_dwordx2 v[0:1], v[46:47], off
	v_accvgpr_read_b32 v0, a48
	v_accvgpr_read_b32 v1, a49
	global_store_dwordx2 v[0:1], v[48:49], off
	s_waitcnt vmcnt(38)
	global_store_dwordx2 v[192:193], v[50:51], off
	global_store_dwordx2 v[194:195], v[52:53], off
	s_waitcnt vmcnt(39)
	global_store_dwordx2 v[196:197], v[54:55], off
	global_store_dwordx2 v[198:199], v[56:57], off
	s_waitcnt vmcnt(40)
	global_store_dwordx2 v[200:201], v[58:59], off
	global_store_dwordx2 v[202:203], v[60:61], off
	s_waitcnt vmcnt(41)
	global_store_dwordx2 v[204:205], v[62:63], off
	global_store_dwordx2 v[206:207], v[64:65], off
	s_waitcnt vmcnt(42)
	global_store_dwordx2 v[208:209], v[66:67], off
	global_store_dwordx2 v[210:211], v[68:69], off
	s_waitcnt vmcnt(43)
	global_store_dwordx2 v[212:213], v[70:71], off
	global_store_dwordx2 v[214:215], v[72:73], off
	s_waitcnt vmcnt(44)
	global_store_dwordx2 v[216:217], v[74:75], off
	global_store_dwordx2 v[218:219], v[76:77], off
	s_waitcnt vmcnt(45)
	global_store_dwordx2 v[220:221], v[78:79], off
	global_store_dwordx2 v[222:223], v[80:81], off
	s_waitcnt vmcnt(46)
	global_store_dwordx2 v[224:225], v[82:83], off
	global_store_dwordx2 v[226:227], v[84:85], off
	s_waitcnt vmcnt(47)
	global_store_dwordx2 v[228:229], v[86:87], off
	global_store_dwordx2 v[230:231], v[88:89], off
	s_waitcnt vmcnt(48)
	global_store_dwordx2 v[232:233], v[90:91], off
	global_store_dwordx2 v[234:235], v[92:93], off
	s_waitcnt vmcnt(49)
	global_store_dwordx2 v[236:237], v[94:95], off
	global_store_dwordx2 v[238:239], v[96:97], off
	s_waitcnt vmcnt(50)
	global_store_dwordx2 v[240:241], v[98:99], off
	global_store_dwordx2 v[242:243], v[100:101], off
	s_waitcnt vmcnt(51)
	global_store_dwordx2 v[244:245], v[102:103], off
	global_store_dwordx2 v[246:247], v[104:105], off
	s_endpgm
	.section	.rodata,"a",@progbits
	.p2align	6, 0x0
	.amdhsa_kernel _ZN9rocsolver6v33100L18getri_kernel_smallILi53E19rocblas_complex_numIfEPS3_EEvT1_iilPiilS6_bb
		.amdhsa_group_segment_fixed_size 856
		.amdhsa_private_segment_fixed_size 432
		.amdhsa_kernarg_size 60
		.amdhsa_user_sgpr_count 2
		.amdhsa_user_sgpr_dispatch_ptr 0
		.amdhsa_user_sgpr_queue_ptr 0
		.amdhsa_user_sgpr_kernarg_segment_ptr 1
		.amdhsa_user_sgpr_dispatch_id 0
		.amdhsa_user_sgpr_kernarg_preload_length 0
		.amdhsa_user_sgpr_kernarg_preload_offset 0
		.amdhsa_user_sgpr_private_segment_size 0
		.amdhsa_uses_dynamic_stack 0
		.amdhsa_enable_private_segment 1
		.amdhsa_system_sgpr_workgroup_id_x 1
		.amdhsa_system_sgpr_workgroup_id_y 0
		.amdhsa_system_sgpr_workgroup_id_z 0
		.amdhsa_system_sgpr_workgroup_info 0
		.amdhsa_system_vgpr_workitem_id 0
		.amdhsa_next_free_vgpr 306
		.amdhsa_next_free_sgpr 20
		.amdhsa_accum_offset 256
		.amdhsa_reserve_vcc 1
		.amdhsa_float_round_mode_32 0
		.amdhsa_float_round_mode_16_64 0
		.amdhsa_float_denorm_mode_32 3
		.amdhsa_float_denorm_mode_16_64 3
		.amdhsa_dx10_clamp 1
		.amdhsa_ieee_mode 1
		.amdhsa_fp16_overflow 0
		.amdhsa_tg_split 0
		.amdhsa_exception_fp_ieee_invalid_op 0
		.amdhsa_exception_fp_denorm_src 0
		.amdhsa_exception_fp_ieee_div_zero 0
		.amdhsa_exception_fp_ieee_overflow 0
		.amdhsa_exception_fp_ieee_underflow 0
		.amdhsa_exception_fp_ieee_inexact 0
		.amdhsa_exception_int_div_zero 0
	.end_amdhsa_kernel
	.section	.text._ZN9rocsolver6v33100L18getri_kernel_smallILi53E19rocblas_complex_numIfEPS3_EEvT1_iilPiilS6_bb,"axG",@progbits,_ZN9rocsolver6v33100L18getri_kernel_smallILi53E19rocblas_complex_numIfEPS3_EEvT1_iilPiilS6_bb,comdat
.Lfunc_end52:
	.size	_ZN9rocsolver6v33100L18getri_kernel_smallILi53E19rocblas_complex_numIfEPS3_EEvT1_iilPiilS6_bb, .Lfunc_end52-_ZN9rocsolver6v33100L18getri_kernel_smallILi53E19rocblas_complex_numIfEPS3_EEvT1_iilPiilS6_bb
                                        ; -- End function
	.set _ZN9rocsolver6v33100L18getri_kernel_smallILi53E19rocblas_complex_numIfEPS3_EEvT1_iilPiilS6_bb.num_vgpr, 256
	.set _ZN9rocsolver6v33100L18getri_kernel_smallILi53E19rocblas_complex_numIfEPS3_EEvT1_iilPiilS6_bb.num_agpr, 50
	.set _ZN9rocsolver6v33100L18getri_kernel_smallILi53E19rocblas_complex_numIfEPS3_EEvT1_iilPiilS6_bb.numbered_sgpr, 20
	.set _ZN9rocsolver6v33100L18getri_kernel_smallILi53E19rocblas_complex_numIfEPS3_EEvT1_iilPiilS6_bb.num_named_barrier, 0
	.set _ZN9rocsolver6v33100L18getri_kernel_smallILi53E19rocblas_complex_numIfEPS3_EEvT1_iilPiilS6_bb.private_seg_size, 432
	.set _ZN9rocsolver6v33100L18getri_kernel_smallILi53E19rocblas_complex_numIfEPS3_EEvT1_iilPiilS6_bb.uses_vcc, 1
	.set _ZN9rocsolver6v33100L18getri_kernel_smallILi53E19rocblas_complex_numIfEPS3_EEvT1_iilPiilS6_bb.uses_flat_scratch, 0
	.set _ZN9rocsolver6v33100L18getri_kernel_smallILi53E19rocblas_complex_numIfEPS3_EEvT1_iilPiilS6_bb.has_dyn_sized_stack, 0
	.set _ZN9rocsolver6v33100L18getri_kernel_smallILi53E19rocblas_complex_numIfEPS3_EEvT1_iilPiilS6_bb.has_recursion, 0
	.set _ZN9rocsolver6v33100L18getri_kernel_smallILi53E19rocblas_complex_numIfEPS3_EEvT1_iilPiilS6_bb.has_indirect_call, 0
	.section	.AMDGPU.csdata,"",@progbits
; Kernel info:
; codeLenInByte = 81052
; TotalNumSgprs: 26
; NumVgprs: 256
; NumAgprs: 50
; TotalNumVgprs: 306
; ScratchSize: 432
; MemoryBound: 0
; FloatMode: 240
; IeeeMode: 1
; LDSByteSize: 856 bytes/workgroup (compile time only)
; SGPRBlocks: 3
; VGPRBlocks: 38
; NumSGPRsForWavesPerEU: 26
; NumVGPRsForWavesPerEU: 306
; AccumOffset: 256
; Occupancy: 1
; WaveLimiterHint : 1
; COMPUTE_PGM_RSRC2:SCRATCH_EN: 1
; COMPUTE_PGM_RSRC2:USER_SGPR: 2
; COMPUTE_PGM_RSRC2:TRAP_HANDLER: 0
; COMPUTE_PGM_RSRC2:TGID_X_EN: 1
; COMPUTE_PGM_RSRC2:TGID_Y_EN: 0
; COMPUTE_PGM_RSRC2:TGID_Z_EN: 0
; COMPUTE_PGM_RSRC2:TIDIG_COMP_CNT: 0
; COMPUTE_PGM_RSRC3_GFX90A:ACCUM_OFFSET: 63
; COMPUTE_PGM_RSRC3_GFX90A:TG_SPLIT: 0
	.section	.text._ZN9rocsolver6v33100L18getri_kernel_smallILi54E19rocblas_complex_numIfEPS3_EEvT1_iilPiilS6_bb,"axG",@progbits,_ZN9rocsolver6v33100L18getri_kernel_smallILi54E19rocblas_complex_numIfEPS3_EEvT1_iilPiilS6_bb,comdat
	.globl	_ZN9rocsolver6v33100L18getri_kernel_smallILi54E19rocblas_complex_numIfEPS3_EEvT1_iilPiilS6_bb ; -- Begin function _ZN9rocsolver6v33100L18getri_kernel_smallILi54E19rocblas_complex_numIfEPS3_EEvT1_iilPiilS6_bb
	.p2align	8
	.type	_ZN9rocsolver6v33100L18getri_kernel_smallILi54E19rocblas_complex_numIfEPS3_EEvT1_iilPiilS6_bb,@function
_ZN9rocsolver6v33100L18getri_kernel_smallILi54E19rocblas_complex_numIfEPS3_EEvT1_iilPiilS6_bb: ; @_ZN9rocsolver6v33100L18getri_kernel_smallILi54E19rocblas_complex_numIfEPS3_EEvT1_iilPiilS6_bb
; %bb.0:
	v_cmp_gt_u32_e32 vcc, 54, v0
	s_and_saveexec_b64 s[4:5], vcc
	s_cbranch_execz .LBB53_230
; %bb.1:
	s_load_dword s8, s[0:1], 0x38
	s_load_dwordx4 s[12:15], s[0:1], 0x10
	s_load_dwordx4 s[4:7], s[0:1], 0x28
                                        ; implicit-def: $sgpr16_sgpr17
	s_waitcnt lgkmcnt(0)
	s_bitcmp1_b32 s8, 8
	s_cselect_b64 s[18:19], -1, 0
	s_ashr_i32 s3, s2, 31
	s_bfe_u32 s8, s8, 0x10008
	s_cmp_eq_u32 s8, 0
	s_cbranch_scc1 .LBB53_3
; %bb.2:
	s_load_dword s8, s[0:1], 0x20
	s_mul_i32 s9, s4, s3
	s_mul_hi_u32 s10, s4, s2
	s_mul_i32 s5, s5, s2
	s_add_i32 s10, s10, s9
	s_add_i32 s5, s10, s5
	s_mul_i32 s4, s4, s2
	s_waitcnt lgkmcnt(0)
	s_ashr_i32 s9, s8, 31
	s_lshl_b64 s[4:5], s[4:5], 2
	s_add_u32 s10, s14, s4
	s_addc_u32 s11, s15, s5
	s_lshl_b64 s[4:5], s[8:9], 2
	s_add_u32 s16, s10, s4
	s_addc_u32 s17, s11, s5
.LBB53_3:
	s_load_dwordx4 s[8:11], s[0:1], 0x0
	s_load_dword s4, s[0:1], 0x38
	s_mul_i32 s5, s12, s3
	s_mul_hi_u32 s14, s12, s2
	s_add_i32 s5, s14, s5
	s_waitcnt lgkmcnt(0)
	s_ashr_i32 s1, s10, 31
	s_mov_b32 s0, s10
	s_mul_i32 s10, s13, s2
	s_add_i32 s13, s5, s10
	s_mul_i32 s12, s12, s2
	s_lshl_b64 s[12:13], s[12:13], 3
	s_add_u32 s5, s8, s12
	s_addc_u32 s8, s9, s13
	s_lshl_b64 s[0:1], s[0:1], 3
	s_add_u32 s0, s5, s0
	s_addc_u32 s1, s8, s1
	v_lshlrev_b32_e32 v2, 3, v0
	v_mov_b32_e32 v3, 0
	v_lshl_add_u64 v[6:7], s[0:1], 0, v[2:3]
	s_ashr_i32 s9, s11, 31
	s_mov_b32 s8, s11
	v_accvgpr_write_b32 a0, v6
	s_add_i32 s5, s11, s11
	v_accvgpr_write_b32 a1, v7
	v_lshl_add_u64 v[8:9], s[8:9], 3, v[6:7]
	v_add_u32_e32 v6, s5, v0
	v_ashrrev_i32_e32 v7, 31, v6
	v_lshl_add_u64 v[10:11], v[6:7], 3, s[0:1]
	v_add_u32_e32 v6, s11, v6
	v_add_u32_e32 v14, s11, v6
	v_ashrrev_i32_e32 v15, 31, v14
	v_lshl_add_u64 v[16:17], v[14:15], 3, s[0:1]
	v_add_u32_e32 v14, s11, v14
	v_ashrrev_i32_e32 v15, 31, v14
	v_ashrrev_i32_e32 v7, 31, v6
	v_lshl_add_u64 v[18:19], v[14:15], 3, s[0:1]
	v_add_u32_e32 v14, s11, v14
	v_lshl_add_u64 v[12:13], v[6:7], 3, s[0:1]
	v_ashrrev_i32_e32 v15, 31, v14
	v_accvgpr_write_b32 a2, v8
	v_accvgpr_write_b32 a4, v10
	;; [unrolled: 1-line block ×4, first 2 shown]
	v_lshl_add_u64 v[20:21], v[14:15], 3, s[0:1]
	v_add_u32_e32 v14, s11, v14
	global_load_dwordx2 v[4:5], v2, s[0:1]
	global_load_dwordx2 v[6:7], v[8:9], off
	v_accvgpr_write_b32 a3, v9
	v_accvgpr_write_b32 a5, v11
	global_load_dwordx2 v[8:9], v[10:11], off
	v_accvgpr_write_b32 a7, v13
	global_load_dwordx2 v[10:11], v[12:13], off
	;; [unrolled: 2-line block ×3, first 2 shown]
	v_add_u32_e32 v16, s11, v14
	v_ashrrev_i32_e32 v15, 31, v14
	v_ashrrev_i32_e32 v17, 31, v16
	v_lshl_add_u64 v[22:23], v[14:15], 3, s[0:1]
	v_lshl_add_u64 v[24:25], v[16:17], 3, s[0:1]
	v_add_u32_e32 v16, s11, v16
	v_accvgpr_write_b32 a10, v18
	v_accvgpr_write_b32 a12, v20
	;; [unrolled: 1-line block ×4, first 2 shown]
	v_ashrrev_i32_e32 v17, 31, v16
	v_accvgpr_write_b32 a11, v19
	global_load_dwordx2 v[14:15], v[18:19], off
	v_accvgpr_write_b32 a13, v21
	global_load_dwordx2 v[18:19], v[20:21], off
	;; [unrolled: 2-line block ×4, first 2 shown]
	v_lshl_add_u64 v[24:25], v[16:17], 3, s[0:1]
	v_add_u32_e32 v16, s11, v16
	v_ashrrev_i32_e32 v17, 31, v16
	v_lshl_add_u64 v[26:27], v[16:17], 3, s[0:1]
	v_add_u32_e32 v16, s11, v16
	v_ashrrev_i32_e32 v17, 31, v16
	;; [unrolled: 3-line block ×42, first 2 shown]
	v_lshl_add_u64 v[250:251], v[16:17], 3, s[0:1]
	v_add_u32_e32 v16, s11, v16
	v_accvgpr_write_b32 a18, v24
	v_accvgpr_write_b32 a20, v26
	;; [unrolled: 1-line block ×20, first 2 shown]
	v_ashrrev_i32_e32 v17, 31, v16
	v_accvgpr_write_b32 a19, v25
	global_load_dwordx2 v[24:25], v[24:25], off
	v_accvgpr_write_b32 a21, v27
	global_load_dwordx2 v[26:27], v[26:27], off
	;; [unrolled: 2-line block ×20, first 2 shown]
	s_nop 0
	global_load_dwordx2 v[64:65], v[206:207], off
	global_load_dwordx2 v[66:67], v[208:209], off
	;; [unrolled: 1-line block ×20, first 2 shown]
	v_lshl_add_u64 v[252:253], v[16:17], 3, s[0:1]
	global_load_dwordx2 v[104:105], v[246:247], off
	global_load_dwordx2 v[106:107], v[248:249], off
	;; [unrolled: 1-line block ×4, first 2 shown]
	v_add_u32_e32 v16, s11, v16
	v_ashrrev_i32_e32 v17, 31, v16
	v_lshl_add_u64 v[254:255], v[16:17], 3, s[0:1]
	global_load_dwordx2 v[112:113], v[254:255], off
	s_bitcmp0_b32 s4, 0
	s_mov_b64 s[4:5], -1
	s_waitcnt vmcnt(52)
	scratch_store_dwordx4 off, v[4:7], off
	s_waitcnt vmcnt(51)
	scratch_store_dwordx4 off, v[8:11], off offset:16
	s_waitcnt vmcnt(50)
	scratch_store_dwordx4 off, v[12:15], off offset:32
	;; [unrolled: 2-line block ×26, first 2 shown]
	s_cbranch_scc1 .LBB53_228
; %bb.4:
	v_cmp_eq_u32_e64 s[0:1], 0, v0
	s_and_saveexec_b64 s[4:5], s[0:1]
; %bb.5:
	v_mov_b32_e32 v1, 0
	ds_write_b32 v1, v1 offset:864
; %bb.6:
	s_or_b64 exec, exec, s[4:5]
	s_waitcnt lgkmcnt(0)
	; wave barrier
	scratch_load_dwordx2 v[4:5], v2, off
	s_waitcnt vmcnt(0)
	v_cmp_eq_f32_e32 vcc, 0, v4
	v_cmp_eq_f32_e64 s[4:5], 0, v5
	s_and_b64 s[4:5], vcc, s[4:5]
	s_and_saveexec_b64 s[8:9], s[4:5]
	s_cbranch_execz .LBB53_10
; %bb.7:
	v_mov_b32_e32 v1, 0
	ds_read_b32 v4, v1 offset:864
	v_add_u32_e32 v3, 1, v0
	s_waitcnt lgkmcnt(0)
	v_readfirstlane_b32 s4, v4
	s_cmp_eq_u32 s4, 0
	s_cselect_b64 s[10:11], -1, 0
	v_cmp_gt_i32_e32 vcc, s4, v3
	s_or_b64 s[10:11], s[10:11], vcc
	s_and_b64 exec, exec, s[10:11]
	s_cbranch_execz .LBB53_10
; %bb.8:
	s_mov_b64 s[10:11], 0
	v_mov_b32_e32 v4, s4
.LBB53_9:                               ; =>This Inner Loop Header: Depth=1
	ds_cmpst_rtn_b32 v4, v1, v4, v3 offset:864
	s_waitcnt lgkmcnt(0)
	v_cmp_ne_u32_e32 vcc, 0, v4
	v_cmp_le_i32_e64 s[4:5], v4, v3
	s_and_b64 s[4:5], vcc, s[4:5]
	s_and_b64 s[4:5], exec, s[4:5]
	s_or_b64 s[10:11], s[4:5], s[10:11]
	s_andn2_b64 exec, exec, s[10:11]
	s_cbranch_execnz .LBB53_9
.LBB53_10:
	s_or_b64 exec, exec, s[8:9]
	v_mov_b32_e32 v3, 0
	; wave barrier
	ds_read_b32 v1, v3 offset:864
	s_and_saveexec_b64 s[4:5], s[0:1]
	s_cbranch_execz .LBB53_12
; %bb.11:
	s_lshl_b64 s[8:9], s[2:3], 2
	s_add_u32 s8, s6, s8
	s_addc_u32 s9, s7, s9
	s_waitcnt lgkmcnt(0)
	global_store_dword v3, v1, s[8:9]
.LBB53_12:
	s_or_b64 exec, exec, s[4:5]
	s_waitcnt lgkmcnt(0)
	v_cmp_ne_u32_e32 vcc, 0, v1
	s_mov_b64 s[4:5], 0
	s_cbranch_vccnz .LBB53_228
; %bb.13:
	v_mov_b32_e32 v3, v2
	scratch_load_dwordx2 v[4:5], v3, off
                                        ; implicit-def: $vgpr7
                                        ; implicit-def: $vgpr8
	s_waitcnt vmcnt(0)
	v_cmp_ngt_f32_e64 s[4:5], |v4|, |v5|
	s_and_saveexec_b64 s[8:9], s[4:5]
	s_xor_b64 s[4:5], exec, s[8:9]
	s_cbranch_execz .LBB53_15
; %bb.14:
	v_div_scale_f32 v1, s[8:9], v5, v5, v4
	v_rcp_f32_e32 v6, v1
	v_div_scale_f32 v7, vcc, v4, v5, v4
	v_fma_f32 v8, -v1, v6, 1.0
	v_fmac_f32_e32 v6, v8, v6
	v_mul_f32_e32 v8, v7, v6
	v_fma_f32 v9, -v1, v8, v7
	v_fmac_f32_e32 v8, v9, v6
	v_fma_f32 v1, -v1, v8, v7
	v_div_fmas_f32 v1, v1, v6, v8
	v_div_fixup_f32 v1, v1, v5, v4
	v_fmac_f32_e32 v5, v4, v1
	v_div_scale_f32 v4, s[8:9], v5, v5, -1.0
	v_rcp_f32_e32 v6, v4
	s_nop 0
	v_fma_f32 v7, -v4, v6, 1.0
	v_fmac_f32_e32 v6, v7, v6
	v_div_scale_f32 v7, vcc, -1.0, v5, -1.0
	v_mul_f32_e32 v8, v7, v6
	v_fma_f32 v9, -v4, v8, v7
	v_fmac_f32_e32 v8, v9, v6
	v_fma_f32 v4, -v4, v8, v7
	v_div_fmas_f32 v4, v4, v6, v8
	v_div_fixup_f32 v7, v4, v5, -1.0
	v_mul_f32_e32 v8, v1, v7
	v_xor_b32_e32 v6, 0x80000000, v8
                                        ; implicit-def: $vgpr4_vgpr5
.LBB53_15:
	s_andn2_saveexec_b64 s[4:5], s[4:5]
	s_cbranch_execz .LBB53_17
; %bb.16:
	v_div_scale_f32 v1, s[8:9], v4, v4, v5
	v_rcp_f32_e32 v6, v1
	v_div_scale_f32 v7, vcc, v5, v4, v5
	v_fma_f32 v8, -v1, v6, 1.0
	v_fmac_f32_e32 v6, v8, v6
	v_mul_f32_e32 v8, v7, v6
	v_fma_f32 v9, -v1, v8, v7
	v_fmac_f32_e32 v8, v9, v6
	v_fma_f32 v1, -v1, v8, v7
	v_div_fmas_f32 v1, v1, v6, v8
	v_div_fixup_f32 v1, v1, v4, v5
	v_fmac_f32_e32 v4, v5, v1
	v_div_scale_f32 v5, s[8:9], v4, v4, 1.0
	v_rcp_f32_e32 v6, v5
	s_nop 0
	v_fma_f32 v7, -v5, v6, 1.0
	v_fmac_f32_e32 v6, v7, v6
	v_div_scale_f32 v7, vcc, 1.0, v4, 1.0
	v_mul_f32_e32 v8, v7, v6
	v_fma_f32 v9, -v5, v8, v7
	v_fmac_f32_e32 v8, v9, v6
	v_fma_f32 v5, -v5, v8, v7
	v_div_fmas_f32 v5, v5, v6, v8
	v_div_fixup_f32 v6, v5, v4, 1.0
	v_xor_b32_e32 v8, 0x80000000, v6
	v_mul_f32_e64 v7, v1, -v6
.LBB53_17:
	s_or_b64 exec, exec, s[4:5]
	scratch_store_dwordx2 v3, v[6:7], off
	scratch_load_dwordx2 v[4:5], off, off offset:8
	v_xor_b32_e32 v9, 0x80000000, v7
	v_add_u32_e32 v1, 0x1b0, v2
	s_waitcnt vmcnt(0)
	ds_write2_b64 v2, v[8:9], v[4:5] offset1:54
	s_waitcnt lgkmcnt(0)
	; wave barrier
	s_and_saveexec_b64 s[4:5], s[0:1]
	s_cbranch_execz .LBB53_19
; %bb.18:
	scratch_load_dwordx2 v[4:5], v3, off
	ds_read_b64 v[6:7], v1
	v_mov_b32_e32 v8, 0
	ds_read_b64 v[8:9], v8 offset:8
	s_waitcnt vmcnt(0) lgkmcnt(1)
	v_pk_mul_f32 v[10:11], v[6:7], v[4:5] op_sel:[1,1] op_sel_hi:[0,1]
	v_pk_fma_f32 v[12:13], v[6:7], v[4:5], v[10:11] neg_lo:[0,0,1] neg_hi:[0,0,1]
	v_pk_fma_f32 v[4:5], v[6:7], v[4:5], v[10:11] op_sel_hi:[1,0,1]
	s_nop 0
	v_mov_b32_e32 v13, v5
	v_pk_add_f32 v[4:5], v[12:13], 0 op_sel_hi:[1,0]
	s_waitcnt lgkmcnt(0)
	v_pk_mul_f32 v[6:7], v[4:5], v[8:9] op_sel:[1,1] op_sel_hi:[0,1]
	v_pk_fma_f32 v[10:11], v[4:5], v[8:9], v[6:7] neg_lo:[0,0,1] neg_hi:[0,0,1]
	v_pk_fma_f32 v[4:5], v[4:5], v[8:9], v[6:7] op_sel_hi:[1,0,1]
	s_nop 0
	v_mov_b32_e32 v11, v5
	scratch_store_dwordx2 off, v[10:11], off offset:8
.LBB53_19:
	s_or_b64 exec, exec, s[4:5]
	; wave barrier
	scratch_load_dwordx2 v[4:5], off, off offset:16
	v_cmp_gt_u32_e32 vcc, 2, v0
	s_waitcnt vmcnt(0)
	ds_write_b64 v1, v[4:5]
	s_waitcnt lgkmcnt(0)
	; wave barrier
	s_and_saveexec_b64 s[4:5], vcc
	s_cbranch_execz .LBB53_23
; %bb.20:
	scratch_load_dwordx2 v[4:5], v3, off
	ds_read_b64 v[6:7], v1
	s_waitcnt vmcnt(0) lgkmcnt(0)
	v_pk_mul_f32 v[8:9], v[6:7], v[4:5] op_sel:[1,1] op_sel_hi:[0,1]
	v_pk_fma_f32 v[10:11], v[6:7], v[4:5], v[8:9] neg_lo:[0,0,1] neg_hi:[0,0,1]
	v_pk_fma_f32 v[4:5], v[6:7], v[4:5], v[8:9] op_sel_hi:[1,0,1]
	s_nop 0
	v_mov_b32_e32 v11, v5
	v_pk_add_f32 v[4:5], v[10:11], 0 op_sel_hi:[1,0]
	s_and_saveexec_b64 s[8:9], s[0:1]
	s_cbranch_execz .LBB53_22
; %bb.21:
	scratch_load_dwordx2 v[6:7], off, off offset:8
	v_mov_b32_e32 v3, 0
	ds_read_b64 v[8:9], v3 offset:440
	s_waitcnt vmcnt(0) lgkmcnt(0)
	v_pk_mul_f32 v[10:11], v[8:9], v[6:7] op_sel:[1,1] op_sel_hi:[0,1]
	v_pk_fma_f32 v[12:13], v[8:9], v[6:7], v[10:11] neg_lo:[0,0,1] neg_hi:[0,0,1]
	v_pk_fma_f32 v[6:7], v[8:9], v[6:7], v[10:11] op_sel_hi:[1,0,1]
	s_nop 0
	v_mov_b32_e32 v13, v7
	v_pk_add_f32 v[4:5], v[4:5], v[12:13]
.LBB53_22:
	s_or_b64 exec, exec, s[8:9]
	v_mov_b32_e32 v3, 0
	ds_read_b64 v[6:7], v3 offset:16
	s_waitcnt lgkmcnt(0)
	v_pk_mul_f32 v[8:9], v[4:5], v[6:7] op_sel:[1,1] op_sel_hi:[0,1]
	v_pk_fma_f32 v[10:11], v[4:5], v[6:7], v[8:9] neg_lo:[0,0,1] neg_hi:[0,0,1]
	v_pk_fma_f32 v[4:5], v[4:5], v[6:7], v[8:9] op_sel_hi:[1,0,1]
	s_nop 0
	v_mov_b32_e32 v11, v5
	scratch_store_dwordx2 off, v[10:11], off offset:16
.LBB53_23:
	s_or_b64 exec, exec, s[4:5]
	; wave barrier
	scratch_load_dwordx2 v[4:5], off, off offset:24
	v_cmp_gt_u32_e32 vcc, 3, v0
	v_add_u32_e32 v6, -1, v0
	s_waitcnt vmcnt(0)
	ds_write_b64 v1, v[4:5]
	s_waitcnt lgkmcnt(0)
	; wave barrier
	s_and_saveexec_b64 s[0:1], vcc
	s_cbranch_execz .LBB53_27
; %bb.24:
	v_mov_b32_e32 v4, 0
	v_add_u32_e32 v3, -1, v0
	v_add_u32_e32 v7, 0x1b0, v2
	v_mov_b32_e32 v8, v2
	s_mov_b64 s[4:5], 0
	v_mov_b32_e32 v5, v4
.LBB53_25:                              ; =>This Inner Loop Header: Depth=1
	scratch_load_dwordx2 v[10:11], v8, off
	ds_read_b64 v[12:13], v7
	v_add_u32_e32 v3, 1, v3
	v_cmp_lt_u32_e32 vcc, 1, v3
	v_add_u32_e32 v7, 8, v7
	v_add_u32_e32 v8, 8, v8
	s_or_b64 s[4:5], vcc, s[4:5]
	s_waitcnt vmcnt(0) lgkmcnt(0)
	v_pk_mul_f32 v[14:15], v[12:13], v[10:11] op_sel:[1,1] op_sel_hi:[0,1]
	v_pk_fma_f32 v[16:17], v[12:13], v[10:11], v[14:15] neg_lo:[0,0,1] neg_hi:[0,0,1]
	v_pk_fma_f32 v[10:11], v[12:13], v[10:11], v[14:15] op_sel_hi:[1,0,1]
	s_nop 0
	v_mov_b32_e32 v17, v11
	v_pk_add_f32 v[4:5], v[4:5], v[16:17]
	s_andn2_b64 exec, exec, s[4:5]
	s_cbranch_execnz .LBB53_25
; %bb.26:
	s_or_b64 exec, exec, s[4:5]
	v_mov_b32_e32 v3, 0
	ds_read_b64 v[8:9], v3 offset:24
	s_waitcnt lgkmcnt(0)
	v_pk_mul_f32 v[10:11], v[4:5], v[8:9] op_sel:[1,1] op_sel_hi:[0,1]
	v_pk_fma_f32 v[12:13], v[4:5], v[8:9], v[10:11] neg_lo:[0,0,1] neg_hi:[0,0,1]
	v_pk_fma_f32 v[4:5], v[4:5], v[8:9], v[10:11] op_sel_hi:[1,0,1]
	s_nop 0
	v_mov_b32_e32 v13, v5
	scratch_store_dwordx2 off, v[12:13], off offset:24
.LBB53_27:
	s_or_b64 exec, exec, s[0:1]
	; wave barrier
	scratch_load_dwordx2 v[4:5], off, off offset:32
	v_cmp_gt_u32_e32 vcc, 4, v0
	s_waitcnt vmcnt(0)
	ds_write_b64 v1, v[4:5]
	s_waitcnt lgkmcnt(0)
	; wave barrier
	s_and_saveexec_b64 s[0:1], vcc
	s_cbranch_execz .LBB53_31
; %bb.28:
	v_mov_b32_e32 v4, 0
	v_add_u32_e32 v3, -1, v0
	v_add_u32_e32 v7, 0x1b0, v2
	v_mov_b32_e32 v8, v2
	s_mov_b64 s[4:5], 0
	v_mov_b32_e32 v5, v4
.LBB53_29:                              ; =>This Inner Loop Header: Depth=1
	scratch_load_dwordx2 v[10:11], v8, off
	ds_read_b64 v[12:13], v7
	v_add_u32_e32 v3, 1, v3
	v_cmp_lt_u32_e32 vcc, 2, v3
	v_add_u32_e32 v7, 8, v7
	v_add_u32_e32 v8, 8, v8
	s_or_b64 s[4:5], vcc, s[4:5]
	s_waitcnt vmcnt(0) lgkmcnt(0)
	v_pk_mul_f32 v[14:15], v[12:13], v[10:11] op_sel:[1,1] op_sel_hi:[0,1]
	v_pk_fma_f32 v[16:17], v[12:13], v[10:11], v[14:15] neg_lo:[0,0,1] neg_hi:[0,0,1]
	v_pk_fma_f32 v[10:11], v[12:13], v[10:11], v[14:15] op_sel_hi:[1,0,1]
	s_nop 0
	v_mov_b32_e32 v17, v11
	v_pk_add_f32 v[4:5], v[4:5], v[16:17]
	s_andn2_b64 exec, exec, s[4:5]
	s_cbranch_execnz .LBB53_29
; %bb.30:
	s_or_b64 exec, exec, s[4:5]
	v_mov_b32_e32 v3, 0
	ds_read_b64 v[8:9], v3 offset:32
	s_waitcnt lgkmcnt(0)
	v_pk_mul_f32 v[10:11], v[4:5], v[8:9] op_sel:[1,1] op_sel_hi:[0,1]
	v_pk_fma_f32 v[12:13], v[4:5], v[8:9], v[10:11] neg_lo:[0,0,1] neg_hi:[0,0,1]
	v_pk_fma_f32 v[4:5], v[4:5], v[8:9], v[10:11] op_sel_hi:[1,0,1]
	s_nop 0
	v_mov_b32_e32 v13, v5
	scratch_store_dwordx2 off, v[12:13], off offset:32
.LBB53_31:
	s_or_b64 exec, exec, s[0:1]
	; wave barrier
	scratch_load_dwordx2 v[4:5], off, off offset:40
	v_cmp_gt_u32_e32 vcc, 5, v0
	;; [unrolled: 46-line block ×19, first 2 shown]
	s_waitcnt vmcnt(0)
	ds_write_b64 v1, v[4:5]
	s_waitcnt lgkmcnt(0)
	; wave barrier
	s_and_saveexec_b64 s[0:1], vcc
	s_cbranch_execz .LBB53_103
; %bb.100:
	v_mov_b32_e32 v4, 0
	v_add_u32_e32 v3, -1, v0
	v_add_u32_e32 v7, 0x1b0, v2
	v_mov_b32_e32 v8, v2
	s_mov_b64 s[4:5], 0
	v_mov_b32_e32 v5, v4
.LBB53_101:                             ; =>This Inner Loop Header: Depth=1
	scratch_load_dwordx2 v[10:11], v8, off
	ds_read_b64 v[12:13], v7
	v_add_u32_e32 v3, 1, v3
	v_cmp_lt_u32_e32 vcc, 20, v3
	v_add_u32_e32 v7, 8, v7
	v_add_u32_e32 v8, 8, v8
	s_or_b64 s[4:5], vcc, s[4:5]
	s_waitcnt vmcnt(0) lgkmcnt(0)
	v_pk_mul_f32 v[14:15], v[12:13], v[10:11] op_sel:[1,1] op_sel_hi:[0,1]
	v_pk_fma_f32 v[16:17], v[12:13], v[10:11], v[14:15] neg_lo:[0,0,1] neg_hi:[0,0,1]
	v_pk_fma_f32 v[10:11], v[12:13], v[10:11], v[14:15] op_sel_hi:[1,0,1]
	s_nop 0
	v_mov_b32_e32 v17, v11
	v_pk_add_f32 v[4:5], v[4:5], v[16:17]
	s_andn2_b64 exec, exec, s[4:5]
	s_cbranch_execnz .LBB53_101
; %bb.102:
	s_or_b64 exec, exec, s[4:5]
	v_mov_b32_e32 v3, 0
	ds_read_b64 v[8:9], v3 offset:176
	s_waitcnt lgkmcnt(0)
	v_pk_mul_f32 v[10:11], v[4:5], v[8:9] op_sel:[1,1] op_sel_hi:[0,1]
	v_pk_fma_f32 v[12:13], v[4:5], v[8:9], v[10:11] neg_lo:[0,0,1] neg_hi:[0,0,1]
	v_pk_fma_f32 v[4:5], v[4:5], v[8:9], v[10:11] op_sel_hi:[1,0,1]
	s_nop 0
	v_mov_b32_e32 v13, v5
	scratch_store_dwordx2 off, v[12:13], off offset:176
.LBB53_103:
	s_or_b64 exec, exec, s[0:1]
	; wave barrier
	scratch_load_dwordx2 v[4:5], off, off offset:184
	v_cmp_gt_u32_e32 vcc, 23, v0
	s_waitcnt vmcnt(0)
	ds_write_b64 v1, v[4:5]
	s_waitcnt lgkmcnt(0)
	; wave barrier
	s_and_saveexec_b64 s[0:1], vcc
	s_cbranch_execz .LBB53_107
; %bb.104:
	v_mov_b32_e32 v4, 0
	v_add_u32_e32 v3, -1, v0
	v_add_u32_e32 v7, 0x1b0, v2
	v_mov_b32_e32 v8, v2
	s_mov_b64 s[4:5], 0
	v_mov_b32_e32 v5, v4
.LBB53_105:                             ; =>This Inner Loop Header: Depth=1
	scratch_load_dwordx2 v[10:11], v8, off
	ds_read_b64 v[12:13], v7
	v_add_u32_e32 v3, 1, v3
	v_cmp_lt_u32_e32 vcc, 21, v3
	v_add_u32_e32 v7, 8, v7
	v_add_u32_e32 v8, 8, v8
	s_or_b64 s[4:5], vcc, s[4:5]
	s_waitcnt vmcnt(0) lgkmcnt(0)
	v_pk_mul_f32 v[14:15], v[12:13], v[10:11] op_sel:[1,1] op_sel_hi:[0,1]
	v_pk_fma_f32 v[16:17], v[12:13], v[10:11], v[14:15] neg_lo:[0,0,1] neg_hi:[0,0,1]
	v_pk_fma_f32 v[10:11], v[12:13], v[10:11], v[14:15] op_sel_hi:[1,0,1]
	s_nop 0
	v_mov_b32_e32 v17, v11
	v_pk_add_f32 v[4:5], v[4:5], v[16:17]
	s_andn2_b64 exec, exec, s[4:5]
	s_cbranch_execnz .LBB53_105
; %bb.106:
	s_or_b64 exec, exec, s[4:5]
	v_mov_b32_e32 v3, 0
	ds_read_b64 v[8:9], v3 offset:184
	s_waitcnt lgkmcnt(0)
	v_pk_mul_f32 v[10:11], v[4:5], v[8:9] op_sel:[1,1] op_sel_hi:[0,1]
	v_pk_fma_f32 v[12:13], v[4:5], v[8:9], v[10:11] neg_lo:[0,0,1] neg_hi:[0,0,1]
	v_pk_fma_f32 v[4:5], v[4:5], v[8:9], v[10:11] op_sel_hi:[1,0,1]
	s_nop 0
	v_mov_b32_e32 v13, v5
	scratch_store_dwordx2 off, v[12:13], off offset:184
.LBB53_107:
	s_or_b64 exec, exec, s[0:1]
	; wave barrier
	scratch_load_dwordx2 v[4:5], off, off offset:192
	v_cmp_gt_u32_e32 vcc, 24, v0
	;; [unrolled: 46-line block ×30, first 2 shown]
	s_waitcnt vmcnt(0)
	ds_write_b64 v1, v[4:5]
	s_waitcnt lgkmcnt(0)
	; wave barrier
	s_and_saveexec_b64 s[0:1], vcc
	s_cbranch_execz .LBB53_223
; %bb.220:
	v_mov_b32_e32 v4, 0
	v_add_u32_e32 v3, -1, v0
	v_add_u32_e32 v7, 0x1b0, v2
	v_mov_b32_e32 v8, v2
	s_mov_b64 s[4:5], 0
	v_mov_b32_e32 v5, v4
.LBB53_221:                             ; =>This Inner Loop Header: Depth=1
	scratch_load_dwordx2 v[10:11], v8, off
	ds_read_b64 v[12:13], v7
	v_add_u32_e32 v3, 1, v3
	v_cmp_lt_u32_e32 vcc, 50, v3
	v_add_u32_e32 v7, 8, v7
	v_add_u32_e32 v8, 8, v8
	s_or_b64 s[4:5], vcc, s[4:5]
	s_waitcnt vmcnt(0) lgkmcnt(0)
	v_pk_mul_f32 v[14:15], v[12:13], v[10:11] op_sel:[1,1] op_sel_hi:[0,1]
	v_pk_fma_f32 v[16:17], v[12:13], v[10:11], v[14:15] neg_lo:[0,0,1] neg_hi:[0,0,1]
	v_pk_fma_f32 v[10:11], v[12:13], v[10:11], v[14:15] op_sel_hi:[1,0,1]
	s_nop 0
	v_mov_b32_e32 v17, v11
	v_pk_add_f32 v[4:5], v[4:5], v[16:17]
	s_andn2_b64 exec, exec, s[4:5]
	s_cbranch_execnz .LBB53_221
; %bb.222:
	s_or_b64 exec, exec, s[4:5]
	v_mov_b32_e32 v3, 0
	ds_read_b64 v[8:9], v3 offset:416
	s_waitcnt lgkmcnt(0)
	v_pk_mul_f32 v[10:11], v[4:5], v[8:9] op_sel:[1,1] op_sel_hi:[0,1]
	v_pk_fma_f32 v[12:13], v[4:5], v[8:9], v[10:11] neg_lo:[0,0,1] neg_hi:[0,0,1]
	v_pk_fma_f32 v[4:5], v[4:5], v[8:9], v[10:11] op_sel_hi:[1,0,1]
	s_nop 0
	v_mov_b32_e32 v13, v5
	scratch_store_dwordx2 off, v[12:13], off offset:416
.LBB53_223:
	s_or_b64 exec, exec, s[0:1]
	; wave barrier
	scratch_load_dwordx2 v[4:5], off, off offset:424
	v_cmp_ne_u32_e32 vcc, 53, v0
	s_waitcnt vmcnt(0)
	ds_write_b64 v1, v[4:5]
	s_waitcnt lgkmcnt(0)
	; wave barrier
	s_and_saveexec_b64 s[0:1], vcc
	s_cbranch_execz .LBB53_227
; %bb.224:
	v_add_u32_e32 v1, 0x1b0, v2
	v_mov_b32_e32 v4, v2
	v_mov_b32_e32 v2, 0
	s_mov_b64 s[4:5], 0
	v_mov_b32_e32 v3, v2
.LBB53_225:                             ; =>This Inner Loop Header: Depth=1
	scratch_load_dwordx2 v[8:9], v4, off
	ds_read_b64 v[10:11], v1
	v_add_u32_e32 v6, 1, v6
	v_cmp_lt_u32_e32 vcc, 51, v6
	v_add_u32_e32 v1, 8, v1
	v_add_u32_e32 v4, 8, v4
	s_or_b64 s[4:5], vcc, s[4:5]
	s_waitcnt vmcnt(0) lgkmcnt(0)
	v_pk_mul_f32 v[12:13], v[10:11], v[8:9] op_sel:[1,1] op_sel_hi:[0,1]
	v_pk_fma_f32 v[14:15], v[10:11], v[8:9], v[12:13] neg_lo:[0,0,1] neg_hi:[0,0,1]
	v_pk_fma_f32 v[8:9], v[10:11], v[8:9], v[12:13] op_sel_hi:[1,0,1]
	s_nop 0
	v_mov_b32_e32 v15, v9
	v_pk_add_f32 v[2:3], v[2:3], v[14:15]
	s_andn2_b64 exec, exec, s[4:5]
	s_cbranch_execnz .LBB53_225
; %bb.226:
	s_or_b64 exec, exec, s[4:5]
	v_mov_b32_e32 v1, 0
	ds_read_b64 v[4:5], v1 offset:424
	s_waitcnt lgkmcnt(0)
	v_pk_mul_f32 v[6:7], v[2:3], v[4:5] op_sel:[1,1] op_sel_hi:[0,1]
	v_pk_fma_f32 v[8:9], v[2:3], v[4:5], v[6:7] neg_lo:[0,0,1] neg_hi:[0,0,1]
	v_pk_fma_f32 v[2:3], v[2:3], v[4:5], v[6:7] op_sel_hi:[1,0,1]
	s_nop 0
	v_mov_b32_e32 v9, v3
	scratch_store_dwordx2 off, v[8:9], off offset:424
.LBB53_227:
	s_or_b64 exec, exec, s[0:1]
	s_mov_b64 s[4:5], -1
	; wave barrier
.LBB53_228:
	s_and_b64 vcc, exec, s[4:5]
	s_cbranch_vccz .LBB53_230
; %bb.229:
	s_lshl_b64 s[0:1], s[2:3], 2
	s_add_u32 s0, s6, s0
	s_addc_u32 s1, s7, s1
	v_mov_b32_e32 v1, 0
	global_load_dword v1, v1, s[0:1]
	s_waitcnt vmcnt(0)
	v_cmp_ne_u32_e32 vcc, 0, v1
	s_cbranch_vccz .LBB53_231
.LBB53_230:
	s_endpgm
.LBB53_231:
	v_mov_b32_e32 v1, 0x1b0
	v_lshl_add_u32 v1, v0, 3, v1
	v_cmp_eq_u32_e32 vcc, 53, v0
	s_and_saveexec_b64 s[0:1], vcc
	s_cbranch_execz .LBB53_233
; %bb.232:
	scratch_load_dwordx2 v[2:3], off, off offset:416
	v_mov_b32_e32 v4, 0
	v_mov_b32_e32 v5, v4
	scratch_store_dwordx2 off, v[4:5], off offset:416
	s_waitcnt vmcnt(1)
	ds_write_b64 v1, v[2:3]
.LBB53_233:
	s_or_b64 exec, exec, s[0:1]
	s_waitcnt lgkmcnt(0)
	; wave barrier
	scratch_load_dwordx2 v[4:5], off, off offset:424
	scratch_load_dwordx2 v[6:7], off, off offset:416
	v_mov_b32_e32 v2, 0
	ds_read_b64 v[8:9], v2 offset:856
	v_cmp_lt_u32_e32 vcc, 51, v0
	s_waitcnt vmcnt(1) lgkmcnt(0)
	v_pk_mul_f32 v[10:11], v[8:9], v[4:5] op_sel:[1,1] op_sel_hi:[0,1]
	v_pk_fma_f32 v[12:13], v[8:9], v[4:5], v[10:11] neg_lo:[0,0,1] neg_hi:[0,0,1]
	v_pk_fma_f32 v[4:5], v[8:9], v[4:5], v[10:11] op_sel_hi:[1,0,1]
	s_nop 0
	v_mov_b32_e32 v13, v5
	v_pk_add_f32 v[4:5], v[12:13], 0 op_sel_hi:[1,0]
	s_waitcnt vmcnt(0)
	v_pk_add_f32 v[4:5], v[6:7], v[4:5] neg_lo:[0,1] neg_hi:[0,1]
	scratch_store_dwordx2 off, v[4:5], off offset:416
	s_and_saveexec_b64 s[0:1], vcc
	s_cbranch_execz .LBB53_235
; %bb.234:
	scratch_load_dwordx2 v[4:5], off, off offset:408
	v_mov_b32_e32 v3, v2
	scratch_store_dwordx2 off, v[2:3], off offset:408
	s_waitcnt vmcnt(1)
	ds_write_b64 v1, v[4:5]
.LBB53_235:
	s_or_b64 exec, exec, s[0:1]
	s_waitcnt lgkmcnt(0)
	; wave barrier
	scratch_load_dwordx4 v[4:7], off, off offset:416
	scratch_load_dwordx2 v[12:13], off, off offset:408
	ds_read_b128 v[8:11], v2 offset:848
	v_cmp_lt_u32_e32 vcc, 50, v0
	s_waitcnt vmcnt(1) lgkmcnt(0)
	v_pk_mul_f32 v[2:3], v[8:9], v[4:5] op_sel:[1,1] op_sel_hi:[0,1]
	v_mov_b32_e32 v14, v7
	v_pk_fma_f32 v[16:17], v[8:9], v[4:5], v[2:3] neg_lo:[0,0,1] neg_hi:[0,0,1]
	v_pk_fma_f32 v[2:3], v[8:9], v[4:5], v[2:3] op_sel_hi:[1,0,1]
	v_pk_mul_f32 v[4:5], v[10:11], v[14:15] op_sel:[1,0] op_sel_hi:[0,0]
	v_mov_b32_e32 v17, v3
	v_pk_fma_f32 v[2:3], v[10:11], v[6:7], v[4:5] neg_lo:[0,0,1] neg_hi:[0,0,1]
	v_pk_fma_f32 v[4:5], v[10:11], v[6:7], v[4:5] op_sel_hi:[1,0,1]
	v_pk_add_f32 v[6:7], v[16:17], 0 op_sel_hi:[1,0]
	v_mov_b32_e32 v3, v5
	v_pk_add_f32 v[2:3], v[6:7], v[2:3]
	s_waitcnt vmcnt(0)
	v_pk_add_f32 v[2:3], v[12:13], v[2:3] neg_lo:[0,1] neg_hi:[0,1]
	scratch_store_dwordx2 off, v[2:3], off offset:408
	s_and_saveexec_b64 s[0:1], vcc
	s_cbranch_execz .LBB53_237
; %bb.236:
	scratch_load_dwordx2 v[2:3], off, off offset:400
	v_mov_b32_e32 v4, 0
	v_mov_b32_e32 v5, v4
	scratch_store_dwordx2 off, v[4:5], off offset:400
	s_waitcnt vmcnt(1)
	ds_write_b64 v1, v[2:3]
.LBB53_237:
	s_or_b64 exec, exec, s[0:1]
	s_waitcnt lgkmcnt(0)
	; wave barrier
	scratch_load_dwordx4 v[4:7], off, off offset:408
	scratch_load_dwordx2 v[12:13], off, off offset:424
	v_mov_b32_e32 v2, 0
	ds_read2_b64 v[8:11], v2 offset0:105 offset1:106
	ds_read_b64 v[14:15], v2 offset:856
	v_cmp_lt_u32_e32 vcc, 49, v0
	s_waitcnt vmcnt(1) lgkmcnt(1)
	v_pk_mul_f32 v[16:17], v[8:9], v[4:5] op_sel:[1,1] op_sel_hi:[0,1]
	v_pk_fma_f32 v[18:19], v[8:9], v[4:5], v[16:17] neg_lo:[0,0,1] neg_hi:[0,0,1]
	v_pk_fma_f32 v[4:5], v[8:9], v[4:5], v[16:17] op_sel_hi:[1,0,1]
	v_mov_b32_e32 v8, v7
	v_pk_mul_f32 v[8:9], v[10:11], v[8:9] op_sel:[1,0] op_sel_hi:[0,0]
	v_pk_fma_f32 v[16:17], v[10:11], v[6:7], v[8:9] neg_lo:[0,0,1] neg_hi:[0,0,1]
	v_pk_fma_f32 v[6:7], v[10:11], v[6:7], v[8:9] op_sel_hi:[1,0,1]
	v_mov_b32_e32 v19, v5
	v_mov_b32_e32 v17, v7
	s_waitcnt vmcnt(0) lgkmcnt(0)
	v_pk_mul_f32 v[6:7], v[14:15], v[12:13] op_sel:[1,1] op_sel_hi:[0,1]
	v_pk_fma_f32 v[8:9], v[14:15], v[12:13], v[6:7] neg_lo:[0,0,1] neg_hi:[0,0,1]
	v_pk_fma_f32 v[6:7], v[14:15], v[12:13], v[6:7] op_sel_hi:[1,0,1]
	v_pk_add_f32 v[4:5], v[18:19], 0 op_sel_hi:[1,0]
	v_mov_b32_e32 v9, v7
	scratch_load_dwordx2 v[6:7], off, off offset:400
	v_pk_add_f32 v[4:5], v[4:5], v[16:17]
	s_nop 0
	v_pk_add_f32 v[4:5], v[4:5], v[8:9]
	s_waitcnt vmcnt(0)
	v_pk_add_f32 v[4:5], v[6:7], v[4:5] neg_lo:[0,1] neg_hi:[0,1]
	scratch_store_dwordx2 off, v[4:5], off offset:400
	s_and_saveexec_b64 s[0:1], vcc
	s_cbranch_execz .LBB53_239
; %bb.238:
	scratch_load_dwordx2 v[4:5], off, off offset:392
	v_mov_b32_e32 v3, v2
	scratch_store_dwordx2 off, v[2:3], off offset:392
	s_waitcnt vmcnt(1)
	ds_write_b64 v1, v[4:5]
.LBB53_239:
	s_or_b64 exec, exec, s[0:1]
	s_waitcnt lgkmcnt(0)
	; wave barrier
	scratch_load_dwordx4 v[4:7], off, off offset:400
	scratch_load_dwordx4 v[8:11], off, off offset:416
	scratch_load_dwordx2 v[20:21], off, off offset:392
	ds_read_b128 v[12:15], v2 offset:832
	ds_read_b128 v[16:19], v2 offset:848
	v_cmp_lt_u32_e32 vcc, 48, v0
	s_waitcnt vmcnt(2) lgkmcnt(1)
	v_pk_mul_f32 v[2:3], v[12:13], v[4:5] op_sel:[1,1] op_sel_hi:[0,1]
	v_mov_b32_e32 v22, v7
	s_waitcnt vmcnt(1) lgkmcnt(0)
	v_pk_mul_f32 v[24:25], v[16:17], v[8:9] op_sel:[1,1] op_sel_hi:[0,1]
	v_mov_b32_e32 v26, v11
	v_pk_fma_f32 v[28:29], v[12:13], v[4:5], v[2:3] neg_lo:[0,0,1] neg_hi:[0,0,1]
	v_pk_fma_f32 v[2:3], v[12:13], v[4:5], v[2:3] op_sel_hi:[1,0,1]
	v_pk_mul_f32 v[4:5], v[14:15], v[22:23] op_sel:[1,0] op_sel_hi:[0,0]
	v_pk_fma_f32 v[12:13], v[16:17], v[8:9], v[24:25] neg_lo:[0,0,1] neg_hi:[0,0,1]
	v_pk_fma_f32 v[8:9], v[16:17], v[8:9], v[24:25] op_sel_hi:[1,0,1]
	v_pk_mul_f32 v[16:17], v[18:19], v[26:27] op_sel:[1,0] op_sel_hi:[0,0]
	v_mov_b32_e32 v29, v3
	v_pk_fma_f32 v[2:3], v[14:15], v[6:7], v[4:5] neg_lo:[0,0,1] neg_hi:[0,0,1]
	v_pk_fma_f32 v[4:5], v[14:15], v[6:7], v[4:5] op_sel_hi:[1,0,1]
	v_mov_b32_e32 v13, v9
	v_pk_fma_f32 v[6:7], v[18:19], v[10:11], v[16:17] neg_lo:[0,0,1] neg_hi:[0,0,1]
	v_pk_fma_f32 v[8:9], v[18:19], v[10:11], v[16:17] op_sel_hi:[1,0,1]
	v_pk_add_f32 v[10:11], v[28:29], 0 op_sel_hi:[1,0]
	v_mov_b32_e32 v3, v5
	v_pk_add_f32 v[2:3], v[10:11], v[2:3]
	v_mov_b32_e32 v7, v9
	v_pk_add_f32 v[2:3], v[2:3], v[12:13]
	s_nop 0
	v_pk_add_f32 v[2:3], v[2:3], v[6:7]
	s_waitcnt vmcnt(0)
	v_pk_add_f32 v[2:3], v[20:21], v[2:3] neg_lo:[0,1] neg_hi:[0,1]
	scratch_store_dwordx2 off, v[2:3], off offset:392
	s_and_saveexec_b64 s[0:1], vcc
	s_cbranch_execz .LBB53_241
; %bb.240:
	scratch_load_dwordx2 v[2:3], off, off offset:384
	v_mov_b32_e32 v4, 0
	v_mov_b32_e32 v5, v4
	scratch_store_dwordx2 off, v[4:5], off offset:384
	s_waitcnt vmcnt(1)
	ds_write_b64 v1, v[2:3]
.LBB53_241:
	s_or_b64 exec, exec, s[0:1]
	s_waitcnt lgkmcnt(0)
	; wave barrier
	scratch_load_dwordx4 v[4:7], off, off offset:392
	scratch_load_dwordx4 v[8:11], off, off offset:408
	scratch_load_dwordx2 v[20:21], off, off offset:424
	scratch_load_dwordx2 v[22:23], off, off offset:384
	v_mov_b32_e32 v2, 0
	ds_read2_b64 v[12:15], v2 offset0:103 offset1:104
	ds_read2_b64 v[16:19], v2 offset0:105 offset1:106
	ds_read_b64 v[24:25], v2 offset:856
	v_cmp_lt_u32_e32 vcc, 47, v0
	s_waitcnt vmcnt(3) lgkmcnt(2)
	v_pk_mul_f32 v[26:27], v[12:13], v[4:5] op_sel:[1,1] op_sel_hi:[0,1]
	v_mov_b32_e32 v28, v7
	v_pk_fma_f32 v[36:37], v[12:13], v[4:5], v[26:27] neg_lo:[0,0,1] neg_hi:[0,0,1]
	v_pk_fma_f32 v[4:5], v[12:13], v[4:5], v[26:27] op_sel_hi:[1,0,1]
	v_pk_mul_f32 v[12:13], v[14:15], v[28:29] op_sel:[1,0] op_sel_hi:[0,0]
	s_waitcnt vmcnt(2) lgkmcnt(1)
	v_pk_mul_f32 v[30:31], v[16:17], v[8:9] op_sel:[1,1] op_sel_hi:[0,1]
	v_mov_b32_e32 v32, v11
	v_mov_b32_e32 v37, v5
	v_pk_fma_f32 v[4:5], v[14:15], v[6:7], v[12:13] neg_lo:[0,0,1] neg_hi:[0,0,1]
	v_pk_fma_f32 v[6:7], v[14:15], v[6:7], v[12:13] op_sel_hi:[1,0,1]
	v_pk_fma_f32 v[26:27], v[16:17], v[8:9], v[30:31] neg_lo:[0,0,1] neg_hi:[0,0,1]
	v_pk_fma_f32 v[8:9], v[16:17], v[8:9], v[30:31] op_sel_hi:[1,0,1]
	v_pk_mul_f32 v[16:17], v[18:19], v[32:33] op_sel:[1,0] op_sel_hi:[0,0]
	v_pk_add_f32 v[12:13], v[36:37], 0 op_sel_hi:[1,0]
	v_mov_b32_e32 v5, v7
	s_waitcnt vmcnt(1) lgkmcnt(0)
	v_pk_mul_f32 v[34:35], v[24:25], v[20:21] op_sel:[1,1] op_sel_hi:[0,1]
	v_mov_b32_e32 v27, v9
	v_pk_fma_f32 v[8:9], v[18:19], v[10:11], v[16:17] neg_lo:[0,0,1] neg_hi:[0,0,1]
	v_pk_fma_f32 v[10:11], v[18:19], v[10:11], v[16:17] op_sel_hi:[1,0,1]
	v_pk_add_f32 v[4:5], v[12:13], v[4:5]
	v_pk_fma_f32 v[28:29], v[24:25], v[20:21], v[34:35] neg_lo:[0,0,1] neg_hi:[0,0,1]
	v_pk_fma_f32 v[20:21], v[24:25], v[20:21], v[34:35] op_sel_hi:[1,0,1]
	v_mov_b32_e32 v9, v11
	v_pk_add_f32 v[4:5], v[4:5], v[26:27]
	v_mov_b32_e32 v29, v21
	v_pk_add_f32 v[4:5], v[4:5], v[8:9]
	s_nop 0
	v_pk_add_f32 v[4:5], v[4:5], v[28:29]
	s_waitcnt vmcnt(0)
	v_pk_add_f32 v[4:5], v[22:23], v[4:5] neg_lo:[0,1] neg_hi:[0,1]
	scratch_store_dwordx2 off, v[4:5], off offset:384
	s_and_saveexec_b64 s[0:1], vcc
	s_cbranch_execz .LBB53_243
; %bb.242:
	scratch_load_dwordx2 v[4:5], off, off offset:376
	v_mov_b32_e32 v3, v2
	scratch_store_dwordx2 off, v[2:3], off offset:376
	s_waitcnt vmcnt(1)
	ds_write_b64 v1, v[4:5]
.LBB53_243:
	s_or_b64 exec, exec, s[0:1]
	s_waitcnt lgkmcnt(0)
	; wave barrier
	scratch_load_dwordx4 v[4:7], off, off offset:384
	scratch_load_dwordx4 v[8:11], off, off offset:400
	;; [unrolled: 1-line block ×3, first 2 shown]
	scratch_load_dwordx2 v[28:29], off, off offset:376
	ds_read_b128 v[16:19], v2 offset:816
	ds_read_b128 v[20:23], v2 offset:832
	;; [unrolled: 1-line block ×3, first 2 shown]
	v_cmp_lt_u32_e32 vcc, 46, v0
	s_waitcnt vmcnt(3) lgkmcnt(2)
	v_pk_mul_f32 v[2:3], v[16:17], v[4:5] op_sel:[1,1] op_sel_hi:[0,1]
	v_mov_b32_e32 v30, v7
	s_waitcnt vmcnt(2) lgkmcnt(1)
	v_pk_mul_f32 v[32:33], v[20:21], v[8:9] op_sel:[1,1] op_sel_hi:[0,1]
	v_mov_b32_e32 v34, v11
	;; [unrolled: 3-line block ×3, first 2 shown]
	v_pk_fma_f32 v[40:41], v[16:17], v[4:5], v[2:3] neg_lo:[0,0,1] neg_hi:[0,0,1]
	v_pk_fma_f32 v[2:3], v[16:17], v[4:5], v[2:3] op_sel_hi:[1,0,1]
	v_pk_mul_f32 v[4:5], v[18:19], v[30:31] op_sel:[1,0] op_sel_hi:[0,0]
	v_pk_fma_f32 v[16:17], v[20:21], v[8:9], v[32:33] neg_lo:[0,0,1] neg_hi:[0,0,1]
	v_pk_fma_f32 v[8:9], v[20:21], v[8:9], v[32:33] op_sel_hi:[1,0,1]
	v_pk_mul_f32 v[20:21], v[22:23], v[34:35] op_sel:[1,0] op_sel_hi:[0,0]
	;; [unrolled: 3-line block ×3, first 2 shown]
	v_mov_b32_e32 v41, v3
	v_pk_fma_f32 v[2:3], v[18:19], v[6:7], v[4:5] neg_lo:[0,0,1] neg_hi:[0,0,1]
	v_pk_fma_f32 v[4:5], v[18:19], v[6:7], v[4:5] op_sel_hi:[1,0,1]
	v_mov_b32_e32 v17, v9
	v_pk_fma_f32 v[6:7], v[22:23], v[10:11], v[20:21] neg_lo:[0,0,1] neg_hi:[0,0,1]
	v_pk_fma_f32 v[8:9], v[22:23], v[10:11], v[20:21] op_sel_hi:[1,0,1]
	;; [unrolled: 3-line block ×3, first 2 shown]
	v_pk_add_f32 v[14:15], v[40:41], 0 op_sel_hi:[1,0]
	v_mov_b32_e32 v3, v5
	v_pk_add_f32 v[2:3], v[14:15], v[2:3]
	v_mov_b32_e32 v7, v9
	v_pk_add_f32 v[2:3], v[2:3], v[16:17]
	;; [unrolled: 2-line block ×3, first 2 shown]
	s_nop 0
	v_pk_add_f32 v[2:3], v[2:3], v[30:31]
	s_nop 0
	v_pk_add_f32 v[2:3], v[2:3], v[10:11]
	s_waitcnt vmcnt(0)
	v_pk_add_f32 v[2:3], v[28:29], v[2:3] neg_lo:[0,1] neg_hi:[0,1]
	scratch_store_dwordx2 off, v[2:3], off offset:376
	s_and_saveexec_b64 s[0:1], vcc
	s_cbranch_execz .LBB53_245
; %bb.244:
	scratch_load_dwordx2 v[2:3], off, off offset:368
	v_mov_b32_e32 v4, 0
	v_mov_b32_e32 v5, v4
	scratch_store_dwordx2 off, v[4:5], off offset:368
	s_waitcnt vmcnt(1)
	ds_write_b64 v1, v[2:3]
.LBB53_245:
	s_or_b64 exec, exec, s[0:1]
	s_waitcnt lgkmcnt(0)
	; wave barrier
	scratch_load_dwordx4 v[4:7], off, off offset:376
	scratch_load_dwordx4 v[8:11], off, off offset:392
	;; [unrolled: 1-line block ×3, first 2 shown]
	scratch_load_dwordx2 v[28:29], off, off offset:424
	scratch_load_dwordx2 v[30:31], off, off offset:368
	v_mov_b32_e32 v2, 0
	ds_read2_b64 v[16:19], v2 offset0:101 offset1:102
	ds_read2_b64 v[20:23], v2 offset0:103 offset1:104
	ds_read2_b64 v[24:27], v2 offset0:105 offset1:106
	ds_read_b64 v[32:33], v2 offset:856
	v_cmp_lt_u32_e32 vcc, 45, v0
	s_waitcnt vmcnt(4) lgkmcnt(3)
	v_pk_mul_f32 v[34:35], v[16:17], v[4:5] op_sel:[1,1] op_sel_hi:[0,1]
	v_mov_b32_e32 v36, v7
	v_pk_fma_f32 v[48:49], v[16:17], v[4:5], v[34:35] neg_lo:[0,0,1] neg_hi:[0,0,1]
	v_pk_fma_f32 v[4:5], v[16:17], v[4:5], v[34:35] op_sel_hi:[1,0,1]
	v_pk_mul_f32 v[16:17], v[18:19], v[36:37] op_sel:[1,0] op_sel_hi:[0,0]
	s_waitcnt vmcnt(3) lgkmcnt(2)
	v_pk_mul_f32 v[38:39], v[20:21], v[8:9] op_sel:[1,1] op_sel_hi:[0,1]
	v_mov_b32_e32 v40, v11
	v_mov_b32_e32 v49, v5
	v_pk_fma_f32 v[4:5], v[18:19], v[6:7], v[16:17] neg_lo:[0,0,1] neg_hi:[0,0,1]
	v_pk_fma_f32 v[6:7], v[18:19], v[6:7], v[16:17] op_sel_hi:[1,0,1]
	v_pk_fma_f32 v[34:35], v[20:21], v[8:9], v[38:39] neg_lo:[0,0,1] neg_hi:[0,0,1]
	v_pk_fma_f32 v[8:9], v[20:21], v[8:9], v[38:39] op_sel_hi:[1,0,1]
	v_pk_mul_f32 v[20:21], v[22:23], v[40:41] op_sel:[1,0] op_sel_hi:[0,0]
	v_pk_add_f32 v[16:17], v[48:49], 0 op_sel_hi:[1,0]
	v_mov_b32_e32 v5, v7
	s_waitcnt vmcnt(2) lgkmcnt(1)
	v_pk_mul_f32 v[42:43], v[24:25], v[12:13] op_sel:[1,1] op_sel_hi:[0,1]
	v_mov_b32_e32 v44, v15
	v_mov_b32_e32 v35, v9
	v_pk_fma_f32 v[8:9], v[22:23], v[10:11], v[20:21] neg_lo:[0,0,1] neg_hi:[0,0,1]
	v_pk_fma_f32 v[10:11], v[22:23], v[10:11], v[20:21] op_sel_hi:[1,0,1]
	v_pk_add_f32 v[4:5], v[16:17], v[4:5]
	v_pk_fma_f32 v[36:37], v[24:25], v[12:13], v[42:43] neg_lo:[0,0,1] neg_hi:[0,0,1]
	v_pk_fma_f32 v[12:13], v[24:25], v[12:13], v[42:43] op_sel_hi:[1,0,1]
	v_pk_mul_f32 v[24:25], v[26:27], v[44:45] op_sel:[1,0] op_sel_hi:[0,0]
	v_mov_b32_e32 v9, v11
	v_pk_add_f32 v[4:5], v[4:5], v[34:35]
	s_waitcnt vmcnt(1) lgkmcnt(0)
	v_pk_mul_f32 v[46:47], v[32:33], v[28:29] op_sel:[1,1] op_sel_hi:[0,1]
	v_mov_b32_e32 v37, v13
	v_pk_fma_f32 v[12:13], v[26:27], v[14:15], v[24:25] neg_lo:[0,0,1] neg_hi:[0,0,1]
	v_pk_fma_f32 v[14:15], v[26:27], v[14:15], v[24:25] op_sel_hi:[1,0,1]
	v_pk_add_f32 v[4:5], v[4:5], v[8:9]
	v_pk_fma_f32 v[38:39], v[32:33], v[28:29], v[46:47] neg_lo:[0,0,1] neg_hi:[0,0,1]
	v_pk_fma_f32 v[28:29], v[32:33], v[28:29], v[46:47] op_sel_hi:[1,0,1]
	v_mov_b32_e32 v13, v15
	v_pk_add_f32 v[4:5], v[4:5], v[36:37]
	v_mov_b32_e32 v39, v29
	v_pk_add_f32 v[4:5], v[4:5], v[12:13]
	s_nop 0
	v_pk_add_f32 v[4:5], v[4:5], v[38:39]
	s_waitcnt vmcnt(0)
	v_pk_add_f32 v[4:5], v[30:31], v[4:5] neg_lo:[0,1] neg_hi:[0,1]
	scratch_store_dwordx2 off, v[4:5], off offset:368
	s_and_saveexec_b64 s[0:1], vcc
	s_cbranch_execz .LBB53_247
; %bb.246:
	scratch_load_dwordx2 v[4:5], off, off offset:360
	v_mov_b32_e32 v3, v2
	scratch_store_dwordx2 off, v[2:3], off offset:360
	s_waitcnt vmcnt(1)
	ds_write_b64 v1, v[4:5]
.LBB53_247:
	s_or_b64 exec, exec, s[0:1]
	s_waitcnt lgkmcnt(0)
	; wave barrier
	scratch_load_dwordx4 v[4:7], off, off offset:368
	scratch_load_dwordx4 v[8:11], off, off offset:384
	scratch_load_dwordx4 v[12:15], off, off offset:400
	scratch_load_dwordx4 v[16:19], off, off offset:416
	scratch_load_dwordx2 v[36:37], off, off offset:360
	ds_read_b128 v[20:23], v2 offset:800
	ds_read_b128 v[24:27], v2 offset:816
	;; [unrolled: 1-line block ×4, first 2 shown]
	v_cmp_lt_u32_e32 vcc, 44, v0
	s_waitcnt vmcnt(4) lgkmcnt(3)
	v_pk_mul_f32 v[2:3], v[20:21], v[4:5] op_sel:[1,1] op_sel_hi:[0,1]
	v_mov_b32_e32 v38, v7
	s_waitcnt vmcnt(3) lgkmcnt(2)
	v_pk_mul_f32 v[40:41], v[24:25], v[8:9] op_sel:[1,1] op_sel_hi:[0,1]
	v_mov_b32_e32 v42, v11
	s_waitcnt vmcnt(2) lgkmcnt(1)
	v_pk_mul_f32 v[44:45], v[28:29], v[12:13] op_sel:[1,1] op_sel_hi:[0,1]
	v_mov_b32_e32 v46, v15
	s_waitcnt vmcnt(1) lgkmcnt(0)
	v_pk_mul_f32 v[48:49], v[32:33], v[16:17] op_sel:[1,1] op_sel_hi:[0,1]
	v_mov_b32_e32 v50, v19
	v_pk_fma_f32 v[52:53], v[20:21], v[4:5], v[2:3] neg_lo:[0,0,1] neg_hi:[0,0,1]
	v_pk_fma_f32 v[2:3], v[20:21], v[4:5], v[2:3] op_sel_hi:[1,0,1]
	v_pk_mul_f32 v[4:5], v[22:23], v[38:39] op_sel:[1,0] op_sel_hi:[0,0]
	v_pk_fma_f32 v[20:21], v[24:25], v[8:9], v[40:41] neg_lo:[0,0,1] neg_hi:[0,0,1]
	v_pk_fma_f32 v[8:9], v[24:25], v[8:9], v[40:41] op_sel_hi:[1,0,1]
	v_pk_mul_f32 v[24:25], v[26:27], v[42:43] op_sel:[1,0] op_sel_hi:[0,0]
	;; [unrolled: 3-line block ×4, first 2 shown]
	v_mov_b32_e32 v53, v3
	v_pk_fma_f32 v[2:3], v[22:23], v[6:7], v[4:5] neg_lo:[0,0,1] neg_hi:[0,0,1]
	v_pk_fma_f32 v[4:5], v[22:23], v[6:7], v[4:5] op_sel_hi:[1,0,1]
	v_mov_b32_e32 v21, v9
	v_pk_fma_f32 v[6:7], v[26:27], v[10:11], v[24:25] neg_lo:[0,0,1] neg_hi:[0,0,1]
	v_pk_fma_f32 v[8:9], v[26:27], v[10:11], v[24:25] op_sel_hi:[1,0,1]
	;; [unrolled: 3-line block ×4, first 2 shown]
	v_pk_add_f32 v[18:19], v[52:53], 0 op_sel_hi:[1,0]
	v_mov_b32_e32 v3, v5
	v_pk_add_f32 v[2:3], v[18:19], v[2:3]
	v_mov_b32_e32 v7, v9
	v_pk_add_f32 v[2:3], v[2:3], v[20:21]
	;; [unrolled: 2-line block ×4, first 2 shown]
	s_nop 0
	v_pk_add_f32 v[2:3], v[2:3], v[10:11]
	s_nop 0
	v_pk_add_f32 v[2:3], v[2:3], v[40:41]
	;; [unrolled: 2-line block ×3, first 2 shown]
	s_waitcnt vmcnt(0)
	v_pk_add_f32 v[2:3], v[36:37], v[2:3] neg_lo:[0,1] neg_hi:[0,1]
	scratch_store_dwordx2 off, v[2:3], off offset:360
	s_and_saveexec_b64 s[0:1], vcc
	s_cbranch_execz .LBB53_249
; %bb.248:
	scratch_load_dwordx2 v[2:3], off, off offset:352
	v_mov_b32_e32 v4, 0
	v_mov_b32_e32 v5, v4
	scratch_store_dwordx2 off, v[4:5], off offset:352
	s_waitcnt vmcnt(1)
	ds_write_b64 v1, v[2:3]
.LBB53_249:
	s_or_b64 exec, exec, s[0:1]
	s_waitcnt lgkmcnt(0)
	; wave barrier
	scratch_load_dwordx4 v[4:7], off, off offset:360
	scratch_load_dwordx4 v[8:11], off, off offset:376
	;; [unrolled: 1-line block ×4, first 2 shown]
	scratch_load_dwordx2 v[36:37], off, off offset:424
	scratch_load_dwordx2 v[38:39], off, off offset:352
	v_mov_b32_e32 v2, 0
	ds_read2_b64 v[20:23], v2 offset0:99 offset1:100
	ds_read2_b64 v[24:27], v2 offset0:101 offset1:102
	;; [unrolled: 1-line block ×4, first 2 shown]
	ds_read_b64 v[40:41], v2 offset:856
	v_cmp_lt_u32_e32 vcc, 43, v0
	s_waitcnt vmcnt(5) lgkmcnt(4)
	v_mul_f32_e32 v43, v20, v5
	v_mul_f32_e32 v3, v21, v5
	v_mov_b32_e32 v44, v7
	s_waitcnt vmcnt(4) lgkmcnt(3)
	v_pk_mul_f32 v[46:47], v[24:25], v[8:9] op_sel:[1,1] op_sel_hi:[0,1]
	v_mov_b32_e32 v48, v11
	s_waitcnt vmcnt(1) lgkmcnt(0)
	v_pk_mul_f32 v[58:59], v[40:41], v[36:37] op_sel:[1,1] op_sel_hi:[0,1]
	v_fmac_f32_e32 v43, v21, v4
	v_fma_f32 v42, v20, v4, -v3
	v_pk_mul_f32 v[4:5], v[22:23], v[44:45] op_sel:[1,0] op_sel_hi:[0,0]
	v_pk_fma_f32 v[20:21], v[24:25], v[8:9], v[46:47] neg_lo:[0,0,1] neg_hi:[0,0,1]
	v_pk_fma_f32 v[8:9], v[24:25], v[8:9], v[46:47] op_sel_hi:[1,0,1]
	v_pk_mul_f32 v[24:25], v[26:27], v[48:49] op_sel:[1,0] op_sel_hi:[0,0]
	v_pk_fma_f32 v[48:49], v[40:41], v[36:37], v[58:59] neg_lo:[0,0,1] neg_hi:[0,0,1]
	v_pk_fma_f32 v[36:37], v[40:41], v[36:37], v[58:59] op_sel_hi:[1,0,1]
	v_pk_add_f32 v[40:41], v[42:43], 0 op_sel_hi:[1,0]
	v_pk_fma_f32 v[42:43], v[22:23], v[6:7], v[4:5] neg_lo:[0,0,1] neg_hi:[0,0,1]
	v_pk_fma_f32 v[4:5], v[22:23], v[6:7], v[4:5] op_sel_hi:[1,0,1]
	v_pk_mul_f32 v[50:51], v[28:29], v[12:13] op_sel:[1,1] op_sel_hi:[0,1]
	v_mov_b32_e32 v43, v5
	v_mov_b32_e32 v52, v15
	;; [unrolled: 1-line block ×3, first 2 shown]
	v_pk_fma_f32 v[6:7], v[26:27], v[10:11], v[24:25] neg_lo:[0,0,1] neg_hi:[0,0,1]
	v_pk_fma_f32 v[8:9], v[26:27], v[10:11], v[24:25] op_sel_hi:[1,0,1]
	v_pk_add_f32 v[4:5], v[40:41], v[42:43]
	v_pk_fma_f32 v[44:45], v[28:29], v[12:13], v[50:51] neg_lo:[0,0,1] neg_hi:[0,0,1]
	v_pk_fma_f32 v[12:13], v[28:29], v[12:13], v[50:51] op_sel_hi:[1,0,1]
	v_pk_mul_f32 v[28:29], v[30:31], v[52:53] op_sel:[1,0] op_sel_hi:[0,0]
	v_mov_b32_e32 v7, v9
	v_pk_add_f32 v[4:5], v[4:5], v[20:21]
	v_pk_mul_f32 v[54:55], v[32:33], v[16:17] op_sel:[1,1] op_sel_hi:[0,1]
	v_mov_b32_e32 v56, v19
	v_mov_b32_e32 v45, v13
	v_pk_fma_f32 v[10:11], v[30:31], v[14:15], v[28:29] neg_lo:[0,0,1] neg_hi:[0,0,1]
	v_pk_fma_f32 v[12:13], v[30:31], v[14:15], v[28:29] op_sel_hi:[1,0,1]
	v_pk_add_f32 v[4:5], v[4:5], v[6:7]
	v_pk_fma_f32 v[46:47], v[32:33], v[16:17], v[54:55] neg_lo:[0,0,1] neg_hi:[0,0,1]
	v_pk_fma_f32 v[16:17], v[32:33], v[16:17], v[54:55] op_sel_hi:[1,0,1]
	v_pk_mul_f32 v[32:33], v[34:35], v[56:57] op_sel:[1,0] op_sel_hi:[0,0]
	v_mov_b32_e32 v11, v13
	v_pk_add_f32 v[4:5], v[4:5], v[44:45]
	v_mov_b32_e32 v47, v17
	v_pk_fma_f32 v[14:15], v[34:35], v[18:19], v[32:33] neg_lo:[0,0,1] neg_hi:[0,0,1]
	v_pk_fma_f32 v[16:17], v[34:35], v[18:19], v[32:33] op_sel_hi:[1,0,1]
	v_pk_add_f32 v[4:5], v[4:5], v[10:11]
	v_mov_b32_e32 v15, v17
	v_pk_add_f32 v[4:5], v[4:5], v[46:47]
	v_mov_b32_e32 v49, v37
	v_pk_add_f32 v[4:5], v[4:5], v[14:15]
	s_nop 0
	v_pk_add_f32 v[4:5], v[4:5], v[48:49]
	s_waitcnt vmcnt(0)
	v_pk_add_f32 v[4:5], v[38:39], v[4:5] neg_lo:[0,1] neg_hi:[0,1]
	scratch_store_dwordx2 off, v[4:5], off offset:352
	s_and_saveexec_b64 s[0:1], vcc
	s_cbranch_execz .LBB53_251
; %bb.250:
	scratch_load_dwordx2 v[4:5], off, off offset:344
	v_mov_b32_e32 v3, v2
	scratch_store_dwordx2 off, v[2:3], off offset:344
	s_waitcnt vmcnt(1)
	ds_write_b64 v1, v[4:5]
.LBB53_251:
	s_or_b64 exec, exec, s[0:1]
	s_waitcnt lgkmcnt(0)
	; wave barrier
	scratch_load_dwordx4 v[4:7], off, off offset:352
	scratch_load_dwordx4 v[8:11], off, off offset:368
	;; [unrolled: 1-line block ×5, first 2 shown]
	scratch_load_dwordx2 v[44:45], off, off offset:344
	ds_read_b128 v[24:27], v2 offset:784
	ds_read_b128 v[28:31], v2 offset:800
	;; [unrolled: 1-line block ×5, first 2 shown]
	v_cmp_lt_u32_e32 vcc, 42, v0
	s_waitcnt vmcnt(5) lgkmcnt(4)
	v_mul_f32_e32 v3, v24, v5
	v_mul_f32_e32 v2, v25, v5
	;; [unrolled: 1-line block ×4, first 2 shown]
	s_waitcnt vmcnt(4) lgkmcnt(3)
	v_pk_mul_f32 v[48:49], v[28:29], v[8:9] op_sel:[1,1] op_sel_hi:[0,1]
	v_mov_b32_e32 v50, v11
	v_fmac_f32_e32 v3, v25, v4
	v_fma_f32 v2, v24, v4, -v2
	v_fmac_f32_e32 v47, v27, v6
	v_fma_f32 v46, v26, v6, -v5
	v_pk_fma_f32 v[4:5], v[28:29], v[8:9], v[48:49] neg_lo:[0,0,1] neg_hi:[0,0,1]
	v_pk_fma_f32 v[6:7], v[28:29], v[8:9], v[48:49] op_sel_hi:[1,0,1]
	v_pk_mul_f32 v[8:9], v[30:31], v[50:51] op_sel:[1,0] op_sel_hi:[0,0]
	v_pk_add_f32 v[2:3], v[2:3], 0 op_sel_hi:[1,0]
	s_waitcnt vmcnt(3) lgkmcnt(2)
	v_pk_mul_f32 v[52:53], v[32:33], v[12:13] op_sel:[1,1] op_sel_hi:[0,1]
	v_mov_b32_e32 v54, v15
	v_mov_b32_e32 v5, v7
	v_pk_fma_f32 v[6:7], v[30:31], v[10:11], v[8:9] neg_lo:[0,0,1] neg_hi:[0,0,1]
	v_pk_fma_f32 v[8:9], v[30:31], v[10:11], v[8:9] op_sel_hi:[1,0,1]
	v_pk_add_f32 v[2:3], v[2:3], v[46:47]
	v_pk_fma_f32 v[24:25], v[32:33], v[12:13], v[52:53] neg_lo:[0,0,1] neg_hi:[0,0,1]
	v_pk_fma_f32 v[12:13], v[32:33], v[12:13], v[52:53] op_sel_hi:[1,0,1]
	v_pk_mul_f32 v[26:27], v[34:35], v[54:55] op_sel:[1,0] op_sel_hi:[0,0]
	v_mov_b32_e32 v7, v9
	v_pk_add_f32 v[2:3], v[2:3], v[4:5]
	s_waitcnt vmcnt(2) lgkmcnt(1)
	v_pk_mul_f32 v[56:57], v[36:37], v[16:17] op_sel:[1,1] op_sel_hi:[0,1]
	v_mov_b32_e32 v58, v19
	v_mov_b32_e32 v25, v13
	v_pk_fma_f32 v[10:11], v[34:35], v[14:15], v[26:27] neg_lo:[0,0,1] neg_hi:[0,0,1]
	v_pk_fma_f32 v[12:13], v[34:35], v[14:15], v[26:27] op_sel_hi:[1,0,1]
	v_pk_add_f32 v[2:3], v[2:3], v[6:7]
	v_pk_fma_f32 v[28:29], v[36:37], v[16:17], v[56:57] neg_lo:[0,0,1] neg_hi:[0,0,1]
	v_pk_fma_f32 v[16:17], v[36:37], v[16:17], v[56:57] op_sel_hi:[1,0,1]
	v_pk_mul_f32 v[32:33], v[38:39], v[58:59] op_sel:[1,0] op_sel_hi:[0,0]
	v_mov_b32_e32 v11, v13
	v_pk_add_f32 v[2:3], v[2:3], v[24:25]
	;; [unrolled: 12-line block ×3, first 2 shown]
	v_mov_b32_e32 v37, v21
	v_pk_fma_f32 v[18:19], v[42:43], v[22:23], v[40:41] neg_lo:[0,0,1] neg_hi:[0,0,1]
	v_pk_fma_f32 v[20:21], v[42:43], v[22:23], v[40:41] op_sel_hi:[1,0,1]
	v_pk_add_f32 v[2:3], v[2:3], v[14:15]
	v_mov_b32_e32 v19, v21
	v_pk_add_f32 v[2:3], v[2:3], v[36:37]
	s_nop 0
	v_pk_add_f32 v[2:3], v[2:3], v[18:19]
	s_waitcnt vmcnt(0)
	v_pk_add_f32 v[2:3], v[44:45], v[2:3] neg_lo:[0,1] neg_hi:[0,1]
	scratch_store_dwordx2 off, v[2:3], off offset:344
	s_and_saveexec_b64 s[0:1], vcc
	s_cbranch_execz .LBB53_253
; %bb.252:
	scratch_load_dwordx2 v[2:3], off, off offset:336
	v_mov_b32_e32 v4, 0
	v_mov_b32_e32 v5, v4
	scratch_store_dwordx2 off, v[4:5], off offset:336
	s_waitcnt vmcnt(1)
	ds_write_b64 v1, v[2:3]
.LBB53_253:
	s_or_b64 exec, exec, s[0:1]
	s_waitcnt lgkmcnt(0)
	; wave barrier
	scratch_load_dwordx4 v[8:11], off, off offset:344
	scratch_load_dwordx4 v[16:19], off, off offset:360
	v_mov_b32_e32 v2, 0
	ds_read2_b64 v[4:7], v2 offset0:97 offset1:98
	ds_read2_b64 v[12:15], v2 offset0:99 offset1:100
	scratch_load_dwordx4 v[20:23], off, off offset:376
	scratch_load_dwordx4 v[24:27], off, off offset:392
	;; [unrolled: 1-line block ×3, first 2 shown]
	scratch_load_dwordx2 v[42:43], off, off offset:424
	v_cmp_lt_u32_e32 vcc, 41, v0
	s_waitcnt vmcnt(5) lgkmcnt(1)
	v_mul_f32_e32 v3, v4, v9
	v_fmac_f32_e32 v3, v5, v8
	v_add_f32_e32 v37, 0, v3
	v_mul_f32_e32 v3, v5, v9
	v_fma_f32 v3, v4, v8, -v3
	v_mul_f32_e32 v39, v6, v11
	v_add_f32_e32 v36, 0, v3
	v_mul_f32_e32 v3, v7, v11
	v_fmac_f32_e32 v39, v7, v10
	s_waitcnt vmcnt(4) lgkmcnt(0)
	v_mul_f32_e32 v41, v12, v17
	v_fma_f32 v38, v6, v10, -v3
	v_mul_f32_e32 v3, v13, v17
	v_fmac_f32_e32 v41, v13, v16
	v_fma_f32 v40, v12, v16, -v3
	v_pk_add_f32 v[16:17], v[36:37], v[38:39]
	v_mov_b32_e32 v36, v19
	v_pk_mul_f32 v[36:37], v[14:15], v[36:37] op_sel:[1,0] op_sel_hi:[0,0]
	ds_read2_b64 v[4:7], v2 offset0:101 offset1:102
	ds_read2_b64 v[8:11], v2 offset0:103 offset1:104
	;; [unrolled: 1-line block ×3, first 2 shown]
	ds_read_b64 v[12:13], v2 offset:856
	v_pk_fma_f32 v[38:39], v[14:15], v[18:19], v[36:37] neg_lo:[0,0,1] neg_hi:[0,0,1]
	v_pk_fma_f32 v[14:15], v[14:15], v[18:19], v[36:37] op_sel_hi:[1,0,1]
	v_pk_add_f32 v[16:17], v[16:17], v[40:41]
	v_mov_b32_e32 v39, v15
	v_pk_add_f32 v[14:15], v[16:17], v[38:39]
	s_waitcnt vmcnt(3) lgkmcnt(3)
	v_pk_mul_f32 v[16:17], v[4:5], v[20:21] op_sel:[1,1] op_sel_hi:[0,1]
	v_pk_fma_f32 v[18:19], v[4:5], v[20:21], v[16:17] neg_lo:[0,0,1] neg_hi:[0,0,1]
	v_pk_fma_f32 v[4:5], v[4:5], v[20:21], v[16:17] op_sel_hi:[1,0,1]
	s_nop 0
	v_mov_b32_e32 v19, v5
	v_pk_add_f32 v[4:5], v[14:15], v[18:19]
	v_mov_b32_e32 v14, v23
	v_pk_mul_f32 v[14:15], v[6:7], v[14:15] op_sel:[1,0] op_sel_hi:[0,0]
	v_pk_fma_f32 v[16:17], v[6:7], v[22:23], v[14:15] neg_lo:[0,0,1] neg_hi:[0,0,1]
	v_pk_fma_f32 v[6:7], v[6:7], v[22:23], v[14:15] op_sel_hi:[1,0,1]
	s_nop 0
	v_mov_b32_e32 v17, v7
	s_waitcnt vmcnt(2) lgkmcnt(2)
	v_pk_mul_f32 v[6:7], v[8:9], v[24:25] op_sel:[1,1] op_sel_hi:[0,1]
	v_pk_fma_f32 v[14:15], v[8:9], v[24:25], v[6:7] neg_lo:[0,0,1] neg_hi:[0,0,1]
	v_pk_fma_f32 v[6:7], v[8:9], v[24:25], v[6:7] op_sel_hi:[1,0,1]
	v_pk_add_f32 v[4:5], v[4:5], v[16:17]
	v_mov_b32_e32 v6, v27
	v_mov_b32_e32 v15, v7
	v_pk_mul_f32 v[6:7], v[10:11], v[6:7] op_sel:[1,0] op_sel_hi:[0,0]
	v_pk_fma_f32 v[8:9], v[10:11], v[26:27], v[6:7] neg_lo:[0,0,1] neg_hi:[0,0,1]
	v_pk_fma_f32 v[6:7], v[10:11], v[26:27], v[6:7] op_sel_hi:[1,0,1]
	v_pk_add_f32 v[4:5], v[4:5], v[14:15]
	v_mov_b32_e32 v9, v7
	s_waitcnt vmcnt(1) lgkmcnt(1)
	v_pk_mul_f32 v[6:7], v[32:33], v[28:29] op_sel:[1,1] op_sel_hi:[0,1]
	v_pk_add_f32 v[4:5], v[4:5], v[8:9]
	v_pk_fma_f32 v[8:9], v[32:33], v[28:29], v[6:7] neg_lo:[0,0,1] neg_hi:[0,0,1]
	v_pk_fma_f32 v[6:7], v[32:33], v[28:29], v[6:7] op_sel_hi:[1,0,1]
	s_nop 0
	v_mov_b32_e32 v6, v31
	v_mov_b32_e32 v9, v7
	v_pk_mul_f32 v[6:7], v[34:35], v[6:7] op_sel:[1,0] op_sel_hi:[0,0]
	v_pk_add_f32 v[4:5], v[4:5], v[8:9]
	v_pk_fma_f32 v[8:9], v[34:35], v[30:31], v[6:7] neg_lo:[0,0,1] neg_hi:[0,0,1]
	v_pk_fma_f32 v[6:7], v[34:35], v[30:31], v[6:7] op_sel_hi:[1,0,1]
	s_nop 0
	v_mov_b32_e32 v9, v7
	s_waitcnt vmcnt(0) lgkmcnt(0)
	v_pk_mul_f32 v[6:7], v[12:13], v[42:43] op_sel:[1,1] op_sel_hi:[0,1]
	v_pk_add_f32 v[4:5], v[4:5], v[8:9]
	v_pk_fma_f32 v[8:9], v[12:13], v[42:43], v[6:7] neg_lo:[0,0,1] neg_hi:[0,0,1]
	v_pk_fma_f32 v[6:7], v[12:13], v[42:43], v[6:7] op_sel_hi:[1,0,1]
	s_nop 0
	v_mov_b32_e32 v9, v7
	scratch_load_dwordx2 v[6:7], off, off offset:336
	v_pk_add_f32 v[4:5], v[4:5], v[8:9]
	s_waitcnt vmcnt(0)
	v_pk_add_f32 v[4:5], v[6:7], v[4:5] neg_lo:[0,1] neg_hi:[0,1]
	scratch_store_dwordx2 off, v[4:5], off offset:336
	s_and_saveexec_b64 s[0:1], vcc
	s_cbranch_execz .LBB53_255
; %bb.254:
	scratch_load_dwordx2 v[4:5], off, off offset:328
	v_mov_b32_e32 v3, v2
	scratch_store_dwordx2 off, v[2:3], off offset:328
	s_waitcnt vmcnt(1)
	ds_write_b64 v1, v[4:5]
.LBB53_255:
	s_or_b64 exec, exec, s[0:1]
	s_waitcnt lgkmcnt(0)
	; wave barrier
	ds_read_b128 v[4:7], v2 offset:768
	ds_read_b128 v[8:11], v2 offset:784
	;; [unrolled: 1-line block ×4, first 2 shown]
	scratch_load_dwordx4 v[20:23], off, off offset:336
	v_cmp_lt_u32_e32 vcc, 40, v0
	s_waitcnt vmcnt(0) lgkmcnt(3)
	v_mul_f32_e32 v3, v4, v21
	v_fmac_f32_e32 v3, v5, v20
	v_mul_f32_e32 v24, v6, v23
	v_add_f32_e32 v3, 0, v3
	v_fmac_f32_e32 v24, v7, v22
	v_add_f32_e32 v45, v3, v24
	scratch_load_dwordx4 v[24:27], off, off offset:352
	scratch_load_dwordx4 v[28:31], off, off offset:368
	;; [unrolled: 1-line block ×5, first 2 shown]
	v_mul_f32_e32 v3, v5, v21
	v_fma_f32 v3, v4, v20, -v3
	v_mul_f32_e32 v4, v7, v23
	v_fma_f32 v4, v6, v22, -v4
	v_add_f32_e32 v3, 0, v3
	v_add_f32_e32 v44, v3, v4
	s_waitcnt vmcnt(3) lgkmcnt(1)
	v_pk_mul_f32 v[20:21], v[12:13], v[28:29] op_sel:[1,1] op_sel_hi:[0,1]
	v_pk_fma_f32 v[22:23], v[12:13], v[28:29], v[20:21] neg_lo:[0,0,1] neg_hi:[0,0,1]
	v_pk_fma_f32 v[12:13], v[12:13], v[28:29], v[20:21] op_sel_hi:[1,0,1]
	v_mul_f32_e32 v47, v8, v25
	v_mov_b32_e32 v12, v31
	v_mul_f32_e32 v3, v9, v25
	v_mov_b32_e32 v23, v13
	v_pk_mul_f32 v[12:13], v[14:15], v[12:13] op_sel:[1,0] op_sel_hi:[0,0]
	v_fmac_f32_e32 v47, v9, v24
	v_mul_f32_e32 v49, v10, v27
	v_fma_f32 v46, v8, v24, -v3
	v_mul_f32_e32 v3, v11, v27
	v_pk_fma_f32 v[20:21], v[14:15], v[30:31], v[12:13] neg_lo:[0,0,1] neg_hi:[0,0,1]
	v_pk_fma_f32 v[12:13], v[14:15], v[30:31], v[12:13] op_sel_hi:[1,0,1]
	v_fmac_f32_e32 v49, v11, v26
	v_fma_f32 v48, v10, v26, -v3
	ds_read_b128 v[4:7], v2 offset:832
	ds_read_b128 v[8:11], v2 offset:848
	v_pk_add_f32 v[2:3], v[44:45], v[46:47]
	v_mov_b32_e32 v21, v13
	s_waitcnt vmcnt(2) lgkmcnt(2)
	v_pk_mul_f32 v[12:13], v[16:17], v[32:33] op_sel:[1,1] op_sel_hi:[0,1]
	v_pk_add_f32 v[2:3], v[2:3], v[48:49]
	v_pk_fma_f32 v[14:15], v[16:17], v[32:33], v[12:13] neg_lo:[0,0,1] neg_hi:[0,0,1]
	v_pk_fma_f32 v[12:13], v[16:17], v[32:33], v[12:13] op_sel_hi:[1,0,1]
	v_pk_add_f32 v[2:3], v[2:3], v[22:23]
	v_mov_b32_e32 v12, v35
	v_pk_add_f32 v[2:3], v[2:3], v[20:21]
	v_mov_b32_e32 v15, v13
	v_pk_mul_f32 v[12:13], v[18:19], v[12:13] op_sel:[1,0] op_sel_hi:[0,0]
	v_pk_add_f32 v[2:3], v[2:3], v[14:15]
	v_pk_fma_f32 v[14:15], v[18:19], v[34:35], v[12:13] neg_lo:[0,0,1] neg_hi:[0,0,1]
	v_pk_fma_f32 v[12:13], v[18:19], v[34:35], v[12:13] op_sel_hi:[1,0,1]
	s_nop 0
	v_mov_b32_e32 v15, v13
	s_waitcnt vmcnt(1) lgkmcnt(1)
	v_pk_mul_f32 v[12:13], v[4:5], v[36:37] op_sel:[1,1] op_sel_hi:[0,1]
	v_pk_add_f32 v[2:3], v[2:3], v[14:15]
	v_pk_fma_f32 v[14:15], v[4:5], v[36:37], v[12:13] neg_lo:[0,0,1] neg_hi:[0,0,1]
	v_pk_fma_f32 v[4:5], v[4:5], v[36:37], v[12:13] op_sel_hi:[1,0,1]
	s_nop 0
	v_mov_b32_e32 v4, v39
	v_mov_b32_e32 v15, v5
	v_pk_mul_f32 v[4:5], v[6:7], v[4:5] op_sel:[1,0] op_sel_hi:[0,0]
	v_pk_fma_f32 v[12:13], v[6:7], v[38:39], v[4:5] neg_lo:[0,0,1] neg_hi:[0,0,1]
	v_pk_fma_f32 v[4:5], v[6:7], v[38:39], v[4:5] op_sel_hi:[1,0,1]
	v_pk_add_f32 v[2:3], v[2:3], v[14:15]
	v_mov_b32_e32 v13, v5
	s_waitcnt vmcnt(0) lgkmcnt(0)
	v_pk_mul_f32 v[4:5], v[8:9], v[40:41] op_sel:[1,1] op_sel_hi:[0,1]
	v_pk_fma_f32 v[6:7], v[8:9], v[40:41], v[4:5] neg_lo:[0,0,1] neg_hi:[0,0,1]
	v_pk_fma_f32 v[4:5], v[8:9], v[40:41], v[4:5] op_sel_hi:[1,0,1]
	v_pk_add_f32 v[2:3], v[2:3], v[12:13]
	v_mov_b32_e32 v4, v43
	v_mov_b32_e32 v7, v5
	v_pk_mul_f32 v[4:5], v[10:11], v[4:5] op_sel:[1,0] op_sel_hi:[0,0]
	v_pk_add_f32 v[2:3], v[2:3], v[6:7]
	v_pk_fma_f32 v[6:7], v[10:11], v[42:43], v[4:5] neg_lo:[0,0,1] neg_hi:[0,0,1]
	v_pk_fma_f32 v[4:5], v[10:11], v[42:43], v[4:5] op_sel_hi:[1,0,1]
	s_nop 0
	v_mov_b32_e32 v7, v5
	scratch_load_dwordx2 v[4:5], off, off offset:328
	v_pk_add_f32 v[2:3], v[2:3], v[6:7]
	s_waitcnt vmcnt(0)
	v_pk_add_f32 v[2:3], v[4:5], v[2:3] neg_lo:[0,1] neg_hi:[0,1]
	scratch_store_dwordx2 off, v[2:3], off offset:328
	s_and_saveexec_b64 s[0:1], vcc
	s_cbranch_execz .LBB53_257
; %bb.256:
	scratch_load_dwordx2 v[2:3], off, off offset:320
	v_mov_b32_e32 v4, 0
	v_mov_b32_e32 v5, v4
	scratch_store_dwordx2 off, v[4:5], off offset:320
	s_waitcnt vmcnt(1)
	ds_write_b64 v1, v[2:3]
.LBB53_257:
	s_or_b64 exec, exec, s[0:1]
	s_waitcnt lgkmcnt(0)
	; wave barrier
	scratch_load_dwordx4 v[8:11], off, off offset:328
	scratch_load_dwordx4 v[16:19], off, off offset:344
	v_mov_b32_e32 v2, 0
	ds_read2_b64 v[4:7], v2 offset0:95 offset1:96
	scratch_load_dwordx4 v[24:27], off, off offset:360
	v_cmp_lt_u32_e32 vcc, 39, v0
	s_waitcnt vmcnt(2) lgkmcnt(0)
	v_mul_f32_e32 v3, v4, v9
	v_fmac_f32_e32 v3, v5, v8
	v_mul_f32_e32 v12, v6, v11
	v_add_f32_e32 v3, 0, v3
	v_fmac_f32_e32 v12, v7, v10
	v_add_f32_e32 v3, v3, v12
	ds_read2_b64 v[12:15], v2 offset0:97 offset1:98
	s_waitcnt vmcnt(1) lgkmcnt(0)
	v_mul_f32_e32 v20, v12, v17
	v_fmac_f32_e32 v20, v13, v16
	v_add_f32_e32 v41, v3, v20
	ds_read2_b64 v[20:23], v2 offset0:99 offset1:100
	scratch_load_dwordx4 v[28:31], off, off offset:376
	scratch_load_dwordx4 v[32:35], off, off offset:392
	scratch_load_dwordx4 v[36:39], off, off offset:408
	scratch_load_dwordx2 v[46:47], off, off offset:424
	v_mul_f32_e32 v3, v5, v9
	v_fma_f32 v3, v4, v8, -v3
	v_mul_f32_e32 v4, v7, v11
	v_add_f32_e32 v3, 0, v3
	v_fma_f32 v4, v6, v10, -v4
	v_add_f32_e32 v3, v3, v4
	v_mul_f32_e32 v4, v13, v17
	v_fma_f32 v4, v12, v16, -v4
	v_add_f32_e32 v40, v3, v4
	v_mul_f32_e32 v3, v15, v19
	v_fma_f32 v42, v14, v18, -v3
	s_waitcnt vmcnt(4) lgkmcnt(0)
	v_mul_f32_e32 v3, v21, v25
	v_mul_f32_e32 v43, v14, v19
	;; [unrolled: 1-line block ×3, first 2 shown]
	v_fma_f32 v44, v20, v24, -v3
	v_mov_b32_e32 v20, v27
	v_fmac_f32_e32 v43, v15, v18
	v_fmac_f32_e32 v45, v21, v24
	ds_read2_b64 v[4:7], v2 offset0:101 offset1:102
	ds_read2_b64 v[8:11], v2 offset0:103 offset1:104
	;; [unrolled: 1-line block ×3, first 2 shown]
	ds_read_b64 v[16:17], v2 offset:856
	v_pk_mul_f32 v[20:21], v[22:23], v[20:21] op_sel:[1,0] op_sel_hi:[0,0]
	v_pk_fma_f32 v[24:25], v[22:23], v[26:27], v[20:21] neg_lo:[0,0,1] neg_hi:[0,0,1]
	v_pk_fma_f32 v[20:21], v[22:23], v[26:27], v[20:21] op_sel_hi:[1,0,1]
	v_pk_add_f32 v[18:19], v[40:41], v[42:43]
	v_mov_b32_e32 v25, v21
	v_pk_add_f32 v[18:19], v[18:19], v[44:45]
	s_waitcnt vmcnt(3) lgkmcnt(3)
	v_pk_mul_f32 v[20:21], v[4:5], v[28:29] op_sel:[1,1] op_sel_hi:[0,1]
	v_pk_fma_f32 v[22:23], v[4:5], v[28:29], v[20:21] neg_lo:[0,0,1] neg_hi:[0,0,1]
	v_pk_fma_f32 v[4:5], v[4:5], v[28:29], v[20:21] op_sel_hi:[1,0,1]
	v_pk_add_f32 v[18:19], v[18:19], v[24:25]
	v_mov_b32_e32 v23, v5
	v_pk_add_f32 v[4:5], v[18:19], v[22:23]
	v_mov_b32_e32 v18, v31
	v_pk_mul_f32 v[18:19], v[6:7], v[18:19] op_sel:[1,0] op_sel_hi:[0,0]
	v_pk_fma_f32 v[20:21], v[6:7], v[30:31], v[18:19] neg_lo:[0,0,1] neg_hi:[0,0,1]
	v_pk_fma_f32 v[6:7], v[6:7], v[30:31], v[18:19] op_sel_hi:[1,0,1]
	s_nop 0
	v_mov_b32_e32 v21, v7
	s_waitcnt vmcnt(2) lgkmcnt(2)
	v_pk_mul_f32 v[6:7], v[8:9], v[32:33] op_sel:[1,1] op_sel_hi:[0,1]
	v_pk_fma_f32 v[18:19], v[8:9], v[32:33], v[6:7] neg_lo:[0,0,1] neg_hi:[0,0,1]
	v_pk_fma_f32 v[6:7], v[8:9], v[32:33], v[6:7] op_sel_hi:[1,0,1]
	v_pk_add_f32 v[4:5], v[4:5], v[20:21]
	v_mov_b32_e32 v6, v35
	v_mov_b32_e32 v19, v7
	v_pk_mul_f32 v[6:7], v[10:11], v[6:7] op_sel:[1,0] op_sel_hi:[0,0]
	v_pk_fma_f32 v[8:9], v[10:11], v[34:35], v[6:7] neg_lo:[0,0,1] neg_hi:[0,0,1]
	v_pk_fma_f32 v[6:7], v[10:11], v[34:35], v[6:7] op_sel_hi:[1,0,1]
	v_pk_add_f32 v[4:5], v[4:5], v[18:19]
	v_mov_b32_e32 v9, v7
	s_waitcnt vmcnt(1) lgkmcnt(1)
	v_pk_mul_f32 v[6:7], v[12:13], v[36:37] op_sel:[1,1] op_sel_hi:[0,1]
	v_pk_add_f32 v[4:5], v[4:5], v[8:9]
	v_pk_fma_f32 v[8:9], v[12:13], v[36:37], v[6:7] neg_lo:[0,0,1] neg_hi:[0,0,1]
	v_pk_fma_f32 v[6:7], v[12:13], v[36:37], v[6:7] op_sel_hi:[1,0,1]
	s_nop 0
	v_mov_b32_e32 v6, v39
	v_mov_b32_e32 v9, v7
	v_pk_mul_f32 v[6:7], v[14:15], v[6:7] op_sel:[1,0] op_sel_hi:[0,0]
	v_pk_add_f32 v[4:5], v[4:5], v[8:9]
	v_pk_fma_f32 v[8:9], v[14:15], v[38:39], v[6:7] neg_lo:[0,0,1] neg_hi:[0,0,1]
	v_pk_fma_f32 v[6:7], v[14:15], v[38:39], v[6:7] op_sel_hi:[1,0,1]
	s_nop 0
	v_mov_b32_e32 v9, v7
	s_waitcnt vmcnt(0) lgkmcnt(0)
	v_pk_mul_f32 v[6:7], v[16:17], v[46:47] op_sel:[1,1] op_sel_hi:[0,1]
	v_pk_add_f32 v[4:5], v[4:5], v[8:9]
	v_pk_fma_f32 v[8:9], v[16:17], v[46:47], v[6:7] neg_lo:[0,0,1] neg_hi:[0,0,1]
	v_pk_fma_f32 v[6:7], v[16:17], v[46:47], v[6:7] op_sel_hi:[1,0,1]
	s_nop 0
	v_mov_b32_e32 v9, v7
	scratch_load_dwordx2 v[6:7], off, off offset:320
	v_pk_add_f32 v[4:5], v[4:5], v[8:9]
	s_waitcnt vmcnt(0)
	v_pk_add_f32 v[4:5], v[6:7], v[4:5] neg_lo:[0,1] neg_hi:[0,1]
	scratch_store_dwordx2 off, v[4:5], off offset:320
	s_and_saveexec_b64 s[0:1], vcc
	s_cbranch_execz .LBB53_259
; %bb.258:
	scratch_load_dwordx2 v[4:5], off, off offset:312
	v_mov_b32_e32 v3, v2
	scratch_store_dwordx2 off, v[2:3], off offset:312
	s_waitcnt vmcnt(1)
	ds_write_b64 v1, v[4:5]
.LBB53_259:
	s_or_b64 exec, exec, s[0:1]
	s_waitcnt lgkmcnt(0)
	; wave barrier
	ds_read_b128 v[4:7], v2 offset:752
	ds_read_b128 v[8:11], v2 offset:768
	;; [unrolled: 1-line block ×4, first 2 shown]
	scratch_load_dwordx4 v[20:23], off, off offset:320
	v_cmp_lt_u32_e32 vcc, 38, v0
	s_waitcnt vmcnt(0) lgkmcnt(3)
	v_mul_f32_e32 v3, v4, v21
	v_fmac_f32_e32 v3, v5, v20
	v_mul_f32_e32 v24, v6, v23
	v_add_f32_e32 v3, 0, v3
	v_fmac_f32_e32 v24, v7, v22
	v_add_f32_e32 v3, v3, v24
	scratch_load_dwordx4 v[24:27], off, off offset:336
	s_waitcnt vmcnt(0) lgkmcnt(2)
	v_mul_f32_e32 v28, v8, v25
	v_fmac_f32_e32 v28, v9, v24
	v_add_f32_e32 v3, v3, v28
	v_mul_f32_e32 v28, v10, v27
	v_fmac_f32_e32 v28, v11, v26
	v_add_f32_e32 v49, v3, v28
	scratch_load_dwordx4 v[28:31], off, off offset:352
	scratch_load_dwordx4 v[32:35], off, off offset:368
	;; [unrolled: 1-line block ×5, first 2 shown]
	v_mul_f32_e32 v3, v5, v21
	v_fma_f32 v3, v4, v20, -v3
	v_mul_f32_e32 v4, v7, v23
	v_add_f32_e32 v3, 0, v3
	v_fma_f32 v4, v6, v22, -v4
	v_add_f32_e32 v3, v3, v4
	v_mul_f32_e32 v4, v9, v25
	v_fma_f32 v4, v8, v24, -v4
	v_add_f32_e32 v3, v3, v4
	v_mul_f32_e32 v4, v11, v27
	v_fma_f32 v4, v10, v26, -v4
	v_add_f32_e32 v48, v3, v4
	s_waitcnt vmcnt(3) lgkmcnt(0)
	v_pk_mul_f32 v[20:21], v[16:17], v[32:33] op_sel:[1,1] op_sel_hi:[0,1]
	v_pk_fma_f32 v[22:23], v[16:17], v[32:33], v[20:21] neg_lo:[0,0,1] neg_hi:[0,0,1]
	v_mul_f32_e32 v3, v13, v29
	v_mul_f32_e32 v51, v12, v29
	;; [unrolled: 1-line block ×3, first 2 shown]
	v_fma_f32 v50, v12, v28, -v3
	v_mul_f32_e32 v3, v15, v31
	v_pk_fma_f32 v[16:17], v[16:17], v[32:33], v[20:21] op_sel_hi:[1,0,1]
	v_fmac_f32_e32 v51, v13, v28
	v_fmac_f32_e32 v53, v15, v30
	v_fma_f32 v52, v14, v30, -v3
	ds_read_b128 v[4:7], v2 offset:816
	ds_read_b128 v[8:11], v2 offset:832
	ds_read_b128 v[12:15], v2 offset:848
	v_mov_b32_e32 v16, v35
	v_mov_b32_e32 v23, v17
	v_pk_mul_f32 v[16:17], v[18:19], v[16:17] op_sel:[1,0] op_sel_hi:[0,0]
	v_pk_fma_f32 v[20:21], v[18:19], v[34:35], v[16:17] neg_lo:[0,0,1] neg_hi:[0,0,1]
	v_pk_fma_f32 v[16:17], v[18:19], v[34:35], v[16:17] op_sel_hi:[1,0,1]
	v_pk_add_f32 v[2:3], v[48:49], v[50:51]
	v_mov_b32_e32 v21, v17
	s_waitcnt vmcnt(2) lgkmcnt(2)
	v_pk_mul_f32 v[16:17], v[4:5], v[36:37] op_sel:[1,1] op_sel_hi:[0,1]
	v_pk_fma_f32 v[18:19], v[4:5], v[36:37], v[16:17] neg_lo:[0,0,1] neg_hi:[0,0,1]
	v_pk_fma_f32 v[4:5], v[4:5], v[36:37], v[16:17] op_sel_hi:[1,0,1]
	v_pk_add_f32 v[2:3], v[2:3], v[52:53]
	v_mov_b32_e32 v4, v39
	v_mov_b32_e32 v19, v5
	v_pk_mul_f32 v[4:5], v[6:7], v[4:5] op_sel:[1,0] op_sel_hi:[0,0]
	v_pk_fma_f32 v[16:17], v[6:7], v[38:39], v[4:5] neg_lo:[0,0,1] neg_hi:[0,0,1]
	v_pk_fma_f32 v[4:5], v[6:7], v[38:39], v[4:5] op_sel_hi:[1,0,1]
	v_pk_add_f32 v[2:3], v[2:3], v[22:23]
	v_mov_b32_e32 v17, v5
	s_waitcnt vmcnt(1) lgkmcnt(1)
	v_pk_mul_f32 v[4:5], v[8:9], v[40:41] op_sel:[1,1] op_sel_hi:[0,1]
	v_pk_add_f32 v[2:3], v[2:3], v[20:21]
	v_pk_fma_f32 v[6:7], v[8:9], v[40:41], v[4:5] neg_lo:[0,0,1] neg_hi:[0,0,1]
	v_pk_fma_f32 v[4:5], v[8:9], v[40:41], v[4:5] op_sel_hi:[1,0,1]
	v_pk_add_f32 v[2:3], v[2:3], v[18:19]
	v_mov_b32_e32 v4, v43
	v_pk_add_f32 v[2:3], v[2:3], v[16:17]
	v_mov_b32_e32 v7, v5
	v_pk_mul_f32 v[4:5], v[10:11], v[4:5] op_sel:[1,0] op_sel_hi:[0,0]
	v_pk_add_f32 v[2:3], v[2:3], v[6:7]
	v_pk_fma_f32 v[6:7], v[10:11], v[42:43], v[4:5] neg_lo:[0,0,1] neg_hi:[0,0,1]
	v_pk_fma_f32 v[4:5], v[10:11], v[42:43], v[4:5] op_sel_hi:[1,0,1]
	s_nop 0
	v_mov_b32_e32 v7, v5
	s_waitcnt vmcnt(0) lgkmcnt(0)
	v_pk_mul_f32 v[4:5], v[12:13], v[44:45] op_sel:[1,1] op_sel_hi:[0,1]
	v_pk_add_f32 v[2:3], v[2:3], v[6:7]
	v_pk_fma_f32 v[6:7], v[12:13], v[44:45], v[4:5] neg_lo:[0,0,1] neg_hi:[0,0,1]
	v_pk_fma_f32 v[4:5], v[12:13], v[44:45], v[4:5] op_sel_hi:[1,0,1]
	s_nop 0
	v_mov_b32_e32 v4, v47
	v_mov_b32_e32 v7, v5
	v_pk_mul_f32 v[4:5], v[14:15], v[4:5] op_sel:[1,0] op_sel_hi:[0,0]
	v_pk_add_f32 v[2:3], v[2:3], v[6:7]
	v_pk_fma_f32 v[6:7], v[14:15], v[46:47], v[4:5] neg_lo:[0,0,1] neg_hi:[0,0,1]
	v_pk_fma_f32 v[4:5], v[14:15], v[46:47], v[4:5] op_sel_hi:[1,0,1]
	s_nop 0
	v_mov_b32_e32 v7, v5
	scratch_load_dwordx2 v[4:5], off, off offset:312
	v_pk_add_f32 v[2:3], v[2:3], v[6:7]
	s_waitcnt vmcnt(0)
	v_pk_add_f32 v[2:3], v[4:5], v[2:3] neg_lo:[0,1] neg_hi:[0,1]
	scratch_store_dwordx2 off, v[2:3], off offset:312
	s_and_saveexec_b64 s[0:1], vcc
	s_cbranch_execz .LBB53_261
; %bb.260:
	scratch_load_dwordx2 v[2:3], off, off offset:304
	v_mov_b32_e32 v4, 0
	v_mov_b32_e32 v5, v4
	scratch_store_dwordx2 off, v[4:5], off offset:304
	s_waitcnt vmcnt(1)
	ds_write_b64 v1, v[2:3]
.LBB53_261:
	s_or_b64 exec, exec, s[0:1]
	s_waitcnt lgkmcnt(0)
	; wave barrier
	scratch_load_dwordx4 v[8:11], off, off offset:312
	scratch_load_dwordx4 v[16:19], off, off offset:328
	;; [unrolled: 1-line block ×4, first 2 shown]
	v_mov_b32_e32 v2, 0
	ds_read2_b64 v[4:7], v2 offset0:93 offset1:94
	v_cmp_lt_u32_e32 vcc, 37, v0
	s_waitcnt vmcnt(3) lgkmcnt(0)
	v_mul_f32_e32 v3, v4, v9
	v_fmac_f32_e32 v3, v5, v8
	v_mul_f32_e32 v12, v6, v11
	v_add_f32_e32 v3, 0, v3
	v_fmac_f32_e32 v12, v7, v10
	v_add_f32_e32 v3, v3, v12
	ds_read2_b64 v[12:15], v2 offset0:95 offset1:96
	s_waitcnt vmcnt(2) lgkmcnt(0)
	v_mul_f32_e32 v20, v12, v17
	v_fmac_f32_e32 v20, v13, v16
	v_add_f32_e32 v3, v3, v20
	v_mul_f32_e32 v20, v14, v19
	v_fmac_f32_e32 v20, v15, v18
	v_add_f32_e32 v3, v3, v20
	ds_read2_b64 v[20:23], v2 offset0:97 offset1:98
	s_waitcnt vmcnt(1) lgkmcnt(0)
	v_mul_f32_e32 v28, v20, v25
	v_fmac_f32_e32 v28, v21, v24
	v_add_f32_e32 v49, v3, v28
	ds_read2_b64 v[28:31], v2 offset0:99 offset1:100
	scratch_load_dwordx4 v[36:39], off, off offset:376
	scratch_load_dwordx4 v[40:43], off, off offset:392
	;; [unrolled: 1-line block ×3, first 2 shown]
	scratch_load_dwordx2 v[54:55], off, off offset:424
	v_mul_f32_e32 v3, v5, v9
	v_fma_f32 v3, v4, v8, -v3
	v_mul_f32_e32 v4, v7, v11
	v_add_f32_e32 v3, 0, v3
	v_fma_f32 v4, v6, v10, -v4
	v_add_f32_e32 v3, v3, v4
	v_mul_f32_e32 v4, v13, v17
	v_fma_f32 v4, v12, v16, -v4
	v_add_f32_e32 v3, v3, v4
	v_mul_f32_e32 v4, v15, v19
	;; [unrolled: 3-line block ×3, first 2 shown]
	v_fma_f32 v4, v20, v24, -v4
	v_mul_f32_e32 v51, v22, v27
	v_add_f32_e32 v48, v3, v4
	v_mul_f32_e32 v3, v23, v27
	s_waitcnt vmcnt(4)
	v_mov_b32_e32 v20, v35
	v_fmac_f32_e32 v51, v23, v26
	s_waitcnt lgkmcnt(0)
	v_mul_f32_e32 v53, v28, v33
	v_fma_f32 v50, v22, v26, -v3
	v_mul_f32_e32 v3, v29, v33
	ds_read2_b64 v[4:7], v2 offset0:101 offset1:102
	ds_read2_b64 v[8:11], v2 offset0:103 offset1:104
	;; [unrolled: 1-line block ×3, first 2 shown]
	ds_read_b64 v[16:17], v2 offset:856
	v_pk_mul_f32 v[20:21], v[30:31], v[20:21] op_sel:[1,0] op_sel_hi:[0,0]
	v_fmac_f32_e32 v53, v29, v32
	v_fma_f32 v52, v28, v32, -v3
	v_pk_add_f32 v[18:19], v[48:49], v[50:51]
	v_pk_fma_f32 v[22:23], v[30:31], v[34:35], v[20:21] neg_lo:[0,0,1] neg_hi:[0,0,1]
	v_pk_fma_f32 v[20:21], v[30:31], v[34:35], v[20:21] op_sel_hi:[1,0,1]
	v_pk_add_f32 v[18:19], v[18:19], v[52:53]
	v_mov_b32_e32 v23, v21
	v_pk_add_f32 v[18:19], v[18:19], v[22:23]
	s_waitcnt vmcnt(3) lgkmcnt(3)
	v_pk_mul_f32 v[20:21], v[4:5], v[36:37] op_sel:[1,1] op_sel_hi:[0,1]
	v_pk_fma_f32 v[22:23], v[4:5], v[36:37], v[20:21] neg_lo:[0,0,1] neg_hi:[0,0,1]
	v_pk_fma_f32 v[4:5], v[4:5], v[36:37], v[20:21] op_sel_hi:[1,0,1]
	s_nop 0
	v_mov_b32_e32 v23, v5
	v_pk_add_f32 v[4:5], v[18:19], v[22:23]
	v_mov_b32_e32 v18, v39
	v_pk_mul_f32 v[18:19], v[6:7], v[18:19] op_sel:[1,0] op_sel_hi:[0,0]
	v_pk_fma_f32 v[20:21], v[6:7], v[38:39], v[18:19] neg_lo:[0,0,1] neg_hi:[0,0,1]
	v_pk_fma_f32 v[6:7], v[6:7], v[38:39], v[18:19] op_sel_hi:[1,0,1]
	s_nop 0
	v_mov_b32_e32 v21, v7
	s_waitcnt vmcnt(2) lgkmcnt(2)
	v_pk_mul_f32 v[6:7], v[8:9], v[40:41] op_sel:[1,1] op_sel_hi:[0,1]
	v_pk_fma_f32 v[18:19], v[8:9], v[40:41], v[6:7] neg_lo:[0,0,1] neg_hi:[0,0,1]
	v_pk_fma_f32 v[6:7], v[8:9], v[40:41], v[6:7] op_sel_hi:[1,0,1]
	v_pk_add_f32 v[4:5], v[4:5], v[20:21]
	v_mov_b32_e32 v6, v43
	v_mov_b32_e32 v19, v7
	v_pk_mul_f32 v[6:7], v[10:11], v[6:7] op_sel:[1,0] op_sel_hi:[0,0]
	v_pk_fma_f32 v[8:9], v[10:11], v[42:43], v[6:7] neg_lo:[0,0,1] neg_hi:[0,0,1]
	v_pk_fma_f32 v[6:7], v[10:11], v[42:43], v[6:7] op_sel_hi:[1,0,1]
	v_pk_add_f32 v[4:5], v[4:5], v[18:19]
	v_mov_b32_e32 v9, v7
	s_waitcnt vmcnt(1) lgkmcnt(1)
	v_pk_mul_f32 v[6:7], v[12:13], v[44:45] op_sel:[1,1] op_sel_hi:[0,1]
	v_pk_add_f32 v[4:5], v[4:5], v[8:9]
	v_pk_fma_f32 v[8:9], v[12:13], v[44:45], v[6:7] neg_lo:[0,0,1] neg_hi:[0,0,1]
	v_pk_fma_f32 v[6:7], v[12:13], v[44:45], v[6:7] op_sel_hi:[1,0,1]
	s_nop 0
	v_mov_b32_e32 v6, v47
	v_mov_b32_e32 v9, v7
	v_pk_mul_f32 v[6:7], v[14:15], v[6:7] op_sel:[1,0] op_sel_hi:[0,0]
	v_pk_add_f32 v[4:5], v[4:5], v[8:9]
	v_pk_fma_f32 v[8:9], v[14:15], v[46:47], v[6:7] neg_lo:[0,0,1] neg_hi:[0,0,1]
	v_pk_fma_f32 v[6:7], v[14:15], v[46:47], v[6:7] op_sel_hi:[1,0,1]
	s_nop 0
	v_mov_b32_e32 v9, v7
	s_waitcnt vmcnt(0) lgkmcnt(0)
	v_pk_mul_f32 v[6:7], v[16:17], v[54:55] op_sel:[1,1] op_sel_hi:[0,1]
	v_pk_add_f32 v[4:5], v[4:5], v[8:9]
	v_pk_fma_f32 v[8:9], v[16:17], v[54:55], v[6:7] neg_lo:[0,0,1] neg_hi:[0,0,1]
	v_pk_fma_f32 v[6:7], v[16:17], v[54:55], v[6:7] op_sel_hi:[1,0,1]
	s_nop 0
	v_mov_b32_e32 v9, v7
	scratch_load_dwordx2 v[6:7], off, off offset:304
	v_pk_add_f32 v[4:5], v[4:5], v[8:9]
	s_waitcnt vmcnt(0)
	v_pk_add_f32 v[4:5], v[6:7], v[4:5] neg_lo:[0,1] neg_hi:[0,1]
	scratch_store_dwordx2 off, v[4:5], off offset:304
	s_and_saveexec_b64 s[0:1], vcc
	s_cbranch_execz .LBB53_263
; %bb.262:
	scratch_load_dwordx2 v[4:5], off, off offset:296
	v_mov_b32_e32 v3, v2
	scratch_store_dwordx2 off, v[2:3], off offset:296
	s_waitcnt vmcnt(1)
	ds_write_b64 v1, v[4:5]
.LBB53_263:
	s_or_b64 exec, exec, s[0:1]
	s_waitcnt lgkmcnt(0)
	; wave barrier
	ds_read_b128 v[4:7], v2 offset:736
	ds_read_b128 v[8:11], v2 offset:752
	ds_read_b128 v[12:15], v2 offset:768
	ds_read_b128 v[16:19], v2 offset:784
	scratch_load_dwordx4 v[20:23], off, off offset:304
	v_cmp_lt_u32_e32 vcc, 36, v0
	s_waitcnt vmcnt(0) lgkmcnt(3)
	v_mul_f32_e32 v3, v4, v21
	v_fmac_f32_e32 v3, v5, v20
	v_mul_f32_e32 v24, v6, v23
	v_add_f32_e32 v3, 0, v3
	v_fmac_f32_e32 v24, v7, v22
	v_add_f32_e32 v3, v3, v24
	scratch_load_dwordx4 v[24:27], off, off offset:320
	s_waitcnt vmcnt(0) lgkmcnt(2)
	v_mul_f32_e32 v28, v8, v25
	v_fmac_f32_e32 v28, v9, v24
	v_add_f32_e32 v3, v3, v28
	v_mul_f32_e32 v28, v10, v27
	v_fmac_f32_e32 v28, v11, v26
	v_add_f32_e32 v3, v3, v28
	scratch_load_dwordx4 v[28:31], off, off offset:336
	s_waitcnt vmcnt(0) lgkmcnt(1)
	v_mul_f32_e32 v32, v12, v29
	v_fmac_f32_e32 v32, v13, v28
	v_add_f32_e32 v3, v3, v32
	v_mul_f32_e32 v32, v14, v31
	v_fmac_f32_e32 v32, v15, v30
	v_add_f32_e32 v53, v3, v32
	scratch_load_dwordx4 v[32:35], off, off offset:352
	scratch_load_dwordx4 v[36:39], off, off offset:368
	;; [unrolled: 1-line block ×5, first 2 shown]
	v_mul_f32_e32 v3, v5, v21
	v_fma_f32 v3, v4, v20, -v3
	v_mul_f32_e32 v4, v7, v23
	v_add_f32_e32 v3, 0, v3
	v_fma_f32 v4, v6, v22, -v4
	v_add_f32_e32 v3, v3, v4
	v_mul_f32_e32 v4, v9, v25
	v_fma_f32 v4, v8, v24, -v4
	v_add_f32_e32 v3, v3, v4
	v_mul_f32_e32 v4, v11, v27
	;; [unrolled: 3-line block ×4, first 2 shown]
	v_fma_f32 v4, v14, v30, -v4
	v_add_f32_e32 v52, v3, v4
	s_waitcnt vmcnt(4) lgkmcnt(0)
	v_mul_f32_e32 v3, v17, v33
	v_mul_f32_e32 v55, v16, v33
	;; [unrolled: 1-line block ×3, first 2 shown]
	v_fma_f32 v54, v16, v32, -v3
	v_mul_f32_e32 v3, v19, v35
	v_fmac_f32_e32 v55, v17, v32
	v_fmac_f32_e32 v57, v19, v34
	v_fma_f32 v56, v18, v34, -v3
	ds_read_b128 v[4:7], v2 offset:800
	ds_read_b128 v[8:11], v2 offset:816
	;; [unrolled: 1-line block ×4, first 2 shown]
	v_pk_add_f32 v[2:3], v[52:53], v[54:55]
	s_waitcnt vmcnt(3) lgkmcnt(3)
	v_pk_mul_f32 v[20:21], v[4:5], v[36:37] op_sel:[1,1] op_sel_hi:[0,1]
	v_pk_fma_f32 v[22:23], v[4:5], v[36:37], v[20:21] neg_lo:[0,0,1] neg_hi:[0,0,1]
	v_pk_fma_f32 v[4:5], v[4:5], v[36:37], v[20:21] op_sel_hi:[1,0,1]
	v_pk_add_f32 v[2:3], v[2:3], v[56:57]
	v_mov_b32_e32 v4, v39
	v_mov_b32_e32 v23, v5
	v_pk_mul_f32 v[4:5], v[6:7], v[4:5] op_sel:[1,0] op_sel_hi:[0,0]
	v_pk_fma_f32 v[20:21], v[6:7], v[38:39], v[4:5] neg_lo:[0,0,1] neg_hi:[0,0,1]
	v_pk_fma_f32 v[4:5], v[6:7], v[38:39], v[4:5] op_sel_hi:[1,0,1]
	v_pk_add_f32 v[2:3], v[2:3], v[22:23]
	v_mov_b32_e32 v21, v5
	s_waitcnt vmcnt(2) lgkmcnt(2)
	v_pk_mul_f32 v[4:5], v[8:9], v[40:41] op_sel:[1,1] op_sel_hi:[0,1]
	v_pk_fma_f32 v[6:7], v[8:9], v[40:41], v[4:5] neg_lo:[0,0,1] neg_hi:[0,0,1]
	v_pk_fma_f32 v[4:5], v[8:9], v[40:41], v[4:5] op_sel_hi:[1,0,1]
	v_pk_add_f32 v[2:3], v[2:3], v[20:21]
	v_mov_b32_e32 v4, v43
	v_mov_b32_e32 v7, v5
	v_pk_mul_f32 v[4:5], v[10:11], v[4:5] op_sel:[1,0] op_sel_hi:[0,0]
	v_pk_add_f32 v[2:3], v[2:3], v[6:7]
	v_pk_fma_f32 v[6:7], v[10:11], v[42:43], v[4:5] neg_lo:[0,0,1] neg_hi:[0,0,1]
	v_pk_fma_f32 v[4:5], v[10:11], v[42:43], v[4:5] op_sel_hi:[1,0,1]
	s_nop 0
	v_mov_b32_e32 v7, v5
	s_waitcnt vmcnt(1) lgkmcnt(1)
	v_pk_mul_f32 v[4:5], v[12:13], v[44:45] op_sel:[1,1] op_sel_hi:[0,1]
	v_pk_add_f32 v[2:3], v[2:3], v[6:7]
	v_pk_fma_f32 v[6:7], v[12:13], v[44:45], v[4:5] neg_lo:[0,0,1] neg_hi:[0,0,1]
	v_pk_fma_f32 v[4:5], v[12:13], v[44:45], v[4:5] op_sel_hi:[1,0,1]
	s_nop 0
	v_mov_b32_e32 v4, v47
	v_mov_b32_e32 v7, v5
	v_pk_mul_f32 v[4:5], v[14:15], v[4:5] op_sel:[1,0] op_sel_hi:[0,0]
	v_pk_add_f32 v[2:3], v[2:3], v[6:7]
	v_pk_fma_f32 v[6:7], v[14:15], v[46:47], v[4:5] neg_lo:[0,0,1] neg_hi:[0,0,1]
	v_pk_fma_f32 v[4:5], v[14:15], v[46:47], v[4:5] op_sel_hi:[1,0,1]
	s_nop 0
	v_mov_b32_e32 v7, v5
	s_waitcnt vmcnt(0) lgkmcnt(0)
	v_pk_mul_f32 v[4:5], v[16:17], v[48:49] op_sel:[1,1] op_sel_hi:[0,1]
	v_pk_add_f32 v[2:3], v[2:3], v[6:7]
	v_pk_fma_f32 v[6:7], v[16:17], v[48:49], v[4:5] neg_lo:[0,0,1] neg_hi:[0,0,1]
	v_pk_fma_f32 v[4:5], v[16:17], v[48:49], v[4:5] op_sel_hi:[1,0,1]
	s_nop 0
	v_mov_b32_e32 v4, v51
	v_mov_b32_e32 v7, v5
	v_pk_mul_f32 v[4:5], v[18:19], v[4:5] op_sel:[1,0] op_sel_hi:[0,0]
	v_pk_add_f32 v[2:3], v[2:3], v[6:7]
	v_pk_fma_f32 v[6:7], v[18:19], v[50:51], v[4:5] neg_lo:[0,0,1] neg_hi:[0,0,1]
	v_pk_fma_f32 v[4:5], v[18:19], v[50:51], v[4:5] op_sel_hi:[1,0,1]
	s_nop 0
	v_mov_b32_e32 v7, v5
	scratch_load_dwordx2 v[4:5], off, off offset:296
	v_pk_add_f32 v[2:3], v[2:3], v[6:7]
	s_waitcnt vmcnt(0)
	v_pk_add_f32 v[2:3], v[4:5], v[2:3] neg_lo:[0,1] neg_hi:[0,1]
	scratch_store_dwordx2 off, v[2:3], off offset:296
	s_and_saveexec_b64 s[0:1], vcc
	s_cbranch_execz .LBB53_265
; %bb.264:
	scratch_load_dwordx2 v[2:3], off, off offset:288
	v_mov_b32_e32 v4, 0
	v_mov_b32_e32 v5, v4
	scratch_store_dwordx2 off, v[4:5], off offset:288
	s_waitcnt vmcnt(1)
	ds_write_b64 v1, v[2:3]
.LBB53_265:
	s_or_b64 exec, exec, s[0:1]
	s_waitcnt lgkmcnt(0)
	; wave barrier
	scratch_load_dwordx4 v[4:7], off, off offset:296
	scratch_load_dwordx4 v[8:11], off, off offset:312
	scratch_load_dwordx4 v[12:15], off, off offset:328
	scratch_load_dwordx4 v[16:19], off, off offset:344
	scratch_load_dwordx4 v[20:23], off, off offset:360
	scratch_load_dwordx4 v[24:27], off, off offset:376
	scratch_load_dwordx4 v[28:31], off, off offset:392
	scratch_load_dwordx4 v[32:35], off, off offset:408
	scratch_load_dwordx2 v[68:69], off, off offset:424
	scratch_load_dwordx2 v[70:71], off, off offset:288
	v_mov_b32_e32 v2, 0
	ds_read2_b64 v[36:39], v2 offset0:91 offset1:92
	ds_read2_b64 v[40:43], v2 offset0:93 offset1:94
	;; [unrolled: 1-line block ×8, first 2 shown]
	ds_read_b64 v[72:73], v2 offset:856
	v_cmp_lt_u32_e32 vcc, 35, v0
	s_waitcnt vmcnt(9) lgkmcnt(8)
	v_mul_f32_e32 v79, v38, v7
	v_mul_f32_e32 v3, v36, v5
	s_waitcnt vmcnt(8) lgkmcnt(7)
	v_mul_f32_e32 v83, v40, v9
	s_waitcnt vmcnt(7) lgkmcnt(6)
	v_mul_f32_e32 v87, v44, v13
	v_mul_f32_e32 v5, v37, v5
	;; [unrolled: 1-line block ×5, first 2 shown]
	s_waitcnt vmcnt(5)
	v_mov_b32_e32 v78, v23
	s_waitcnt vmcnt(3) lgkmcnt(2)
	v_pk_mul_f32 v[84:85], v[60:61], v[28:29] op_sel:[1,1] op_sel_hi:[0,1]
	v_fmac_f32_e32 v79, v39, v6
	v_mul_f32_e32 v86, v42, v11
	v_mul_f32_e32 v89, v48, v17
	;; [unrolled: 1-line block ×4, first 2 shown]
	v_fmac_f32_e32 v3, v37, v4
	v_fmac_f32_e32 v87, v45, v12
	v_fma_f32 v36, v36, v4, -v5
	v_fma_f32 v37, v38, v6, -v7
	;; [unrolled: 1-line block ×4, first 2 shown]
	v_pk_mul_f32 v[4:5], v[54:55], v[78:79] op_sel:[1,0] op_sel_hi:[0,0]
	v_pk_fma_f32 v[12:13], v[60:61], v[28:29], v[84:85] neg_lo:[0,0,1] neg_hi:[0,0,1]
	v_fmac_f32_e32 v89, v49, v16
	v_fma_f32 v39, v42, v10, -v11
	v_fma_f32 v42, v48, v16, -v17
	v_add_f32_e32 v3, 0, v3
	v_add_f32_e32 v13, 0, v36
	v_pk_fma_f32 v[16:17], v[54:55], v[22:23], v[4:5] neg_lo:[0,0,1] neg_hi:[0,0,1]
	v_pk_fma_f32 v[4:5], v[54:55], v[22:23], v[4:5] op_sel_hi:[1,0,1]
	v_fmac_f32_e32 v83, v41, v8
	v_add_f32_e32 v3, v3, v79
	v_add_f32_e32 v4, v13, v37
	v_fmac_f32_e32 v86, v43, v10
	v_add_f32_e32 v3, v3, v83
	v_add_f32_e32 v4, v4, v38
	v_mul_f32_e32 v88, v46, v15
	v_mul_f32_e32 v15, v47, v15
	v_add_f32_e32 v3, v3, v86
	v_add_f32_e32 v4, v4, v39
	v_fmac_f32_e32 v88, v47, v14
	v_fma_f32 v41, v46, v14, -v15
	v_add_f32_e32 v3, v3, v87
	v_add_f32_e32 v4, v4, v40
	v_mul_f32_e32 v75, v50, v19
	v_mul_f32_e32 v19, v51, v19
	v_add_f32_e32 v3, v3, v88
	v_add_f32_e32 v4, v4, v41
	v_mul_f32_e32 v77, v52, v21
	v_mul_f32_e32 v21, v53, v21
	v_fmac_f32_e32 v75, v51, v18
	v_fma_f32 v74, v50, v18, -v19
	v_mov_b32_e32 v17, v5
	v_add_f32_e32 v5, v3, v89
	v_add_f32_e32 v4, v4, v42
	v_pk_mul_f32 v[80:81], v[56:57], v[24:25] op_sel:[1,1] op_sel_hi:[0,1]
	v_fmac_f32_e32 v77, v53, v20
	v_fma_f32 v76, v52, v20, -v21
	v_pk_add_f32 v[4:5], v[4:5], v[74:75]
	v_mov_b32_e32 v82, v27
	v_pk_fma_f32 v[6:7], v[56:57], v[24:25], v[80:81] neg_lo:[0,0,1] neg_hi:[0,0,1]
	v_pk_fma_f32 v[8:9], v[56:57], v[24:25], v[80:81] op_sel_hi:[1,0,1]
	v_pk_add_f32 v[4:5], v[4:5], v[76:77]
	v_pk_mul_f32 v[10:11], v[58:59], v[82:83] op_sel:[1,0] op_sel_hi:[0,0]
	v_mov_b32_e32 v7, v9
	v_pk_add_f32 v[4:5], v[4:5], v[16:17]
	v_pk_fma_f32 v[8:9], v[58:59], v[26:27], v[10:11] neg_lo:[0,0,1] neg_hi:[0,0,1]
	v_pk_fma_f32 v[10:11], v[58:59], v[26:27], v[10:11] op_sel_hi:[1,0,1]
	v_pk_add_f32 v[4:5], v[4:5], v[6:7]
	v_mov_b32_e32 v6, v31
	v_pk_fma_f32 v[14:15], v[60:61], v[28:29], v[84:85] op_sel_hi:[1,0,1]
	v_mov_b32_e32 v9, v11
	v_pk_mul_f32 v[6:7], v[62:63], v[6:7] op_sel:[1,0] op_sel_hi:[0,0]
	v_pk_add_f32 v[4:5], v[4:5], v[8:9]
	v_mov_b32_e32 v13, v15
	v_pk_fma_f32 v[8:9], v[62:63], v[30:31], v[6:7] neg_lo:[0,0,1] neg_hi:[0,0,1]
	v_pk_fma_f32 v[6:7], v[62:63], v[30:31], v[6:7] op_sel_hi:[1,0,1]
	v_pk_add_f32 v[4:5], v[4:5], v[12:13]
	v_mov_b32_e32 v9, v7
	s_waitcnt vmcnt(2) lgkmcnt(1)
	v_pk_mul_f32 v[6:7], v[64:65], v[32:33] op_sel:[1,1] op_sel_hi:[0,1]
	v_pk_add_f32 v[4:5], v[4:5], v[8:9]
	v_pk_fma_f32 v[8:9], v[64:65], v[32:33], v[6:7] neg_lo:[0,0,1] neg_hi:[0,0,1]
	v_pk_fma_f32 v[6:7], v[64:65], v[32:33], v[6:7] op_sel_hi:[1,0,1]
	s_nop 0
	v_mov_b32_e32 v6, v35
	v_mov_b32_e32 v9, v7
	v_pk_mul_f32 v[6:7], v[66:67], v[6:7] op_sel:[1,0] op_sel_hi:[0,0]
	v_pk_add_f32 v[4:5], v[4:5], v[8:9]
	v_pk_fma_f32 v[8:9], v[66:67], v[34:35], v[6:7] neg_lo:[0,0,1] neg_hi:[0,0,1]
	v_pk_fma_f32 v[6:7], v[66:67], v[34:35], v[6:7] op_sel_hi:[1,0,1]
	s_nop 0
	v_mov_b32_e32 v9, v7
	s_waitcnt vmcnt(1) lgkmcnt(0)
	v_pk_mul_f32 v[6:7], v[72:73], v[68:69] op_sel:[1,1] op_sel_hi:[0,1]
	v_pk_add_f32 v[4:5], v[4:5], v[8:9]
	v_pk_fma_f32 v[8:9], v[72:73], v[68:69], v[6:7] neg_lo:[0,0,1] neg_hi:[0,0,1]
	v_pk_fma_f32 v[6:7], v[72:73], v[68:69], v[6:7] op_sel_hi:[1,0,1]
	s_nop 0
	v_mov_b32_e32 v9, v7
	v_pk_add_f32 v[4:5], v[4:5], v[8:9]
	s_waitcnt vmcnt(0)
	v_pk_add_f32 v[4:5], v[70:71], v[4:5] neg_lo:[0,1] neg_hi:[0,1]
	scratch_store_dwordx2 off, v[4:5], off offset:288
	s_and_saveexec_b64 s[0:1], vcc
	s_cbranch_execz .LBB53_267
; %bb.266:
	scratch_load_dwordx2 v[4:5], off, off offset:280
	v_mov_b32_e32 v3, v2
	scratch_store_dwordx2 off, v[2:3], off offset:280
	s_waitcnt vmcnt(1)
	ds_write_b64 v1, v[4:5]
.LBB53_267:
	s_or_b64 exec, exec, s[0:1]
	s_waitcnt lgkmcnt(0)
	; wave barrier
	scratch_load_dwordx4 v[4:7], off, off offset:288
	scratch_load_dwordx4 v[8:11], off, off offset:304
	;; [unrolled: 1-line block ×7, first 2 shown]
	ds_read_b128 v[32:35], v2 offset:720
	ds_read_b128 v[36:39], v2 offset:736
	;; [unrolled: 1-line block ×4, first 2 shown]
	scratch_load_dwordx4 v[48:51], off, off offset:400
	scratch_load_dwordx4 v[52:55], off, off offset:416
	ds_read_b128 v[56:59], v2 offset:784
	ds_read_b128 v[60:63], v2 offset:800
	;; [unrolled: 1-line block ×5, first 2 shown]
	scratch_load_dwordx2 v[2:3], off, off offset:280
	v_cmp_lt_u32_e32 vcc, 34, v0
	s_waitcnt vmcnt(9) lgkmcnt(8)
	v_mul_f32_e32 v83, v32, v5
	v_mul_f32_e32 v86, v34, v7
	s_waitcnt vmcnt(8) lgkmcnt(7)
	v_mul_f32_e32 v87, v36, v9
	s_waitcnt vmcnt(7) lgkmcnt(6)
	v_mul_f32_e32 v89, v40, v13
	v_mul_f32_e32 v5, v33, v5
	;; [unrolled: 1-line block ×5, first 2 shown]
	s_waitcnt vmcnt(4) lgkmcnt(3)
	v_pk_mul_f32 v[80:81], v[60:61], v[24:25] op_sel:[1,1] op_sel_hi:[0,1]
	v_mov_b32_e32 v82, v27
	s_waitcnt vmcnt(3) lgkmcnt(2)
	v_pk_mul_f32 v[84:85], v[64:65], v[28:29] op_sel:[1,1] op_sel_hi:[0,1]
	v_fmac_f32_e32 v83, v33, v4
	v_mul_f32_e32 v90, v42, v15
	v_mul_f32_e32 v91, v44, v17
	;; [unrolled: 1-line block ×4, first 2 shown]
	v_fmac_f32_e32 v86, v35, v6
	v_fmac_f32_e32 v87, v37, v8
	;; [unrolled: 1-line block ×3, first 2 shown]
	v_fma_f32 v32, v32, v4, -v5
	v_fma_f32 v33, v34, v6, -v7
	;; [unrolled: 1-line block ×4, first 2 shown]
	v_pk_fma_f32 v[4:5], v[60:61], v[24:25], v[80:81] neg_lo:[0,0,1] neg_hi:[0,0,1]
	v_pk_fma_f32 v[6:7], v[60:61], v[24:25], v[80:81] op_sel_hi:[1,0,1]
	v_pk_mul_f32 v[8:9], v[62:63], v[82:83] op_sel:[1,0] op_sel_hi:[0,0]
	v_pk_fma_f32 v[12:13], v[64:65], v[28:29], v[84:85] op_sel_hi:[1,0,1]
	v_fmac_f32_e32 v90, v43, v14
	v_fma_f32 v14, v42, v14, -v15
	v_fma_f32 v15, v44, v16, -v17
	v_add_f32_e32 v12, 0, v83
	v_add_f32_e32 v17, 0, v32
	v_mov_b32_e32 v5, v7
	v_pk_fma_f32 v[6:7], v[62:63], v[26:27], v[8:9] neg_lo:[0,0,1] neg_hi:[0,0,1]
	v_pk_fma_f32 v[8:9], v[62:63], v[26:27], v[8:9] op_sel_hi:[1,0,1]
	v_mul_f32_e32 v88, v38, v11
	v_mul_f32_e32 v11, v39, v11
	v_add_f32_e32 v8, v12, v86
	v_add_f32_e32 v12, v17, v33
	v_fmac_f32_e32 v88, v39, v10
	v_fma_f32 v35, v38, v10, -v11
	v_mov_b32_e32 v7, v9
	v_add_f32_e32 v8, v8, v87
	v_add_f32_e32 v9, v12, v34
	;; [unrolled: 1-line block ×6, first 2 shown]
	v_mul_f32_e32 v92, v46, v19
	v_mul_f32_e32 v19, v47, v19
	v_fmac_f32_e32 v91, v45, v16
	v_add_f32_e32 v8, v8, v90
	v_add_f32_e32 v9, v9, v14
	v_mul_f32_e32 v77, v56, v21
	v_mul_f32_e32 v21, v57, v21
	v_fmac_f32_e32 v92, v47, v18
	v_fma_f32 v16, v46, v18, -v19
	v_add_f32_e32 v8, v8, v91
	v_add_f32_e32 v12, v9, v15
	v_mul_f32_e32 v79, v58, v23
	v_mul_f32_e32 v23, v59, v23
	v_fmac_f32_e32 v77, v57, v20
	v_fma_f32 v76, v56, v20, -v21
	v_add_f32_e32 v9, v8, v92
	v_add_f32_e32 v8, v12, v16
	v_fmac_f32_e32 v79, v59, v22
	v_fma_f32 v78, v58, v22, -v23
	v_pk_add_f32 v[8:9], v[8:9], v[76:77]
	v_pk_fma_f32 v[10:11], v[64:65], v[28:29], v[84:85] neg_lo:[0,0,1] neg_hi:[0,0,1]
	v_pk_add_f32 v[8:9], v[8:9], v[78:79]
	v_mov_b32_e32 v11, v13
	v_pk_add_f32 v[4:5], v[8:9], v[4:5]
	s_nop 0
	v_pk_add_f32 v[4:5], v[4:5], v[6:7]
	v_mov_b32_e32 v6, v31
	v_pk_mul_f32 v[6:7], v[66:67], v[6:7] op_sel:[1,0] op_sel_hi:[0,0]
	v_pk_fma_f32 v[8:9], v[66:67], v[30:31], v[6:7] neg_lo:[0,0,1] neg_hi:[0,0,1]
	v_pk_fma_f32 v[6:7], v[66:67], v[30:31], v[6:7] op_sel_hi:[1,0,1]
	v_pk_add_f32 v[4:5], v[4:5], v[10:11]
	v_mov_b32_e32 v9, v7
	s_waitcnt vmcnt(2) lgkmcnt(1)
	v_pk_mul_f32 v[6:7], v[68:69], v[48:49] op_sel:[1,1] op_sel_hi:[0,1]
	v_pk_add_f32 v[4:5], v[4:5], v[8:9]
	v_pk_fma_f32 v[8:9], v[68:69], v[48:49], v[6:7] neg_lo:[0,0,1] neg_hi:[0,0,1]
	v_pk_fma_f32 v[6:7], v[68:69], v[48:49], v[6:7] op_sel_hi:[1,0,1]
	s_nop 0
	v_mov_b32_e32 v6, v51
	v_mov_b32_e32 v9, v7
	v_pk_mul_f32 v[6:7], v[70:71], v[6:7] op_sel:[1,0] op_sel_hi:[0,0]
	v_pk_add_f32 v[4:5], v[4:5], v[8:9]
	v_pk_fma_f32 v[8:9], v[70:71], v[50:51], v[6:7] neg_lo:[0,0,1] neg_hi:[0,0,1]
	v_pk_fma_f32 v[6:7], v[70:71], v[50:51], v[6:7] op_sel_hi:[1,0,1]
	s_nop 0
	v_mov_b32_e32 v9, v7
	s_waitcnt vmcnt(1) lgkmcnt(0)
	v_pk_mul_f32 v[6:7], v[72:73], v[52:53] op_sel:[1,1] op_sel_hi:[0,1]
	v_pk_add_f32 v[4:5], v[4:5], v[8:9]
	v_pk_fma_f32 v[8:9], v[72:73], v[52:53], v[6:7] neg_lo:[0,0,1] neg_hi:[0,0,1]
	v_pk_fma_f32 v[6:7], v[72:73], v[52:53], v[6:7] op_sel_hi:[1,0,1]
	s_nop 0
	v_mov_b32_e32 v6, v55
	v_mov_b32_e32 v9, v7
	v_pk_mul_f32 v[6:7], v[74:75], v[6:7] op_sel:[1,0] op_sel_hi:[0,0]
	v_pk_add_f32 v[4:5], v[4:5], v[8:9]
	v_pk_fma_f32 v[8:9], v[74:75], v[54:55], v[6:7] neg_lo:[0,0,1] neg_hi:[0,0,1]
	v_pk_fma_f32 v[6:7], v[74:75], v[54:55], v[6:7] op_sel_hi:[1,0,1]
	s_nop 0
	v_mov_b32_e32 v9, v7
	v_pk_add_f32 v[4:5], v[4:5], v[8:9]
	s_waitcnt vmcnt(0)
	v_pk_add_f32 v[2:3], v[2:3], v[4:5] neg_lo:[0,1] neg_hi:[0,1]
	scratch_store_dwordx2 off, v[2:3], off offset:280
	s_and_saveexec_b64 s[0:1], vcc
	s_cbranch_execz .LBB53_269
; %bb.268:
	scratch_load_dwordx2 v[2:3], off, off offset:272
	v_mov_b32_e32 v4, 0
	v_mov_b32_e32 v5, v4
	scratch_store_dwordx2 off, v[4:5], off offset:272
	s_waitcnt vmcnt(1)
	ds_write_b64 v1, v[2:3]
.LBB53_269:
	s_or_b64 exec, exec, s[0:1]
	s_waitcnt lgkmcnt(0)
	; wave barrier
	scratch_load_dwordx4 v[4:7], off, off offset:280
	scratch_load_dwordx4 v[8:11], off, off offset:296
	;; [unrolled: 1-line block ×9, first 2 shown]
	scratch_load_dwordx2 v[76:77], off, off offset:424
	scratch_load_dwordx2 v[78:79], off, off offset:272
	v_mov_b32_e32 v2, 0
	ds_read2_b64 v[40:43], v2 offset0:89 offset1:90
	ds_read2_b64 v[44:47], v2 offset0:91 offset1:92
	;; [unrolled: 1-line block ×9, first 2 shown]
	ds_read_b64 v[80:81], v2 offset:856
	v_cmp_lt_u32_e32 vcc, 33, v0
	s_waitcnt vmcnt(10) lgkmcnt(9)
	v_mul_f32_e32 v87, v42, v7
	v_mul_f32_e32 v3, v40, v5
	;; [unrolled: 1-line block ×3, first 2 shown]
	v_fmac_f32_e32 v87, v43, v6
	s_waitcnt vmcnt(9) lgkmcnt(8)
	v_mul_f32_e32 v88, v44, v9
	s_waitcnt vmcnt(5)
	v_mov_b32_e32 v86, v27
	v_mul_f32_e32 v89, v46, v11
	s_waitcnt lgkmcnt(7)
	v_mul_f32_e32 v91, v50, v15
	v_mul_f32_e32 v7, v43, v7
	;; [unrolled: 1-line block ×5, first 2 shown]
	v_fmac_f32_e32 v3, v41, v4
	v_fma_f32 v40, v40, v4, -v5
	s_waitcnt lgkmcnt(4)
	v_pk_mul_f32 v[4:5], v[62:63], v[86:87] op_sel:[1,0] op_sel_hi:[0,0]
	v_fmac_f32_e32 v88, v45, v8
	v_fma_f32 v41, v42, v6, -v7
	v_fma_f32 v8, v44, v8, -v9
	;; [unrolled: 1-line block ×4, first 2 shown]
	v_add_f32_e32 v3, 0, v3
	v_add_f32_e32 v15, 0, v40
	v_pk_fma_f32 v[6:7], v[62:63], v[26:27], v[4:5] neg_lo:[0,0,1] neg_hi:[0,0,1]
	v_pk_fma_f32 v[4:5], v[62:63], v[26:27], v[4:5] op_sel_hi:[1,0,1]
	v_add_f32_e32 v3, v3, v87
	v_add_f32_e32 v4, v15, v41
	v_mul_f32_e32 v90, v48, v13
	v_mul_f32_e32 v13, v49, v13
	v_fmac_f32_e32 v89, v47, v10
	v_add_f32_e32 v3, v3, v88
	v_add_f32_e32 v4, v4, v8
	v_fmac_f32_e32 v90, v49, v12
	v_fma_f32 v10, v48, v12, -v13
	v_add_f32_e32 v3, v3, v89
	v_add_f32_e32 v4, v4, v9
	v_mul_f32_e32 v92, v52, v17
	v_mul_f32_e32 v17, v53, v17
	v_fmac_f32_e32 v91, v51, v14
	v_add_f32_e32 v3, v3, v90
	v_add_f32_e32 v4, v4, v10
	v_mul_f32_e32 v93, v54, v19
	v_mul_f32_e32 v19, v55, v19
	v_fmac_f32_e32 v92, v53, v16
	v_fma_f32 v12, v52, v16, -v17
	v_add_f32_e32 v3, v3, v91
	v_add_f32_e32 v4, v4, v11
	v_mul_f32_e32 v94, v56, v21
	v_mul_f32_e32 v21, v57, v21
	v_fmac_f32_e32 v93, v55, v18
	v_fma_f32 v13, v54, v18, -v19
	;; [unrolled: 6-line block ×4, first 2 shown]
	v_mov_b32_e32 v7, v5
	v_add_f32_e32 v5, v3, v94
	v_add_f32_e32 v4, v4, v14
	v_fmac_f32_e32 v85, v61, v24
	v_fma_f32 v84, v60, v24, -v25
	v_pk_add_f32 v[4:5], v[4:5], v[82:83]
	s_nop 0
	v_pk_add_f32 v[4:5], v[4:5], v[84:85]
	s_nop 0
	v_pk_add_f32 v[4:5], v[4:5], v[6:7]
	s_waitcnt vmcnt(4) lgkmcnt(3)
	v_pk_mul_f32 v[6:7], v[64:65], v[28:29] op_sel:[1,1] op_sel_hi:[0,1]
	v_pk_fma_f32 v[8:9], v[64:65], v[28:29], v[6:7] neg_lo:[0,0,1] neg_hi:[0,0,1]
	v_pk_fma_f32 v[6:7], v[64:65], v[28:29], v[6:7] op_sel_hi:[1,0,1]
	s_nop 0
	v_mov_b32_e32 v6, v31
	v_mov_b32_e32 v9, v7
	v_pk_mul_f32 v[6:7], v[66:67], v[6:7] op_sel:[1,0] op_sel_hi:[0,0]
	v_pk_add_f32 v[4:5], v[4:5], v[8:9]
	v_pk_fma_f32 v[8:9], v[66:67], v[30:31], v[6:7] neg_lo:[0,0,1] neg_hi:[0,0,1]
	v_pk_fma_f32 v[6:7], v[66:67], v[30:31], v[6:7] op_sel_hi:[1,0,1]
	s_nop 0
	v_mov_b32_e32 v9, v7
	s_waitcnt vmcnt(3) lgkmcnt(2)
	v_pk_mul_f32 v[6:7], v[68:69], v[32:33] op_sel:[1,1] op_sel_hi:[0,1]
	v_pk_add_f32 v[4:5], v[4:5], v[8:9]
	v_pk_fma_f32 v[8:9], v[68:69], v[32:33], v[6:7] neg_lo:[0,0,1] neg_hi:[0,0,1]
	v_pk_fma_f32 v[6:7], v[68:69], v[32:33], v[6:7] op_sel_hi:[1,0,1]
	s_nop 0
	v_mov_b32_e32 v6, v35
	v_mov_b32_e32 v9, v7
	v_pk_mul_f32 v[6:7], v[70:71], v[6:7] op_sel:[1,0] op_sel_hi:[0,0]
	v_pk_add_f32 v[4:5], v[4:5], v[8:9]
	v_pk_fma_f32 v[8:9], v[70:71], v[34:35], v[6:7] neg_lo:[0,0,1] neg_hi:[0,0,1]
	v_pk_fma_f32 v[6:7], v[70:71], v[34:35], v[6:7] op_sel_hi:[1,0,1]
	s_nop 0
	v_mov_b32_e32 v9, v7
	s_waitcnt vmcnt(2) lgkmcnt(1)
	v_pk_mul_f32 v[6:7], v[72:73], v[36:37] op_sel:[1,1] op_sel_hi:[0,1]
	v_pk_add_f32 v[4:5], v[4:5], v[8:9]
	;; [unrolled: 14-line block ×3, first 2 shown]
	v_pk_fma_f32 v[8:9], v[80:81], v[76:77], v[6:7] neg_lo:[0,0,1] neg_hi:[0,0,1]
	v_pk_fma_f32 v[6:7], v[80:81], v[76:77], v[6:7] op_sel_hi:[1,0,1]
	s_nop 0
	v_mov_b32_e32 v9, v7
	v_pk_add_f32 v[4:5], v[4:5], v[8:9]
	s_waitcnt vmcnt(0)
	v_pk_add_f32 v[4:5], v[78:79], v[4:5] neg_lo:[0,1] neg_hi:[0,1]
	scratch_store_dwordx2 off, v[4:5], off offset:272
	s_and_saveexec_b64 s[0:1], vcc
	s_cbranch_execz .LBB53_271
; %bb.270:
	scratch_load_dwordx2 v[4:5], off, off offset:264
	v_mov_b32_e32 v3, v2
	scratch_store_dwordx2 off, v[2:3], off offset:264
	s_waitcnt vmcnt(1)
	ds_write_b64 v1, v[4:5]
.LBB53_271:
	s_or_b64 exec, exec, s[0:1]
	s_waitcnt lgkmcnt(0)
	; wave barrier
	scratch_load_dwordx4 v[4:7], off, off offset:272
	scratch_load_dwordx4 v[8:11], off, off offset:288
	;; [unrolled: 1-line block ×7, first 2 shown]
	ds_read_b128 v[32:35], v2 offset:704
	ds_read_b128 v[36:39], v2 offset:720
	;; [unrolled: 1-line block ×6, first 2 shown]
	scratch_load_dwordx4 v[56:59], off, off offset:384
	scratch_load_dwordx4 v[60:63], off, off offset:400
	;; [unrolled: 1-line block ×3, first 2 shown]
	ds_read_b128 v[68:71], v2 offset:800
	ds_read_b128 v[72:75], v2 offset:816
	;; [unrolled: 1-line block ×4, first 2 shown]
	scratch_load_dwordx2 v[2:3], off, off offset:264
	v_cmp_lt_u32_e32 vcc, 32, v0
	s_waitcnt vmcnt(10) lgkmcnt(9)
	v_mul_f32_e32 v90, v32, v5
	v_mul_f32_e32 v5, v33, v5
	;; [unrolled: 1-line block ×3, first 2 shown]
	s_waitcnt vmcnt(9) lgkmcnt(8)
	v_mul_f32_e32 v92, v36, v9
	s_waitcnt vmcnt(8) lgkmcnt(7)
	v_mul_f32_e32 v95, v42, v15
	v_mul_f32_e32 v7, v35, v7
	;; [unrolled: 1-line block ×4, first 2 shown]
	v_fmac_f32_e32 v90, v33, v4
	v_fma_f32 v4, v32, v4, -v5
	v_fmac_f32_e32 v91, v35, v6
	v_fmac_f32_e32 v95, v43, v14
	v_fma_f32 v5, v34, v6, -v7
	v_fma_f32 v6, v36, v8, -v9
	;; [unrolled: 1-line block ×3, first 2 shown]
	v_add_f32_e32 v14, 0, v90
	v_add_f32_e32 v4, 0, v4
	v_mul_f32_e32 v93, v38, v11
	v_mul_f32_e32 v11, v39, v11
	v_fmac_f32_e32 v92, v37, v8
	v_add_f32_e32 v14, v14, v91
	v_add_f32_e32 v4, v4, v5
	v_mul_f32_e32 v94, v40, v13
	v_mul_f32_e32 v13, v41, v13
	v_fmac_f32_e32 v93, v39, v10
	v_fma_f32 v7, v38, v10, -v11
	v_add_f32_e32 v5, v14, v92
	v_add_f32_e32 v4, v4, v6
	v_fmac_f32_e32 v94, v41, v12
	v_fma_f32 v8, v40, v12, -v13
	v_add_f32_e32 v5, v5, v93
	v_add_f32_e32 v4, v4, v7
	s_waitcnt vmcnt(7) lgkmcnt(6)
	v_mul_f32_e32 v96, v44, v17
	v_mul_f32_e32 v17, v45, v17
	v_add_f32_e32 v5, v5, v94
	v_add_f32_e32 v4, v4, v8
	v_mul_f32_e32 v97, v46, v19
	v_mul_f32_e32 v19, v47, v19
	v_fmac_f32_e32 v96, v45, v16
	v_fma_f32 v10, v44, v16, -v17
	v_add_f32_e32 v5, v5, v95
	v_add_f32_e32 v4, v4, v9
	s_waitcnt vmcnt(6) lgkmcnt(5)
	v_mul_f32_e32 v98, v48, v21
	v_mul_f32_e32 v21, v49, v21
	v_fmac_f32_e32 v97, v47, v18
	v_fma_f32 v11, v46, v18, -v19
	v_add_f32_e32 v5, v5, v96
	v_add_f32_e32 v4, v4, v10
	v_mul_f32_e32 v99, v50, v23
	v_mul_f32_e32 v23, v51, v23
	v_fmac_f32_e32 v98, v49, v20
	v_fma_f32 v12, v48, v20, -v21
	v_add_f32_e32 v5, v5, v97
	v_add_f32_e32 v4, v4, v11
	s_waitcnt vmcnt(5) lgkmcnt(4)
	v_mul_f32_e32 v85, v52, v25
	v_mul_f32_e32 v25, v53, v25
	v_fmac_f32_e32 v99, v51, v22
	v_fma_f32 v13, v50, v22, -v23
	v_add_f32_e32 v5, v5, v98
	v_add_f32_e32 v4, v4, v12
	v_mul_f32_e32 v87, v54, v27
	v_mul_f32_e32 v27, v55, v27
	s_waitcnt vmcnt(4) lgkmcnt(3)
	v_pk_mul_f32 v[88:89], v[68:69], v[28:29] op_sel:[1,1] op_sel_hi:[0,1]
	v_fmac_f32_e32 v85, v53, v24
	v_fma_f32 v84, v52, v24, -v25
	v_add_f32_e32 v5, v5, v99
	v_add_f32_e32 v4, v4, v13
	v_fmac_f32_e32 v87, v55, v26
	v_fma_f32 v86, v54, v26, -v27
	v_pk_add_f32 v[4:5], v[4:5], v[84:85]
	v_pk_fma_f32 v[6:7], v[68:69], v[28:29], v[88:89] neg_lo:[0,0,1] neg_hi:[0,0,1]
	v_pk_fma_f32 v[8:9], v[68:69], v[28:29], v[88:89] op_sel_hi:[1,0,1]
	v_pk_add_f32 v[4:5], v[4:5], v[86:87]
	v_mov_b32_e32 v7, v9
	v_pk_add_f32 v[4:5], v[4:5], v[6:7]
	v_mov_b32_e32 v6, v31
	v_pk_mul_f32 v[6:7], v[70:71], v[6:7] op_sel:[1,0] op_sel_hi:[0,0]
	v_pk_fma_f32 v[8:9], v[70:71], v[30:31], v[6:7] neg_lo:[0,0,1] neg_hi:[0,0,1]
	v_pk_fma_f32 v[6:7], v[70:71], v[30:31], v[6:7] op_sel_hi:[1,0,1]
	s_nop 0
	v_mov_b32_e32 v9, v7
	s_waitcnt vmcnt(3) lgkmcnt(2)
	v_pk_mul_f32 v[6:7], v[72:73], v[56:57] op_sel:[1,1] op_sel_hi:[0,1]
	v_pk_add_f32 v[4:5], v[4:5], v[8:9]
	v_pk_fma_f32 v[8:9], v[72:73], v[56:57], v[6:7] neg_lo:[0,0,1] neg_hi:[0,0,1]
	v_pk_fma_f32 v[6:7], v[72:73], v[56:57], v[6:7] op_sel_hi:[1,0,1]
	s_nop 0
	v_mov_b32_e32 v6, v59
	v_mov_b32_e32 v9, v7
	v_pk_mul_f32 v[6:7], v[74:75], v[6:7] op_sel:[1,0] op_sel_hi:[0,0]
	v_pk_add_f32 v[4:5], v[4:5], v[8:9]
	v_pk_fma_f32 v[8:9], v[74:75], v[58:59], v[6:7] neg_lo:[0,0,1] neg_hi:[0,0,1]
	v_pk_fma_f32 v[6:7], v[74:75], v[58:59], v[6:7] op_sel_hi:[1,0,1]
	s_nop 0
	v_mov_b32_e32 v9, v7
	s_waitcnt vmcnt(2) lgkmcnt(1)
	v_pk_mul_f32 v[6:7], v[76:77], v[60:61] op_sel:[1,1] op_sel_hi:[0,1]
	v_pk_add_f32 v[4:5], v[4:5], v[8:9]
	v_pk_fma_f32 v[8:9], v[76:77], v[60:61], v[6:7] neg_lo:[0,0,1] neg_hi:[0,0,1]
	v_pk_fma_f32 v[6:7], v[76:77], v[60:61], v[6:7] op_sel_hi:[1,0,1]
	s_nop 0
	v_mov_b32_e32 v6, v63
	v_mov_b32_e32 v9, v7
	v_pk_mul_f32 v[6:7], v[78:79], v[6:7] op_sel:[1,0] op_sel_hi:[0,0]
	v_pk_add_f32 v[4:5], v[4:5], v[8:9]
	;; [unrolled: 14-line block ×3, first 2 shown]
	v_pk_fma_f32 v[8:9], v[82:83], v[66:67], v[6:7] neg_lo:[0,0,1] neg_hi:[0,0,1]
	v_pk_fma_f32 v[6:7], v[82:83], v[66:67], v[6:7] op_sel_hi:[1,0,1]
	s_nop 0
	v_mov_b32_e32 v9, v7
	v_pk_add_f32 v[4:5], v[4:5], v[8:9]
	s_waitcnt vmcnt(0)
	v_pk_add_f32 v[2:3], v[2:3], v[4:5] neg_lo:[0,1] neg_hi:[0,1]
	scratch_store_dwordx2 off, v[2:3], off offset:264
	s_and_saveexec_b64 s[0:1], vcc
	s_cbranch_execz .LBB53_273
; %bb.272:
	scratch_load_dwordx2 v[2:3], off, off offset:256
	v_mov_b32_e32 v4, 0
	v_mov_b32_e32 v5, v4
	scratch_store_dwordx2 off, v[4:5], off offset:256
	s_waitcnt vmcnt(1)
	ds_write_b64 v1, v[2:3]
.LBB53_273:
	s_or_b64 exec, exec, s[0:1]
	s_waitcnt lgkmcnt(0)
	; wave barrier
	scratch_load_dwordx4 v[2:5], off, off offset:264
	scratch_load_dwordx4 v[8:11], off, off offset:280
	scratch_load_dwordx4 v[12:15], off, off offset:296
	scratch_load_dwordx4 v[16:19], off, off offset:312
	scratch_load_dwordx4 v[20:23], off, off offset:328
	scratch_load_dwordx4 v[24:27], off, off offset:344
	scratch_load_dwordx4 v[28:31], off, off offset:360
	scratch_load_dwordx4 v[32:35], off, off offset:376
	scratch_load_dwordx4 v[36:39], off, off offset:392
	scratch_load_dwordx4 v[40:43], off, off offset:408
	scratch_load_dwordx2 v[76:77], off, off offset:424
	scratch_load_dwordx2 v[78:79], off, off offset:256
	v_mov_b32_e32 v6, 0
	ds_read2_b64 v[44:47], v6 offset0:87 offset1:88
	ds_read2_b64 v[48:51], v6 offset0:89 offset1:90
	;; [unrolled: 1-line block ×8, first 2 shown]
	v_cmp_lt_u32_e32 vcc, 31, v0
	s_waitcnt vmcnt(11) lgkmcnt(7)
	v_mul_f32_e32 v7, v44, v3
	v_mul_f32_e32 v3, v45, v3
	;; [unrolled: 1-line block ×4, first 2 shown]
	v_fmac_f32_e32 v7, v45, v2
	v_fma_f32 v2, v44, v2, -v3
	s_waitcnt vmcnt(10) lgkmcnt(6)
	v_mul_f32_e32 v82, v48, v9
	v_mul_f32_e32 v9, v49, v9
	v_fma_f32 v3, v46, v4, -v5
	v_add_f32_e32 v2, 0, v2
	v_mul_f32_e32 v84, v50, v11
	v_mul_f32_e32 v11, v51, v11
	v_fmac_f32_e32 v80, v47, v4
	v_fma_f32 v4, v48, v8, -v9
	v_add_f32_e32 v7, 0, v7
	v_add_f32_e32 v2, v2, v3
	s_waitcnt vmcnt(9) lgkmcnt(5)
	v_mul_f32_e32 v85, v52, v13
	v_mul_f32_e32 v13, v53, v13
	v_fmac_f32_e32 v82, v49, v8
	v_fma_f32 v5, v50, v10, -v11
	v_add_f32_e32 v7, v7, v80
	v_add_f32_e32 v2, v2, v4
	v_mul_f32_e32 v86, v54, v15
	v_mul_f32_e32 v15, v55, v15
	v_fmac_f32_e32 v84, v51, v10
	v_fma_f32 v8, v52, v12, -v13
	v_add_f32_e32 v3, v7, v82
	v_add_f32_e32 v2, v2, v5
	s_waitcnt vmcnt(8) lgkmcnt(4)
	v_mul_f32_e32 v87, v56, v17
	v_mul_f32_e32 v17, v57, v17
	v_fmac_f32_e32 v85, v53, v12
	v_fma_f32 v9, v54, v14, -v15
	v_add_f32_e32 v3, v3, v84
	;; [unrolled: 13-line block ×4, first 2 shown]
	v_add_f32_e32 v2, v2, v12
	v_fmac_f32_e32 v90, v63, v22
	v_fma_f32 v14, v64, v24, -v25
	v_add_f32_e32 v3, v3, v89
	v_add_f32_e32 v2, v2, v13
	v_mul_f32_e32 v81, v66, v27
	v_fmac_f32_e32 v91, v65, v24
	v_add_f32_e32 v3, v3, v90
	v_add_f32_e32 v12, v2, v14
	v_mul_f32_e32 v2, v67, v27
	s_waitcnt vmcnt(5)
	v_mov_b32_e32 v16, v31
	s_waitcnt lgkmcnt(1)
	v_mul_f32_e32 v83, v68, v29
	v_fmac_f32_e32 v81, v67, v26
	v_add_f32_e32 v13, v3, v91
	v_fma_f32 v80, v66, v26, -v2
	v_mul_f32_e32 v2, v69, v29
	v_pk_mul_f32 v[16:17], v[70:71], v[16:17] op_sel:[1,0] op_sel_hi:[0,0]
	v_fmac_f32_e32 v83, v69, v28
	v_fma_f32 v82, v68, v28, -v2
	v_pk_add_f32 v[12:13], v[12:13], v[80:81]
	v_pk_fma_f32 v[18:19], v[70:71], v[30:31], v[16:17] neg_lo:[0,0,1] neg_hi:[0,0,1]
	v_pk_fma_f32 v[16:17], v[70:71], v[30:31], v[16:17] op_sel_hi:[1,0,1]
	v_pk_add_f32 v[12:13], v[12:13], v[82:83]
	v_mov_b32_e32 v19, v17
	s_waitcnt vmcnt(4) lgkmcnt(0)
	v_pk_mul_f32 v[16:17], v[72:73], v[32:33] op_sel:[1,1] op_sel_hi:[0,1]
	v_pk_add_f32 v[12:13], v[12:13], v[18:19]
	v_pk_fma_f32 v[18:19], v[72:73], v[32:33], v[16:17] neg_lo:[0,0,1] neg_hi:[0,0,1]
	v_pk_fma_f32 v[16:17], v[72:73], v[32:33], v[16:17] op_sel_hi:[1,0,1]
	ds_read2_b64 v[2:5], v6 offset0:103 offset1:104
	ds_read2_b64 v[8:11], v6 offset0:105 offset1:106
	ds_read_b64 v[14:15], v6 offset:856
	v_mov_b32_e32 v16, v35
	v_mov_b32_e32 v19, v17
	v_pk_mul_f32 v[16:17], v[74:75], v[16:17] op_sel:[1,0] op_sel_hi:[0,0]
	v_pk_add_f32 v[12:13], v[12:13], v[18:19]
	v_pk_fma_f32 v[18:19], v[74:75], v[34:35], v[16:17] neg_lo:[0,0,1] neg_hi:[0,0,1]
	v_pk_fma_f32 v[16:17], v[74:75], v[34:35], v[16:17] op_sel_hi:[1,0,1]
	s_nop 0
	v_mov_b32_e32 v19, v17
	s_waitcnt vmcnt(3) lgkmcnt(2)
	v_pk_mul_f32 v[16:17], v[2:3], v[36:37] op_sel:[1,1] op_sel_hi:[0,1]
	v_pk_add_f32 v[12:13], v[12:13], v[18:19]
	v_pk_fma_f32 v[18:19], v[2:3], v[36:37], v[16:17] neg_lo:[0,0,1] neg_hi:[0,0,1]
	v_pk_fma_f32 v[2:3], v[2:3], v[36:37], v[16:17] op_sel_hi:[1,0,1]
	s_nop 0
	v_mov_b32_e32 v19, v3
	v_pk_add_f32 v[2:3], v[12:13], v[18:19]
	v_mov_b32_e32 v12, v39
	v_pk_mul_f32 v[12:13], v[4:5], v[12:13] op_sel:[1,0] op_sel_hi:[0,0]
	v_pk_fma_f32 v[16:17], v[4:5], v[38:39], v[12:13] neg_lo:[0,0,1] neg_hi:[0,0,1]
	v_pk_fma_f32 v[4:5], v[4:5], v[38:39], v[12:13] op_sel_hi:[1,0,1]
	s_nop 0
	v_mov_b32_e32 v17, v5
	s_waitcnt vmcnt(2) lgkmcnt(1)
	v_pk_mul_f32 v[4:5], v[8:9], v[40:41] op_sel:[1,1] op_sel_hi:[0,1]
	v_pk_fma_f32 v[12:13], v[8:9], v[40:41], v[4:5] neg_lo:[0,0,1] neg_hi:[0,0,1]
	v_pk_fma_f32 v[4:5], v[8:9], v[40:41], v[4:5] op_sel_hi:[1,0,1]
	v_pk_add_f32 v[2:3], v[2:3], v[16:17]
	v_mov_b32_e32 v4, v43
	v_mov_b32_e32 v13, v5
	v_pk_mul_f32 v[4:5], v[10:11], v[4:5] op_sel:[1,0] op_sel_hi:[0,0]
	v_pk_fma_f32 v[8:9], v[10:11], v[42:43], v[4:5] neg_lo:[0,0,1] neg_hi:[0,0,1]
	v_pk_fma_f32 v[4:5], v[10:11], v[42:43], v[4:5] op_sel_hi:[1,0,1]
	v_pk_add_f32 v[2:3], v[2:3], v[12:13]
	v_mov_b32_e32 v9, v5
	s_waitcnt vmcnt(1) lgkmcnt(0)
	v_pk_mul_f32 v[4:5], v[14:15], v[76:77] op_sel:[1,1] op_sel_hi:[0,1]
	v_pk_add_f32 v[2:3], v[2:3], v[8:9]
	v_pk_fma_f32 v[8:9], v[14:15], v[76:77], v[4:5] neg_lo:[0,0,1] neg_hi:[0,0,1]
	v_pk_fma_f32 v[4:5], v[14:15], v[76:77], v[4:5] op_sel_hi:[1,0,1]
	s_nop 0
	v_mov_b32_e32 v9, v5
	v_pk_add_f32 v[2:3], v[2:3], v[8:9]
	s_waitcnt vmcnt(0)
	v_pk_add_f32 v[2:3], v[78:79], v[2:3] neg_lo:[0,1] neg_hi:[0,1]
	scratch_store_dwordx2 off, v[2:3], off offset:256
	s_and_saveexec_b64 s[0:1], vcc
	s_cbranch_execz .LBB53_275
; %bb.274:
	scratch_load_dwordx2 v[2:3], off, off offset:248
	v_mov_b32_e32 v7, v6
	scratch_store_dwordx2 off, v[6:7], off offset:248
	s_waitcnt vmcnt(1)
	ds_write_b64 v1, v[2:3]
.LBB53_275:
	s_or_b64 exec, exec, s[0:1]
	s_waitcnt lgkmcnt(0)
	; wave barrier
	scratch_load_dwordx4 v[8:11], off, off offset:256
	scratch_load_dwordx4 v[12:15], off, off offset:272
	;; [unrolled: 1-line block ×7, first 2 shown]
	ds_read_b128 v[36:39], v6 offset:688
	ds_read_b128 v[40:43], v6 offset:704
	;; [unrolled: 1-line block ×6, first 2 shown]
	scratch_load_dwordx4 v[60:63], off, off offset:368
	scratch_load_dwordx4 v[64:67], off, off offset:384
	;; [unrolled: 1-line block ×4, first 2 shown]
	ds_read_b128 v[72:75], v6 offset:784
	ds_read_b128 v[76:79], v6 offset:800
	scratch_load_dwordx2 v[80:81], off, off offset:248
	v_cmp_lt_u32_e32 vcc, 30, v0
	s_waitcnt vmcnt(11) lgkmcnt(7)
	v_mul_f32_e32 v7, v36, v9
	v_mul_f32_e32 v82, v38, v11
	;; [unrolled: 1-line block ×3, first 2 shown]
	v_fmac_f32_e32 v7, v37, v8
	s_waitcnt vmcnt(10) lgkmcnt(6)
	v_mul_f32_e32 v84, v40, v13
	v_mul_f32_e32 v11, v39, v11
	v_fmac_f32_e32 v82, v39, v10
	v_fma_f32 v8, v36, v8, -v9
	v_add_f32_e32 v7, 0, v7
	v_mul_f32_e32 v86, v42, v15
	v_mul_f32_e32 v13, v41, v13
	v_fmac_f32_e32 v84, v41, v12
	v_fma_f32 v9, v38, v10, -v11
	v_add_f32_e32 v8, 0, v8
	v_add_f32_e32 v7, v7, v82
	s_waitcnt vmcnt(9) lgkmcnt(5)
	v_mul_f32_e32 v87, v44, v17
	v_mul_f32_e32 v15, v43, v15
	v_fmac_f32_e32 v86, v43, v14
	v_fma_f32 v10, v40, v12, -v13
	v_add_f32_e32 v8, v8, v9
	v_add_f32_e32 v7, v7, v84
	v_mul_f32_e32 v88, v46, v19
	v_mul_f32_e32 v17, v45, v17
	v_fmac_f32_e32 v87, v45, v16
	v_fma_f32 v11, v42, v14, -v15
	v_add_f32_e32 v8, v8, v10
	v_add_f32_e32 v7, v7, v86
	s_waitcnt vmcnt(8) lgkmcnt(4)
	v_mul_f32_e32 v89, v48, v21
	v_mul_f32_e32 v19, v47, v19
	v_fmac_f32_e32 v88, v47, v18
	v_fma_f32 v12, v44, v16, -v17
	v_add_f32_e32 v8, v8, v11
	;; [unrolled: 13-line block ×4, first 2 shown]
	v_add_f32_e32 v7, v7, v91
	v_mul_f32_e32 v94, v58, v31
	v_mul_f32_e32 v29, v57, v29
	v_fmac_f32_e32 v93, v57, v28
	v_fma_f32 v17, v54, v26, -v27
	v_add_f32_e32 v8, v8, v16
	v_add_f32_e32 v7, v7, v92
	v_fmac_f32_e32 v94, v59, v30
	v_fma_f32 v18, v56, v28, -v29
	v_add_f32_e32 v8, v8, v17
	v_add_f32_e32 v7, v7, v93
	;; [unrolled: 1-line block ×4, first 2 shown]
	v_mul_f32_e32 v8, v59, v31
	v_fma_f32 v8, v58, v30, -v8
	s_waitcnt vmcnt(5) lgkmcnt(1)
	v_mul_f32_e32 v83, v72, v33
	v_add_f32_e32 v20, v7, v8
	v_mul_f32_e32 v7, v73, v33
	v_fmac_f32_e32 v83, v73, v32
	v_fma_f32 v82, v72, v32, -v7
	v_mul_f32_e32 v7, v75, v35
	v_fma_f32 v84, v74, v34, -v7
	ds_read_b128 v[8:11], v6 offset:816
	ds_read_b128 v[12:15], v6 offset:832
	;; [unrolled: 1-line block ×3, first 2 shown]
	v_pk_add_f32 v[6:7], v[20:21], v[82:83]
	s_waitcnt vmcnt(4) lgkmcnt(3)
	v_pk_mul_f32 v[20:21], v[76:77], v[60:61] op_sel:[1,1] op_sel_hi:[0,1]
	v_mul_f32_e32 v85, v74, v35
	v_pk_fma_f32 v[22:23], v[76:77], v[60:61], v[20:21] neg_lo:[0,0,1] neg_hi:[0,0,1]
	v_pk_fma_f32 v[20:21], v[76:77], v[60:61], v[20:21] op_sel_hi:[1,0,1]
	v_fmac_f32_e32 v85, v75, v34
	v_mov_b32_e32 v20, v63
	v_pk_add_f32 v[6:7], v[6:7], v[84:85]
	v_mov_b32_e32 v23, v21
	v_pk_mul_f32 v[20:21], v[78:79], v[20:21] op_sel:[1,0] op_sel_hi:[0,0]
	v_pk_add_f32 v[6:7], v[6:7], v[22:23]
	v_pk_fma_f32 v[22:23], v[78:79], v[62:63], v[20:21] neg_lo:[0,0,1] neg_hi:[0,0,1]
	v_pk_fma_f32 v[20:21], v[78:79], v[62:63], v[20:21] op_sel_hi:[1,0,1]
	s_nop 0
	v_mov_b32_e32 v23, v21
	s_waitcnt vmcnt(3) lgkmcnt(2)
	v_pk_mul_f32 v[20:21], v[8:9], v[64:65] op_sel:[1,1] op_sel_hi:[0,1]
	v_pk_add_f32 v[6:7], v[6:7], v[22:23]
	v_pk_fma_f32 v[22:23], v[8:9], v[64:65], v[20:21] neg_lo:[0,0,1] neg_hi:[0,0,1]
	v_pk_fma_f32 v[8:9], v[8:9], v[64:65], v[20:21] op_sel_hi:[1,0,1]
	s_nop 0
	v_mov_b32_e32 v8, v67
	v_mov_b32_e32 v23, v9
	v_pk_mul_f32 v[8:9], v[10:11], v[8:9] op_sel:[1,0] op_sel_hi:[0,0]
	v_pk_fma_f32 v[20:21], v[10:11], v[66:67], v[8:9] neg_lo:[0,0,1] neg_hi:[0,0,1]
	v_pk_fma_f32 v[8:9], v[10:11], v[66:67], v[8:9] op_sel_hi:[1,0,1]
	v_pk_add_f32 v[6:7], v[6:7], v[22:23]
	v_mov_b32_e32 v21, v9
	s_waitcnt vmcnt(2) lgkmcnt(1)
	v_pk_mul_f32 v[8:9], v[12:13], v[68:69] op_sel:[1,1] op_sel_hi:[0,1]
	v_pk_fma_f32 v[10:11], v[12:13], v[68:69], v[8:9] neg_lo:[0,0,1] neg_hi:[0,0,1]
	v_pk_fma_f32 v[8:9], v[12:13], v[68:69], v[8:9] op_sel_hi:[1,0,1]
	v_pk_add_f32 v[6:7], v[6:7], v[20:21]
	v_mov_b32_e32 v8, v71
	v_mov_b32_e32 v11, v9
	v_pk_mul_f32 v[8:9], v[14:15], v[8:9] op_sel:[1,0] op_sel_hi:[0,0]
	v_pk_add_f32 v[6:7], v[6:7], v[10:11]
	v_pk_fma_f32 v[10:11], v[14:15], v[70:71], v[8:9] neg_lo:[0,0,1] neg_hi:[0,0,1]
	v_pk_fma_f32 v[8:9], v[14:15], v[70:71], v[8:9] op_sel_hi:[1,0,1]
	s_nop 0
	v_mov_b32_e32 v11, v9
	s_waitcnt vmcnt(1) lgkmcnt(0)
	v_pk_mul_f32 v[8:9], v[16:17], v[2:3] op_sel:[1,1] op_sel_hi:[0,1]
	v_pk_add_f32 v[6:7], v[6:7], v[10:11]
	v_pk_fma_f32 v[10:11], v[16:17], v[2:3], v[8:9] neg_lo:[0,0,1] neg_hi:[0,0,1]
	v_pk_fma_f32 v[2:3], v[16:17], v[2:3], v[8:9] op_sel_hi:[1,0,1]
	s_nop 0
	v_mov_b32_e32 v11, v3
	v_pk_add_f32 v[2:3], v[6:7], v[10:11]
	v_mov_b32_e32 v6, v5
	v_pk_mul_f32 v[6:7], v[18:19], v[6:7] op_sel:[1,0] op_sel_hi:[0,0]
	v_pk_fma_f32 v[8:9], v[18:19], v[4:5], v[6:7] neg_lo:[0,0,1] neg_hi:[0,0,1]
	v_pk_fma_f32 v[4:5], v[18:19], v[4:5], v[6:7] op_sel_hi:[1,0,1]
	s_nop 0
	v_mov_b32_e32 v9, v5
	v_pk_add_f32 v[2:3], v[2:3], v[8:9]
	s_waitcnt vmcnt(0)
	v_pk_add_f32 v[2:3], v[80:81], v[2:3] neg_lo:[0,1] neg_hi:[0,1]
	scratch_store_dwordx2 off, v[2:3], off offset:248
	s_and_saveexec_b64 s[0:1], vcc
	s_cbranch_execz .LBB53_277
; %bb.276:
	scratch_load_dwordx2 v[2:3], off, off offset:240
	v_mov_b32_e32 v4, 0
	v_mov_b32_e32 v5, v4
	scratch_store_dwordx2 off, v[4:5], off offset:240
	s_waitcnt vmcnt(1)
	ds_write_b64 v1, v[2:3]
.LBB53_277:
	s_or_b64 exec, exec, s[0:1]
	s_waitcnt lgkmcnt(0)
	; wave barrier
	scratch_load_dwordx4 v[2:5], off, off offset:248
	scratch_load_dwordx4 v[14:17], off, off offset:264
	;; [unrolled: 1-line block ×11, first 2 shown]
	scratch_load_dwordx2 v[22:23], off, off offset:424
	scratch_load_dwordx2 v[36:37], off, off offset:240
	v_mov_b32_e32 v38, 0
	ds_read2_b64 v[52:55], v38 offset0:85 offset1:86
	ds_read2_b64 v[56:59], v38 offset0:87 offset1:88
	;; [unrolled: 1-line block ×8, first 2 shown]
	v_cmp_lt_u32_e32 vcc, 29, v0
	s_waitcnt vmcnt(12) lgkmcnt(7)
	v_mul_f32_e32 v39, v52, v3
	v_mul_f32_e32 v84, v54, v5
	;; [unrolled: 1-line block ×3, first 2 shown]
	v_fmac_f32_e32 v39, v53, v2
	s_waitcnt vmcnt(8) lgkmcnt(3)
	v_mul_f32_e32 v93, v68, v19
	v_mul_f32_e32 v19, v69, v19
	;; [unrolled: 1-line block ×4, first 2 shown]
	v_fmac_f32_e32 v84, v55, v4
	v_fmac_f32_e32 v93, v69, v18
	v_fma_f32 v2, v52, v2, -v3
	v_fma_f32 v18, v68, v18, -v19
	v_add_f32_e32 v19, 0, v39
	v_mul_f32_e32 v88, v58, v17
	v_fmac_f32_e32 v86, v57, v14
	v_fma_f32 v3, v54, v4, -v5
	v_add_f32_e32 v2, 0, v2
	v_add_f32_e32 v19, v19, v84
	v_mul_f32_e32 v89, v60, v25
	v_fmac_f32_e32 v88, v59, v16
	v_add_f32_e32 v2, v2, v3
	v_add_f32_e32 v3, v19, v86
	v_mul_f32_e32 v90, v62, v27
	v_fmac_f32_e32 v89, v61, v24
	v_add_f32_e32 v3, v3, v88
	v_mul_f32_e32 v91, v64, v29
	v_mul_f32_e32 v15, v57, v15
	v_fmac_f32_e32 v90, v63, v26
	v_add_f32_e32 v3, v3, v89
	v_mul_f32_e32 v92, v66, v31
	v_mul_f32_e32 v17, v59, v17
	v_fmac_f32_e32 v91, v65, v28
	v_fma_f32 v4, v56, v14, -v15
	v_add_f32_e32 v3, v3, v90
	v_mul_f32_e32 v25, v61, v25
	v_fmac_f32_e32 v92, v67, v30
	v_fma_f32 v5, v58, v16, -v17
	v_add_f32_e32 v2, v2, v4
	v_add_f32_e32 v3, v3, v91
	v_mul_f32_e32 v94, v70, v21
	v_mul_f32_e32 v27, v63, v27
	v_fma_f32 v14, v60, v24, -v25
	v_add_f32_e32 v2, v2, v5
	v_add_f32_e32 v3, v3, v92
	s_waitcnt vmcnt(7) lgkmcnt(2)
	v_mul_f32_e32 v95, v72, v33
	v_mul_f32_e32 v29, v65, v29
	v_fmac_f32_e32 v94, v71, v20
	v_fma_f32 v15, v62, v26, -v27
	v_add_f32_e32 v2, v2, v14
	v_add_f32_e32 v3, v3, v93
	v_mul_f32_e32 v96, v74, v35
	v_mul_f32_e32 v31, v67, v31
	v_fmac_f32_e32 v95, v73, v32
	v_fma_f32 v16, v64, v28, -v29
	v_add_f32_e32 v2, v2, v15
	v_add_f32_e32 v3, v3, v94
	s_waitcnt vmcnt(6) lgkmcnt(1)
	v_mul_f32_e32 v97, v76, v41
	v_fmac_f32_e32 v96, v75, v34
	v_fma_f32 v17, v66, v30, -v31
	v_add_f32_e32 v2, v2, v16
	v_add_f32_e32 v3, v3, v95
	v_mul_f32_e32 v21, v71, v21
	v_fmac_f32_e32 v97, v77, v40
	v_add_f32_e32 v2, v2, v17
	v_add_f32_e32 v3, v3, v96
	;; [unrolled: 1-line block ×4, first 2 shown]
	v_fma_f32 v3, v70, v20, -v21
	v_add_f32_e32 v2, v2, v3
	v_mul_f32_e32 v3, v73, v33
	v_fma_f32 v3, v72, v32, -v3
	v_add_f32_e32 v2, v2, v3
	v_mul_f32_e32 v3, v75, v35
	v_fma_f32 v3, v74, v34, -v3
	v_add_f32_e32 v2, v2, v3
	v_mul_f32_e32 v3, v77, v41
	v_fma_f32 v3, v76, v40, -v3
	v_add_f32_e32 v24, v2, v3
	v_mul_f32_e32 v2, v79, v43
	v_mul_f32_e32 v85, v78, v43
	v_fma_f32 v84, v78, v42, -v2
	s_waitcnt vmcnt(5) lgkmcnt(0)
	v_mul_f32_e32 v2, v81, v45
	v_mov_b32_e32 v28, v47
	v_mul_f32_e32 v87, v80, v45
	v_fmac_f32_e32 v85, v79, v42
	v_fma_f32 v86, v80, v44, -v2
	ds_read2_b64 v[2:5], v38 offset0:101 offset1:102
	ds_read2_b64 v[14:17], v38 offset0:103 offset1:104
	;; [unrolled: 1-line block ×3, first 2 shown]
	ds_read_b64 v[26:27], v38 offset:856
	v_pk_mul_f32 v[28:29], v[82:83], v[28:29] op_sel:[1,0] op_sel_hi:[0,0]
	v_fmac_f32_e32 v87, v81, v44
	v_pk_add_f32 v[24:25], v[24:25], v[84:85]
	v_pk_fma_f32 v[30:31], v[82:83], v[46:47], v[28:29] neg_lo:[0,0,1] neg_hi:[0,0,1]
	v_pk_fma_f32 v[28:29], v[82:83], v[46:47], v[28:29] op_sel_hi:[1,0,1]
	v_pk_add_f32 v[24:25], v[24:25], v[86:87]
	v_mov_b32_e32 v31, v29
	s_waitcnt vmcnt(4) lgkmcnt(3)
	v_pk_mul_f32 v[28:29], v[2:3], v[48:49] op_sel:[1,1] op_sel_hi:[0,1]
	v_pk_add_f32 v[24:25], v[24:25], v[30:31]
	v_pk_fma_f32 v[30:31], v[2:3], v[48:49], v[28:29] neg_lo:[0,0,1] neg_hi:[0,0,1]
	v_pk_fma_f32 v[2:3], v[2:3], v[48:49], v[28:29] op_sel_hi:[1,0,1]
	s_nop 0
	v_mov_b32_e32 v31, v3
	v_pk_add_f32 v[2:3], v[24:25], v[30:31]
	v_mov_b32_e32 v24, v51
	v_pk_mul_f32 v[24:25], v[4:5], v[24:25] op_sel:[1,0] op_sel_hi:[0,0]
	v_pk_fma_f32 v[28:29], v[4:5], v[50:51], v[24:25] neg_lo:[0,0,1] neg_hi:[0,0,1]
	v_pk_fma_f32 v[4:5], v[4:5], v[50:51], v[24:25] op_sel_hi:[1,0,1]
	s_nop 0
	v_mov_b32_e32 v29, v5
	s_waitcnt vmcnt(3) lgkmcnt(2)
	v_pk_mul_f32 v[4:5], v[14:15], v[10:11] op_sel:[1,1] op_sel_hi:[0,1]
	v_pk_fma_f32 v[24:25], v[14:15], v[10:11], v[4:5] neg_lo:[0,0,1] neg_hi:[0,0,1]
	v_pk_fma_f32 v[4:5], v[14:15], v[10:11], v[4:5] op_sel_hi:[1,0,1]
	v_pk_add_f32 v[2:3], v[2:3], v[28:29]
	v_mov_b32_e32 v4, v13
	v_mov_b32_e32 v25, v5
	v_pk_mul_f32 v[4:5], v[16:17], v[4:5] op_sel:[1,0] op_sel_hi:[0,0]
	v_pk_fma_f32 v[10:11], v[16:17], v[12:13], v[4:5] neg_lo:[0,0,1] neg_hi:[0,0,1]
	v_pk_fma_f32 v[4:5], v[16:17], v[12:13], v[4:5] op_sel_hi:[1,0,1]
	v_pk_add_f32 v[2:3], v[2:3], v[24:25]
	v_mov_b32_e32 v11, v5
	s_waitcnt vmcnt(2) lgkmcnt(1)
	v_pk_mul_f32 v[4:5], v[18:19], v[6:7] op_sel:[1,1] op_sel_hi:[0,1]
	v_pk_add_f32 v[2:3], v[2:3], v[10:11]
	v_pk_fma_f32 v[10:11], v[18:19], v[6:7], v[4:5] neg_lo:[0,0,1] neg_hi:[0,0,1]
	v_pk_fma_f32 v[4:5], v[18:19], v[6:7], v[4:5] op_sel_hi:[1,0,1]
	s_nop 0
	v_mov_b32_e32 v4, v9
	v_mov_b32_e32 v11, v5
	v_pk_mul_f32 v[4:5], v[20:21], v[4:5] op_sel:[1,0] op_sel_hi:[0,0]
	v_pk_fma_f32 v[6:7], v[20:21], v[8:9], v[4:5] neg_lo:[0,0,1] neg_hi:[0,0,1]
	v_pk_fma_f32 v[4:5], v[20:21], v[8:9], v[4:5] op_sel_hi:[1,0,1]
	v_pk_add_f32 v[2:3], v[2:3], v[10:11]
	v_mov_b32_e32 v7, v5
	s_waitcnt vmcnt(1) lgkmcnt(0)
	v_pk_mul_f32 v[4:5], v[26:27], v[22:23] op_sel:[1,1] op_sel_hi:[0,1]
	v_pk_add_f32 v[2:3], v[2:3], v[6:7]
	v_pk_fma_f32 v[6:7], v[26:27], v[22:23], v[4:5] neg_lo:[0,0,1] neg_hi:[0,0,1]
	v_pk_fma_f32 v[4:5], v[26:27], v[22:23], v[4:5] op_sel_hi:[1,0,1]
	s_nop 0
	v_mov_b32_e32 v7, v5
	v_pk_add_f32 v[2:3], v[2:3], v[6:7]
	s_waitcnt vmcnt(0)
	v_pk_add_f32 v[2:3], v[36:37], v[2:3] neg_lo:[0,1] neg_hi:[0,1]
	scratch_store_dwordx2 off, v[2:3], off offset:240
	s_and_saveexec_b64 s[0:1], vcc
	s_cbranch_execz .LBB53_279
; %bb.278:
	scratch_load_dwordx2 v[2:3], off, off offset:232
	v_mov_b32_e32 v39, v38
	scratch_store_dwordx2 off, v[38:39], off offset:232
	s_waitcnt vmcnt(1)
	ds_write_b64 v1, v[2:3]
.LBB53_279:
	s_or_b64 exec, exec, s[0:1]
	s_waitcnt lgkmcnt(0)
	; wave barrier
	scratch_load_dwordx4 v[6:9], off, off offset:240
	scratch_load_dwordx4 v[18:21], off, off offset:256
	;; [unrolled: 1-line block ×8, first 2 shown]
	ds_read_b128 v[48:51], v38 offset:672
	ds_read_b128 v[52:55], v38 offset:688
	;; [unrolled: 1-line block ×8, first 2 shown]
	scratch_load_dwordx4 v[80:83], off, off offset:368
	scratch_load_dwordx4 v[26:29], off, off offset:384
	;; [unrolled: 1-line block ×4, first 2 shown]
	scratch_load_dwordx2 v[84:85], off, off offset:232
	v_cmp_lt_u32_e32 vcc, 28, v0
	s_waitcnt vmcnt(12) lgkmcnt(7)
	v_mul_f32_e32 v39, v48, v7
	v_mul_f32_e32 v86, v50, v9
	;; [unrolled: 1-line block ×3, first 2 shown]
	v_fmac_f32_e32 v39, v49, v6
	s_waitcnt vmcnt(8) lgkmcnt(3)
	v_mul_f32_e32 v95, v64, v15
	v_mul_f32_e32 v15, v65, v15
	;; [unrolled: 1-line block ×4, first 2 shown]
	v_fmac_f32_e32 v86, v51, v8
	v_fmac_f32_e32 v95, v65, v14
	v_fma_f32 v6, v48, v6, -v7
	v_fma_f32 v14, v64, v14, -v15
	v_add_f32_e32 v15, 0, v39
	v_mul_f32_e32 v90, v54, v21
	v_fmac_f32_e32 v88, v53, v18
	v_fma_f32 v7, v50, v8, -v9
	v_add_f32_e32 v6, 0, v6
	v_add_f32_e32 v15, v15, v86
	v_mul_f32_e32 v91, v56, v35
	v_fmac_f32_e32 v90, v55, v20
	v_add_f32_e32 v6, v6, v7
	v_add_f32_e32 v7, v15, v88
	v_mul_f32_e32 v92, v58, v37
	v_fmac_f32_e32 v91, v57, v34
	v_add_f32_e32 v7, v7, v90
	v_mul_f32_e32 v93, v60, v41
	v_fmac_f32_e32 v92, v59, v36
	;; [unrolled: 3-line block ×4, first 2 shown]
	v_add_f32_e32 v7, v7, v93
	v_mul_f32_e32 v96, v66, v17
	v_mul_f32_e32 v21, v55, v21
	v_fma_f32 v8, v52, v18, -v19
	v_add_f32_e32 v7, v7, v94
	s_waitcnt vmcnt(7) lgkmcnt(2)
	v_mul_f32_e32 v97, v68, v23
	v_mul_f32_e32 v35, v57, v35
	v_fmac_f32_e32 v96, v67, v16
	v_fma_f32 v9, v54, v20, -v21
	v_add_f32_e32 v6, v6, v8
	v_add_f32_e32 v7, v7, v95
	v_mul_f32_e32 v98, v70, v25
	v_mul_f32_e32 v37, v59, v37
	v_fmac_f32_e32 v97, v69, v22
	v_fma_f32 v18, v56, v34, -v35
	v_add_f32_e32 v6, v6, v9
	v_add_f32_e32 v7, v7, v96
	s_waitcnt vmcnt(6) lgkmcnt(1)
	v_mul_f32_e32 v99, v72, v31
	v_mul_f32_e32 v41, v61, v41
	v_fmac_f32_e32 v98, v71, v24
	v_fma_f32 v19, v58, v36, -v37
	v_add_f32_e32 v6, v6, v18
	v_add_f32_e32 v7, v7, v97
	v_mul_f32_e32 v100, v74, v33
	v_mul_f32_e32 v43, v63, v43
	v_fmac_f32_e32 v99, v73, v30
	v_fma_f32 v20, v60, v40, -v41
	v_add_f32_e32 v6, v6, v19
	v_add_f32_e32 v7, v7, v98
	v_fmac_f32_e32 v100, v75, v32
	v_fma_f32 v21, v62, v42, -v43
	v_add_f32_e32 v6, v6, v20
	v_add_f32_e32 v7, v7, v99
	;; [unrolled: 1-line block ×4, first 2 shown]
	v_mul_f32_e32 v7, v67, v17
	v_add_f32_e32 v6, v6, v14
	v_fma_f32 v7, v66, v16, -v7
	v_add_f32_e32 v6, v6, v7
	v_mul_f32_e32 v7, v69, v23
	v_fma_f32 v7, v68, v22, -v7
	v_add_f32_e32 v6, v6, v7
	v_mul_f32_e32 v7, v71, v25
	;; [unrolled: 3-line block ×4, first 2 shown]
	v_fma_f32 v7, v74, v32, -v7
	v_add_f32_e32 v34, v6, v7
	s_waitcnt vmcnt(5) lgkmcnt(0)
	v_mul_f32_e32 v6, v77, v45
	v_fma_f32 v86, v76, v44, -v6
	v_mul_f32_e32 v6, v79, v47
	v_fma_f32 v88, v78, v46, -v6
	ds_read_b128 v[6:9], v38 offset:800
	ds_read_b128 v[14:17], v38 offset:816
	;; [unrolled: 1-line block ×4, first 2 shown]
	v_mul_f32_e32 v87, v76, v45
	v_mul_f32_e32 v89, v78, v47
	v_fmac_f32_e32 v87, v77, v44
	s_waitcnt vmcnt(4) lgkmcnt(3)
	v_pk_mul_f32 v[32:33], v[6:7], v[80:81] op_sel:[1,1] op_sel_hi:[0,1]
	v_fmac_f32_e32 v89, v79, v46
	v_pk_add_f32 v[30:31], v[34:35], v[86:87]
	v_pk_fma_f32 v[34:35], v[6:7], v[80:81], v[32:33] neg_lo:[0,0,1] neg_hi:[0,0,1]
	v_pk_fma_f32 v[6:7], v[6:7], v[80:81], v[32:33] op_sel_hi:[1,0,1]
	v_pk_add_f32 v[30:31], v[30:31], v[88:89]
	v_mov_b32_e32 v35, v7
	v_pk_add_f32 v[6:7], v[30:31], v[34:35]
	v_mov_b32_e32 v30, v83
	v_pk_mul_f32 v[30:31], v[8:9], v[30:31] op_sel:[1,0] op_sel_hi:[0,0]
	v_pk_fma_f32 v[32:33], v[8:9], v[82:83], v[30:31] neg_lo:[0,0,1] neg_hi:[0,0,1]
	v_pk_fma_f32 v[8:9], v[8:9], v[82:83], v[30:31] op_sel_hi:[1,0,1]
	s_nop 0
	v_mov_b32_e32 v33, v9
	s_waitcnt vmcnt(3) lgkmcnt(2)
	v_pk_mul_f32 v[8:9], v[14:15], v[26:27] op_sel:[1,1] op_sel_hi:[0,1]
	v_pk_fma_f32 v[30:31], v[14:15], v[26:27], v[8:9] neg_lo:[0,0,1] neg_hi:[0,0,1]
	v_pk_fma_f32 v[8:9], v[14:15], v[26:27], v[8:9] op_sel_hi:[1,0,1]
	v_pk_add_f32 v[6:7], v[6:7], v[32:33]
	v_mov_b32_e32 v8, v29
	v_mov_b32_e32 v31, v9
	v_pk_mul_f32 v[8:9], v[16:17], v[8:9] op_sel:[1,0] op_sel_hi:[0,0]
	v_pk_fma_f32 v[14:15], v[16:17], v[28:29], v[8:9] neg_lo:[0,0,1] neg_hi:[0,0,1]
	v_pk_fma_f32 v[8:9], v[16:17], v[28:29], v[8:9] op_sel_hi:[1,0,1]
	v_pk_add_f32 v[6:7], v[6:7], v[30:31]
	v_mov_b32_e32 v15, v9
	s_waitcnt vmcnt(2) lgkmcnt(1)
	v_pk_mul_f32 v[8:9], v[18:19], v[10:11] op_sel:[1,1] op_sel_hi:[0,1]
	v_pk_add_f32 v[6:7], v[6:7], v[14:15]
	v_pk_fma_f32 v[14:15], v[18:19], v[10:11], v[8:9] neg_lo:[0,0,1] neg_hi:[0,0,1]
	v_pk_fma_f32 v[8:9], v[18:19], v[10:11], v[8:9] op_sel_hi:[1,0,1]
	s_nop 0
	v_mov_b32_e32 v8, v13
	v_mov_b32_e32 v15, v9
	v_pk_mul_f32 v[8:9], v[20:21], v[8:9] op_sel:[1,0] op_sel_hi:[0,0]
	v_pk_fma_f32 v[10:11], v[20:21], v[12:13], v[8:9] neg_lo:[0,0,1] neg_hi:[0,0,1]
	v_pk_fma_f32 v[8:9], v[20:21], v[12:13], v[8:9] op_sel_hi:[1,0,1]
	v_pk_add_f32 v[6:7], v[6:7], v[14:15]
	v_mov_b32_e32 v11, v9
	s_waitcnt vmcnt(1) lgkmcnt(0)
	v_pk_mul_f32 v[8:9], v[22:23], v[2:3] op_sel:[1,1] op_sel_hi:[0,1]
	v_pk_add_f32 v[6:7], v[6:7], v[10:11]
	v_pk_fma_f32 v[10:11], v[22:23], v[2:3], v[8:9] neg_lo:[0,0,1] neg_hi:[0,0,1]
	v_pk_fma_f32 v[2:3], v[22:23], v[2:3], v[8:9] op_sel_hi:[1,0,1]
	s_nop 0
	v_mov_b32_e32 v11, v3
	v_pk_add_f32 v[2:3], v[6:7], v[10:11]
	v_mov_b32_e32 v6, v5
	v_pk_mul_f32 v[6:7], v[24:25], v[6:7] op_sel:[1,0] op_sel_hi:[0,0]
	v_pk_fma_f32 v[8:9], v[24:25], v[4:5], v[6:7] neg_lo:[0,0,1] neg_hi:[0,0,1]
	v_pk_fma_f32 v[4:5], v[24:25], v[4:5], v[6:7] op_sel_hi:[1,0,1]
	s_nop 0
	v_mov_b32_e32 v9, v5
	v_pk_add_f32 v[2:3], v[2:3], v[8:9]
	s_waitcnt vmcnt(0)
	v_pk_add_f32 v[2:3], v[84:85], v[2:3] neg_lo:[0,1] neg_hi:[0,1]
	scratch_store_dwordx2 off, v[2:3], off offset:232
	s_and_saveexec_b64 s[0:1], vcc
	s_cbranch_execz .LBB53_281
; %bb.280:
	scratch_load_dwordx2 v[2:3], off, off offset:224
	v_mov_b32_e32 v4, 0
	v_mov_b32_e32 v5, v4
	scratch_store_dwordx2 off, v[4:5], off offset:224
	s_waitcnt vmcnt(1)
	ds_write_b64 v1, v[2:3]
.LBB53_281:
	s_or_b64 exec, exec, s[0:1]
	s_waitcnt lgkmcnt(0)
	; wave barrier
	scratch_load_dwordx4 v[2:5], off, off offset:232
	scratch_load_dwordx4 v[22:25], off, off offset:248
	;; [unrolled: 1-line block ×12, first 2 shown]
	scratch_load_dwordx2 v[50:51], off, off offset:424
	scratch_load_dwordx2 v[56:57], off, off offset:224
	v_mov_b32_e32 v58, 0
	ds_read2_b64 v[52:55], v58 offset0:83 offset1:84
	ds_read2_b64 v[60:63], v58 offset0:85 offset1:86
	;; [unrolled: 1-line block ×10, first 2 shown]
	v_cmp_lt_u32_e32 vcc, 27, v0
	s_waitcnt vmcnt(13) lgkmcnt(9)
	v_mul_f32_e32 v59, v52, v3
	v_mul_f32_e32 v96, v54, v5
	;; [unrolled: 1-line block ×3, first 2 shown]
	s_waitcnt vmcnt(10) lgkmcnt(6)
	v_mul_f32_e32 v103, v68, v11
	v_mul_f32_e32 v11, v69, v11
	v_fmac_f32_e32 v59, v53, v2
	v_mul_f32_e32 v98, v60, v23
	v_mul_f32_e32 v5, v55, v5
	v_fmac_f32_e32 v96, v55, v4
	v_fmac_f32_e32 v103, v69, v10
	v_fma_f32 v2, v52, v2, -v3
	v_fma_f32 v10, v68, v10, -v11
	v_add_f32_e32 v11, 0, v59
	v_mul_f32_e32 v100, v62, v25
	v_fmac_f32_e32 v98, v61, v22
	v_fma_f32 v3, v54, v4, -v5
	v_add_f32_e32 v2, 0, v2
	v_add_f32_e32 v11, v11, v96
	v_mul_f32_e32 v101, v64, v39
	v_fmac_f32_e32 v100, v63, v24
	v_add_f32_e32 v2, v2, v3
	v_add_f32_e32 v3, v11, v98
	v_mul_f32_e32 v102, v66, v41
	v_fmac_f32_e32 v101, v65, v38
	v_add_f32_e32 v3, v3, v100
	v_fmac_f32_e32 v102, v67, v40
	v_add_f32_e32 v3, v3, v101
	v_mul_f32_e32 v104, v70, v13
	v_add_f32_e32 v3, v3, v102
	s_waitcnt vmcnt(9) lgkmcnt(5)
	v_mul_f32_e32 v105, v72, v15
	v_fmac_f32_e32 v104, v71, v12
	v_add_f32_e32 v3, v3, v103
	v_mul_f32_e32 v106, v74, v17
	v_fmac_f32_e32 v105, v73, v14
	v_add_f32_e32 v3, v3, v104
	s_waitcnt vmcnt(8) lgkmcnt(4)
	v_mul_f32_e32 v107, v76, v27
	v_fmac_f32_e32 v106, v75, v16
	v_add_f32_e32 v3, v3, v105
	v_mul_f32_e32 v108, v78, v29
	v_mul_f32_e32 v23, v61, v23
	v_fmac_f32_e32 v107, v77, v26
	v_add_f32_e32 v3, v3, v106
	s_waitcnt vmcnt(7) lgkmcnt(3)
	v_mul_f32_e32 v109, v80, v31
	v_mul_f32_e32 v25, v63, v25
	v_fmac_f32_e32 v108, v79, v28
	v_fma_f32 v4, v60, v22, -v23
	v_add_f32_e32 v3, v3, v107
	v_mul_f32_e32 v110, v82, v33
	v_mul_f32_e32 v39, v65, v39
	v_fmac_f32_e32 v109, v81, v30
	v_fma_f32 v5, v62, v24, -v25
	v_add_f32_e32 v2, v2, v4
	v_add_f32_e32 v3, v3, v108
	s_waitcnt vmcnt(6) lgkmcnt(2)
	v_mul_f32_e32 v111, v84, v43
	v_mul_f32_e32 v41, v67, v41
	v_fmac_f32_e32 v110, v83, v32
	v_fma_f32 v22, v64, v38, -v39
	v_add_f32_e32 v2, v2, v5
	v_add_f32_e32 v3, v3, v109
	v_fmac_f32_e32 v111, v85, v42
	v_fma_f32 v23, v66, v40, -v41
	v_add_f32_e32 v2, v2, v22
	v_add_f32_e32 v3, v3, v110
	;; [unrolled: 1-line block ×4, first 2 shown]
	v_mul_f32_e32 v3, v71, v13
	v_add_f32_e32 v2, v2, v10
	v_fma_f32 v3, v70, v12, -v3
	v_add_f32_e32 v2, v2, v3
	v_mul_f32_e32 v3, v73, v15
	v_fma_f32 v3, v72, v14, -v3
	v_add_f32_e32 v2, v2, v3
	v_mul_f32_e32 v3, v75, v17
	;; [unrolled: 3-line block ×7, first 2 shown]
	v_fma_f32 v3, v84, v42, -v3
	v_mul_f32_e32 v97, v86, v45
	v_add_f32_e32 v22, v2, v3
	v_mul_f32_e32 v2, v87, v45
	v_fmac_f32_e32 v97, v87, v44
	v_fma_f32 v96, v86, v44, -v2
	v_pk_add_f32 v[16:17], v[22:23], v[96:97]
	s_waitcnt vmcnt(5)
	v_mov_b32_e32 v22, v49
	s_waitcnt lgkmcnt(1)
	v_mul_f32_e32 v99, v88, v47
	v_mul_f32_e32 v2, v89, v47
	v_pk_mul_f32 v[22:23], v[90:91], v[22:23] op_sel:[1,0] op_sel_hi:[0,0]
	v_fmac_f32_e32 v99, v89, v46
	v_fma_f32 v98, v88, v46, -v2
	v_pk_fma_f32 v[24:25], v[90:91], v[48:49], v[22:23] neg_lo:[0,0,1] neg_hi:[0,0,1]
	v_pk_fma_f32 v[22:23], v[90:91], v[48:49], v[22:23] op_sel_hi:[1,0,1]
	v_pk_add_f32 v[16:17], v[16:17], v[98:99]
	v_mov_b32_e32 v25, v23
	s_waitcnt vmcnt(4) lgkmcnt(0)
	v_pk_mul_f32 v[22:23], v[92:93], v[34:35] op_sel:[1,1] op_sel_hi:[0,1]
	v_pk_add_f32 v[16:17], v[16:17], v[24:25]
	v_pk_fma_f32 v[24:25], v[92:93], v[34:35], v[22:23] neg_lo:[0,0,1] neg_hi:[0,0,1]
	v_pk_fma_f32 v[22:23], v[92:93], v[34:35], v[22:23] op_sel_hi:[1,0,1]
	ds_read2_b64 v[2:5], v58 offset0:103 offset1:104
	ds_read2_b64 v[10:13], v58 offset0:105 offset1:106
	ds_read_b64 v[14:15], v58 offset:856
	v_mov_b32_e32 v22, v37
	v_mov_b32_e32 v25, v23
	v_pk_mul_f32 v[22:23], v[94:95], v[22:23] op_sel:[1,0] op_sel_hi:[0,0]
	v_pk_add_f32 v[16:17], v[16:17], v[24:25]
	v_pk_fma_f32 v[24:25], v[94:95], v[36:37], v[22:23] neg_lo:[0,0,1] neg_hi:[0,0,1]
	v_pk_fma_f32 v[22:23], v[94:95], v[36:37], v[22:23] op_sel_hi:[1,0,1]
	s_nop 0
	v_mov_b32_e32 v25, v23
	s_waitcnt vmcnt(3) lgkmcnt(2)
	v_pk_mul_f32 v[22:23], v[2:3], v[18:19] op_sel:[1,1] op_sel_hi:[0,1]
	v_pk_add_f32 v[16:17], v[16:17], v[24:25]
	v_pk_fma_f32 v[24:25], v[2:3], v[18:19], v[22:23] neg_lo:[0,0,1] neg_hi:[0,0,1]
	v_pk_fma_f32 v[2:3], v[2:3], v[18:19], v[22:23] op_sel_hi:[1,0,1]
	s_nop 0
	v_mov_b32_e32 v25, v3
	v_pk_add_f32 v[2:3], v[16:17], v[24:25]
	v_mov_b32_e32 v16, v21
	v_pk_mul_f32 v[16:17], v[4:5], v[16:17] op_sel:[1,0] op_sel_hi:[0,0]
	v_pk_fma_f32 v[18:19], v[4:5], v[20:21], v[16:17] neg_lo:[0,0,1] neg_hi:[0,0,1]
	v_pk_fma_f32 v[4:5], v[4:5], v[20:21], v[16:17] op_sel_hi:[1,0,1]
	s_nop 0
	v_mov_b32_e32 v19, v5
	s_waitcnt vmcnt(2) lgkmcnt(1)
	v_pk_mul_f32 v[4:5], v[10:11], v[6:7] op_sel:[1,1] op_sel_hi:[0,1]
	v_pk_fma_f32 v[16:17], v[10:11], v[6:7], v[4:5] neg_lo:[0,0,1] neg_hi:[0,0,1]
	v_pk_fma_f32 v[4:5], v[10:11], v[6:7], v[4:5] op_sel_hi:[1,0,1]
	v_pk_add_f32 v[2:3], v[2:3], v[18:19]
	v_mov_b32_e32 v4, v9
	v_mov_b32_e32 v17, v5
	v_pk_mul_f32 v[4:5], v[12:13], v[4:5] op_sel:[1,0] op_sel_hi:[0,0]
	v_pk_fma_f32 v[6:7], v[12:13], v[8:9], v[4:5] neg_lo:[0,0,1] neg_hi:[0,0,1]
	v_pk_fma_f32 v[4:5], v[12:13], v[8:9], v[4:5] op_sel_hi:[1,0,1]
	v_pk_add_f32 v[2:3], v[2:3], v[16:17]
	v_mov_b32_e32 v7, v5
	s_waitcnt vmcnt(1) lgkmcnt(0)
	v_pk_mul_f32 v[4:5], v[14:15], v[50:51] op_sel:[1,1] op_sel_hi:[0,1]
	v_pk_add_f32 v[2:3], v[2:3], v[6:7]
	v_pk_fma_f32 v[6:7], v[14:15], v[50:51], v[4:5] neg_lo:[0,0,1] neg_hi:[0,0,1]
	v_pk_fma_f32 v[4:5], v[14:15], v[50:51], v[4:5] op_sel_hi:[1,0,1]
	s_nop 0
	v_mov_b32_e32 v7, v5
	v_pk_add_f32 v[2:3], v[2:3], v[6:7]
	s_waitcnt vmcnt(0)
	v_pk_add_f32 v[2:3], v[56:57], v[2:3] neg_lo:[0,1] neg_hi:[0,1]
	scratch_store_dwordx2 off, v[2:3], off offset:224
	s_and_saveexec_b64 s[0:1], vcc
	s_cbranch_execz .LBB53_283
; %bb.282:
	scratch_load_dwordx2 v[2:3], off, off offset:216
	v_mov_b32_e32 v59, v58
	scratch_store_dwordx2 off, v[58:59], off offset:216
	s_waitcnt vmcnt(1)
	ds_write_b64 v1, v[2:3]
.LBB53_283:
	s_or_b64 exec, exec, s[0:1]
	s_waitcnt lgkmcnt(0)
	; wave barrier
	scratch_load_dwordx4 v[10:13], off, off offset:224
	scratch_load_dwordx4 v[26:29], off, off offset:240
	;; [unrolled: 1-line block ×9, first 2 shown]
	ds_read_b128 v[60:63], v58 offset:656
	ds_read_b128 v[64:67], v58 offset:672
	;; [unrolled: 1-line block ×8, first 2 shown]
	scratch_load_dwordx4 v[50:53], off, off offset:368
	scratch_load_dwordx4 v[34:37], off, off offset:384
	;; [unrolled: 1-line block ×4, first 2 shown]
	ds_read_b128 v[88:91], v58 offset:784
	ds_read_b128 v[92:95], v58 offset:800
	scratch_load_dwordx2 v[96:97], off, off offset:216
	v_cmp_lt_u32_e32 vcc, 26, v0
	s_waitcnt vmcnt(13) lgkmcnt(9)
	v_mul_f32_e32 v59, v60, v11
	v_mul_f32_e32 v98, v62, v13
	v_fmac_f32_e32 v59, v61, v10
	s_waitcnt vmcnt(10) lgkmcnt(6)
	v_mul_f32_e32 v105, v72, v3
	v_mul_f32_e32 v3, v73, v3
	v_mul_f32_e32 v100, v64, v27
	v_fmac_f32_e32 v98, v63, v12
	v_fmac_f32_e32 v105, v73, v2
	v_fma_f32 v2, v72, v2, -v3
	v_add_f32_e32 v3, 0, v59
	v_mul_f32_e32 v102, v66, v29
	v_fmac_f32_e32 v100, v65, v26
	v_add_f32_e32 v3, v3, v98
	v_mul_f32_e32 v103, v68, v43
	v_fmac_f32_e32 v102, v67, v28
	;; [unrolled: 3-line block ×3, first 2 shown]
	v_add_f32_e32 v3, v3, v102
	v_fmac_f32_e32 v104, v71, v44
	v_add_f32_e32 v3, v3, v103
	v_mul_f32_e32 v106, v74, v5
	v_add_f32_e32 v3, v3, v104
	s_waitcnt vmcnt(9) lgkmcnt(5)
	v_mul_f32_e32 v107, v76, v15
	v_fmac_f32_e32 v106, v75, v4
	v_add_f32_e32 v3, v3, v105
	v_mul_f32_e32 v108, v78, v17
	v_fmac_f32_e32 v107, v77, v14
	v_add_f32_e32 v3, v3, v106
	s_waitcnt vmcnt(8) lgkmcnt(4)
	v_mul_f32_e32 v109, v80, v19
	v_mul_f32_e32 v11, v61, v11
	v_fmac_f32_e32 v108, v79, v16
	v_add_f32_e32 v3, v3, v107
	v_mul_f32_e32 v110, v82, v21
	v_mul_f32_e32 v13, v63, v13
	v_fmac_f32_e32 v109, v81, v18
	v_fma_f32 v10, v60, v10, -v11
	v_add_f32_e32 v3, v3, v108
	s_waitcnt vmcnt(7) lgkmcnt(3)
	v_mul_f32_e32 v111, v84, v31
	v_mul_f32_e32 v27, v65, v27
	v_fmac_f32_e32 v110, v83, v20
	v_fma_f32 v11, v62, v12, -v13
	v_add_f32_e32 v10, 0, v10
	v_add_f32_e32 v3, v3, v109
	v_mul_f32_e32 v112, v86, v33
	v_mul_f32_e32 v29, v67, v29
	v_fmac_f32_e32 v111, v85, v30
	v_fma_f32 v12, v64, v26, -v27
	v_add_f32_e32 v10, v10, v11
	v_add_f32_e32 v3, v3, v110
	s_waitcnt vmcnt(6) lgkmcnt(2)
	v_mul_f32_e32 v113, v54, v39
	v_mul_f32_e32 v43, v69, v43
	v_fmac_f32_e32 v112, v87, v32
	v_fma_f32 v13, v66, v28, -v29
	v_add_f32_e32 v10, v10, v12
	v_add_f32_e32 v3, v3, v111
	v_mul_f32_e32 v114, v56, v41
	v_mul_f32_e32 v45, v71, v45
	v_fmac_f32_e32 v113, v55, v38
	v_fma_f32 v26, v68, v42, -v43
	v_add_f32_e32 v10, v10, v13
	v_add_f32_e32 v3, v3, v112
	v_fmac_f32_e32 v114, v57, v40
	v_fma_f32 v27, v70, v44, -v45
	v_add_f32_e32 v10, v10, v26
	v_add_f32_e32 v3, v3, v113
	;; [unrolled: 1-line block ×4, first 2 shown]
	v_mul_f32_e32 v3, v75, v5
	v_add_f32_e32 v2, v10, v2
	v_fma_f32 v3, v74, v4, -v3
	v_add_f32_e32 v2, v2, v3
	v_mul_f32_e32 v3, v77, v15
	v_fma_f32 v3, v76, v14, -v3
	v_add_f32_e32 v2, v2, v3
	v_mul_f32_e32 v3, v79, v17
	;; [unrolled: 3-line block ×8, first 2 shown]
	v_fma_f32 v3, v56, v40, -v3
	s_waitcnt vmcnt(5) lgkmcnt(1)
	v_mul_f32_e32 v99, v88, v47
	v_add_f32_e32 v26, v2, v3
	v_mul_f32_e32 v2, v89, v47
	v_fmac_f32_e32 v99, v89, v46
	v_fma_f32 v98, v88, v46, -v2
	s_waitcnt vmcnt(4) lgkmcnt(0)
	v_pk_mul_f32 v[20:21], v[92:93], v[50:51] op_sel:[1,1] op_sel_hi:[0,1]
	v_mul_f32_e32 v101, v90, v49
	v_mul_f32_e32 v2, v91, v49
	v_pk_add_f32 v[18:19], v[26:27], v[98:99]
	v_pk_fma_f32 v[26:27], v[92:93], v[50:51], v[20:21] neg_lo:[0,0,1] neg_hi:[0,0,1]
	v_pk_fma_f32 v[20:21], v[92:93], v[50:51], v[20:21] op_sel_hi:[1,0,1]
	v_fmac_f32_e32 v101, v91, v48
	v_fma_f32 v100, v90, v48, -v2
	ds_read_b128 v[2:5], v58 offset:816
	ds_read_b128 v[10:13], v58 offset:832
	;; [unrolled: 1-line block ×3, first 2 shown]
	v_mov_b32_e32 v20, v53
	v_pk_add_f32 v[18:19], v[18:19], v[100:101]
	v_mov_b32_e32 v27, v21
	v_pk_mul_f32 v[20:21], v[94:95], v[20:21] op_sel:[1,0] op_sel_hi:[0,0]
	v_pk_add_f32 v[18:19], v[18:19], v[26:27]
	v_pk_fma_f32 v[26:27], v[94:95], v[52:53], v[20:21] neg_lo:[0,0,1] neg_hi:[0,0,1]
	v_pk_fma_f32 v[20:21], v[94:95], v[52:53], v[20:21] op_sel_hi:[1,0,1]
	s_nop 0
	v_mov_b32_e32 v27, v21
	s_waitcnt vmcnt(3) lgkmcnt(2)
	v_pk_mul_f32 v[20:21], v[2:3], v[34:35] op_sel:[1,1] op_sel_hi:[0,1]
	v_pk_add_f32 v[18:19], v[18:19], v[26:27]
	v_pk_fma_f32 v[26:27], v[2:3], v[34:35], v[20:21] neg_lo:[0,0,1] neg_hi:[0,0,1]
	v_pk_fma_f32 v[2:3], v[2:3], v[34:35], v[20:21] op_sel_hi:[1,0,1]
	s_nop 0
	v_mov_b32_e32 v27, v3
	v_pk_add_f32 v[2:3], v[18:19], v[26:27]
	v_mov_b32_e32 v18, v37
	v_pk_mul_f32 v[18:19], v[4:5], v[18:19] op_sel:[1,0] op_sel_hi:[0,0]
	v_pk_fma_f32 v[20:21], v[4:5], v[36:37], v[18:19] neg_lo:[0,0,1] neg_hi:[0,0,1]
	v_pk_fma_f32 v[4:5], v[4:5], v[36:37], v[18:19] op_sel_hi:[1,0,1]
	s_nop 0
	v_mov_b32_e32 v21, v5
	s_waitcnt vmcnt(2) lgkmcnt(1)
	v_pk_mul_f32 v[4:5], v[10:11], v[22:23] op_sel:[1,1] op_sel_hi:[0,1]
	v_pk_fma_f32 v[18:19], v[10:11], v[22:23], v[4:5] neg_lo:[0,0,1] neg_hi:[0,0,1]
	v_pk_fma_f32 v[4:5], v[10:11], v[22:23], v[4:5] op_sel_hi:[1,0,1]
	v_pk_add_f32 v[2:3], v[2:3], v[20:21]
	v_mov_b32_e32 v4, v25
	v_mov_b32_e32 v19, v5
	v_pk_mul_f32 v[4:5], v[12:13], v[4:5] op_sel:[1,0] op_sel_hi:[0,0]
	v_pk_fma_f32 v[10:11], v[12:13], v[24:25], v[4:5] neg_lo:[0,0,1] neg_hi:[0,0,1]
	v_pk_fma_f32 v[4:5], v[12:13], v[24:25], v[4:5] op_sel_hi:[1,0,1]
	v_pk_add_f32 v[2:3], v[2:3], v[18:19]
	v_mov_b32_e32 v11, v5
	s_waitcnt vmcnt(1) lgkmcnt(0)
	v_pk_mul_f32 v[4:5], v[14:15], v[6:7] op_sel:[1,1] op_sel_hi:[0,1]
	v_pk_add_f32 v[2:3], v[2:3], v[10:11]
	v_pk_fma_f32 v[10:11], v[14:15], v[6:7], v[4:5] neg_lo:[0,0,1] neg_hi:[0,0,1]
	v_pk_fma_f32 v[4:5], v[14:15], v[6:7], v[4:5] op_sel_hi:[1,0,1]
	s_nop 0
	v_mov_b32_e32 v4, v9
	v_mov_b32_e32 v11, v5
	v_pk_mul_f32 v[4:5], v[16:17], v[4:5] op_sel:[1,0] op_sel_hi:[0,0]
	v_pk_fma_f32 v[6:7], v[16:17], v[8:9], v[4:5] neg_lo:[0,0,1] neg_hi:[0,0,1]
	v_pk_fma_f32 v[4:5], v[16:17], v[8:9], v[4:5] op_sel_hi:[1,0,1]
	v_pk_add_f32 v[2:3], v[2:3], v[10:11]
	v_mov_b32_e32 v7, v5
	v_pk_add_f32 v[2:3], v[2:3], v[6:7]
	s_waitcnt vmcnt(0)
	v_pk_add_f32 v[2:3], v[96:97], v[2:3] neg_lo:[0,1] neg_hi:[0,1]
	scratch_store_dwordx2 off, v[2:3], off offset:216
	s_and_saveexec_b64 s[0:1], vcc
	s_cbranch_execz .LBB53_285
; %bb.284:
	scratch_load_dwordx2 v[2:3], off, off offset:208
	v_mov_b32_e32 v4, 0
	v_mov_b32_e32 v5, v4
	scratch_store_dwordx2 off, v[4:5], off offset:208
	s_waitcnt vmcnt(1)
	ds_write_b64 v1, v[2:3]
.LBB53_285:
	s_or_b64 exec, exec, s[0:1]
	s_waitcnt lgkmcnt(0)
	; wave barrier
	scratch_load_dwordx4 v[10:13], off, off offset:216
	scratch_load_dwordx4 v[30:33], off, off offset:232
	;; [unrolled: 1-line block ×13, first 2 shown]
	scratch_load_dwordx2 v[54:55], off, off offset:424
	scratch_load_dwordx2 v[80:81], off, off offset:208
	v_mov_b32_e32 v82, 0
	ds_read2_b64 v[56:59], v82 offset0:81 offset1:82
	ds_read2_b64 v[60:63], v82 offset0:83 offset1:84
	;; [unrolled: 1-line block ×10, first 2 shown]
	v_cmp_lt_u32_e32 vcc, 25, v0
	s_waitcnt vmcnt(14) lgkmcnt(9)
	v_mul_f32_e32 v83, v56, v11
	v_mul_f32_e32 v100, v58, v13
	s_waitcnt vmcnt(12) lgkmcnt(7)
	v_mul_f32_e32 v105, v64, v3
	v_mul_f32_e32 v3, v65, v3
	v_fmac_f32_e32 v83, v57, v10
	v_mul_f32_e32 v102, v60, v31
	v_fmac_f32_e32 v100, v59, v12
	v_fmac_f32_e32 v105, v65, v2
	v_fma_f32 v2, v64, v2, -v3
	v_add_f32_e32 v3, 0, v83
	v_mul_f32_e32 v104, v62, v33
	v_fmac_f32_e32 v102, v61, v30
	v_add_f32_e32 v3, v3, v100
	v_fmac_f32_e32 v104, v63, v32
	v_add_f32_e32 v3, v3, v102
	v_mul_f32_e32 v106, v66, v5
	v_add_f32_e32 v3, v3, v104
	s_waitcnt vmcnt(11) lgkmcnt(6)
	v_mul_f32_e32 v107, v68, v7
	v_fmac_f32_e32 v106, v67, v4
	v_add_f32_e32 v3, v3, v105
	v_mul_f32_e32 v108, v70, v9
	v_fmac_f32_e32 v107, v69, v6
	v_add_f32_e32 v3, v3, v106
	s_waitcnt vmcnt(10) lgkmcnt(5)
	v_mul_f32_e32 v109, v72, v19
	v_fmac_f32_e32 v108, v71, v8
	v_add_f32_e32 v3, v3, v107
	v_mul_f32_e32 v110, v74, v21
	v_fmac_f32_e32 v109, v73, v18
	;; [unrolled: 7-line block ×3, first 2 shown]
	v_add_f32_e32 v3, v3, v110
	s_waitcnt vmcnt(8) lgkmcnt(3)
	v_mul_f32_e32 v113, v84, v35
	v_mul_f32_e32 v11, v57, v11
	v_fmac_f32_e32 v112, v79, v24
	v_add_f32_e32 v3, v3, v111
	v_mul_f32_e32 v114, v86, v37
	v_mul_f32_e32 v13, v59, v13
	v_fmac_f32_e32 v113, v85, v34
	v_fma_f32 v10, v56, v10, -v11
	v_add_f32_e32 v3, v3, v112
	s_waitcnt vmcnt(7) lgkmcnt(2)
	v_mul_f32_e32 v115, v88, v39
	v_mul_f32_e32 v31, v61, v31
	v_fmac_f32_e32 v114, v87, v36
	v_fma_f32 v11, v58, v12, -v13
	v_add_f32_e32 v10, 0, v10
	v_add_f32_e32 v3, v3, v113
	v_mul_f32_e32 v116, v90, v41
	v_mul_f32_e32 v33, v63, v33
	v_fmac_f32_e32 v115, v89, v38
	v_fma_f32 v12, v60, v30, -v31
	v_add_f32_e32 v10, v10, v11
	v_add_f32_e32 v3, v3, v114
	s_waitcnt vmcnt(6) lgkmcnt(1)
	v_mul_f32_e32 v117, v92, v51
	v_fmac_f32_e32 v116, v91, v40
	v_fma_f32 v13, v62, v32, -v33
	v_add_f32_e32 v10, v10, v12
	v_add_f32_e32 v3, v3, v115
	v_mul_f32_e32 v5, v67, v5
	v_fmac_f32_e32 v117, v93, v50
	v_add_f32_e32 v10, v10, v13
	v_add_f32_e32 v3, v3, v116
	;; [unrolled: 1-line block ×4, first 2 shown]
	v_fma_f32 v3, v66, v4, -v5
	v_add_f32_e32 v2, v2, v3
	v_mul_f32_e32 v3, v69, v7
	v_fma_f32 v3, v68, v6, -v3
	v_add_f32_e32 v2, v2, v3
	v_mul_f32_e32 v3, v71, v9
	;; [unrolled: 3-line block ×12, first 2 shown]
	v_mul_f32_e32 v101, v94, v53
	v_fma_f32 v100, v94, v52, -v2
	s_waitcnt vmcnt(5) lgkmcnt(0)
	v_mul_f32_e32 v2, v97, v47
	v_mov_b32_e32 v22, v49
	v_mul_f32_e32 v103, v96, v47
	v_fmac_f32_e32 v101, v95, v52
	v_fma_f32 v102, v96, v46, -v2
	ds_read2_b64 v[2:5], v82 offset0:101 offset1:102
	ds_read2_b64 v[6:9], v82 offset0:103 offset1:104
	;; [unrolled: 1-line block ×3, first 2 shown]
	ds_read_b64 v[18:19], v82 offset:856
	v_pk_mul_f32 v[22:23], v[98:99], v[22:23] op_sel:[1,0] op_sel_hi:[0,0]
	v_fmac_f32_e32 v103, v97, v46
	v_pk_add_f32 v[20:21], v[30:31], v[100:101]
	v_pk_fma_f32 v[24:25], v[98:99], v[48:49], v[22:23] neg_lo:[0,0,1] neg_hi:[0,0,1]
	v_pk_fma_f32 v[22:23], v[98:99], v[48:49], v[22:23] op_sel_hi:[1,0,1]
	v_pk_add_f32 v[20:21], v[20:21], v[102:103]
	v_mov_b32_e32 v25, v23
	s_waitcnt vmcnt(4) lgkmcnt(3)
	v_pk_mul_f32 v[22:23], v[2:3], v[42:43] op_sel:[1,1] op_sel_hi:[0,1]
	v_pk_add_f32 v[20:21], v[20:21], v[24:25]
	v_pk_fma_f32 v[24:25], v[2:3], v[42:43], v[22:23] neg_lo:[0,0,1] neg_hi:[0,0,1]
	v_pk_fma_f32 v[2:3], v[2:3], v[42:43], v[22:23] op_sel_hi:[1,0,1]
	s_nop 0
	v_mov_b32_e32 v25, v3
	v_pk_add_f32 v[2:3], v[20:21], v[24:25]
	v_mov_b32_e32 v20, v45
	v_pk_mul_f32 v[20:21], v[4:5], v[20:21] op_sel:[1,0] op_sel_hi:[0,0]
	v_pk_fma_f32 v[22:23], v[4:5], v[44:45], v[20:21] neg_lo:[0,0,1] neg_hi:[0,0,1]
	v_pk_fma_f32 v[4:5], v[4:5], v[44:45], v[20:21] op_sel_hi:[1,0,1]
	s_nop 0
	v_mov_b32_e32 v23, v5
	s_waitcnt vmcnt(3) lgkmcnt(2)
	v_pk_mul_f32 v[4:5], v[6:7], v[26:27] op_sel:[1,1] op_sel_hi:[0,1]
	v_pk_fma_f32 v[20:21], v[6:7], v[26:27], v[4:5] neg_lo:[0,0,1] neg_hi:[0,0,1]
	v_pk_fma_f32 v[4:5], v[6:7], v[26:27], v[4:5] op_sel_hi:[1,0,1]
	v_pk_add_f32 v[2:3], v[2:3], v[22:23]
	v_mov_b32_e32 v4, v29
	v_mov_b32_e32 v21, v5
	v_pk_mul_f32 v[4:5], v[8:9], v[4:5] op_sel:[1,0] op_sel_hi:[0,0]
	v_pk_fma_f32 v[6:7], v[8:9], v[28:29], v[4:5] neg_lo:[0,0,1] neg_hi:[0,0,1]
	v_pk_fma_f32 v[4:5], v[8:9], v[28:29], v[4:5] op_sel_hi:[1,0,1]
	v_pk_add_f32 v[2:3], v[2:3], v[20:21]
	v_mov_b32_e32 v7, v5
	s_waitcnt vmcnt(2) lgkmcnt(1)
	v_pk_mul_f32 v[4:5], v[10:11], v[14:15] op_sel:[1,1] op_sel_hi:[0,1]
	v_pk_add_f32 v[2:3], v[2:3], v[6:7]
	v_pk_fma_f32 v[6:7], v[10:11], v[14:15], v[4:5] neg_lo:[0,0,1] neg_hi:[0,0,1]
	v_pk_fma_f32 v[4:5], v[10:11], v[14:15], v[4:5] op_sel_hi:[1,0,1]
	s_nop 0
	v_mov_b32_e32 v4, v17
	v_mov_b32_e32 v7, v5
	v_pk_mul_f32 v[4:5], v[12:13], v[4:5] op_sel:[1,0] op_sel_hi:[0,0]
	v_pk_add_f32 v[2:3], v[2:3], v[6:7]
	v_pk_fma_f32 v[6:7], v[12:13], v[16:17], v[4:5] neg_lo:[0,0,1] neg_hi:[0,0,1]
	v_pk_fma_f32 v[4:5], v[12:13], v[16:17], v[4:5] op_sel_hi:[1,0,1]
	s_nop 0
	v_mov_b32_e32 v7, v5
	s_waitcnt vmcnt(1) lgkmcnt(0)
	v_pk_mul_f32 v[4:5], v[18:19], v[54:55] op_sel:[1,1] op_sel_hi:[0,1]
	v_pk_add_f32 v[2:3], v[2:3], v[6:7]
	v_pk_fma_f32 v[6:7], v[18:19], v[54:55], v[4:5] neg_lo:[0,0,1] neg_hi:[0,0,1]
	v_pk_fma_f32 v[4:5], v[18:19], v[54:55], v[4:5] op_sel_hi:[1,0,1]
	s_nop 0
	v_mov_b32_e32 v7, v5
	v_pk_add_f32 v[2:3], v[2:3], v[6:7]
	s_waitcnt vmcnt(0)
	v_pk_add_f32 v[2:3], v[80:81], v[2:3] neg_lo:[0,1] neg_hi:[0,1]
	scratch_store_dwordx2 off, v[2:3], off offset:208
	s_and_saveexec_b64 s[0:1], vcc
	s_cbranch_execz .LBB53_287
; %bb.286:
	scratch_load_dwordx2 v[2:3], off, off offset:200
	v_mov_b32_e32 v83, v82
	scratch_store_dwordx2 off, v[82:83], off offset:200
	s_waitcnt vmcnt(1)
	ds_write_b64 v1, v[2:3]
.LBB53_287:
	s_or_b64 exec, exec, s[0:1]
	s_waitcnt lgkmcnt(0)
	; wave barrier
	scratch_load_dwordx4 v[18:21], off, off offset:208
	scratch_load_dwordx4 v[34:37], off, off offset:224
	;; [unrolled: 1-line block ×10, first 2 shown]
	ds_read_b128 v[84:87], v82 offset:640
	ds_read_b128 v[88:91], v82 offset:656
	;; [unrolled: 1-line block ×10, first 2 shown]
	scratch_load_dwordx4 v[54:57], off, off offset:368
	scratch_load_dwordx4 v[46:49], off, off offset:384
	;; [unrolled: 1-line block ×4, first 2 shown]
	scratch_load_dwordx2 v[100:101], off, off offset:200
	v_cmp_lt_u32_e32 vcc, 24, v0
	s_waitcnt vmcnt(14) lgkmcnt(9)
	v_mul_f32_e32 v83, v84, v19
	v_mul_f32_e32 v102, v86, v21
	s_waitcnt vmcnt(12) lgkmcnt(7)
	v_mul_f32_e32 v107, v92, v3
	v_mul_f32_e32 v3, v93, v3
	v_fmac_f32_e32 v83, v85, v18
	v_mul_f32_e32 v104, v88, v35
	v_fmac_f32_e32 v102, v87, v20
	v_fmac_f32_e32 v107, v93, v2
	v_fma_f32 v2, v92, v2, -v3
	v_add_f32_e32 v3, 0, v83
	v_mul_f32_e32 v106, v90, v37
	v_fmac_f32_e32 v104, v89, v34
	v_add_f32_e32 v3, v3, v102
	v_fmac_f32_e32 v106, v91, v36
	v_add_f32_e32 v3, v3, v104
	v_mul_f32_e32 v108, v94, v5
	v_add_f32_e32 v3, v3, v106
	s_waitcnt vmcnt(11) lgkmcnt(6)
	v_mul_f32_e32 v109, v96, v7
	v_fmac_f32_e32 v108, v95, v4
	v_add_f32_e32 v3, v3, v107
	v_mul_f32_e32 v110, v98, v9
	v_fmac_f32_e32 v109, v97, v6
	v_add_f32_e32 v3, v3, v108
	s_waitcnt vmcnt(10) lgkmcnt(5)
	v_mul_f32_e32 v111, v78, v11
	v_fmac_f32_e32 v110, v99, v8
	v_add_f32_e32 v3, v3, v109
	v_mul_f32_e32 v112, v80, v13
	v_fmac_f32_e32 v111, v79, v10
	;; [unrolled: 7-line block ×4, first 2 shown]
	v_add_f32_e32 v3, v3, v114
	s_waitcnt vmcnt(7) lgkmcnt(2)
	v_mul_f32_e32 v117, v66, v39
	v_mul_f32_e32 v19, v85, v19
	v_fmac_f32_e32 v116, v73, v28
	v_add_f32_e32 v3, v3, v115
	v_mul_f32_e32 v118, v68, v41
	v_mul_f32_e32 v21, v87, v21
	v_fmac_f32_e32 v117, v67, v38
	v_fma_f32 v18, v84, v18, -v19
	v_add_f32_e32 v3, v3, v116
	s_waitcnt vmcnt(6) lgkmcnt(1)
	v_mul_f32_e32 v119, v62, v43
	v_mul_f32_e32 v35, v89, v35
	v_fmac_f32_e32 v118, v69, v40
	v_fma_f32 v19, v86, v20, -v21
	v_add_f32_e32 v18, 0, v18
	v_add_f32_e32 v3, v3, v117
	v_mul_f32_e32 v120, v64, v45
	v_mul_f32_e32 v37, v91, v37
	v_fmac_f32_e32 v119, v63, v42
	v_fma_f32 v20, v88, v34, -v35
	v_add_f32_e32 v18, v18, v19
	v_add_f32_e32 v3, v3, v118
	v_fmac_f32_e32 v120, v65, v44
	v_fma_f32 v21, v90, v36, -v37
	v_add_f32_e32 v18, v18, v20
	v_add_f32_e32 v3, v3, v119
	;; [unrolled: 1-line block ×4, first 2 shown]
	v_mul_f32_e32 v3, v95, v5
	v_add_f32_e32 v2, v18, v2
	v_fma_f32 v3, v94, v4, -v3
	v_add_f32_e32 v2, v2, v3
	v_mul_f32_e32 v3, v97, v7
	v_fma_f32 v3, v96, v6, -v3
	v_add_f32_e32 v2, v2, v3
	v_mul_f32_e32 v3, v99, v9
	;; [unrolled: 3-line block ×12, first 2 shown]
	v_fma_f32 v3, v64, v44, -v3
	v_add_f32_e32 v34, v2, v3
	s_waitcnt vmcnt(5) lgkmcnt(0)
	v_mul_f32_e32 v2, v59, v51
	v_fma_f32 v102, v58, v50, -v2
	v_mul_f32_e32 v2, v61, v53
	v_fma_f32 v104, v60, v52, -v2
	ds_read_b128 v[2:5], v82 offset:800
	ds_read_b128 v[6:9], v82 offset:816
	;; [unrolled: 1-line block ×4, first 2 shown]
	v_mul_f32_e32 v103, v58, v51
	v_mul_f32_e32 v105, v60, v53
	v_fmac_f32_e32 v103, v59, v50
	s_waitcnt vmcnt(4) lgkmcnt(3)
	v_pk_mul_f32 v[24:25], v[2:3], v[54:55] op_sel:[1,1] op_sel_hi:[0,1]
	v_fmac_f32_e32 v105, v61, v52
	v_pk_add_f32 v[22:23], v[34:35], v[102:103]
	v_pk_fma_f32 v[26:27], v[2:3], v[54:55], v[24:25] neg_lo:[0,0,1] neg_hi:[0,0,1]
	v_pk_fma_f32 v[2:3], v[2:3], v[54:55], v[24:25] op_sel_hi:[1,0,1]
	v_pk_add_f32 v[22:23], v[22:23], v[104:105]
	v_mov_b32_e32 v27, v3
	v_pk_add_f32 v[2:3], v[22:23], v[26:27]
	v_mov_b32_e32 v22, v57
	v_pk_mul_f32 v[22:23], v[4:5], v[22:23] op_sel:[1,0] op_sel_hi:[0,0]
	v_pk_fma_f32 v[24:25], v[4:5], v[56:57], v[22:23] neg_lo:[0,0,1] neg_hi:[0,0,1]
	v_pk_fma_f32 v[4:5], v[4:5], v[56:57], v[22:23] op_sel_hi:[1,0,1]
	s_nop 0
	v_mov_b32_e32 v25, v5
	s_waitcnt vmcnt(3) lgkmcnt(2)
	v_pk_mul_f32 v[4:5], v[6:7], v[46:47] op_sel:[1,1] op_sel_hi:[0,1]
	v_pk_fma_f32 v[22:23], v[6:7], v[46:47], v[4:5] neg_lo:[0,0,1] neg_hi:[0,0,1]
	v_pk_fma_f32 v[4:5], v[6:7], v[46:47], v[4:5] op_sel_hi:[1,0,1]
	v_pk_add_f32 v[2:3], v[2:3], v[24:25]
	v_mov_b32_e32 v4, v49
	v_mov_b32_e32 v23, v5
	v_pk_mul_f32 v[4:5], v[8:9], v[4:5] op_sel:[1,0] op_sel_hi:[0,0]
	v_pk_fma_f32 v[6:7], v[8:9], v[48:49], v[4:5] neg_lo:[0,0,1] neg_hi:[0,0,1]
	v_pk_fma_f32 v[4:5], v[8:9], v[48:49], v[4:5] op_sel_hi:[1,0,1]
	v_pk_add_f32 v[2:3], v[2:3], v[22:23]
	v_mov_b32_e32 v7, v5
	s_waitcnt vmcnt(2) lgkmcnt(1)
	v_pk_mul_f32 v[4:5], v[10:11], v[30:31] op_sel:[1,1] op_sel_hi:[0,1]
	v_pk_add_f32 v[2:3], v[2:3], v[6:7]
	v_pk_fma_f32 v[6:7], v[10:11], v[30:31], v[4:5] neg_lo:[0,0,1] neg_hi:[0,0,1]
	v_pk_fma_f32 v[4:5], v[10:11], v[30:31], v[4:5] op_sel_hi:[1,0,1]
	s_nop 0
	v_mov_b32_e32 v4, v33
	v_mov_b32_e32 v7, v5
	v_pk_mul_f32 v[4:5], v[12:13], v[4:5] op_sel:[1,0] op_sel_hi:[0,0]
	v_pk_add_f32 v[2:3], v[2:3], v[6:7]
	v_pk_fma_f32 v[6:7], v[12:13], v[32:33], v[4:5] neg_lo:[0,0,1] neg_hi:[0,0,1]
	v_pk_fma_f32 v[4:5], v[12:13], v[32:33], v[4:5] op_sel_hi:[1,0,1]
	s_nop 0
	v_mov_b32_e32 v7, v5
	s_waitcnt vmcnt(1) lgkmcnt(0)
	v_pk_mul_f32 v[4:5], v[18:19], v[14:15] op_sel:[1,1] op_sel_hi:[0,1]
	v_pk_add_f32 v[2:3], v[2:3], v[6:7]
	v_pk_fma_f32 v[6:7], v[18:19], v[14:15], v[4:5] neg_lo:[0,0,1] neg_hi:[0,0,1]
	v_pk_fma_f32 v[4:5], v[18:19], v[14:15], v[4:5] op_sel_hi:[1,0,1]
	s_nop 0
	v_mov_b32_e32 v4, v17
	v_mov_b32_e32 v7, v5
	v_pk_mul_f32 v[4:5], v[20:21], v[4:5] op_sel:[1,0] op_sel_hi:[0,0]
	v_pk_add_f32 v[2:3], v[2:3], v[6:7]
	v_pk_fma_f32 v[6:7], v[20:21], v[16:17], v[4:5] neg_lo:[0,0,1] neg_hi:[0,0,1]
	v_pk_fma_f32 v[4:5], v[20:21], v[16:17], v[4:5] op_sel_hi:[1,0,1]
	s_nop 0
	v_mov_b32_e32 v7, v5
	v_pk_add_f32 v[2:3], v[2:3], v[6:7]
	s_waitcnt vmcnt(0)
	v_pk_add_f32 v[2:3], v[100:101], v[2:3] neg_lo:[0,1] neg_hi:[0,1]
	scratch_store_dwordx2 off, v[2:3], off offset:200
	s_and_saveexec_b64 s[0:1], vcc
	s_cbranch_execz .LBB53_289
; %bb.288:
	scratch_load_dwordx2 v[2:3], off, off offset:192
	v_mov_b32_e32 v4, 0
	v_mov_b32_e32 v5, v4
	scratch_store_dwordx2 off, v[4:5], off offset:192
	s_waitcnt vmcnt(1)
	ds_write_b64 v1, v[2:3]
.LBB53_289:
	s_or_b64 exec, exec, s[0:1]
	s_waitcnt lgkmcnt(0)
	; wave barrier
	scratch_load_dwordx4 v[18:21], off, off offset:200
	scratch_load_dwordx4 v[2:5], off, off offset:216
	;; [unrolled: 1-line block ×14, first 2 shown]
	scratch_load_dwordx2 v[58:59], off, off offset:424
	scratch_load_dwordx2 v[100:101], off, off offset:192
	v_mov_b32_e32 v102, 0
	ds_read2_b64 v[60:63], v102 offset0:79 offset1:80
	ds_read2_b64 v[64:67], v102 offset0:81 offset1:82
	;; [unrolled: 1-line block ×12, first 2 shown]
	v_cmp_lt_u32_e32 vcc, 23, v0
	s_waitcnt vmcnt(15) lgkmcnt(11)
	v_mul_f32_e32 v103, v60, v19
	v_mul_f32_e32 v112, v62, v21
	s_waitcnt vmcnt(14) lgkmcnt(10)
	v_mul_f32_e32 v114, v64, v3
	v_mul_f32_e32 v3, v65, v3
	v_fmac_f32_e32 v103, v61, v18
	v_fmac_f32_e32 v112, v63, v20
	;; [unrolled: 1-line block ×3, first 2 shown]
	v_fma_f32 v2, v64, v2, -v3
	v_add_f32_e32 v3, 0, v103
	v_mul_f32_e32 v116, v66, v5
	v_add_f32_e32 v3, v3, v112
	s_waitcnt vmcnt(13) lgkmcnt(9)
	v_mul_f32_e32 v117, v68, v7
	v_fmac_f32_e32 v116, v67, v4
	v_add_f32_e32 v3, v3, v114
	v_mul_f32_e32 v118, v70, v9
	v_fmac_f32_e32 v117, v69, v6
	v_add_f32_e32 v3, v3, v116
	s_waitcnt vmcnt(12) lgkmcnt(8)
	v_mul_f32_e32 v119, v72, v11
	v_fmac_f32_e32 v118, v71, v8
	v_add_f32_e32 v3, v3, v117
	v_mul_f32_e32 v120, v74, v13
	v_fmac_f32_e32 v119, v73, v10
	;; [unrolled: 7-line block ×6, first 2 shown]
	v_add_f32_e32 v3, v3, v126
	s_waitcnt vmcnt(7) lgkmcnt(3)
	v_mul_f32_e32 v129, v92, v43
	v_fmac_f32_e32 v128, v91, v40
	v_add_f32_e32 v3, v3, v127
	v_mul_f32_e32 v130, v94, v45
	v_mul_f32_e32 v19, v61, v19
	v_fmac_f32_e32 v129, v93, v42
	v_add_f32_e32 v3, v3, v128
	s_waitcnt vmcnt(6) lgkmcnt(2)
	v_mul_f32_e32 v131, v96, v51
	v_mul_f32_e32 v21, v63, v21
	v_fmac_f32_e32 v130, v95, v44
	v_fma_f32 v18, v60, v18, -v19
	v_add_f32_e32 v3, v3, v129
	v_fmac_f32_e32 v131, v97, v50
	v_fma_f32 v19, v62, v20, -v21
	v_add_f32_e32 v18, 0, v18
	v_add_f32_e32 v3, v3, v130
	;; [unrolled: 1-line block ×4, first 2 shown]
	v_mul_f32_e32 v3, v67, v5
	v_add_f32_e32 v2, v18, v2
	v_fma_f32 v3, v66, v4, -v3
	v_add_f32_e32 v2, v2, v3
	v_mul_f32_e32 v3, v69, v7
	v_fma_f32 v3, v68, v6, -v3
	v_add_f32_e32 v2, v2, v3
	v_mul_f32_e32 v3, v71, v9
	;; [unrolled: 3-line block ×15, first 2 shown]
	v_fma_f32 v3, v96, v50, -v3
	v_mul_f32_e32 v113, v98, v53
	v_add_f32_e32 v18, v2, v3
	v_mul_f32_e32 v2, v99, v53
	s_waitcnt vmcnt(5)
	v_mov_b32_e32 v14, v57
	s_waitcnt lgkmcnt(1)
	v_mul_f32_e32 v115, v104, v55
	v_fmac_f32_e32 v113, v99, v52
	v_fma_f32 v112, v98, v52, -v2
	v_mul_f32_e32 v2, v105, v55
	v_pk_mul_f32 v[14:15], v[106:107], v[14:15] op_sel:[1,0] op_sel_hi:[0,0]
	v_fmac_f32_e32 v115, v105, v54
	v_fma_f32 v114, v104, v54, -v2
	v_pk_add_f32 v[12:13], v[18:19], v[112:113]
	v_pk_fma_f32 v[16:17], v[106:107], v[56:57], v[14:15] neg_lo:[0,0,1] neg_hi:[0,0,1]
	v_pk_fma_f32 v[14:15], v[106:107], v[56:57], v[14:15] op_sel_hi:[1,0,1]
	v_pk_add_f32 v[12:13], v[12:13], v[114:115]
	v_mov_b32_e32 v17, v15
	s_waitcnt vmcnt(4) lgkmcnt(0)
	v_pk_mul_f32 v[14:15], v[108:109], v[46:47] op_sel:[1,1] op_sel_hi:[0,1]
	v_pk_add_f32 v[12:13], v[12:13], v[16:17]
	v_pk_fma_f32 v[16:17], v[108:109], v[46:47], v[14:15] neg_lo:[0,0,1] neg_hi:[0,0,1]
	v_pk_fma_f32 v[14:15], v[108:109], v[46:47], v[14:15] op_sel_hi:[1,0,1]
	ds_read2_b64 v[2:5], v102 offset0:103 offset1:104
	ds_read2_b64 v[6:9], v102 offset0:105 offset1:106
	ds_read_b64 v[10:11], v102 offset:856
	v_mov_b32_e32 v14, v49
	v_mov_b32_e32 v17, v15
	v_pk_mul_f32 v[14:15], v[110:111], v[14:15] op_sel:[1,0] op_sel_hi:[0,0]
	v_pk_add_f32 v[12:13], v[12:13], v[16:17]
	v_pk_fma_f32 v[16:17], v[110:111], v[48:49], v[14:15] neg_lo:[0,0,1] neg_hi:[0,0,1]
	v_pk_fma_f32 v[14:15], v[110:111], v[48:49], v[14:15] op_sel_hi:[1,0,1]
	s_nop 0
	v_mov_b32_e32 v17, v15
	s_waitcnt vmcnt(3) lgkmcnt(2)
	v_pk_mul_f32 v[14:15], v[2:3], v[34:35] op_sel:[1,1] op_sel_hi:[0,1]
	v_pk_add_f32 v[12:13], v[12:13], v[16:17]
	v_pk_fma_f32 v[16:17], v[2:3], v[34:35], v[14:15] neg_lo:[0,0,1] neg_hi:[0,0,1]
	v_pk_fma_f32 v[2:3], v[2:3], v[34:35], v[14:15] op_sel_hi:[1,0,1]
	s_nop 0
	v_mov_b32_e32 v17, v3
	v_pk_add_f32 v[2:3], v[12:13], v[16:17]
	v_mov_b32_e32 v12, v37
	v_pk_mul_f32 v[12:13], v[4:5], v[12:13] op_sel:[1,0] op_sel_hi:[0,0]
	v_pk_fma_f32 v[14:15], v[4:5], v[36:37], v[12:13] neg_lo:[0,0,1] neg_hi:[0,0,1]
	v_pk_fma_f32 v[4:5], v[4:5], v[36:37], v[12:13] op_sel_hi:[1,0,1]
	s_nop 0
	v_mov_b32_e32 v15, v5
	s_waitcnt vmcnt(2) lgkmcnt(1)
	v_pk_mul_f32 v[4:5], v[6:7], v[22:23] op_sel:[1,1] op_sel_hi:[0,1]
	v_pk_fma_f32 v[12:13], v[6:7], v[22:23], v[4:5] neg_lo:[0,0,1] neg_hi:[0,0,1]
	v_pk_fma_f32 v[4:5], v[6:7], v[22:23], v[4:5] op_sel_hi:[1,0,1]
	v_pk_add_f32 v[2:3], v[2:3], v[14:15]
	v_mov_b32_e32 v4, v25
	v_mov_b32_e32 v13, v5
	v_pk_mul_f32 v[4:5], v[8:9], v[4:5] op_sel:[1,0] op_sel_hi:[0,0]
	v_pk_fma_f32 v[6:7], v[8:9], v[24:25], v[4:5] neg_lo:[0,0,1] neg_hi:[0,0,1]
	v_pk_fma_f32 v[4:5], v[8:9], v[24:25], v[4:5] op_sel_hi:[1,0,1]
	v_pk_add_f32 v[2:3], v[2:3], v[12:13]
	v_mov_b32_e32 v7, v5
	s_waitcnt vmcnt(1) lgkmcnt(0)
	v_pk_mul_f32 v[4:5], v[10:11], v[58:59] op_sel:[1,1] op_sel_hi:[0,1]
	v_pk_add_f32 v[2:3], v[2:3], v[6:7]
	v_pk_fma_f32 v[6:7], v[10:11], v[58:59], v[4:5] neg_lo:[0,0,1] neg_hi:[0,0,1]
	v_pk_fma_f32 v[4:5], v[10:11], v[58:59], v[4:5] op_sel_hi:[1,0,1]
	s_nop 0
	v_mov_b32_e32 v7, v5
	v_pk_add_f32 v[2:3], v[2:3], v[6:7]
	s_waitcnt vmcnt(0)
	v_pk_add_f32 v[2:3], v[100:101], v[2:3] neg_lo:[0,1] neg_hi:[0,1]
	scratch_store_dwordx2 off, v[2:3], off offset:192
	s_and_saveexec_b64 s[0:1], vcc
	s_cbranch_execz .LBB53_291
; %bb.290:
	scratch_load_dwordx2 v[2:3], off, off offset:184
	v_mov_b32_e32 v103, v102
	scratch_store_dwordx2 off, v[102:103], off offset:184
	s_waitcnt vmcnt(1)
	ds_write_b64 v1, v[2:3]
.LBB53_291:
	s_or_b64 exec, exec, s[0:1]
	s_waitcnt lgkmcnt(0)
	; wave barrier
	scratch_load_dwordx4 v[22:25], off, off offset:192
	scratch_load_dwordx4 v[2:5], off, off offset:208
	scratch_load_dwordx4 v[6:9], off, off offset:224
	scratch_load_dwordx4 v[10:13], off, off offset:240
	scratch_load_dwordx4 v[14:17], off, off offset:256
	scratch_load_dwordx4 v[18:21], off, off offset:272
	scratch_load_dwordx4 v[30:33], off, off offset:288
	scratch_load_dwordx4 v[34:37], off, off offset:304
	scratch_load_dwordx4 v[42:45], off, off offset:320
	scratch_load_dwordx4 v[46:49], off, off offset:336
	scratch_load_dwordx4 v[54:57], off, off offset:352
	ds_read_b128 v[104:107], v102 offset:624
	ds_read_b128 v[98:101], v102 offset:640
	;; [unrolled: 1-line block ×10, first 2 shown]
	scratch_load_dwordx4 v[58:61], off, off offset:368
	scratch_load_dwordx4 v[50:53], off, off offset:384
	;; [unrolled: 1-line block ×4, first 2 shown]
	ds_read_b128 v[78:81], v102 offset:784
	ds_read_b128 v[108:111], v102 offset:800
	scratch_load_dwordx2 v[112:113], off, off offset:184
	v_cmp_lt_u32_e32 vcc, 22, v0
	s_waitcnt vmcnt(15) lgkmcnt(11)
	v_mul_f32_e32 v103, v104, v23
	v_mul_f32_e32 v114, v106, v25
	s_waitcnt vmcnt(14) lgkmcnt(10)
	v_mul_f32_e32 v116, v98, v3
	v_mul_f32_e32 v3, v99, v3
	v_fmac_f32_e32 v103, v105, v22
	v_fmac_f32_e32 v114, v107, v24
	;; [unrolled: 1-line block ×3, first 2 shown]
	v_fma_f32 v2, v98, v2, -v3
	v_add_f32_e32 v3, 0, v103
	v_mul_f32_e32 v118, v100, v5
	v_add_f32_e32 v3, v3, v114
	s_waitcnt vmcnt(13) lgkmcnt(9)
	v_mul_f32_e32 v119, v94, v7
	v_fmac_f32_e32 v118, v101, v4
	v_add_f32_e32 v3, v3, v116
	v_mul_f32_e32 v120, v96, v9
	v_fmac_f32_e32 v119, v95, v6
	v_add_f32_e32 v3, v3, v118
	s_waitcnt vmcnt(12) lgkmcnt(8)
	v_mul_f32_e32 v121, v90, v11
	v_fmac_f32_e32 v120, v97, v8
	v_add_f32_e32 v3, v3, v119
	v_mul_f32_e32 v122, v92, v13
	v_fmac_f32_e32 v121, v91, v10
	;; [unrolled: 7-line block ×7, first 2 shown]
	v_add_f32_e32 v3, v3, v130
	s_waitcnt vmcnt(6) lgkmcnt(2)
	v_mul_f32_e32 v133, v62, v47
	v_mul_f32_e32 v23, v105, v23
	v_fmac_f32_e32 v132, v69, v44
	v_add_f32_e32 v3, v3, v131
	v_mul_f32_e32 v134, v64, v49
	v_mul_f32_e32 v25, v107, v25
	v_fmac_f32_e32 v133, v63, v46
	v_fma_f32 v22, v104, v22, -v23
	v_add_f32_e32 v3, v3, v132
	v_fmac_f32_e32 v134, v65, v48
	v_fma_f32 v23, v106, v24, -v25
	v_add_f32_e32 v22, 0, v22
	v_add_f32_e32 v3, v3, v133
	v_add_f32_e32 v22, v22, v23
	v_add_f32_e32 v23, v3, v134
	v_mul_f32_e32 v3, v101, v5
	v_add_f32_e32 v2, v22, v2
	v_fma_f32 v3, v100, v4, -v3
	v_add_f32_e32 v2, v2, v3
	v_mul_f32_e32 v3, v95, v7
	v_fma_f32 v3, v94, v6, -v3
	v_add_f32_e32 v2, v2, v3
	v_mul_f32_e32 v3, v97, v9
	;; [unrolled: 3-line block ×16, first 2 shown]
	v_fma_f32 v3, v64, v48, -v3
	s_waitcnt vmcnt(5) lgkmcnt(1)
	v_mul_f32_e32 v115, v78, v55
	v_add_f32_e32 v22, v2, v3
	v_mul_f32_e32 v2, v79, v55
	s_waitcnt vmcnt(4) lgkmcnt(0)
	v_pk_mul_f32 v[16:17], v[108:109], v[58:59] op_sel:[1,1] op_sel_hi:[0,1]
	v_mul_f32_e32 v117, v80, v57
	v_fmac_f32_e32 v115, v79, v54
	v_fma_f32 v114, v78, v54, -v2
	v_mul_f32_e32 v2, v81, v57
	v_pk_fma_f32 v[18:19], v[108:109], v[58:59], v[16:17] neg_lo:[0,0,1] neg_hi:[0,0,1]
	v_pk_fma_f32 v[16:17], v[108:109], v[58:59], v[16:17] op_sel_hi:[1,0,1]
	v_fmac_f32_e32 v117, v81, v56
	v_fma_f32 v116, v80, v56, -v2
	ds_read_b128 v[2:5], v102 offset:816
	ds_read_b128 v[6:9], v102 offset:832
	;; [unrolled: 1-line block ×3, first 2 shown]
	v_pk_add_f32 v[14:15], v[22:23], v[114:115]
	v_mov_b32_e32 v16, v61
	v_pk_add_f32 v[14:15], v[14:15], v[116:117]
	v_mov_b32_e32 v19, v17
	v_pk_mul_f32 v[16:17], v[110:111], v[16:17] op_sel:[1,0] op_sel_hi:[0,0]
	v_pk_add_f32 v[14:15], v[14:15], v[18:19]
	v_pk_fma_f32 v[18:19], v[110:111], v[60:61], v[16:17] neg_lo:[0,0,1] neg_hi:[0,0,1]
	v_pk_fma_f32 v[16:17], v[110:111], v[60:61], v[16:17] op_sel_hi:[1,0,1]
	s_nop 0
	v_mov_b32_e32 v19, v17
	s_waitcnt vmcnt(3) lgkmcnt(2)
	v_pk_mul_f32 v[16:17], v[2:3], v[50:51] op_sel:[1,1] op_sel_hi:[0,1]
	v_pk_add_f32 v[14:15], v[14:15], v[18:19]
	v_pk_fma_f32 v[18:19], v[2:3], v[50:51], v[16:17] neg_lo:[0,0,1] neg_hi:[0,0,1]
	v_pk_fma_f32 v[2:3], v[2:3], v[50:51], v[16:17] op_sel_hi:[1,0,1]
	s_nop 0
	v_mov_b32_e32 v19, v3
	v_pk_add_f32 v[2:3], v[14:15], v[18:19]
	v_mov_b32_e32 v14, v53
	v_pk_mul_f32 v[14:15], v[4:5], v[14:15] op_sel:[1,0] op_sel_hi:[0,0]
	v_pk_fma_f32 v[16:17], v[4:5], v[52:53], v[14:15] neg_lo:[0,0,1] neg_hi:[0,0,1]
	v_pk_fma_f32 v[4:5], v[4:5], v[52:53], v[14:15] op_sel_hi:[1,0,1]
	s_nop 0
	v_mov_b32_e32 v17, v5
	s_waitcnt vmcnt(2) lgkmcnt(1)
	v_pk_mul_f32 v[4:5], v[6:7], v[38:39] op_sel:[1,1] op_sel_hi:[0,1]
	v_pk_fma_f32 v[14:15], v[6:7], v[38:39], v[4:5] neg_lo:[0,0,1] neg_hi:[0,0,1]
	v_pk_fma_f32 v[4:5], v[6:7], v[38:39], v[4:5] op_sel_hi:[1,0,1]
	v_pk_add_f32 v[2:3], v[2:3], v[16:17]
	v_mov_b32_e32 v4, v41
	v_mov_b32_e32 v15, v5
	v_pk_mul_f32 v[4:5], v[8:9], v[4:5] op_sel:[1,0] op_sel_hi:[0,0]
	v_pk_fma_f32 v[6:7], v[8:9], v[40:41], v[4:5] neg_lo:[0,0,1] neg_hi:[0,0,1]
	v_pk_fma_f32 v[4:5], v[8:9], v[40:41], v[4:5] op_sel_hi:[1,0,1]
	v_pk_add_f32 v[2:3], v[2:3], v[14:15]
	v_mov_b32_e32 v7, v5
	s_waitcnt vmcnt(1) lgkmcnt(0)
	v_pk_mul_f32 v[4:5], v[10:11], v[26:27] op_sel:[1,1] op_sel_hi:[0,1]
	v_pk_add_f32 v[2:3], v[2:3], v[6:7]
	v_pk_fma_f32 v[6:7], v[10:11], v[26:27], v[4:5] neg_lo:[0,0,1] neg_hi:[0,0,1]
	v_pk_fma_f32 v[4:5], v[10:11], v[26:27], v[4:5] op_sel_hi:[1,0,1]
	s_nop 0
	v_mov_b32_e32 v4, v29
	v_mov_b32_e32 v7, v5
	v_pk_mul_f32 v[4:5], v[12:13], v[4:5] op_sel:[1,0] op_sel_hi:[0,0]
	v_pk_add_f32 v[2:3], v[2:3], v[6:7]
	v_pk_fma_f32 v[6:7], v[12:13], v[28:29], v[4:5] neg_lo:[0,0,1] neg_hi:[0,0,1]
	v_pk_fma_f32 v[4:5], v[12:13], v[28:29], v[4:5] op_sel_hi:[1,0,1]
	s_nop 0
	v_mov_b32_e32 v7, v5
	v_pk_add_f32 v[2:3], v[2:3], v[6:7]
	s_waitcnt vmcnt(0)
	v_pk_add_f32 v[2:3], v[112:113], v[2:3] neg_lo:[0,1] neg_hi:[0,1]
	scratch_store_dwordx2 off, v[2:3], off offset:184
	s_and_saveexec_b64 s[0:1], vcc
	s_cbranch_execz .LBB53_293
; %bb.292:
	scratch_load_dwordx2 v[2:3], off, off offset:176
	v_mov_b32_e32 v4, 0
	v_mov_b32_e32 v5, v4
	scratch_store_dwordx2 off, v[4:5], off offset:176
	s_waitcnt vmcnt(1)
	ds_write_b64 v1, v[2:3]
.LBB53_293:
	s_or_b64 exec, exec, s[0:1]
	s_waitcnt lgkmcnt(0)
	; wave barrier
	scratch_load_dwordx4 v[2:5], off, off offset:184
	scratch_load_dwordx4 v[6:9], off, off offset:200
	;; [unrolled: 1-line block ×15, first 2 shown]
	scratch_load_dwordx2 v[62:63], off, off offset:424
	scratch_load_dwordx2 v[112:113], off, off offset:176
	v_mov_b32_e32 v114, 0
	ds_read2_b64 v[64:67], v114 offset0:77 offset1:78
	ds_read2_b64 v[68:71], v114 offset0:79 offset1:80
	;; [unrolled: 1-line block ×12, first 2 shown]
	v_cmp_lt_u32_e32 vcc, 21, v0
	s_waitcnt vmcnt(16) lgkmcnt(11)
	v_mul_f32_e32 v115, v64, v3
	v_mul_f32_e32 v116, v66, v5
	;; [unrolled: 1-line block ×3, first 2 shown]
	v_fmac_f32_e32 v115, v65, v2
	s_waitcnt vmcnt(15) lgkmcnt(10)
	v_mul_f32_e32 v118, v68, v7
	v_fmac_f32_e32 v116, v67, v4
	v_fma_f32 v2, v64, v2, -v3
	v_add_f32_e32 v3, 0, v115
	v_mul_f32_e32 v120, v70, v9
	v_fmac_f32_e32 v118, v69, v6
	v_add_f32_e32 v3, v3, v116
	s_waitcnt vmcnt(14) lgkmcnt(9)
	v_mul_f32_e32 v121, v72, v11
	v_fmac_f32_e32 v120, v71, v8
	v_add_f32_e32 v3, v3, v118
	v_mul_f32_e32 v122, v74, v13
	v_fmac_f32_e32 v121, v73, v10
	v_add_f32_e32 v3, v3, v120
	s_waitcnt vmcnt(13) lgkmcnt(8)
	v_mul_f32_e32 v123, v76, v15
	v_fmac_f32_e32 v122, v75, v12
	;; [unrolled: 7-line block ×9, first 2 shown]
	v_add_f32_e32 v3, v3, v135
	v_mul_f32_e32 v5, v67, v5
	v_fmac_f32_e32 v137, v105, v58
	v_add_f32_e32 v3, v3, v136
	v_add_f32_e32 v2, 0, v2
	;; [unrolled: 1-line block ×3, first 2 shown]
	v_fma_f32 v3, v66, v4, -v5
	v_add_f32_e32 v2, v2, v3
	v_mul_f32_e32 v3, v69, v7
	v_fma_f32 v3, v68, v6, -v3
	v_add_f32_e32 v2, v2, v3
	v_mul_f32_e32 v3, v71, v9
	;; [unrolled: 3-line block ×20, first 2 shown]
	v_mul_f32_e32 v117, v106, v61
	v_fma_f32 v116, v106, v60, -v2
	s_waitcnt vmcnt(5) lgkmcnt(0)
	v_mul_f32_e32 v2, v109, v55
	v_mov_b32_e32 v18, v57
	v_mul_f32_e32 v119, v108, v55
	v_fmac_f32_e32 v117, v107, v60
	v_fma_f32 v118, v108, v54, -v2
	ds_read2_b64 v[2:5], v114 offset0:101 offset1:102
	ds_read2_b64 v[6:9], v114 offset0:103 offset1:104
	;; [unrolled: 1-line block ×3, first 2 shown]
	ds_read_b64 v[14:15], v114 offset:856
	v_pk_mul_f32 v[18:19], v[110:111], v[18:19] op_sel:[1,0] op_sel_hi:[0,0]
	v_fmac_f32_e32 v119, v109, v54
	v_pk_add_f32 v[16:17], v[64:65], v[116:117]
	v_pk_fma_f32 v[20:21], v[110:111], v[56:57], v[18:19] neg_lo:[0,0,1] neg_hi:[0,0,1]
	v_pk_fma_f32 v[18:19], v[110:111], v[56:57], v[18:19] op_sel_hi:[1,0,1]
	v_pk_add_f32 v[16:17], v[16:17], v[118:119]
	v_mov_b32_e32 v21, v19
	s_waitcnt vmcnt(4) lgkmcnt(3)
	v_pk_mul_f32 v[18:19], v[2:3], v[50:51] op_sel:[1,1] op_sel_hi:[0,1]
	v_pk_add_f32 v[16:17], v[16:17], v[20:21]
	v_pk_fma_f32 v[20:21], v[2:3], v[50:51], v[18:19] neg_lo:[0,0,1] neg_hi:[0,0,1]
	v_pk_fma_f32 v[2:3], v[2:3], v[50:51], v[18:19] op_sel_hi:[1,0,1]
	s_nop 0
	v_mov_b32_e32 v21, v3
	v_pk_add_f32 v[2:3], v[16:17], v[20:21]
	v_mov_b32_e32 v16, v53
	v_pk_mul_f32 v[16:17], v[4:5], v[16:17] op_sel:[1,0] op_sel_hi:[0,0]
	v_pk_fma_f32 v[18:19], v[4:5], v[52:53], v[16:17] neg_lo:[0,0,1] neg_hi:[0,0,1]
	v_pk_fma_f32 v[4:5], v[4:5], v[52:53], v[16:17] op_sel_hi:[1,0,1]
	s_nop 0
	v_mov_b32_e32 v19, v5
	s_waitcnt vmcnt(3) lgkmcnt(2)
	v_pk_mul_f32 v[4:5], v[6:7], v[38:39] op_sel:[1,1] op_sel_hi:[0,1]
	v_pk_fma_f32 v[16:17], v[6:7], v[38:39], v[4:5] neg_lo:[0,0,1] neg_hi:[0,0,1]
	v_pk_fma_f32 v[4:5], v[6:7], v[38:39], v[4:5] op_sel_hi:[1,0,1]
	v_pk_add_f32 v[2:3], v[2:3], v[18:19]
	v_mov_b32_e32 v4, v41
	v_mov_b32_e32 v17, v5
	v_pk_mul_f32 v[4:5], v[8:9], v[4:5] op_sel:[1,0] op_sel_hi:[0,0]
	v_pk_fma_f32 v[6:7], v[8:9], v[40:41], v[4:5] neg_lo:[0,0,1] neg_hi:[0,0,1]
	v_pk_fma_f32 v[4:5], v[8:9], v[40:41], v[4:5] op_sel_hi:[1,0,1]
	v_pk_add_f32 v[2:3], v[2:3], v[16:17]
	v_mov_b32_e32 v7, v5
	s_waitcnt vmcnt(2) lgkmcnt(1)
	v_pk_mul_f32 v[4:5], v[10:11], v[26:27] op_sel:[1,1] op_sel_hi:[0,1]
	v_pk_add_f32 v[2:3], v[2:3], v[6:7]
	v_pk_fma_f32 v[6:7], v[10:11], v[26:27], v[4:5] neg_lo:[0,0,1] neg_hi:[0,0,1]
	v_pk_fma_f32 v[4:5], v[10:11], v[26:27], v[4:5] op_sel_hi:[1,0,1]
	s_nop 0
	v_mov_b32_e32 v4, v29
	v_mov_b32_e32 v7, v5
	v_pk_mul_f32 v[4:5], v[12:13], v[4:5] op_sel:[1,0] op_sel_hi:[0,0]
	v_pk_add_f32 v[2:3], v[2:3], v[6:7]
	v_pk_fma_f32 v[6:7], v[12:13], v[28:29], v[4:5] neg_lo:[0,0,1] neg_hi:[0,0,1]
	v_pk_fma_f32 v[4:5], v[12:13], v[28:29], v[4:5] op_sel_hi:[1,0,1]
	s_nop 0
	v_mov_b32_e32 v7, v5
	s_waitcnt vmcnt(1) lgkmcnt(0)
	v_pk_mul_f32 v[4:5], v[14:15], v[62:63] op_sel:[1,1] op_sel_hi:[0,1]
	v_pk_add_f32 v[2:3], v[2:3], v[6:7]
	v_pk_fma_f32 v[6:7], v[14:15], v[62:63], v[4:5] neg_lo:[0,0,1] neg_hi:[0,0,1]
	v_pk_fma_f32 v[4:5], v[14:15], v[62:63], v[4:5] op_sel_hi:[1,0,1]
	s_nop 0
	v_mov_b32_e32 v7, v5
	v_pk_add_f32 v[2:3], v[2:3], v[6:7]
	s_waitcnt vmcnt(0)
	v_pk_add_f32 v[2:3], v[112:113], v[2:3] neg_lo:[0,1] neg_hi:[0,1]
	scratch_store_dwordx2 off, v[2:3], off offset:176
	s_and_saveexec_b64 s[0:1], vcc
	s_cbranch_execz .LBB53_295
; %bb.294:
	scratch_load_dwordx2 v[2:3], off, off offset:168
	v_mov_b32_e32 v115, v114
	scratch_store_dwordx2 off, v[114:115], off offset:168
	s_waitcnt vmcnt(1)
	ds_write_b64 v1, v[2:3]
.LBB53_295:
	s_or_b64 exec, exec, s[0:1]
	s_waitcnt lgkmcnt(0)
	; wave barrier
	scratch_load_dwordx4 v[2:5], off, off offset:176
	scratch_load_dwordx4 v[6:9], off, off offset:192
	;; [unrolled: 1-line block ×12, first 2 shown]
	ds_read_b128 v[110:113], v114 offset:608
	ds_read_b128 v[106:109], v114 offset:624
	;; [unrolled: 1-line block ×12, first 2 shown]
	scratch_load_dwordx4 v[62:65], off, off offset:368
	scratch_load_dwordx4 v[54:57], off, off offset:384
	;; [unrolled: 1-line block ×4, first 2 shown]
	scratch_load_dwordx2 v[116:117], off, off offset:168
	v_cmp_lt_u32_e32 vcc, 20, v0
	s_waitcnt vmcnt(16) lgkmcnt(11)
	v_mul_f32_e32 v115, v110, v3
	v_mul_f32_e32 v118, v112, v5
	v_mul_f32_e32 v3, v111, v3
	v_fmac_f32_e32 v115, v111, v2
	s_waitcnt vmcnt(15) lgkmcnt(10)
	v_mul_f32_e32 v120, v106, v7
	v_fmac_f32_e32 v118, v113, v4
	v_fma_f32 v2, v110, v2, -v3
	v_add_f32_e32 v3, 0, v115
	v_mul_f32_e32 v122, v108, v9
	v_fmac_f32_e32 v120, v107, v6
	v_add_f32_e32 v3, v3, v118
	s_waitcnt vmcnt(14) lgkmcnt(9)
	v_mul_f32_e32 v123, v102, v11
	v_fmac_f32_e32 v122, v109, v8
	v_add_f32_e32 v3, v3, v120
	v_mul_f32_e32 v124, v104, v13
	v_fmac_f32_e32 v123, v103, v10
	v_add_f32_e32 v3, v3, v122
	s_waitcnt vmcnt(13) lgkmcnt(8)
	v_mul_f32_e32 v125, v98, v15
	v_fmac_f32_e32 v124, v105, v12
	;; [unrolled: 7-line block ×9, first 2 shown]
	v_add_f32_e32 v3, v3, v137
	v_mul_f32_e32 v140, v72, v53
	v_fmac_f32_e32 v139, v71, v50
	v_add_f32_e32 v3, v3, v138
	v_fmac_f32_e32 v140, v73, v52
	v_add_f32_e32 v3, v3, v139
	v_add_f32_e32 v111, v3, v140
	v_mul_f32_e32 v3, v113, v5
	v_add_f32_e32 v2, 0, v2
	v_fma_f32 v3, v112, v4, -v3
	v_add_f32_e32 v2, v2, v3
	v_mul_f32_e32 v3, v107, v7
	v_fma_f32 v3, v106, v6, -v3
	v_add_f32_e32 v2, v2, v3
	v_mul_f32_e32 v3, v109, v9
	;; [unrolled: 3-line block ×20, first 2 shown]
	v_fma_f32 v3, v72, v52, -v3
	v_add_f32_e32 v110, v2, v3
	s_waitcnt vmcnt(5) lgkmcnt(0)
	v_mul_f32_e32 v2, v67, v59
	v_fma_f32 v118, v66, v58, -v2
	v_mul_f32_e32 v2, v69, v61
	v_fma_f32 v120, v68, v60, -v2
	ds_read_b128 v[2:5], v114 offset:800
	ds_read_b128 v[6:9], v114 offset:816
	ds_read_b128 v[10:13], v114 offset:832
	ds_read_b128 v[14:17], v114 offset:848
	v_mul_f32_e32 v119, v66, v59
	v_mul_f32_e32 v121, v68, v61
	v_fmac_f32_e32 v119, v67, v58
	s_waitcnt vmcnt(4) lgkmcnt(3)
	v_pk_mul_f32 v[20:21], v[2:3], v[62:63] op_sel:[1,1] op_sel_hi:[0,1]
	v_fmac_f32_e32 v121, v69, v60
	v_pk_add_f32 v[18:19], v[110:111], v[118:119]
	v_pk_fma_f32 v[22:23], v[2:3], v[62:63], v[20:21] neg_lo:[0,0,1] neg_hi:[0,0,1]
	v_pk_fma_f32 v[2:3], v[2:3], v[62:63], v[20:21] op_sel_hi:[1,0,1]
	v_pk_add_f32 v[18:19], v[18:19], v[120:121]
	v_mov_b32_e32 v23, v3
	v_pk_add_f32 v[2:3], v[18:19], v[22:23]
	v_mov_b32_e32 v18, v65
	v_pk_mul_f32 v[18:19], v[4:5], v[18:19] op_sel:[1,0] op_sel_hi:[0,0]
	v_pk_fma_f32 v[20:21], v[4:5], v[64:65], v[18:19] neg_lo:[0,0,1] neg_hi:[0,0,1]
	v_pk_fma_f32 v[4:5], v[4:5], v[64:65], v[18:19] op_sel_hi:[1,0,1]
	s_nop 0
	v_mov_b32_e32 v21, v5
	s_waitcnt vmcnt(3) lgkmcnt(2)
	v_pk_mul_f32 v[4:5], v[6:7], v[54:55] op_sel:[1,1] op_sel_hi:[0,1]
	v_pk_fma_f32 v[18:19], v[6:7], v[54:55], v[4:5] neg_lo:[0,0,1] neg_hi:[0,0,1]
	v_pk_fma_f32 v[4:5], v[6:7], v[54:55], v[4:5] op_sel_hi:[1,0,1]
	v_pk_add_f32 v[2:3], v[2:3], v[20:21]
	v_mov_b32_e32 v4, v57
	v_mov_b32_e32 v19, v5
	v_pk_mul_f32 v[4:5], v[8:9], v[4:5] op_sel:[1,0] op_sel_hi:[0,0]
	v_pk_fma_f32 v[6:7], v[8:9], v[56:57], v[4:5] neg_lo:[0,0,1] neg_hi:[0,0,1]
	v_pk_fma_f32 v[4:5], v[8:9], v[56:57], v[4:5] op_sel_hi:[1,0,1]
	v_pk_add_f32 v[2:3], v[2:3], v[18:19]
	v_mov_b32_e32 v7, v5
	s_waitcnt vmcnt(2) lgkmcnt(1)
	v_pk_mul_f32 v[4:5], v[10:11], v[42:43] op_sel:[1,1] op_sel_hi:[0,1]
	v_pk_add_f32 v[2:3], v[2:3], v[6:7]
	v_pk_fma_f32 v[6:7], v[10:11], v[42:43], v[4:5] neg_lo:[0,0,1] neg_hi:[0,0,1]
	v_pk_fma_f32 v[4:5], v[10:11], v[42:43], v[4:5] op_sel_hi:[1,0,1]
	s_nop 0
	v_mov_b32_e32 v4, v45
	v_mov_b32_e32 v7, v5
	v_pk_mul_f32 v[4:5], v[12:13], v[4:5] op_sel:[1,0] op_sel_hi:[0,0]
	v_pk_add_f32 v[2:3], v[2:3], v[6:7]
	v_pk_fma_f32 v[6:7], v[12:13], v[44:45], v[4:5] neg_lo:[0,0,1] neg_hi:[0,0,1]
	v_pk_fma_f32 v[4:5], v[12:13], v[44:45], v[4:5] op_sel_hi:[1,0,1]
	s_nop 0
	v_mov_b32_e32 v7, v5
	s_waitcnt vmcnt(1) lgkmcnt(0)
	v_pk_mul_f32 v[4:5], v[14:15], v[34:35] op_sel:[1,1] op_sel_hi:[0,1]
	v_pk_add_f32 v[2:3], v[2:3], v[6:7]
	v_pk_fma_f32 v[6:7], v[14:15], v[34:35], v[4:5] neg_lo:[0,0,1] neg_hi:[0,0,1]
	v_pk_fma_f32 v[4:5], v[14:15], v[34:35], v[4:5] op_sel_hi:[1,0,1]
	s_nop 0
	v_mov_b32_e32 v4, v37
	v_mov_b32_e32 v7, v5
	v_pk_mul_f32 v[4:5], v[16:17], v[4:5] op_sel:[1,0] op_sel_hi:[0,0]
	v_pk_add_f32 v[2:3], v[2:3], v[6:7]
	v_pk_fma_f32 v[6:7], v[16:17], v[36:37], v[4:5] neg_lo:[0,0,1] neg_hi:[0,0,1]
	v_pk_fma_f32 v[4:5], v[16:17], v[36:37], v[4:5] op_sel_hi:[1,0,1]
	s_nop 0
	v_mov_b32_e32 v7, v5
	v_pk_add_f32 v[2:3], v[2:3], v[6:7]
	s_waitcnt vmcnt(0)
	v_pk_add_f32 v[2:3], v[116:117], v[2:3] neg_lo:[0,1] neg_hi:[0,1]
	scratch_store_dwordx2 off, v[2:3], off offset:168
	s_and_saveexec_b64 s[0:1], vcc
	s_cbranch_execz .LBB53_297
; %bb.296:
	scratch_load_dwordx2 v[2:3], off, off offset:160
	v_mov_b32_e32 v4, 0
	v_mov_b32_e32 v5, v4
	scratch_store_dwordx2 off, v[4:5], off offset:160
	s_waitcnt vmcnt(1)
	ds_write_b64 v1, v[2:3]
.LBB53_297:
	s_or_b64 exec, exec, s[0:1]
	s_waitcnt lgkmcnt(0)
	; wave barrier
	scratch_load_dwordx4 v[2:5], off, off offset:168
	scratch_load_dwordx4 v[6:9], off, off offset:184
	scratch_load_dwordx4 v[10:13], off, off offset:200
	scratch_load_dwordx4 v[14:17], off, off offset:216
	scratch_load_dwordx4 v[18:21], off, off offset:232
	scratch_load_dwordx4 v[22:25], off, off offset:248
	scratch_load_dwordx4 v[26:29], off, off offset:264
	scratch_load_dwordx4 v[30:33], off, off offset:280
	scratch_load_dwordx4 v[34:37], off, off offset:296
	scratch_load_dwordx4 v[38:41], off, off offset:312
	scratch_load_dwordx4 v[42:45], off, off offset:328
	scratch_load_dwordx4 v[46:49], off, off offset:344
	scratch_load_dwordx4 v[50:53], off, off offset:360
	v_mov_b32_e32 v106, 0
	scratch_load_dwordx2 v[124:125], off, off offset:160
	ds_read2_b64 v[54:57], v106 offset0:75 offset1:76
	ds_read2_b64 v[58:61], v106 offset0:77 offset1:78
	;; [unrolled: 1-line block ×14, first 2 shown]
	v_cmp_lt_u32_e32 vcc, 19, v0
	s_waitcnt vmcnt(13) lgkmcnt(13)
	v_mul_f32_e32 v107, v54, v3
	v_mul_f32_e32 v112, v56, v5
	v_fmac_f32_e32 v107, v55, v2
	s_waitcnt vmcnt(12) lgkmcnt(12)
	v_mul_f32_e32 v113, v58, v7
	v_fmac_f32_e32 v112, v57, v4
	v_add_f32_e32 v107, 0, v107
	v_mul_f32_e32 v114, v60, v9
	v_fmac_f32_e32 v113, v59, v6
	v_add_f32_e32 v107, v107, v112
	s_waitcnt vmcnt(11) lgkmcnt(11)
	v_mul_f32_e32 v115, v62, v11
	v_fmac_f32_e32 v114, v61, v8
	v_add_f32_e32 v107, v107, v113
	v_mul_f32_e32 v116, v64, v13
	v_fmac_f32_e32 v115, v63, v10
	v_add_f32_e32 v107, v107, v114
	;; [unrolled: 7-line block ×8, first 2 shown]
	s_waitcnt vmcnt(4) lgkmcnt(4)
	v_mul_f32_e32 v133, v90, v39
	v_fmac_f32_e32 v132, v89, v36
	v_add_f32_e32 v107, v107, v131
	v_fmac_f32_e32 v133, v91, v38
	v_add_f32_e32 v107, v107, v132
	v_add_f32_e32 v107, v107, v133
	scratch_load_dwordx4 v[112:115], off, off offset:376
	scratch_load_dwordx4 v[116:119], off, off offset:392
	;; [unrolled: 1-line block ×3, first 2 shown]
	scratch_load_dwordx2 v[132:133], off, off offset:424
	v_mul_f32_e32 v3, v55, v3
	v_fma_f32 v2, v54, v2, -v3
	v_mul_f32_e32 v3, v57, v5
	v_add_f32_e32 v2, 0, v2
	v_fma_f32 v3, v56, v4, -v3
	v_add_f32_e32 v2, v2, v3
	v_mul_f32_e32 v3, v59, v7
	v_fma_f32 v3, v58, v6, -v3
	v_add_f32_e32 v2, v2, v3
	v_mul_f32_e32 v3, v61, v9
	;; [unrolled: 3-line block ×18, first 2 shown]
	v_fma_f32 v3, v92, v40, -v3
	v_add_f32_e32 v2, v2, v3
	s_waitcnt vmcnt(7) lgkmcnt(3)
	v_mul_f32_e32 v3, v95, v43
	v_fma_f32 v3, v94, v42, -v3
	v_mul_f32_e32 v134, v92, v41
	v_add_f32_e32 v2, v2, v3
	v_mul_f32_e32 v3, v97, v45
	v_mul_f32_e32 v135, v94, v43
	v_fmac_f32_e32 v134, v93, v40
	v_fma_f32 v3, v96, v44, -v3
	v_mul_f32_e32 v136, v96, v45
	v_fmac_f32_e32 v135, v95, v42
	v_add_f32_e32 v107, v107, v134
	v_add_f32_e32 v2, v2, v3
	s_waitcnt vmcnt(6) lgkmcnt(2)
	v_mul_f32_e32 v3, v99, v47
	v_mul_f32_e32 v137, v98, v47
	v_fmac_f32_e32 v136, v97, v44
	v_add_f32_e32 v107, v107, v135
	v_fma_f32 v3, v98, v46, -v3
	v_mul_f32_e32 v127, v100, v49
	v_fmac_f32_e32 v137, v99, v46
	v_add_f32_e32 v107, v107, v136
	v_add_f32_e32 v130, v2, v3
	v_mul_f32_e32 v2, v101, v49
	s_waitcnt vmcnt(5)
	v_mov_b32_e32 v14, v53
	s_waitcnt lgkmcnt(1)
	v_mul_f32_e32 v129, v102, v51
	v_fmac_f32_e32 v127, v101, v48
	v_add_f32_e32 v131, v107, v137
	v_fma_f32 v126, v100, v48, -v2
	v_mul_f32_e32 v2, v103, v51
	v_pk_mul_f32 v[14:15], v[104:105], v[14:15] op_sel:[1,0] op_sel_hi:[0,0]
	v_fmac_f32_e32 v129, v103, v50
	v_fma_f32 v128, v102, v50, -v2
	v_pk_add_f32 v[12:13], v[130:131], v[126:127]
	v_pk_fma_f32 v[16:17], v[104:105], v[52:53], v[14:15] neg_lo:[0,0,1] neg_hi:[0,0,1]
	v_pk_fma_f32 v[14:15], v[104:105], v[52:53], v[14:15] op_sel_hi:[1,0,1]
	v_pk_add_f32 v[12:13], v[12:13], v[128:129]
	v_mov_b32_e32 v17, v15
	s_waitcnt vmcnt(3) lgkmcnt(0)
	v_pk_mul_f32 v[14:15], v[108:109], v[112:113] op_sel:[1,1] op_sel_hi:[0,1]
	v_pk_add_f32 v[12:13], v[12:13], v[16:17]
	v_pk_fma_f32 v[16:17], v[108:109], v[112:113], v[14:15] neg_lo:[0,0,1] neg_hi:[0,0,1]
	v_pk_fma_f32 v[14:15], v[108:109], v[112:113], v[14:15] op_sel_hi:[1,0,1]
	ds_read2_b64 v[2:5], v106 offset0:103 offset1:104
	ds_read2_b64 v[6:9], v106 offset0:105 offset1:106
	ds_read_b64 v[10:11], v106 offset:856
	v_mov_b32_e32 v14, v115
	v_mov_b32_e32 v17, v15
	v_pk_mul_f32 v[14:15], v[110:111], v[14:15] op_sel:[1,0] op_sel_hi:[0,0]
	v_pk_add_f32 v[12:13], v[12:13], v[16:17]
	v_pk_fma_f32 v[16:17], v[110:111], v[114:115], v[14:15] neg_lo:[0,0,1] neg_hi:[0,0,1]
	v_pk_fma_f32 v[14:15], v[110:111], v[114:115], v[14:15] op_sel_hi:[1,0,1]
	s_nop 0
	v_mov_b32_e32 v17, v15
	s_waitcnt vmcnt(2) lgkmcnt(2)
	v_pk_mul_f32 v[14:15], v[2:3], v[116:117] op_sel:[1,1] op_sel_hi:[0,1]
	v_pk_add_f32 v[12:13], v[12:13], v[16:17]
	v_pk_fma_f32 v[16:17], v[2:3], v[116:117], v[14:15] neg_lo:[0,0,1] neg_hi:[0,0,1]
	v_pk_fma_f32 v[2:3], v[2:3], v[116:117], v[14:15] op_sel_hi:[1,0,1]
	s_nop 0
	v_mov_b32_e32 v17, v3
	v_pk_add_f32 v[2:3], v[12:13], v[16:17]
	v_mov_b32_e32 v12, v119
	v_pk_mul_f32 v[12:13], v[4:5], v[12:13] op_sel:[1,0] op_sel_hi:[0,0]
	v_pk_fma_f32 v[14:15], v[4:5], v[118:119], v[12:13] neg_lo:[0,0,1] neg_hi:[0,0,1]
	v_pk_fma_f32 v[4:5], v[4:5], v[118:119], v[12:13] op_sel_hi:[1,0,1]
	s_nop 0
	v_mov_b32_e32 v15, v5
	s_waitcnt vmcnt(1) lgkmcnt(1)
	v_pk_mul_f32 v[4:5], v[6:7], v[120:121] op_sel:[1,1] op_sel_hi:[0,1]
	v_pk_fma_f32 v[12:13], v[6:7], v[120:121], v[4:5] neg_lo:[0,0,1] neg_hi:[0,0,1]
	v_pk_fma_f32 v[4:5], v[6:7], v[120:121], v[4:5] op_sel_hi:[1,0,1]
	v_pk_add_f32 v[2:3], v[2:3], v[14:15]
	v_mov_b32_e32 v4, v123
	v_mov_b32_e32 v13, v5
	v_pk_mul_f32 v[4:5], v[8:9], v[4:5] op_sel:[1,0] op_sel_hi:[0,0]
	v_pk_fma_f32 v[6:7], v[8:9], v[122:123], v[4:5] neg_lo:[0,0,1] neg_hi:[0,0,1]
	v_pk_fma_f32 v[4:5], v[8:9], v[122:123], v[4:5] op_sel_hi:[1,0,1]
	v_pk_add_f32 v[2:3], v[2:3], v[12:13]
	v_mov_b32_e32 v7, v5
	s_waitcnt vmcnt(0) lgkmcnt(0)
	v_pk_mul_f32 v[4:5], v[10:11], v[132:133] op_sel:[1,1] op_sel_hi:[0,1]
	v_pk_add_f32 v[2:3], v[2:3], v[6:7]
	v_pk_fma_f32 v[6:7], v[10:11], v[132:133], v[4:5] neg_lo:[0,0,1] neg_hi:[0,0,1]
	v_pk_fma_f32 v[4:5], v[10:11], v[132:133], v[4:5] op_sel_hi:[1,0,1]
	s_nop 0
	v_mov_b32_e32 v7, v5
	v_pk_add_f32 v[2:3], v[2:3], v[6:7]
	s_nop 0
	v_pk_add_f32 v[2:3], v[124:125], v[2:3] neg_lo:[0,1] neg_hi:[0,1]
	scratch_store_dwordx2 off, v[2:3], off offset:160
	s_and_saveexec_b64 s[0:1], vcc
	s_cbranch_execz .LBB53_299
; %bb.298:
	scratch_load_dwordx2 v[2:3], off, off offset:152
	v_mov_b32_e32 v107, v106
	scratch_store_dwordx2 off, v[106:107], off offset:152
	s_waitcnt vmcnt(1)
	ds_write_b64 v1, v[2:3]
.LBB53_299:
	s_or_b64 exec, exec, s[0:1]
	s_waitcnt lgkmcnt(0)
	; wave barrier
	scratch_load_dwordx4 v[2:5], off, off offset:160
	scratch_load_dwordx4 v[6:9], off, off offset:176
	scratch_load_dwordx4 v[10:13], off, off offset:192
	scratch_load_dwordx4 v[14:17], off, off offset:208
	scratch_load_dwordx4 v[18:21], off, off offset:224
	scratch_load_dwordx4 v[22:25], off, off offset:240
	scratch_load_dwordx4 v[26:29], off, off offset:256
	scratch_load_dwordx4 v[30:33], off, off offset:272
	scratch_load_dwordx4 v[34:37], off, off offset:288
	scratch_load_dwordx4 v[38:41], off, off offset:304
	scratch_load_dwordx4 v[42:45], off, off offset:320
	scratch_load_dwordx4 v[46:49], off, off offset:336
	scratch_load_dwordx4 v[50:53], off, off offset:352
	ds_read_b128 v[102:105], v106 offset:592
	ds_read_b128 v[98:101], v106 offset:608
	;; [unrolled: 1-line block ×14, first 2 shown]
	scratch_load_dwordx2 v[128:129], off, off offset:152
	v_cmp_lt_u32_e32 vcc, 18, v0
	s_waitcnt vmcnt(13) lgkmcnt(13)
	v_mul_f32_e32 v107, v102, v3
	v_mul_f32_e32 v112, v104, v5
	v_fmac_f32_e32 v107, v103, v2
	s_waitcnt vmcnt(12) lgkmcnt(12)
	v_mul_f32_e32 v113, v98, v7
	v_fmac_f32_e32 v112, v105, v4
	v_add_f32_e32 v107, 0, v107
	v_mul_f32_e32 v114, v100, v9
	v_fmac_f32_e32 v113, v99, v6
	v_add_f32_e32 v107, v107, v112
	s_waitcnt vmcnt(11) lgkmcnt(11)
	v_mul_f32_e32 v115, v94, v11
	v_fmac_f32_e32 v114, v101, v8
	v_add_f32_e32 v107, v107, v113
	v_mul_f32_e32 v116, v96, v13
	v_fmac_f32_e32 v115, v95, v10
	v_add_f32_e32 v107, v107, v114
	;; [unrolled: 7-line block ×7, first 2 shown]
	s_waitcnt vmcnt(5) lgkmcnt(5)
	v_mul_f32_e32 v127, v70, v35
	v_fmac_f32_e32 v126, v77, v32
	v_add_f32_e32 v107, v107, v125
	v_fmac_f32_e32 v127, v71, v34
	v_add_f32_e32 v107, v107, v126
	v_add_f32_e32 v107, v107, v127
	scratch_load_dwordx4 v[112:115], off, off offset:368
	scratch_load_dwordx4 v[116:119], off, off offset:384
	;; [unrolled: 1-line block ×4, first 2 shown]
	v_mul_f32_e32 v3, v103, v3
	v_fma_f32 v2, v102, v2, -v3
	v_mul_f32_e32 v3, v105, v5
	v_add_f32_e32 v2, 0, v2
	v_fma_f32 v3, v104, v4, -v3
	v_add_f32_e32 v2, v2, v3
	v_mul_f32_e32 v3, v99, v7
	v_fma_f32 v3, v98, v6, -v3
	v_add_f32_e32 v2, v2, v3
	v_mul_f32_e32 v3, v101, v9
	v_fma_f32 v3, v100, v8, -v3
	v_add_f32_e32 v2, v2, v3
	v_mul_f32_e32 v3, v95, v11
	v_fma_f32 v3, v94, v10, -v3
	v_add_f32_e32 v2, v2, v3
	v_mul_f32_e32 v3, v97, v13
	v_fma_f32 v3, v96, v12, -v3
	v_add_f32_e32 v2, v2, v3
	v_mul_f32_e32 v3, v91, v15
	v_fma_f32 v3, v90, v14, -v3
	v_add_f32_e32 v2, v2, v3
	v_mul_f32_e32 v3, v93, v17
	v_fma_f32 v3, v92, v16, -v3
	v_add_f32_e32 v2, v2, v3
	v_mul_f32_e32 v3, v87, v19
	v_fma_f32 v3, v86, v18, -v3
	v_add_f32_e32 v2, v2, v3
	v_mul_f32_e32 v3, v89, v21
	v_fma_f32 v3, v88, v20, -v3
	v_add_f32_e32 v2, v2, v3
	v_mul_f32_e32 v3, v83, v23
	v_fma_f32 v3, v82, v22, -v3
	v_add_f32_e32 v2, v2, v3
	v_mul_f32_e32 v3, v85, v25
	v_fma_f32 v3, v84, v24, -v3
	v_add_f32_e32 v2, v2, v3
	v_mul_f32_e32 v3, v79, v27
	v_fma_f32 v3, v78, v26, -v3
	v_add_f32_e32 v2, v2, v3
	v_mul_f32_e32 v3, v81, v29
	v_fma_f32 v3, v80, v28, -v3
	v_add_f32_e32 v2, v2, v3
	v_mul_f32_e32 v3, v75, v31
	v_fma_f32 v3, v74, v30, -v3
	v_add_f32_e32 v2, v2, v3
	v_mul_f32_e32 v3, v77, v33
	v_fma_f32 v3, v76, v32, -v3
	v_add_f32_e32 v2, v2, v3
	v_mul_f32_e32 v3, v71, v35
	v_fma_f32 v3, v70, v34, -v3
	v_add_f32_e32 v2, v2, v3
	v_mul_f32_e32 v3, v73, v37
	v_fma_f32 v3, v72, v36, -v3
	v_add_f32_e32 v2, v2, v3
	s_waitcnt vmcnt(8) lgkmcnt(4)
	v_mul_f32_e32 v3, v67, v39
	v_fma_f32 v3, v66, v38, -v3
	v_add_f32_e32 v2, v2, v3
	v_mul_f32_e32 v3, v69, v41
	v_fma_f32 v3, v68, v40, -v3
	v_add_f32_e32 v2, v2, v3
	s_waitcnt vmcnt(7) lgkmcnt(3)
	v_mul_f32_e32 v3, v63, v43
	v_mul_f32_e32 v130, v72, v37
	v_fma_f32 v3, v62, v42, -v3
	v_mul_f32_e32 v132, v66, v39
	v_fmac_f32_e32 v130, v73, v36
	v_add_f32_e32 v2, v2, v3
	v_mul_f32_e32 v3, v65, v45
	v_mul_f32_e32 v134, v68, v41
	v_fmac_f32_e32 v132, v67, v38
	v_add_f32_e32 v107, v107, v130
	v_fma_f32 v3, v64, v44, -v3
	v_mul_f32_e32 v135, v62, v43
	v_fmac_f32_e32 v134, v69, v40
	v_add_f32_e32 v107, v107, v132
	v_add_f32_e32 v2, v2, v3
	s_waitcnt vmcnt(6) lgkmcnt(2)
	v_mul_f32_e32 v3, v59, v47
	v_mul_f32_e32 v136, v64, v45
	v_fmac_f32_e32 v135, v63, v42
	v_add_f32_e32 v107, v107, v134
	v_fma_f32 v3, v58, v46, -v3
	v_mul_f32_e32 v137, v58, v47
	v_fmac_f32_e32 v136, v65, v44
	v_add_f32_e32 v107, v107, v135
	v_add_f32_e32 v2, v2, v3
	v_mul_f32_e32 v3, v61, v49
	v_mul_f32_e32 v138, v60, v49
	v_fmac_f32_e32 v137, v59, v46
	v_add_f32_e32 v107, v107, v136
	v_fma_f32 v3, v60, v48, -v3
	s_waitcnt vmcnt(5) lgkmcnt(1)
	v_mul_f32_e32 v131, v54, v51
	v_fmac_f32_e32 v138, v61, v48
	v_add_f32_e32 v107, v107, v137
	v_add_f32_e32 v134, v2, v3
	v_mul_f32_e32 v2, v55, v51
	s_waitcnt vmcnt(3) lgkmcnt(0)
	v_pk_mul_f32 v[16:17], v[108:109], v[112:113] op_sel:[1,1] op_sel_hi:[0,1]
	v_mul_f32_e32 v133, v56, v53
	v_fmac_f32_e32 v131, v55, v50
	v_add_f32_e32 v135, v107, v138
	v_fma_f32 v130, v54, v50, -v2
	v_mul_f32_e32 v2, v57, v53
	v_pk_fma_f32 v[18:19], v[108:109], v[112:113], v[16:17] neg_lo:[0,0,1] neg_hi:[0,0,1]
	v_pk_fma_f32 v[16:17], v[108:109], v[112:113], v[16:17] op_sel_hi:[1,0,1]
	v_fmac_f32_e32 v133, v57, v52
	v_fma_f32 v132, v56, v52, -v2
	ds_read_b128 v[2:5], v106 offset:816
	ds_read_b128 v[6:9], v106 offset:832
	;; [unrolled: 1-line block ×3, first 2 shown]
	v_pk_add_f32 v[14:15], v[134:135], v[130:131]
	v_mov_b32_e32 v16, v115
	v_pk_add_f32 v[14:15], v[14:15], v[132:133]
	v_mov_b32_e32 v19, v17
	v_pk_mul_f32 v[16:17], v[110:111], v[16:17] op_sel:[1,0] op_sel_hi:[0,0]
	v_pk_add_f32 v[14:15], v[14:15], v[18:19]
	v_pk_fma_f32 v[18:19], v[110:111], v[114:115], v[16:17] neg_lo:[0,0,1] neg_hi:[0,0,1]
	v_pk_fma_f32 v[16:17], v[110:111], v[114:115], v[16:17] op_sel_hi:[1,0,1]
	s_nop 0
	v_mov_b32_e32 v19, v17
	s_waitcnt vmcnt(2) lgkmcnt(2)
	v_pk_mul_f32 v[16:17], v[2:3], v[116:117] op_sel:[1,1] op_sel_hi:[0,1]
	v_pk_add_f32 v[14:15], v[14:15], v[18:19]
	v_pk_fma_f32 v[18:19], v[2:3], v[116:117], v[16:17] neg_lo:[0,0,1] neg_hi:[0,0,1]
	v_pk_fma_f32 v[2:3], v[2:3], v[116:117], v[16:17] op_sel_hi:[1,0,1]
	s_nop 0
	v_mov_b32_e32 v19, v3
	v_pk_add_f32 v[2:3], v[14:15], v[18:19]
	v_mov_b32_e32 v14, v119
	v_pk_mul_f32 v[14:15], v[4:5], v[14:15] op_sel:[1,0] op_sel_hi:[0,0]
	v_pk_fma_f32 v[16:17], v[4:5], v[118:119], v[14:15] neg_lo:[0,0,1] neg_hi:[0,0,1]
	v_pk_fma_f32 v[4:5], v[4:5], v[118:119], v[14:15] op_sel_hi:[1,0,1]
	s_nop 0
	v_mov_b32_e32 v17, v5
	s_waitcnt vmcnt(1) lgkmcnt(1)
	v_pk_mul_f32 v[4:5], v[6:7], v[120:121] op_sel:[1,1] op_sel_hi:[0,1]
	v_pk_fma_f32 v[14:15], v[6:7], v[120:121], v[4:5] neg_lo:[0,0,1] neg_hi:[0,0,1]
	v_pk_fma_f32 v[4:5], v[6:7], v[120:121], v[4:5] op_sel_hi:[1,0,1]
	v_pk_add_f32 v[2:3], v[2:3], v[16:17]
	v_mov_b32_e32 v4, v123
	v_mov_b32_e32 v15, v5
	v_pk_mul_f32 v[4:5], v[8:9], v[4:5] op_sel:[1,0] op_sel_hi:[0,0]
	v_pk_fma_f32 v[6:7], v[8:9], v[122:123], v[4:5] neg_lo:[0,0,1] neg_hi:[0,0,1]
	v_pk_fma_f32 v[4:5], v[8:9], v[122:123], v[4:5] op_sel_hi:[1,0,1]
	v_pk_add_f32 v[2:3], v[2:3], v[14:15]
	v_mov_b32_e32 v7, v5
	s_waitcnt vmcnt(0) lgkmcnt(0)
	v_pk_mul_f32 v[4:5], v[10:11], v[124:125] op_sel:[1,1] op_sel_hi:[0,1]
	v_pk_add_f32 v[2:3], v[2:3], v[6:7]
	v_pk_fma_f32 v[6:7], v[10:11], v[124:125], v[4:5] neg_lo:[0,0,1] neg_hi:[0,0,1]
	v_pk_fma_f32 v[4:5], v[10:11], v[124:125], v[4:5] op_sel_hi:[1,0,1]
	s_nop 0
	v_mov_b32_e32 v4, v127
	v_mov_b32_e32 v7, v5
	v_pk_mul_f32 v[4:5], v[12:13], v[4:5] op_sel:[1,0] op_sel_hi:[0,0]
	v_pk_add_f32 v[2:3], v[2:3], v[6:7]
	v_pk_fma_f32 v[6:7], v[12:13], v[126:127], v[4:5] neg_lo:[0,0,1] neg_hi:[0,0,1]
	v_pk_fma_f32 v[4:5], v[12:13], v[126:127], v[4:5] op_sel_hi:[1,0,1]
	s_nop 0
	v_mov_b32_e32 v7, v5
	v_pk_add_f32 v[2:3], v[2:3], v[6:7]
	s_nop 0
	v_pk_add_f32 v[2:3], v[128:129], v[2:3] neg_lo:[0,1] neg_hi:[0,1]
	scratch_store_dwordx2 off, v[2:3], off offset:152
	s_and_saveexec_b64 s[0:1], vcc
	s_cbranch_execz .LBB53_301
; %bb.300:
	scratch_load_dwordx2 v[2:3], off, off offset:144
	v_mov_b32_e32 v4, 0
	v_mov_b32_e32 v5, v4
	scratch_store_dwordx2 off, v[4:5], off offset:144
	s_waitcnt vmcnt(1)
	ds_write_b64 v1, v[2:3]
.LBB53_301:
	s_or_b64 exec, exec, s[0:1]
	s_waitcnt lgkmcnt(0)
	; wave barrier
	scratch_load_dwordx4 v[2:5], off, off offset:152
	scratch_load_dwordx4 v[6:9], off, off offset:168
	;; [unrolled: 1-line block ×13, first 2 shown]
	v_mov_b32_e32 v114, 0
	scratch_load_dwordx4 v[54:57], off, off offset:360
	scratch_load_dwordx2 v[128:129], off, off offset:144
	ds_read2_b64 v[58:61], v114 offset0:73 offset1:74
	ds_read2_b64 v[62:65], v114 offset0:75 offset1:76
	;; [unrolled: 1-line block ×14, first 2 shown]
	v_cmp_lt_u32_e32 vcc, 17, v0
	s_waitcnt vmcnt(14) lgkmcnt(13)
	v_mul_f32_e32 v115, v58, v3
	v_mul_f32_e32 v116, v60, v5
	v_fmac_f32_e32 v115, v59, v2
	s_waitcnt vmcnt(13) lgkmcnt(12)
	v_mul_f32_e32 v117, v62, v7
	v_fmac_f32_e32 v116, v61, v4
	v_add_f32_e32 v115, 0, v115
	v_mul_f32_e32 v118, v64, v9
	v_fmac_f32_e32 v117, v63, v6
	v_add_f32_e32 v115, v115, v116
	s_waitcnt vmcnt(12) lgkmcnt(11)
	v_mul_f32_e32 v119, v66, v11
	v_fmac_f32_e32 v118, v65, v8
	v_add_f32_e32 v115, v115, v117
	v_mul_f32_e32 v120, v68, v13
	v_fmac_f32_e32 v119, v67, v10
	v_add_f32_e32 v115, v115, v118
	;; [unrolled: 7-line block ×6, first 2 shown]
	s_waitcnt vmcnt(7) lgkmcnt(6)
	v_mul_f32_e32 v131, v86, v31
	v_fmac_f32_e32 v130, v85, v28
	v_add_f32_e32 v115, v115, v127
	scratch_load_dwordx4 v[116:119], off, off offset:376
	v_mul_f32_e32 v132, v88, v33
	v_fmac_f32_e32 v131, v87, v30
	v_add_f32_e32 v115, v115, v130
	s_waitcnt vmcnt(7) lgkmcnt(5)
	v_mul_f32_e32 v133, v90, v35
	v_fmac_f32_e32 v132, v89, v32
	v_add_f32_e32 v115, v115, v131
	v_mul_f32_e32 v134, v92, v37
	v_fmac_f32_e32 v133, v91, v34
	v_add_f32_e32 v115, v115, v132
	s_waitcnt vmcnt(6) lgkmcnt(4)
	v_mul_f32_e32 v135, v94, v39
	v_fmac_f32_e32 v134, v93, v36
	v_add_f32_e32 v115, v115, v133
	;; [unrolled: 7-line block ×3, first 2 shown]
	v_fmac_f32_e32 v137, v99, v42
	v_add_f32_e32 v115, v115, v136
	v_add_f32_e32 v115, v115, v137
	scratch_load_dwordx4 v[120:123], off, off offset:392
	scratch_load_dwordx4 v[124:127], off, off offset:408
	scratch_load_dwordx2 v[136:137], off, off offset:424
	v_mul_f32_e32 v3, v59, v3
	v_fma_f32 v2, v58, v2, -v3
	v_mul_f32_e32 v3, v61, v5
	v_add_f32_e32 v2, 0, v2
	v_fma_f32 v3, v60, v4, -v3
	v_add_f32_e32 v2, v2, v3
	v_mul_f32_e32 v3, v63, v7
	v_fma_f32 v3, v62, v6, -v3
	v_add_f32_e32 v2, v2, v3
	v_mul_f32_e32 v3, v65, v9
	;; [unrolled: 3-line block ×20, first 2 shown]
	v_fma_f32 v3, v100, v44, -v3
	v_add_f32_e32 v2, v2, v3
	s_waitcnt vmcnt(7) lgkmcnt(2)
	v_mul_f32_e32 v3, v103, v47
	v_fma_f32 v3, v102, v46, -v3
	v_add_f32_e32 v2, v2, v3
	v_mul_f32_e32 v3, v105, v49
	v_mul_f32_e32 v138, v100, v45
	v_fma_f32 v3, v104, v48, -v3
	v_mul_f32_e32 v139, v102, v47
	v_fmac_f32_e32 v138, v101, v44
	v_add_f32_e32 v2, v2, v3
	s_waitcnt vmcnt(6) lgkmcnt(1)
	v_mul_f32_e32 v3, v107, v51
	v_mul_f32_e32 v140, v104, v49
	v_fmac_f32_e32 v139, v103, v46
	v_add_f32_e32 v115, v115, v138
	v_fma_f32 v3, v106, v50, -v3
	v_mul_f32_e32 v141, v106, v51
	v_fmac_f32_e32 v140, v105, v48
	v_add_f32_e32 v115, v115, v139
	v_add_f32_e32 v130, v2, v3
	v_mul_f32_e32 v2, v109, v53
	v_fmac_f32_e32 v141, v107, v50
	v_add_f32_e32 v115, v115, v140
	v_mul_f32_e32 v133, v108, v53
	v_fma_f32 v132, v108, v52, -v2
	s_waitcnt vmcnt(5) lgkmcnt(0)
	v_mul_f32_e32 v2, v111, v55
	v_mov_b32_e32 v18, v57
	v_add_f32_e32 v131, v115, v141
	v_fmac_f32_e32 v133, v109, v52
	v_mul_f32_e32 v135, v110, v55
	v_fma_f32 v134, v110, v54, -v2
	ds_read2_b64 v[2:5], v114 offset0:101 offset1:102
	ds_read2_b64 v[6:9], v114 offset0:103 offset1:104
	;; [unrolled: 1-line block ×3, first 2 shown]
	ds_read_b64 v[14:15], v114 offset:856
	v_pk_mul_f32 v[18:19], v[112:113], v[18:19] op_sel:[1,0] op_sel_hi:[0,0]
	v_fmac_f32_e32 v135, v111, v54
	v_pk_add_f32 v[16:17], v[130:131], v[132:133]
	v_pk_fma_f32 v[20:21], v[112:113], v[56:57], v[18:19] neg_lo:[0,0,1] neg_hi:[0,0,1]
	v_pk_fma_f32 v[18:19], v[112:113], v[56:57], v[18:19] op_sel_hi:[1,0,1]
	v_pk_add_f32 v[16:17], v[16:17], v[134:135]
	v_mov_b32_e32 v21, v19
	s_waitcnt vmcnt(3) lgkmcnt(3)
	v_pk_mul_f32 v[18:19], v[2:3], v[116:117] op_sel:[1,1] op_sel_hi:[0,1]
	v_pk_add_f32 v[16:17], v[16:17], v[20:21]
	v_pk_fma_f32 v[20:21], v[2:3], v[116:117], v[18:19] neg_lo:[0,0,1] neg_hi:[0,0,1]
	v_pk_fma_f32 v[2:3], v[2:3], v[116:117], v[18:19] op_sel_hi:[1,0,1]
	s_nop 0
	v_mov_b32_e32 v21, v3
	v_pk_add_f32 v[2:3], v[16:17], v[20:21]
	v_mov_b32_e32 v16, v119
	v_pk_mul_f32 v[16:17], v[4:5], v[16:17] op_sel:[1,0] op_sel_hi:[0,0]
	v_pk_fma_f32 v[18:19], v[4:5], v[118:119], v[16:17] neg_lo:[0,0,1] neg_hi:[0,0,1]
	v_pk_fma_f32 v[4:5], v[4:5], v[118:119], v[16:17] op_sel_hi:[1,0,1]
	s_nop 0
	v_mov_b32_e32 v19, v5
	s_waitcnt vmcnt(2) lgkmcnt(2)
	v_pk_mul_f32 v[4:5], v[6:7], v[120:121] op_sel:[1,1] op_sel_hi:[0,1]
	v_pk_fma_f32 v[16:17], v[6:7], v[120:121], v[4:5] neg_lo:[0,0,1] neg_hi:[0,0,1]
	v_pk_fma_f32 v[4:5], v[6:7], v[120:121], v[4:5] op_sel_hi:[1,0,1]
	v_pk_add_f32 v[2:3], v[2:3], v[18:19]
	v_mov_b32_e32 v4, v123
	v_mov_b32_e32 v17, v5
	v_pk_mul_f32 v[4:5], v[8:9], v[4:5] op_sel:[1,0] op_sel_hi:[0,0]
	v_pk_fma_f32 v[6:7], v[8:9], v[122:123], v[4:5] neg_lo:[0,0,1] neg_hi:[0,0,1]
	v_pk_fma_f32 v[4:5], v[8:9], v[122:123], v[4:5] op_sel_hi:[1,0,1]
	v_pk_add_f32 v[2:3], v[2:3], v[16:17]
	v_mov_b32_e32 v7, v5
	s_waitcnt vmcnt(1) lgkmcnt(1)
	v_pk_mul_f32 v[4:5], v[10:11], v[124:125] op_sel:[1,1] op_sel_hi:[0,1]
	v_pk_add_f32 v[2:3], v[2:3], v[6:7]
	v_pk_fma_f32 v[6:7], v[10:11], v[124:125], v[4:5] neg_lo:[0,0,1] neg_hi:[0,0,1]
	v_pk_fma_f32 v[4:5], v[10:11], v[124:125], v[4:5] op_sel_hi:[1,0,1]
	s_nop 0
	v_mov_b32_e32 v4, v127
	v_mov_b32_e32 v7, v5
	v_pk_mul_f32 v[4:5], v[12:13], v[4:5] op_sel:[1,0] op_sel_hi:[0,0]
	v_pk_add_f32 v[2:3], v[2:3], v[6:7]
	v_pk_fma_f32 v[6:7], v[12:13], v[126:127], v[4:5] neg_lo:[0,0,1] neg_hi:[0,0,1]
	v_pk_fma_f32 v[4:5], v[12:13], v[126:127], v[4:5] op_sel_hi:[1,0,1]
	s_nop 0
	v_mov_b32_e32 v7, v5
	s_waitcnt vmcnt(0) lgkmcnt(0)
	v_pk_mul_f32 v[4:5], v[14:15], v[136:137] op_sel:[1,1] op_sel_hi:[0,1]
	v_pk_add_f32 v[2:3], v[2:3], v[6:7]
	v_pk_fma_f32 v[6:7], v[14:15], v[136:137], v[4:5] neg_lo:[0,0,1] neg_hi:[0,0,1]
	v_pk_fma_f32 v[4:5], v[14:15], v[136:137], v[4:5] op_sel_hi:[1,0,1]
	s_nop 0
	v_mov_b32_e32 v7, v5
	v_pk_add_f32 v[2:3], v[2:3], v[6:7]
	s_nop 0
	v_pk_add_f32 v[2:3], v[128:129], v[2:3] neg_lo:[0,1] neg_hi:[0,1]
	scratch_store_dwordx2 off, v[2:3], off offset:144
	s_and_saveexec_b64 s[0:1], vcc
	s_cbranch_execz .LBB53_303
; %bb.302:
	scratch_load_dwordx2 v[2:3], off, off offset:136
	v_mov_b32_e32 v115, v114
	scratch_store_dwordx2 off, v[114:115], off offset:136
	s_waitcnt vmcnt(1)
	ds_write_b64 v1, v[2:3]
.LBB53_303:
	s_or_b64 exec, exec, s[0:1]
	s_waitcnt lgkmcnt(0)
	; wave barrier
	scratch_load_dwordx4 v[2:5], off, off offset:144
	scratch_load_dwordx4 v[6:9], off, off offset:160
	;; [unrolled: 1-line block ×13, first 2 shown]
	ds_read_b128 v[110:113], v114 offset:576
	ds_read_b128 v[106:109], v114 offset:592
	;; [unrolled: 1-line block ×14, first 2 shown]
	scratch_load_dwordx4 v[66:69], off, off offset:352
	scratch_load_dwordx2 v[132:133], off, off offset:136
	v_cmp_lt_u32_e32 vcc, 16, v0
	s_waitcnt vmcnt(14) lgkmcnt(13)
	v_mul_f32_e32 v115, v110, v3
	v_mul_f32_e32 v116, v112, v5
	v_fmac_f32_e32 v115, v111, v2
	s_waitcnt vmcnt(13) lgkmcnt(12)
	v_mul_f32_e32 v117, v106, v7
	v_fmac_f32_e32 v116, v113, v4
	v_add_f32_e32 v115, 0, v115
	v_mul_f32_e32 v118, v108, v9
	v_fmac_f32_e32 v117, v107, v6
	v_add_f32_e32 v115, v115, v116
	s_waitcnt vmcnt(12) lgkmcnt(11)
	v_mul_f32_e32 v119, v102, v11
	v_fmac_f32_e32 v118, v109, v8
	v_add_f32_e32 v115, v115, v117
	v_mul_f32_e32 v120, v104, v13
	v_fmac_f32_e32 v119, v103, v10
	v_add_f32_e32 v115, v115, v118
	;; [unrolled: 7-line block ×4, first 2 shown]
	s_waitcnt vmcnt(9) lgkmcnt(8)
	v_mul_f32_e32 v125, v90, v23
	v_fmac_f32_e32 v124, v97, v20
	v_add_f32_e32 v115, v115, v123
	scratch_load_dwordx4 v[116:119], off, off offset:368
	v_mul_f32_e32 v126, v92, v25
	v_fmac_f32_e32 v125, v91, v22
	v_add_f32_e32 v115, v115, v124
	s_waitcnt vmcnt(9) lgkmcnt(7)
	v_mul_f32_e32 v127, v86, v27
	v_fmac_f32_e32 v126, v93, v24
	v_add_f32_e32 v115, v115, v125
	v_mul_f32_e32 v128, v88, v29
	v_fmac_f32_e32 v127, v87, v26
	v_add_f32_e32 v115, v115, v126
	s_waitcnt vmcnt(8) lgkmcnt(6)
	v_mul_f32_e32 v129, v82, v31
	v_fmac_f32_e32 v128, v89, v28
	v_add_f32_e32 v115, v115, v127
	;; [unrolled: 7-line block ×3, first 2 shown]
	v_fmac_f32_e32 v131, v79, v34
	v_add_f32_e32 v115, v115, v130
	v_add_f32_e32 v115, v115, v131
	scratch_load_dwordx4 v[120:123], off, off offset:384
	scratch_load_dwordx4 v[124:127], off, off offset:400
	;; [unrolled: 1-line block ×3, first 2 shown]
	v_mul_f32_e32 v3, v111, v3
	v_fma_f32 v2, v110, v2, -v3
	v_mul_f32_e32 v3, v113, v5
	v_add_f32_e32 v2, 0, v2
	v_fma_f32 v3, v112, v4, -v3
	v_add_f32_e32 v2, v2, v3
	v_mul_f32_e32 v3, v107, v7
	v_fma_f32 v3, v106, v6, -v3
	v_add_f32_e32 v2, v2, v3
	v_mul_f32_e32 v3, v109, v9
	;; [unrolled: 3-line block ×16, first 2 shown]
	v_fma_f32 v3, v80, v36, -v3
	v_add_f32_e32 v2, v2, v3
	s_waitcnt vmcnt(9) lgkmcnt(4)
	v_mul_f32_e32 v3, v75, v39
	v_fma_f32 v3, v74, v38, -v3
	v_add_f32_e32 v2, v2, v3
	v_mul_f32_e32 v3, v77, v41
	v_fma_f32 v3, v76, v40, -v3
	v_add_f32_e32 v2, v2, v3
	s_waitcnt vmcnt(8) lgkmcnt(3)
	v_mul_f32_e32 v3, v71, v43
	v_fma_f32 v3, v70, v42, -v3
	v_add_f32_e32 v2, v2, v3
	v_mul_f32_e32 v3, v73, v45
	v_fma_f32 v3, v72, v44, -v3
	v_add_f32_e32 v2, v2, v3
	s_waitcnt vmcnt(7) lgkmcnt(2)
	v_mul_f32_e32 v3, v63, v47
	v_fma_f32 v3, v62, v46, -v3
	v_mul_f32_e32 v134, v80, v37
	v_add_f32_e32 v2, v2, v3
	v_mul_f32_e32 v3, v65, v49
	v_mul_f32_e32 v135, v74, v39
	v_fmac_f32_e32 v134, v81, v36
	v_fma_f32 v3, v64, v48, -v3
	v_mul_f32_e32 v136, v76, v41
	v_fmac_f32_e32 v135, v75, v38
	v_add_f32_e32 v115, v115, v134
	v_add_f32_e32 v2, v2, v3
	s_waitcnt vmcnt(6) lgkmcnt(1)
	v_mul_f32_e32 v3, v55, v51
	v_mul_f32_e32 v137, v70, v43
	v_fmac_f32_e32 v136, v77, v40
	v_add_f32_e32 v115, v115, v135
	v_fma_f32 v3, v54, v50, -v3
	v_mul_f32_e32 v138, v72, v45
	v_fmac_f32_e32 v137, v71, v42
	v_add_f32_e32 v115, v115, v136
	v_add_f32_e32 v2, v2, v3
	v_mul_f32_e32 v3, v57, v53
	v_mul_f32_e32 v139, v62, v47
	v_fmac_f32_e32 v138, v73, v44
	v_add_f32_e32 v115, v115, v137
	v_fma_f32 v3, v56, v52, -v3
	v_mul_f32_e32 v140, v64, v49
	v_fmac_f32_e32 v139, v63, v46
	v_add_f32_e32 v115, v115, v138
	v_add_f32_e32 v134, v2, v3
	s_waitcnt vmcnt(5) lgkmcnt(0)
	v_mul_f32_e32 v2, v59, v67
	v_mul_f32_e32 v141, v54, v51
	v_fmac_f32_e32 v140, v65, v48
	v_add_f32_e32 v115, v115, v139
	v_fma_f32 v136, v58, v66, -v2
	v_mul_f32_e32 v2, v61, v69
	v_mul_f32_e32 v142, v56, v53
	v_fmac_f32_e32 v141, v55, v50
	v_add_f32_e32 v115, v115, v140
	v_fma_f32 v138, v60, v68, -v2
	ds_read_b128 v[2:5], v114 offset:800
	ds_read_b128 v[6:9], v114 offset:816
	ds_read_b128 v[10:13], v114 offset:832
	ds_read_b128 v[14:17], v114 offset:848
	v_add_f32_e32 v115, v115, v141
	v_fmac_f32_e32 v142, v57, v52
	v_mul_f32_e32 v137, v58, v67
	v_add_f32_e32 v135, v115, v142
	v_fmac_f32_e32 v137, v59, v66
	v_mul_f32_e32 v139, v60, v69
	s_waitcnt vmcnt(3) lgkmcnt(3)
	v_pk_mul_f32 v[20:21], v[2:3], v[116:117] op_sel:[1,1] op_sel_hi:[0,1]
	v_fmac_f32_e32 v139, v61, v68
	v_pk_add_f32 v[18:19], v[134:135], v[136:137]
	v_pk_fma_f32 v[22:23], v[2:3], v[116:117], v[20:21] neg_lo:[0,0,1] neg_hi:[0,0,1]
	v_pk_fma_f32 v[2:3], v[2:3], v[116:117], v[20:21] op_sel_hi:[1,0,1]
	v_pk_add_f32 v[18:19], v[18:19], v[138:139]
	v_mov_b32_e32 v23, v3
	v_pk_add_f32 v[2:3], v[18:19], v[22:23]
	v_mov_b32_e32 v18, v119
	v_pk_mul_f32 v[18:19], v[4:5], v[18:19] op_sel:[1,0] op_sel_hi:[0,0]
	v_pk_fma_f32 v[20:21], v[4:5], v[118:119], v[18:19] neg_lo:[0,0,1] neg_hi:[0,0,1]
	v_pk_fma_f32 v[4:5], v[4:5], v[118:119], v[18:19] op_sel_hi:[1,0,1]
	s_nop 0
	v_mov_b32_e32 v21, v5
	s_waitcnt vmcnt(2) lgkmcnt(2)
	v_pk_mul_f32 v[4:5], v[6:7], v[120:121] op_sel:[1,1] op_sel_hi:[0,1]
	v_pk_fma_f32 v[18:19], v[6:7], v[120:121], v[4:5] neg_lo:[0,0,1] neg_hi:[0,0,1]
	v_pk_fma_f32 v[4:5], v[6:7], v[120:121], v[4:5] op_sel_hi:[1,0,1]
	v_pk_add_f32 v[2:3], v[2:3], v[20:21]
	v_mov_b32_e32 v4, v123
	v_mov_b32_e32 v19, v5
	v_pk_mul_f32 v[4:5], v[8:9], v[4:5] op_sel:[1,0] op_sel_hi:[0,0]
	v_pk_fma_f32 v[6:7], v[8:9], v[122:123], v[4:5] neg_lo:[0,0,1] neg_hi:[0,0,1]
	v_pk_fma_f32 v[4:5], v[8:9], v[122:123], v[4:5] op_sel_hi:[1,0,1]
	v_pk_add_f32 v[2:3], v[2:3], v[18:19]
	v_mov_b32_e32 v7, v5
	s_waitcnt vmcnt(1) lgkmcnt(1)
	v_pk_mul_f32 v[4:5], v[10:11], v[124:125] op_sel:[1,1] op_sel_hi:[0,1]
	v_pk_add_f32 v[2:3], v[2:3], v[6:7]
	v_pk_fma_f32 v[6:7], v[10:11], v[124:125], v[4:5] neg_lo:[0,0,1] neg_hi:[0,0,1]
	v_pk_fma_f32 v[4:5], v[10:11], v[124:125], v[4:5] op_sel_hi:[1,0,1]
	s_nop 0
	v_mov_b32_e32 v4, v127
	v_mov_b32_e32 v7, v5
	v_pk_mul_f32 v[4:5], v[12:13], v[4:5] op_sel:[1,0] op_sel_hi:[0,0]
	v_pk_add_f32 v[2:3], v[2:3], v[6:7]
	v_pk_fma_f32 v[6:7], v[12:13], v[126:127], v[4:5] neg_lo:[0,0,1] neg_hi:[0,0,1]
	v_pk_fma_f32 v[4:5], v[12:13], v[126:127], v[4:5] op_sel_hi:[1,0,1]
	s_nop 0
	v_mov_b32_e32 v7, v5
	s_waitcnt vmcnt(0) lgkmcnt(0)
	v_pk_mul_f32 v[4:5], v[14:15], v[128:129] op_sel:[1,1] op_sel_hi:[0,1]
	v_pk_add_f32 v[2:3], v[2:3], v[6:7]
	v_pk_fma_f32 v[6:7], v[14:15], v[128:129], v[4:5] neg_lo:[0,0,1] neg_hi:[0,0,1]
	v_pk_fma_f32 v[4:5], v[14:15], v[128:129], v[4:5] op_sel_hi:[1,0,1]
	s_nop 0
	v_mov_b32_e32 v4, v131
	v_mov_b32_e32 v7, v5
	v_pk_mul_f32 v[4:5], v[16:17], v[4:5] op_sel:[1,0] op_sel_hi:[0,0]
	v_pk_add_f32 v[2:3], v[2:3], v[6:7]
	v_pk_fma_f32 v[6:7], v[16:17], v[130:131], v[4:5] neg_lo:[0,0,1] neg_hi:[0,0,1]
	v_pk_fma_f32 v[4:5], v[16:17], v[130:131], v[4:5] op_sel_hi:[1,0,1]
	s_nop 0
	v_mov_b32_e32 v7, v5
	v_pk_add_f32 v[2:3], v[2:3], v[6:7]
	s_nop 0
	v_pk_add_f32 v[2:3], v[132:133], v[2:3] neg_lo:[0,1] neg_hi:[0,1]
	scratch_store_dwordx2 off, v[2:3], off offset:136
	s_and_saveexec_b64 s[0:1], vcc
	s_cbranch_execz .LBB53_305
; %bb.304:
	scratch_load_dwordx2 v[2:3], off, off offset:128
	v_mov_b32_e32 v4, 0
	v_mov_b32_e32 v5, v4
	scratch_store_dwordx2 off, v[4:5], off offset:128
	s_waitcnt vmcnt(1)
	ds_write_b64 v1, v[2:3]
.LBB53_305:
	s_or_b64 exec, exec, s[0:1]
	s_waitcnt lgkmcnt(0)
	; wave barrier
	scratch_load_dwordx4 v[2:5], off, off offset:136
	scratch_load_dwordx4 v[6:9], off, off offset:152
	;; [unrolled: 1-line block ×15, first 2 shown]
	scratch_load_dwordx2 v[140:141], off, off offset:128
	v_mov_b32_e32 v98, 0
	ds_read2_b64 v[62:65], v98 offset0:71 offset1:72
	ds_read2_b64 v[66:69], v98 offset0:73 offset1:74
	;; [unrolled: 1-line block ×14, first 2 shown]
	v_cmp_lt_u32_e32 vcc, 15, v0
	s_waitcnt vmcnt(15) lgkmcnt(13)
	v_mul_f32_e32 v99, v62, v3
	v_mul_f32_e32 v120, v64, v5
	v_fmac_f32_e32 v99, v63, v2
	s_waitcnt vmcnt(14) lgkmcnt(12)
	v_mul_f32_e32 v121, v66, v7
	v_fmac_f32_e32 v120, v65, v4
	v_add_f32_e32 v99, 0, v99
	v_mul_f32_e32 v122, v68, v9
	v_fmac_f32_e32 v121, v67, v6
	v_add_f32_e32 v99, v99, v120
	s_waitcnt vmcnt(13) lgkmcnt(11)
	v_mul_f32_e32 v123, v70, v11
	v_fmac_f32_e32 v122, v69, v8
	v_add_f32_e32 v99, v99, v121
	v_mul_f32_e32 v124, v72, v13
	v_fmac_f32_e32 v123, v71, v10
	v_add_f32_e32 v99, v99, v122
	;; [unrolled: 7-line block ×11, first 2 shown]
	s_waitcnt vmcnt(3) lgkmcnt(1)
	v_mul_f32_e32 v145, v112, v51
	v_fmac_f32_e32 v144, v111, v48
	v_add_f32_e32 v99, v99, v143
	v_add_f32_e32 v99, v99, v144
	v_fmac_f32_e32 v145, v113, v50
	v_mul_f32_e32 v120, v114, v53
	v_add_f32_e32 v99, v99, v145
	v_fmac_f32_e32 v120, v115, v52
	s_waitcnt vmcnt(2) lgkmcnt(0)
	v_mul_f32_e32 v124, v116, v55
	v_add_f32_e32 v99, v99, v120
	v_fmac_f32_e32 v124, v117, v54
	ds_read2_b64 v[120:123], v98 offset0:99 offset1:100
	v_add_f32_e32 v143, v99, v124
	ds_read2_b64 v[124:127], v98 offset0:101 offset1:102
	scratch_load_dwordx4 v[128:131], off, off offset:376
	scratch_load_dwordx4 v[132:135], off, off offset:392
	;; [unrolled: 1-line block ×3, first 2 shown]
	scratch_load_dwordx2 v[148:149], off, off offset:424
	v_mul_f32_e32 v3, v63, v3
	v_fma_f32 v2, v62, v2, -v3
	v_mul_f32_e32 v3, v65, v5
	v_add_f32_e32 v2, 0, v2
	v_fma_f32 v3, v64, v4, -v3
	v_add_f32_e32 v2, v2, v3
	v_mul_f32_e32 v3, v67, v7
	v_fma_f32 v3, v66, v6, -v3
	v_add_f32_e32 v2, v2, v3
	v_mul_f32_e32 v3, v69, v9
	;; [unrolled: 3-line block ×25, first 2 shown]
	v_fma_f32 v3, v116, v54, -v3
	v_mul_f32_e32 v145, v118, v57
	v_add_f32_e32 v142, v2, v3
	v_mul_f32_e32 v2, v119, v57
	s_waitcnt vmcnt(5)
	v_mov_b32_e32 v14, v61
	v_fmac_f32_e32 v145, v119, v56
	s_waitcnt lgkmcnt(1)
	v_mul_f32_e32 v147, v120, v59
	v_fma_f32 v144, v118, v56, -v2
	v_mul_f32_e32 v2, v121, v59
	v_pk_mul_f32 v[14:15], v[122:123], v[14:15] op_sel:[1,0] op_sel_hi:[0,0]
	v_fmac_f32_e32 v147, v121, v58
	v_fma_f32 v146, v120, v58, -v2
	v_pk_add_f32 v[12:13], v[142:143], v[144:145]
	v_pk_fma_f32 v[16:17], v[122:123], v[60:61], v[14:15] neg_lo:[0,0,1] neg_hi:[0,0,1]
	v_pk_fma_f32 v[14:15], v[122:123], v[60:61], v[14:15] op_sel_hi:[1,0,1]
	v_pk_add_f32 v[12:13], v[12:13], v[146:147]
	v_mov_b32_e32 v17, v15
	s_waitcnt vmcnt(3) lgkmcnt(0)
	v_pk_mul_f32 v[14:15], v[124:125], v[128:129] op_sel:[1,1] op_sel_hi:[0,1]
	v_pk_add_f32 v[12:13], v[12:13], v[16:17]
	v_pk_fma_f32 v[16:17], v[124:125], v[128:129], v[14:15] neg_lo:[0,0,1] neg_hi:[0,0,1]
	v_pk_fma_f32 v[14:15], v[124:125], v[128:129], v[14:15] op_sel_hi:[1,0,1]
	ds_read2_b64 v[2:5], v98 offset0:103 offset1:104
	ds_read2_b64 v[6:9], v98 offset0:105 offset1:106
	ds_read_b64 v[10:11], v98 offset:856
	v_mov_b32_e32 v14, v131
	v_mov_b32_e32 v17, v15
	v_pk_mul_f32 v[14:15], v[126:127], v[14:15] op_sel:[1,0] op_sel_hi:[0,0]
	v_pk_add_f32 v[12:13], v[12:13], v[16:17]
	v_pk_fma_f32 v[16:17], v[126:127], v[130:131], v[14:15] neg_lo:[0,0,1] neg_hi:[0,0,1]
	v_pk_fma_f32 v[14:15], v[126:127], v[130:131], v[14:15] op_sel_hi:[1,0,1]
	s_nop 0
	v_mov_b32_e32 v17, v15
	s_waitcnt vmcnt(2) lgkmcnt(2)
	v_pk_mul_f32 v[14:15], v[2:3], v[132:133] op_sel:[1,1] op_sel_hi:[0,1]
	v_pk_add_f32 v[12:13], v[12:13], v[16:17]
	v_pk_fma_f32 v[16:17], v[2:3], v[132:133], v[14:15] neg_lo:[0,0,1] neg_hi:[0,0,1]
	v_pk_fma_f32 v[2:3], v[2:3], v[132:133], v[14:15] op_sel_hi:[1,0,1]
	s_nop 0
	v_mov_b32_e32 v17, v3
	v_pk_add_f32 v[2:3], v[12:13], v[16:17]
	v_mov_b32_e32 v12, v135
	v_pk_mul_f32 v[12:13], v[4:5], v[12:13] op_sel:[1,0] op_sel_hi:[0,0]
	v_pk_fma_f32 v[14:15], v[4:5], v[134:135], v[12:13] neg_lo:[0,0,1] neg_hi:[0,0,1]
	v_pk_fma_f32 v[4:5], v[4:5], v[134:135], v[12:13] op_sel_hi:[1,0,1]
	s_nop 0
	v_mov_b32_e32 v15, v5
	s_waitcnt vmcnt(1) lgkmcnt(1)
	v_pk_mul_f32 v[4:5], v[6:7], v[136:137] op_sel:[1,1] op_sel_hi:[0,1]
	v_pk_fma_f32 v[12:13], v[6:7], v[136:137], v[4:5] neg_lo:[0,0,1] neg_hi:[0,0,1]
	v_pk_fma_f32 v[4:5], v[6:7], v[136:137], v[4:5] op_sel_hi:[1,0,1]
	v_pk_add_f32 v[2:3], v[2:3], v[14:15]
	v_mov_b32_e32 v4, v139
	v_mov_b32_e32 v13, v5
	v_pk_mul_f32 v[4:5], v[8:9], v[4:5] op_sel:[1,0] op_sel_hi:[0,0]
	v_pk_fma_f32 v[6:7], v[8:9], v[138:139], v[4:5] neg_lo:[0,0,1] neg_hi:[0,0,1]
	v_pk_fma_f32 v[4:5], v[8:9], v[138:139], v[4:5] op_sel_hi:[1,0,1]
	v_pk_add_f32 v[2:3], v[2:3], v[12:13]
	v_mov_b32_e32 v7, v5
	s_waitcnt vmcnt(0) lgkmcnt(0)
	v_pk_mul_f32 v[4:5], v[10:11], v[148:149] op_sel:[1,1] op_sel_hi:[0,1]
	v_pk_add_f32 v[2:3], v[2:3], v[6:7]
	v_pk_fma_f32 v[6:7], v[10:11], v[148:149], v[4:5] neg_lo:[0,0,1] neg_hi:[0,0,1]
	v_pk_fma_f32 v[4:5], v[10:11], v[148:149], v[4:5] op_sel_hi:[1,0,1]
	s_nop 0
	v_mov_b32_e32 v7, v5
	v_pk_add_f32 v[2:3], v[2:3], v[6:7]
	s_nop 0
	v_pk_add_f32 v[2:3], v[140:141], v[2:3] neg_lo:[0,1] neg_hi:[0,1]
	scratch_store_dwordx2 off, v[2:3], off offset:128
	s_and_saveexec_b64 s[0:1], vcc
	s_cbranch_execz .LBB53_307
; %bb.306:
	scratch_load_dwordx2 v[2:3], off, off offset:120
	v_mov_b32_e32 v99, v98
	scratch_store_dwordx2 off, v[98:99], off offset:120
	s_waitcnt vmcnt(1)
	ds_write_b64 v1, v[2:3]
.LBB53_307:
	s_or_b64 exec, exec, s[0:1]
	s_waitcnt lgkmcnt(0)
	; wave barrier
	scratch_load_dwordx4 v[58:61], off, off offset:128
	scratch_load_dwordx4 v[62:65], off, off offset:144
	;; [unrolled: 1-line block ×13, first 2 shown]
	ds_read_b128 v[106:109], v98 offset:560
	ds_read_b128 v[110:113], v98 offset:576
	;; [unrolled: 1-line block ×14, first 2 shown]
	scratch_load_dwordx4 v[46:49], off, off offset:336
	scratch_load_dwordx4 v[50:53], off, off offset:352
	v_cmp_lt_u32_e32 vcc, 14, v0
	s_waitcnt vmcnt(14) lgkmcnt(13)
	v_mul_f32_e32 v2, v106, v59
	v_mul_f32_e32 v3, v108, v61
	v_fmac_f32_e32 v2, v107, v58
	s_waitcnt vmcnt(13) lgkmcnt(12)
	v_mul_f32_e32 v4, v110, v63
	v_fmac_f32_e32 v3, v109, v60
	v_add_f32_e32 v2, 0, v2
	v_mul_f32_e32 v5, v112, v65
	v_fmac_f32_e32 v4, v111, v62
	v_add_f32_e32 v2, v2, v3
	s_waitcnt vmcnt(12) lgkmcnt(11)
	v_mul_f32_e32 v6, v114, v67
	v_fmac_f32_e32 v5, v113, v64
	v_add_f32_e32 v2, v2, v4
	v_mul_f32_e32 v7, v116, v69
	v_fmac_f32_e32 v6, v115, v66
	v_add_f32_e32 v2, v2, v5
	s_waitcnt vmcnt(11) lgkmcnt(10)
	v_mul_f32_e32 v8, v118, v71
	v_fmac_f32_e32 v7, v117, v68
	v_add_f32_e32 v2, v2, v6
	v_mul_f32_e32 v9, v120, v73
	v_fmac_f32_e32 v8, v119, v70
	v_add_f32_e32 v2, v2, v7
	s_waitcnt vmcnt(10) lgkmcnt(9)
	v_mul_f32_e32 v10, v122, v75
	v_fmac_f32_e32 v9, v121, v72
	v_add_f32_e32 v2, v2, v8
	v_mul_f32_e32 v11, v124, v77
	v_fmac_f32_e32 v10, v123, v74
	v_add_f32_e32 v2, v2, v9
	s_waitcnt vmcnt(9) lgkmcnt(8)
	v_mul_f32_e32 v12, v126, v79
	v_fmac_f32_e32 v11, v125, v76
	v_add_f32_e32 v2, v2, v10
	v_mul_f32_e32 v13, v128, v81
	v_fmac_f32_e32 v12, v127, v78
	v_add_f32_e32 v2, v2, v11
	s_waitcnt vmcnt(8) lgkmcnt(7)
	v_mul_f32_e32 v14, v130, v83
	v_fmac_f32_e32 v13, v129, v80
	v_add_f32_e32 v2, v2, v12
	v_mul_f32_e32 v15, v132, v85
	v_fmac_f32_e32 v14, v131, v82
	v_add_f32_e32 v2, v2, v13
	v_mul_f32_e32 v59, v107, v59
	s_waitcnt vmcnt(7) lgkmcnt(6)
	v_mul_f32_e32 v16, v134, v87
	v_fmac_f32_e32 v15, v133, v84
	v_add_f32_e32 v2, v2, v14
	v_fma_f32 v58, v106, v58, -v59
	v_mul_f32_e32 v59, v109, v61
	v_mul_f32_e32 v17, v136, v89
	v_fmac_f32_e32 v16, v135, v86
	v_add_f32_e32 v2, v2, v15
	v_add_f32_e32 v58, 0, v58
	v_fma_f32 v59, v108, v60, -v59
	s_waitcnt vmcnt(6) lgkmcnt(5)
	v_mul_f32_e32 v54, v138, v91
	v_fmac_f32_e32 v17, v137, v88
	v_add_f32_e32 v2, v2, v16
	v_add_f32_e32 v58, v58, v59
	v_mul_f32_e32 v59, v111, v63
	v_mul_f32_e32 v55, v140, v93
	v_fmac_f32_e32 v54, v139, v90
	v_add_f32_e32 v2, v2, v17
	v_fma_f32 v59, v110, v62, -v59
	s_waitcnt vmcnt(5) lgkmcnt(4)
	v_mul_f32_e32 v56, v142, v95
	v_fmac_f32_e32 v55, v141, v92
	v_add_f32_e32 v2, v2, v54
	v_add_f32_e32 v58, v58, v59
	v_mul_f32_e32 v59, v113, v65
	v_mul_f32_e32 v57, v144, v97
	v_fmac_f32_e32 v56, v143, v94
	;; [unrolled: 10-line block ×5, first 2 shown]
	v_add_f32_e32 v2, v2, v102
	v_fma_f32 v59, v118, v70, -v59
	v_add_f32_e32 v2, v2, v103
	v_fmac_f32_e32 v104, v33, v28
	s_waitcnt vmcnt(1) lgkmcnt(0)
	v_mul_f32_e32 v3, v42, v47
	v_add_f32_e32 v58, v58, v59
	v_mul_f32_e32 v59, v121, v73
	v_add_f32_e32 v2, v2, v104
	v_fmac_f32_e32 v3, v43, v46
	v_fma_f32 v59, v120, v72, -v59
	v_add_f32_e32 v2, v2, v3
	v_mul_f32_e32 v3, v44, v49
	v_add_f32_e32 v58, v58, v59
	v_mul_f32_e32 v59, v123, v75
	v_fmac_f32_e32 v3, v45, v48
	v_fma_f32 v59, v122, v74, -v59
	ds_read_b128 v[54:57], v98 offset:784
	v_add_f32_e32 v101, v2, v3
	scratch_load_dwordx4 v[14:17], off, off offset:368
	scratch_load_dwordx4 v[10:13], off, off offset:384
	;; [unrolled: 1-line block ×4, first 2 shown]
	v_add_f32_e32 v58, v58, v59
	v_mul_f32_e32 v59, v125, v77
	v_fma_f32 v59, v124, v76, -v59
	v_add_f32_e32 v58, v58, v59
	v_mul_f32_e32 v59, v127, v79
	v_fma_f32 v59, v126, v78, -v59
	;; [unrolled: 3-line block ×11, first 2 shown]
	scratch_load_dwordx2 v[58:59], off, off offset:120
	v_mul_f32_e32 v19, v39, v19
	v_add_f32_e32 v60, v60, v61
	v_fma_f32 v18, v38, v18, -v19
	v_mul_f32_e32 v19, v41, v21
	v_add_f32_e32 v18, v60, v18
	v_fma_f32 v19, v40, v20, -v19
	v_add_f32_e32 v18, v18, v19
	v_mul_f32_e32 v19, v35, v23
	v_fma_f32 v19, v34, v22, -v19
	v_add_f32_e32 v18, v18, v19
	v_mul_f32_e32 v19, v37, v25
	;; [unrolled: 3-line block ×6, first 2 shown]
	v_fma_f32 v19, v44, v48, -v19
	v_add_f32_e32 v100, v18, v19
	s_waitcnt vmcnt(5) lgkmcnt(0)
	v_mul_f32_e32 v18, v55, v51
	v_fma_f32 v102, v54, v50, -v18
	v_mul_f32_e32 v18, v57, v53
	v_fma_f32 v104, v56, v52, -v18
	ds_read_b128 v[18:21], v98 offset:800
	ds_read_b128 v[22:25], v98 offset:816
	;; [unrolled: 1-line block ×4, first 2 shown]
	v_mul_f32_e32 v103, v54, v51
	v_fmac_f32_e32 v103, v55, v50
	v_mul_f32_e32 v105, v56, v53
	v_fmac_f32_e32 v105, v57, v52
	v_pk_add_f32 v[34:35], v[100:101], v[102:103]
	s_waitcnt vmcnt(4) lgkmcnt(3)
	v_pk_mul_f32 v[36:37], v[18:19], v[14:15] op_sel:[1,1] op_sel_hi:[0,1]
	v_pk_fma_f32 v[38:39], v[18:19], v[14:15], v[36:37] neg_lo:[0,0,1] neg_hi:[0,0,1]
	v_pk_fma_f32 v[14:15], v[18:19], v[14:15], v[36:37] op_sel_hi:[1,0,1]
	v_mov_b32_e32 v18, v17
	v_pk_add_f32 v[34:35], v[34:35], v[104:105]
	v_mov_b32_e32 v39, v15
	v_pk_mul_f32 v[18:19], v[20:21], v[18:19] op_sel:[1,0] op_sel_hi:[0,0]
	v_pk_add_f32 v[14:15], v[34:35], v[38:39]
	v_pk_fma_f32 v[34:35], v[20:21], v[16:17], v[18:19] neg_lo:[0,0,1] neg_hi:[0,0,1]
	v_pk_fma_f32 v[16:17], v[20:21], v[16:17], v[18:19] op_sel_hi:[1,0,1]
	s_nop 0
	v_mov_b32_e32 v35, v17
	s_waitcnt vmcnt(3) lgkmcnt(2)
	v_pk_mul_f32 v[16:17], v[22:23], v[10:11] op_sel:[1,1] op_sel_hi:[0,1]
	v_pk_fma_f32 v[18:19], v[22:23], v[10:11], v[16:17] neg_lo:[0,0,1] neg_hi:[0,0,1]
	v_pk_fma_f32 v[10:11], v[22:23], v[10:11], v[16:17] op_sel_hi:[1,0,1]
	v_pk_add_f32 v[14:15], v[14:15], v[34:35]
	v_mov_b32_e32 v19, v11
	v_pk_add_f32 v[10:11], v[14:15], v[18:19]
	v_mov_b32_e32 v14, v13
	v_pk_mul_f32 v[14:15], v[24:25], v[14:15] op_sel:[1,0] op_sel_hi:[0,0]
	v_pk_fma_f32 v[16:17], v[24:25], v[12:13], v[14:15] neg_lo:[0,0,1] neg_hi:[0,0,1]
	v_pk_fma_f32 v[12:13], v[24:25], v[12:13], v[14:15] op_sel_hi:[1,0,1]
	s_nop 0
	v_mov_b32_e32 v17, v13
	s_waitcnt vmcnt(2) lgkmcnt(1)
	v_pk_mul_f32 v[12:13], v[26:27], v[6:7] op_sel:[1,1] op_sel_hi:[0,1]
	v_pk_fma_f32 v[14:15], v[26:27], v[6:7], v[12:13] neg_lo:[0,0,1] neg_hi:[0,0,1]
	v_pk_fma_f32 v[6:7], v[26:27], v[6:7], v[12:13] op_sel_hi:[1,0,1]
	v_pk_add_f32 v[10:11], v[10:11], v[16:17]
	v_mov_b32_e32 v15, v7
	v_pk_add_f32 v[6:7], v[10:11], v[14:15]
	v_mov_b32_e32 v10, v9
	v_pk_mul_f32 v[10:11], v[28:29], v[10:11] op_sel:[1,0] op_sel_hi:[0,0]
	;; [unrolled: 13-line block ×3, first 2 shown]
	v_pk_fma_f32 v[8:9], v[32:33], v[4:5], v[6:7] neg_lo:[0,0,1] neg_hi:[0,0,1]
	v_pk_fma_f32 v[4:5], v[32:33], v[4:5], v[6:7] op_sel_hi:[1,0,1]
	s_nop 0
	v_mov_b32_e32 v9, v5
	v_pk_add_f32 v[2:3], v[2:3], v[8:9]
	s_waitcnt vmcnt(0)
	v_pk_add_f32 v[2:3], v[58:59], v[2:3] neg_lo:[0,1] neg_hi:[0,1]
	scratch_store_dwordx2 off, v[2:3], off offset:120
	s_and_saveexec_b64 s[0:1], vcc
	s_cbranch_execz .LBB53_309
; %bb.308:
	scratch_load_dwordx2 v[2:3], off, off offset:112
	v_mov_b32_e32 v4, 0
	v_mov_b32_e32 v5, v4
	scratch_store_dwordx2 off, v[4:5], off offset:112
	s_waitcnt vmcnt(1)
	ds_write_b64 v1, v[2:3]
.LBB53_309:
	s_or_b64 exec, exec, s[0:1]
	s_waitcnt lgkmcnt(0)
	; wave barrier
	scratch_load_dwordx4 v[6:9], off, off offset:120
	scratch_load_dwordx4 v[14:17], off, off offset:136
	;; [unrolled: 1-line block ×10, first 2 shown]
	v_mov_b32_e32 v94, 0
	ds_read2_b64 v[2:5], v94 offset0:69 offset1:70
	scratch_load_dwordx4 v[86:89], off, off offset:280
	scratch_load_dwordx4 v[96:99], off, off offset:296
	;; [unrolled: 1-line block ×6, first 2 shown]
	v_cmp_lt_u32_e32 vcc, 13, v0
	s_waitcnt vmcnt(15) lgkmcnt(0)
	v_mul_f32_e32 v10, v2, v7
	v_fmac_f32_e32 v10, v3, v6
	v_mul_f32_e32 v11, v4, v9
	v_add_f32_e32 v10, 0, v10
	v_fmac_f32_e32 v11, v5, v8
	v_add_f32_e32 v18, v10, v11
	ds_read2_b64 v[10:13], v94 offset0:71 offset1:72
	v_mul_f32_e32 v3, v3, v7
	v_fma_f32 v2, v2, v6, -v3
	v_mul_f32_e32 v3, v5, v9
	v_add_f32_e32 v2, 0, v2
	s_waitcnt vmcnt(14) lgkmcnt(0)
	v_mul_f32_e32 v19, v10, v15
	v_fmac_f32_e32 v19, v11, v14
	v_add_f32_e32 v18, v18, v19
	v_mul_f32_e32 v19, v12, v17
	v_fmac_f32_e32 v19, v13, v16
	v_add_f32_e32 v26, v18, v19
	ds_read2_b64 v[18:21], v94 offset0:73 offset1:74
	v_fma_f32 v3, v4, v8, -v3
	v_add_f32_e32 v2, v2, v3
	v_mul_f32_e32 v3, v11, v15
	v_fma_f32 v3, v10, v14, -v3
	s_waitcnt vmcnt(13) lgkmcnt(0)
	v_mul_f32_e32 v27, v18, v23
	v_fmac_f32_e32 v27, v19, v22
	v_add_f32_e32 v26, v26, v27
	v_mul_f32_e32 v27, v20, v25
	v_fmac_f32_e32 v27, v21, v24
	v_add_f32_e32 v34, v26, v27
	ds_read2_b64 v[26:29], v94 offset0:75 offset1:76
	v_add_f32_e32 v2, v2, v3
	v_mul_f32_e32 v3, v13, v17
	v_fma_f32 v3, v12, v16, -v3
	v_add_f32_e32 v2, v2, v3
	s_waitcnt vmcnt(12) lgkmcnt(0)
	v_mul_f32_e32 v35, v26, v31
	v_fmac_f32_e32 v35, v27, v30
	v_add_f32_e32 v34, v34, v35
	v_mul_f32_e32 v35, v28, v33
	v_fmac_f32_e32 v35, v29, v32
	v_add_f32_e32 v42, v34, v35
	ds_read2_b64 v[34:37], v94 offset0:77 offset1:78
	v_mul_f32_e32 v3, v19, v23
	v_fma_f32 v3, v18, v22, -v3
	v_add_f32_e32 v2, v2, v3
	v_mul_f32_e32 v3, v21, v25
	s_waitcnt vmcnt(11) lgkmcnt(0)
	v_mul_f32_e32 v43, v34, v39
	v_fmac_f32_e32 v43, v35, v38
	v_add_f32_e32 v42, v42, v43
	v_mul_f32_e32 v43, v36, v41
	v_fmac_f32_e32 v43, v37, v40
	v_add_f32_e32 v50, v42, v43
	ds_read2_b64 v[42:45], v94 offset0:79 offset1:80
	v_fma_f32 v3, v20, v24, -v3
	v_add_f32_e32 v2, v2, v3
	v_mul_f32_e32 v3, v27, v31
	v_fma_f32 v3, v26, v30, -v3
	s_waitcnt vmcnt(10) lgkmcnt(0)
	v_mul_f32_e32 v51, v42, v47
	v_fmac_f32_e32 v51, v43, v46
	v_add_f32_e32 v50, v50, v51
	v_mul_f32_e32 v51, v44, v49
	v_fmac_f32_e32 v51, v45, v48
	v_add_f32_e32 v58, v50, v51
	ds_read2_b64 v[50:53], v94 offset0:81 offset1:82
	v_add_f32_e32 v2, v2, v3
	v_mul_f32_e32 v3, v29, v33
	v_fma_f32 v3, v28, v32, -v3
	v_add_f32_e32 v2, v2, v3
	s_waitcnt vmcnt(9) lgkmcnt(0)
	v_mul_f32_e32 v59, v50, v55
	v_fmac_f32_e32 v59, v51, v54
	v_add_f32_e32 v58, v58, v59
	v_mul_f32_e32 v59, v52, v57
	v_fmac_f32_e32 v59, v53, v56
	v_add_f32_e32 v66, v58, v59
	ds_read2_b64 v[58:61], v94 offset0:83 offset1:84
	v_mul_f32_e32 v3, v35, v39
	v_fma_f32 v3, v34, v38, -v3
	v_add_f32_e32 v2, v2, v3
	v_mul_f32_e32 v3, v37, v41
	;; [unrolled: 36-line block ×4, first 2 shown]
	s_waitcnt vmcnt(2) lgkmcnt(0)
	v_mul_f32_e32 v116, v108, v113
	v_fmac_f32_e32 v116, v109, v112
	v_add_f32_e32 v95, v95, v116
	v_mul_f32_e32 v116, v110, v115
	v_fmac_f32_e32 v116, v111, v114
	v_add_f32_e32 v95, v95, v116
	ds_read2_b64 v[116:119], v94 offset0:97 offset1:98
	v_fma_f32 v3, v68, v72, -v3
	v_add_f32_e32 v2, v2, v3
	v_mul_f32_e32 v3, v75, v79
	v_fma_f32 v3, v74, v78, -v3
	s_waitcnt vmcnt(1) lgkmcnt(0)
	v_mul_f32_e32 v124, v116, v121
	v_fmac_f32_e32 v124, v117, v120
	v_add_f32_e32 v145, v95, v124
	ds_read2_b64 v[124:127], v94 offset0:99 offset1:100
	scratch_load_dwordx4 v[132:135], off, off offset:376
	scratch_load_dwordx4 v[136:139], off, off offset:392
	;; [unrolled: 1-line block ×3, first 2 shown]
	scratch_load_dwordx2 v[150:151], off, off offset:424
	v_add_f32_e32 v2, v2, v3
	v_mul_f32_e32 v3, v77, v81
	v_fma_f32 v3, v76, v80, -v3
	v_add_f32_e32 v2, v2, v3
	v_mul_f32_e32 v3, v83, v87
	v_fma_f32 v3, v82, v86, -v3
	;; [unrolled: 3-line block ×10, first 2 shown]
	v_add_f32_e32 v144, v2, v3
	v_mul_f32_e32 v2, v119, v123
	v_mul_f32_e32 v147, v118, v123
	v_fma_f32 v146, v118, v122, -v2
	s_waitcnt vmcnt(4) lgkmcnt(0)
	v_mul_f32_e32 v2, v125, v129
	v_mov_b32_e32 v18, v131
	v_fmac_f32_e32 v147, v119, v122
	v_mul_f32_e32 v149, v124, v129
	v_fma_f32 v148, v124, v128, -v2
	ds_read2_b64 v[2:5], v94 offset0:101 offset1:102
	ds_read2_b64 v[6:9], v94 offset0:103 offset1:104
	;; [unrolled: 1-line block ×3, first 2 shown]
	ds_read_b64 v[14:15], v94 offset:856
	v_pk_mul_f32 v[18:19], v[126:127], v[18:19] op_sel:[1,0] op_sel_hi:[0,0]
	v_fmac_f32_e32 v149, v125, v128
	v_pk_add_f32 v[16:17], v[144:145], v[146:147]
	v_pk_fma_f32 v[20:21], v[126:127], v[130:131], v[18:19] neg_lo:[0,0,1] neg_hi:[0,0,1]
	v_pk_fma_f32 v[18:19], v[126:127], v[130:131], v[18:19] op_sel_hi:[1,0,1]
	v_pk_add_f32 v[16:17], v[16:17], v[148:149]
	v_mov_b32_e32 v21, v19
	v_pk_add_f32 v[16:17], v[16:17], v[20:21]
	s_waitcnt vmcnt(3) lgkmcnt(3)
	v_pk_mul_f32 v[18:19], v[2:3], v[132:133] op_sel:[1,1] op_sel_hi:[0,1]
	v_pk_fma_f32 v[20:21], v[2:3], v[132:133], v[18:19] neg_lo:[0,0,1] neg_hi:[0,0,1]
	v_pk_fma_f32 v[2:3], v[2:3], v[132:133], v[18:19] op_sel_hi:[1,0,1]
	s_nop 0
	v_mov_b32_e32 v21, v3
	v_pk_add_f32 v[2:3], v[16:17], v[20:21]
	v_mov_b32_e32 v16, v135
	v_pk_mul_f32 v[16:17], v[4:5], v[16:17] op_sel:[1,0] op_sel_hi:[0,0]
	v_pk_fma_f32 v[18:19], v[4:5], v[134:135], v[16:17] neg_lo:[0,0,1] neg_hi:[0,0,1]
	v_pk_fma_f32 v[4:5], v[4:5], v[134:135], v[16:17] op_sel_hi:[1,0,1]
	s_nop 0
	v_mov_b32_e32 v19, v5
	s_waitcnt vmcnt(2) lgkmcnt(2)
	v_pk_mul_f32 v[4:5], v[6:7], v[136:137] op_sel:[1,1] op_sel_hi:[0,1]
	v_pk_fma_f32 v[16:17], v[6:7], v[136:137], v[4:5] neg_lo:[0,0,1] neg_hi:[0,0,1]
	v_pk_fma_f32 v[4:5], v[6:7], v[136:137], v[4:5] op_sel_hi:[1,0,1]
	v_pk_add_f32 v[2:3], v[2:3], v[18:19]
	v_mov_b32_e32 v4, v139
	v_mov_b32_e32 v17, v5
	v_pk_mul_f32 v[4:5], v[8:9], v[4:5] op_sel:[1,0] op_sel_hi:[0,0]
	v_pk_fma_f32 v[6:7], v[8:9], v[138:139], v[4:5] neg_lo:[0,0,1] neg_hi:[0,0,1]
	v_pk_fma_f32 v[4:5], v[8:9], v[138:139], v[4:5] op_sel_hi:[1,0,1]
	v_pk_add_f32 v[2:3], v[2:3], v[16:17]
	v_mov_b32_e32 v7, v5
	s_waitcnt vmcnt(1) lgkmcnt(1)
	v_pk_mul_f32 v[4:5], v[10:11], v[140:141] op_sel:[1,1] op_sel_hi:[0,1]
	v_pk_add_f32 v[2:3], v[2:3], v[6:7]
	v_pk_fma_f32 v[6:7], v[10:11], v[140:141], v[4:5] neg_lo:[0,0,1] neg_hi:[0,0,1]
	v_pk_fma_f32 v[4:5], v[10:11], v[140:141], v[4:5] op_sel_hi:[1,0,1]
	s_nop 0
	v_mov_b32_e32 v4, v143
	v_mov_b32_e32 v7, v5
	v_pk_mul_f32 v[4:5], v[12:13], v[4:5] op_sel:[1,0] op_sel_hi:[0,0]
	v_pk_add_f32 v[2:3], v[2:3], v[6:7]
	v_pk_fma_f32 v[6:7], v[12:13], v[142:143], v[4:5] neg_lo:[0,0,1] neg_hi:[0,0,1]
	v_pk_fma_f32 v[4:5], v[12:13], v[142:143], v[4:5] op_sel_hi:[1,0,1]
	s_nop 0
	v_mov_b32_e32 v7, v5
	s_waitcnt vmcnt(0) lgkmcnt(0)
	v_pk_mul_f32 v[4:5], v[14:15], v[150:151] op_sel:[1,1] op_sel_hi:[0,1]
	v_pk_add_f32 v[2:3], v[2:3], v[6:7]
	v_pk_fma_f32 v[6:7], v[14:15], v[150:151], v[4:5] neg_lo:[0,0,1] neg_hi:[0,0,1]
	v_pk_fma_f32 v[4:5], v[14:15], v[150:151], v[4:5] op_sel_hi:[1,0,1]
	s_nop 0
	v_mov_b32_e32 v7, v5
	scratch_load_dwordx2 v[4:5], off, off offset:112
	v_pk_add_f32 v[2:3], v[2:3], v[6:7]
	s_waitcnt vmcnt(0)
	v_pk_add_f32 v[2:3], v[4:5], v[2:3] neg_lo:[0,1] neg_hi:[0,1]
	scratch_store_dwordx2 off, v[2:3], off offset:112
	s_and_saveexec_b64 s[0:1], vcc
	s_cbranch_execz .LBB53_311
; %bb.310:
	scratch_load_dwordx2 v[2:3], off, off offset:104
	v_mov_b32_e32 v95, v94
	scratch_store_dwordx2 off, v[94:95], off offset:104
	s_waitcnt vmcnt(1)
	ds_write_b64 v1, v[2:3]
.LBB53_311:
	s_or_b64 exec, exec, s[0:1]
	s_waitcnt lgkmcnt(0)
	; wave barrier
	ds_read_b128 v[14:17], v94 offset:544
	ds_read_b128 v[10:13], v94 offset:560
	;; [unrolled: 1-line block ×4, first 2 shown]
	scratch_load_dwordx4 v[18:21], off, off offset:112
	scratch_load_dwordx4 v[38:41], off, off offset:176
	;; [unrolled: 1-line block ×10, first 2 shown]
	v_cmp_lt_u32_e32 vcc, 12, v0
	scratch_load_dwordx4 v[46:49], off, off offset:192
	scratch_load_dwordx4 v[54:57], off, off offset:208
	;; [unrolled: 1-line block ×3, first 2 shown]
	s_waitcnt vmcnt(12) lgkmcnt(3)
	v_mul_f32_e32 v22, v14, v19
	v_fmac_f32_e32 v22, v15, v18
	v_mul_f32_e32 v23, v16, v21
	v_add_f32_e32 v22, 0, v22
	v_fmac_f32_e32 v23, v17, v20
	v_add_f32_e32 v26, v22, v23
	scratch_load_dwordx4 v[22:25], off, off offset:128
	v_mul_f32_e32 v15, v15, v19
	v_fma_f32 v14, v14, v18, -v15
	v_mul_f32_e32 v15, v17, v21
	v_add_f32_e32 v14, 0, v14
	v_fma_f32 v15, v16, v20, -v15
	v_add_f32_e32 v14, v14, v15
	s_waitcnt vmcnt(0) lgkmcnt(2)
	v_mul_f32_e32 v27, v10, v23
	v_fmac_f32_e32 v27, v11, v22
	v_add_f32_e32 v26, v26, v27
	v_mul_f32_e32 v27, v12, v25
	v_fmac_f32_e32 v27, v13, v24
	v_add_f32_e32 v30, v26, v27
	scratch_load_dwordx4 v[26:29], off, off offset:144
	v_mul_f32_e32 v11, v11, v23
	v_fma_f32 v10, v10, v22, -v11
	v_mul_f32_e32 v11, v13, v25
	v_add_f32_e32 v10, v14, v10
	v_fma_f32 v11, v12, v24, -v11
	v_add_f32_e32 v10, v10, v11
	s_waitcnt vmcnt(0) lgkmcnt(1)
	v_mul_f32_e32 v31, v6, v27
	v_fmac_f32_e32 v31, v7, v26
	v_add_f32_e32 v30, v30, v31
	v_mul_f32_e32 v31, v8, v29
	;; [unrolled: 14-line block ×3, first 2 shown]
	v_fmac_f32_e32 v35, v5, v32
	v_add_f32_e32 v42, v34, v35
	ds_read_b128 v[34:37], v94 offset:608
	v_mul_f32_e32 v3, v3, v31
	v_fma_f32 v2, v2, v30, -v3
	v_mul_f32_e32 v3, v5, v33
	v_add_f32_e32 v2, v6, v2
	s_waitcnt lgkmcnt(0)
	v_mul_f32_e32 v43, v34, v39
	v_fmac_f32_e32 v43, v35, v38
	v_add_f32_e32 v42, v42, v43
	v_mul_f32_e32 v43, v36, v41
	v_fmac_f32_e32 v43, v37, v40
	v_add_f32_e32 v50, v42, v43
	ds_read_b128 v[42:45], v94 offset:624
	v_fma_f32 v3, v4, v32, -v3
	v_add_f32_e32 v2, v2, v3
	v_mul_f32_e32 v3, v35, v39
	v_fma_f32 v3, v34, v38, -v3
	s_waitcnt lgkmcnt(0)
	v_mul_f32_e32 v51, v42, v47
	v_fmac_f32_e32 v51, v43, v46
	v_add_f32_e32 v50, v50, v51
	v_mul_f32_e32 v51, v44, v49
	v_fmac_f32_e32 v51, v45, v48
	v_add_f32_e32 v58, v50, v51
	ds_read_b128 v[50:53], v94 offset:640
	v_add_f32_e32 v2, v2, v3
	v_mul_f32_e32 v3, v37, v41
	v_fma_f32 v3, v36, v40, -v3
	v_add_f32_e32 v2, v2, v3
	s_waitcnt lgkmcnt(0)
	v_mul_f32_e32 v59, v50, v55
	v_fmac_f32_e32 v59, v51, v54
	v_add_f32_e32 v58, v58, v59
	v_mul_f32_e32 v59, v52, v57
	v_fmac_f32_e32 v59, v53, v56
	v_add_f32_e32 v66, v58, v59
	ds_read_b128 v[58:61], v94 offset:656
	v_mul_f32_e32 v3, v43, v47
	v_fma_f32 v3, v42, v46, -v3
	v_add_f32_e32 v2, v2, v3
	v_mul_f32_e32 v3, v45, v49
	s_waitcnt lgkmcnt(0)
	v_mul_f32_e32 v67, v58, v63
	v_fmac_f32_e32 v67, v59, v62
	v_add_f32_e32 v66, v66, v67
	v_mul_f32_e32 v67, v60, v65
	v_fmac_f32_e32 v67, v61, v64
	v_add_f32_e32 v74, v66, v67
	ds_read_b128 v[66:69], v94 offset:672
	v_fma_f32 v3, v44, v48, -v3
	v_add_f32_e32 v2, v2, v3
	v_mul_f32_e32 v3, v51, v55
	v_fma_f32 v3, v50, v54, -v3
	s_waitcnt lgkmcnt(0)
	v_mul_f32_e32 v75, v66, v71
	v_fmac_f32_e32 v75, v67, v70
	v_add_f32_e32 v74, v74, v75
	v_mul_f32_e32 v75, v68, v73
	v_fmac_f32_e32 v75, v69, v72
	v_add_f32_e32 v82, v74, v75
	ds_read_b128 v[74:77], v94 offset:688
	v_add_f32_e32 v2, v2, v3
	v_mul_f32_e32 v3, v53, v57
	v_fma_f32 v3, v52, v56, -v3
	v_add_f32_e32 v2, v2, v3
	s_waitcnt lgkmcnt(0)
	v_mul_f32_e32 v83, v74, v79
	v_fmac_f32_e32 v83, v75, v78
	v_add_f32_e32 v82, v82, v83
	v_mul_f32_e32 v83, v76, v81
	v_fmac_f32_e32 v83, v77, v80
	v_add_f32_e32 v90, v82, v83
	ds_read_b128 v[82:85], v94 offset:704
	v_mul_f32_e32 v3, v59, v63
	v_fma_f32 v3, v58, v62, -v3
	v_add_f32_e32 v2, v2, v3
	v_mul_f32_e32 v3, v61, v65
	;; [unrolled: 36-line block ×3, first 2 shown]
	s_waitcnt lgkmcnt(0)
	v_mul_f32_e32 v116, v108, v113
	v_fmac_f32_e32 v116, v109, v112
	v_add_f32_e32 v95, v95, v116
	v_mul_f32_e32 v116, v110, v115
	v_fmac_f32_e32 v116, v111, v114
	v_add_f32_e32 v95, v95, v116
	ds_read_b128 v[116:119], v94 offset:768
	v_fma_f32 v3, v76, v80, -v3
	v_add_f32_e32 v2, v2, v3
	v_mul_f32_e32 v3, v83, v87
	v_fma_f32 v3, v82, v86, -v3
	s_waitcnt lgkmcnt(0)
	v_mul_f32_e32 v124, v116, v121
	v_fmac_f32_e32 v124, v117, v120
	v_add_f32_e32 v95, v95, v124
	v_mul_f32_e32 v124, v118, v123
	v_fmac_f32_e32 v124, v119, v122
	v_add_f32_e32 v149, v95, v124
	ds_read_b128 v[124:127], v94 offset:784
	scratch_load_dwordx4 v[132:135], off, off offset:368
	scratch_load_dwordx4 v[136:139], off, off offset:384
	scratch_load_dwordx4 v[140:143], off, off offset:400
	scratch_load_dwordx4 v[144:147], off, off offset:416
	v_add_f32_e32 v2, v2, v3
	v_mul_f32_e32 v3, v85, v89
	v_fma_f32 v3, v84, v88, -v3
	v_add_f32_e32 v2, v2, v3
	v_mul_f32_e32 v3, v91, v97
	v_fma_f32 v3, v90, v96, -v3
	;; [unrolled: 3-line block ×9, first 2 shown]
	v_add_f32_e32 v148, v2, v3
	s_waitcnt lgkmcnt(0)
	v_mul_f32_e32 v2, v125, v129
	v_fma_f32 v150, v124, v128, -v2
	v_mul_f32_e32 v2, v127, v131
	v_fma_f32 v152, v126, v130, -v2
	ds_read_b128 v[2:5], v94 offset:800
	ds_read_b128 v[6:9], v94 offset:816
	;; [unrolled: 1-line block ×4, first 2 shown]
	v_mul_f32_e32 v151, v124, v129
	v_fmac_f32_e32 v151, v125, v128
	v_mul_f32_e32 v153, v126, v131
	v_fmac_f32_e32 v153, v127, v130
	v_pk_add_f32 v[18:19], v[148:149], v[150:151]
	s_waitcnt vmcnt(3) lgkmcnt(3)
	v_pk_mul_f32 v[20:21], v[2:3], v[132:133] op_sel:[1,1] op_sel_hi:[0,1]
	v_pk_fma_f32 v[22:23], v[2:3], v[132:133], v[20:21] neg_lo:[0,0,1] neg_hi:[0,0,1]
	v_pk_fma_f32 v[2:3], v[2:3], v[132:133], v[20:21] op_sel_hi:[1,0,1]
	v_pk_add_f32 v[18:19], v[18:19], v[152:153]
	v_mov_b32_e32 v23, v3
	v_pk_add_f32 v[2:3], v[18:19], v[22:23]
	v_mov_b32_e32 v18, v135
	v_pk_mul_f32 v[18:19], v[4:5], v[18:19] op_sel:[1,0] op_sel_hi:[0,0]
	v_pk_fma_f32 v[20:21], v[4:5], v[134:135], v[18:19] neg_lo:[0,0,1] neg_hi:[0,0,1]
	v_pk_fma_f32 v[4:5], v[4:5], v[134:135], v[18:19] op_sel_hi:[1,0,1]
	s_nop 0
	v_mov_b32_e32 v21, v5
	s_waitcnt vmcnt(2) lgkmcnt(2)
	v_pk_mul_f32 v[4:5], v[6:7], v[136:137] op_sel:[1,1] op_sel_hi:[0,1]
	v_pk_fma_f32 v[18:19], v[6:7], v[136:137], v[4:5] neg_lo:[0,0,1] neg_hi:[0,0,1]
	v_pk_fma_f32 v[4:5], v[6:7], v[136:137], v[4:5] op_sel_hi:[1,0,1]
	v_pk_add_f32 v[2:3], v[2:3], v[20:21]
	v_mov_b32_e32 v4, v139
	v_mov_b32_e32 v19, v5
	v_pk_mul_f32 v[4:5], v[8:9], v[4:5] op_sel:[1,0] op_sel_hi:[0,0]
	v_pk_fma_f32 v[6:7], v[8:9], v[138:139], v[4:5] neg_lo:[0,0,1] neg_hi:[0,0,1]
	v_pk_fma_f32 v[4:5], v[8:9], v[138:139], v[4:5] op_sel_hi:[1,0,1]
	v_pk_add_f32 v[2:3], v[2:3], v[18:19]
	v_mov_b32_e32 v7, v5
	s_waitcnt vmcnt(1) lgkmcnt(1)
	v_pk_mul_f32 v[4:5], v[10:11], v[140:141] op_sel:[1,1] op_sel_hi:[0,1]
	v_pk_add_f32 v[2:3], v[2:3], v[6:7]
	v_pk_fma_f32 v[6:7], v[10:11], v[140:141], v[4:5] neg_lo:[0,0,1] neg_hi:[0,0,1]
	v_pk_fma_f32 v[4:5], v[10:11], v[140:141], v[4:5] op_sel_hi:[1,0,1]
	s_nop 0
	v_mov_b32_e32 v4, v143
	v_mov_b32_e32 v7, v5
	v_pk_mul_f32 v[4:5], v[12:13], v[4:5] op_sel:[1,0] op_sel_hi:[0,0]
	v_pk_add_f32 v[2:3], v[2:3], v[6:7]
	v_pk_fma_f32 v[6:7], v[12:13], v[142:143], v[4:5] neg_lo:[0,0,1] neg_hi:[0,0,1]
	v_pk_fma_f32 v[4:5], v[12:13], v[142:143], v[4:5] op_sel_hi:[1,0,1]
	s_nop 0
	v_mov_b32_e32 v7, v5
	s_waitcnt vmcnt(0) lgkmcnt(0)
	v_pk_mul_f32 v[4:5], v[14:15], v[144:145] op_sel:[1,1] op_sel_hi:[0,1]
	v_pk_add_f32 v[2:3], v[2:3], v[6:7]
	v_pk_fma_f32 v[6:7], v[14:15], v[144:145], v[4:5] neg_lo:[0,0,1] neg_hi:[0,0,1]
	v_pk_fma_f32 v[4:5], v[14:15], v[144:145], v[4:5] op_sel_hi:[1,0,1]
	s_nop 0
	v_mov_b32_e32 v4, v147
	v_mov_b32_e32 v7, v5
	v_pk_mul_f32 v[4:5], v[16:17], v[4:5] op_sel:[1,0] op_sel_hi:[0,0]
	v_pk_add_f32 v[2:3], v[2:3], v[6:7]
	v_pk_fma_f32 v[6:7], v[16:17], v[146:147], v[4:5] neg_lo:[0,0,1] neg_hi:[0,0,1]
	v_pk_fma_f32 v[4:5], v[16:17], v[146:147], v[4:5] op_sel_hi:[1,0,1]
	s_nop 0
	v_mov_b32_e32 v7, v5
	scratch_load_dwordx2 v[4:5], off, off offset:104
	v_pk_add_f32 v[2:3], v[2:3], v[6:7]
	s_waitcnt vmcnt(0)
	v_pk_add_f32 v[2:3], v[4:5], v[2:3] neg_lo:[0,1] neg_hi:[0,1]
	scratch_store_dwordx2 off, v[2:3], off offset:104
	s_and_saveexec_b64 s[0:1], vcc
	s_cbranch_execz .LBB53_313
; %bb.312:
	scratch_load_dwordx2 v[2:3], off, off offset:96
	v_mov_b32_e32 v4, 0
	v_mov_b32_e32 v5, v4
	scratch_store_dwordx2 off, v[4:5], off offset:96
	s_waitcnt vmcnt(1)
	ds_write_b64 v1, v[2:3]
.LBB53_313:
	s_or_b64 exec, exec, s[0:1]
	s_waitcnt lgkmcnt(0)
	; wave barrier
	scratch_load_dwordx4 v[6:9], off, off offset:104
	scratch_load_dwordx4 v[14:17], off, off offset:120
	;; [unrolled: 1-line block ×10, first 2 shown]
	v_mov_b32_e32 v102, 0
	ds_read2_b64 v[2:5], v102 offset0:67 offset1:68
	scratch_load_dwordx4 v[86:89], off, off offset:264
	scratch_load_dwordx4 v[94:97], off, off offset:280
	;; [unrolled: 1-line block ×7, first 2 shown]
	v_cmp_lt_u32_e32 vcc, 11, v0
	s_waitcnt vmcnt(16) lgkmcnt(0)
	v_mul_f32_e32 v10, v2, v7
	v_fmac_f32_e32 v10, v3, v6
	v_mul_f32_e32 v11, v4, v9
	v_add_f32_e32 v10, 0, v10
	v_fmac_f32_e32 v11, v5, v8
	v_add_f32_e32 v18, v10, v11
	ds_read2_b64 v[10:13], v102 offset0:69 offset1:70
	v_mul_f32_e32 v3, v3, v7
	v_fma_f32 v2, v2, v6, -v3
	v_mul_f32_e32 v3, v5, v9
	v_add_f32_e32 v2, 0, v2
	s_waitcnt vmcnt(15) lgkmcnt(0)
	v_mul_f32_e32 v19, v10, v15
	v_fmac_f32_e32 v19, v11, v14
	v_add_f32_e32 v18, v18, v19
	v_mul_f32_e32 v19, v12, v17
	v_fmac_f32_e32 v19, v13, v16
	v_add_f32_e32 v26, v18, v19
	ds_read2_b64 v[18:21], v102 offset0:71 offset1:72
	v_fma_f32 v3, v4, v8, -v3
	v_add_f32_e32 v2, v2, v3
	v_mul_f32_e32 v3, v11, v15
	v_fma_f32 v3, v10, v14, -v3
	s_waitcnt vmcnt(14) lgkmcnt(0)
	v_mul_f32_e32 v27, v18, v23
	v_fmac_f32_e32 v27, v19, v22
	v_add_f32_e32 v26, v26, v27
	v_mul_f32_e32 v27, v20, v25
	v_fmac_f32_e32 v27, v21, v24
	v_add_f32_e32 v34, v26, v27
	ds_read2_b64 v[26:29], v102 offset0:73 offset1:74
	v_add_f32_e32 v2, v2, v3
	v_mul_f32_e32 v3, v13, v17
	v_fma_f32 v3, v12, v16, -v3
	v_add_f32_e32 v2, v2, v3
	s_waitcnt vmcnt(13) lgkmcnt(0)
	v_mul_f32_e32 v35, v26, v31
	v_fmac_f32_e32 v35, v27, v30
	v_add_f32_e32 v34, v34, v35
	v_mul_f32_e32 v35, v28, v33
	v_fmac_f32_e32 v35, v29, v32
	v_add_f32_e32 v42, v34, v35
	ds_read2_b64 v[34:37], v102 offset0:75 offset1:76
	v_mul_f32_e32 v3, v19, v23
	v_fma_f32 v3, v18, v22, -v3
	v_add_f32_e32 v2, v2, v3
	v_mul_f32_e32 v3, v21, v25
	s_waitcnt vmcnt(12) lgkmcnt(0)
	v_mul_f32_e32 v43, v34, v39
	v_fmac_f32_e32 v43, v35, v38
	v_add_f32_e32 v42, v42, v43
	v_mul_f32_e32 v43, v36, v41
	v_fmac_f32_e32 v43, v37, v40
	v_add_f32_e32 v50, v42, v43
	ds_read2_b64 v[42:45], v102 offset0:77 offset1:78
	v_fma_f32 v3, v20, v24, -v3
	v_add_f32_e32 v2, v2, v3
	v_mul_f32_e32 v3, v27, v31
	v_fma_f32 v3, v26, v30, -v3
	s_waitcnt vmcnt(11) lgkmcnt(0)
	v_mul_f32_e32 v51, v42, v47
	v_fmac_f32_e32 v51, v43, v46
	v_add_f32_e32 v50, v50, v51
	v_mul_f32_e32 v51, v44, v49
	v_fmac_f32_e32 v51, v45, v48
	v_add_f32_e32 v58, v50, v51
	ds_read2_b64 v[50:53], v102 offset0:79 offset1:80
	v_add_f32_e32 v2, v2, v3
	v_mul_f32_e32 v3, v29, v33
	v_fma_f32 v3, v28, v32, -v3
	v_add_f32_e32 v2, v2, v3
	s_waitcnt vmcnt(10) lgkmcnt(0)
	v_mul_f32_e32 v59, v50, v55
	v_fmac_f32_e32 v59, v51, v54
	v_add_f32_e32 v58, v58, v59
	v_mul_f32_e32 v59, v52, v57
	v_fmac_f32_e32 v59, v53, v56
	v_add_f32_e32 v66, v58, v59
	ds_read2_b64 v[58:61], v102 offset0:81 offset1:82
	v_mul_f32_e32 v3, v35, v39
	v_fma_f32 v3, v34, v38, -v3
	v_add_f32_e32 v2, v2, v3
	v_mul_f32_e32 v3, v37, v41
	;; [unrolled: 36-line block ×4, first 2 shown]
	s_waitcnt vmcnt(3) lgkmcnt(0)
	v_mul_f32_e32 v116, v108, v113
	v_fmac_f32_e32 v116, v109, v112
	v_add_f32_e32 v103, v103, v116
	v_mul_f32_e32 v116, v110, v115
	v_fmac_f32_e32 v116, v111, v114
	v_add_f32_e32 v103, v103, v116
	ds_read2_b64 v[116:119], v102 offset0:95 offset1:96
	v_fma_f32 v3, v68, v72, -v3
	v_add_f32_e32 v2, v2, v3
	v_mul_f32_e32 v3, v75, v79
	v_fma_f32 v3, v74, v78, -v3
	s_waitcnt vmcnt(2) lgkmcnt(0)
	v_mul_f32_e32 v124, v116, v121
	v_fmac_f32_e32 v124, v117, v120
	v_add_f32_e32 v103, v103, v124
	v_mul_f32_e32 v124, v118, v123
	v_fmac_f32_e32 v124, v119, v122
	v_add_f32_e32 v103, v103, v124
	ds_read2_b64 v[124:127], v102 offset0:97 offset1:98
	v_add_f32_e32 v2, v2, v3
	v_mul_f32_e32 v3, v77, v81
	v_fma_f32 v3, v76, v80, -v3
	v_add_f32_e32 v2, v2, v3
	s_waitcnt vmcnt(1) lgkmcnt(0)
	v_mul_f32_e32 v132, v124, v129
	v_fmac_f32_e32 v132, v125, v128
	v_add_f32_e32 v153, v103, v132
	ds_read2_b64 v[132:135], v102 offset0:99 offset1:100
	scratch_load_dwordx4 v[140:143], off, off offset:376
	scratch_load_dwordx4 v[144:147], off, off offset:392
	;; [unrolled: 1-line block ×3, first 2 shown]
	scratch_load_dwordx2 v[158:159], off, off offset:424
	v_mul_f32_e32 v3, v83, v87
	v_fma_f32 v3, v82, v86, -v3
	v_add_f32_e32 v2, v2, v3
	v_mul_f32_e32 v3, v85, v89
	v_fma_f32 v3, v84, v88, -v3
	v_add_f32_e32 v2, v2, v3
	;; [unrolled: 3-line block ×11, first 2 shown]
	v_mul_f32_e32 v2, v127, v131
	v_mul_f32_e32 v155, v126, v131
	v_fma_f32 v154, v126, v130, -v2
	s_waitcnt vmcnt(4) lgkmcnt(0)
	v_mul_f32_e32 v2, v133, v137
	v_mov_b32_e32 v18, v139
	v_fmac_f32_e32 v155, v127, v130
	v_mul_f32_e32 v157, v132, v137
	v_fma_f32 v156, v132, v136, -v2
	ds_read2_b64 v[2:5], v102 offset0:101 offset1:102
	ds_read2_b64 v[6:9], v102 offset0:103 offset1:104
	;; [unrolled: 1-line block ×3, first 2 shown]
	ds_read_b64 v[14:15], v102 offset:856
	v_pk_mul_f32 v[18:19], v[134:135], v[18:19] op_sel:[1,0] op_sel_hi:[0,0]
	v_fmac_f32_e32 v157, v133, v136
	v_pk_add_f32 v[16:17], v[152:153], v[154:155]
	v_pk_fma_f32 v[20:21], v[134:135], v[138:139], v[18:19] neg_lo:[0,0,1] neg_hi:[0,0,1]
	v_pk_fma_f32 v[18:19], v[134:135], v[138:139], v[18:19] op_sel_hi:[1,0,1]
	v_pk_add_f32 v[16:17], v[16:17], v[156:157]
	v_mov_b32_e32 v21, v19
	v_pk_add_f32 v[16:17], v[16:17], v[20:21]
	s_waitcnt vmcnt(3) lgkmcnt(3)
	v_pk_mul_f32 v[18:19], v[2:3], v[140:141] op_sel:[1,1] op_sel_hi:[0,1]
	v_pk_fma_f32 v[20:21], v[2:3], v[140:141], v[18:19] neg_lo:[0,0,1] neg_hi:[0,0,1]
	v_pk_fma_f32 v[2:3], v[2:3], v[140:141], v[18:19] op_sel_hi:[1,0,1]
	s_nop 0
	v_mov_b32_e32 v21, v3
	v_pk_add_f32 v[2:3], v[16:17], v[20:21]
	v_mov_b32_e32 v16, v143
	v_pk_mul_f32 v[16:17], v[4:5], v[16:17] op_sel:[1,0] op_sel_hi:[0,0]
	v_pk_fma_f32 v[18:19], v[4:5], v[142:143], v[16:17] neg_lo:[0,0,1] neg_hi:[0,0,1]
	v_pk_fma_f32 v[4:5], v[4:5], v[142:143], v[16:17] op_sel_hi:[1,0,1]
	s_nop 0
	v_mov_b32_e32 v19, v5
	s_waitcnt vmcnt(2) lgkmcnt(2)
	v_pk_mul_f32 v[4:5], v[6:7], v[144:145] op_sel:[1,1] op_sel_hi:[0,1]
	v_pk_fma_f32 v[16:17], v[6:7], v[144:145], v[4:5] neg_lo:[0,0,1] neg_hi:[0,0,1]
	v_pk_fma_f32 v[4:5], v[6:7], v[144:145], v[4:5] op_sel_hi:[1,0,1]
	v_pk_add_f32 v[2:3], v[2:3], v[18:19]
	v_mov_b32_e32 v4, v147
	v_mov_b32_e32 v17, v5
	v_pk_mul_f32 v[4:5], v[8:9], v[4:5] op_sel:[1,0] op_sel_hi:[0,0]
	v_pk_fma_f32 v[6:7], v[8:9], v[146:147], v[4:5] neg_lo:[0,0,1] neg_hi:[0,0,1]
	v_pk_fma_f32 v[4:5], v[8:9], v[146:147], v[4:5] op_sel_hi:[1,0,1]
	v_pk_add_f32 v[2:3], v[2:3], v[16:17]
	v_mov_b32_e32 v7, v5
	s_waitcnt vmcnt(1) lgkmcnt(1)
	v_pk_mul_f32 v[4:5], v[10:11], v[148:149] op_sel:[1,1] op_sel_hi:[0,1]
	v_pk_add_f32 v[2:3], v[2:3], v[6:7]
	v_pk_fma_f32 v[6:7], v[10:11], v[148:149], v[4:5] neg_lo:[0,0,1] neg_hi:[0,0,1]
	v_pk_fma_f32 v[4:5], v[10:11], v[148:149], v[4:5] op_sel_hi:[1,0,1]
	s_nop 0
	v_mov_b32_e32 v4, v151
	v_mov_b32_e32 v7, v5
	v_pk_mul_f32 v[4:5], v[12:13], v[4:5] op_sel:[1,0] op_sel_hi:[0,0]
	v_pk_add_f32 v[2:3], v[2:3], v[6:7]
	v_pk_fma_f32 v[6:7], v[12:13], v[150:151], v[4:5] neg_lo:[0,0,1] neg_hi:[0,0,1]
	v_pk_fma_f32 v[4:5], v[12:13], v[150:151], v[4:5] op_sel_hi:[1,0,1]
	s_nop 0
	v_mov_b32_e32 v7, v5
	s_waitcnt vmcnt(0) lgkmcnt(0)
	v_pk_mul_f32 v[4:5], v[14:15], v[158:159] op_sel:[1,1] op_sel_hi:[0,1]
	v_pk_add_f32 v[2:3], v[2:3], v[6:7]
	v_pk_fma_f32 v[6:7], v[14:15], v[158:159], v[4:5] neg_lo:[0,0,1] neg_hi:[0,0,1]
	v_pk_fma_f32 v[4:5], v[14:15], v[158:159], v[4:5] op_sel_hi:[1,0,1]
	s_nop 0
	v_mov_b32_e32 v7, v5
	scratch_load_dwordx2 v[4:5], off, off offset:96
	v_pk_add_f32 v[2:3], v[2:3], v[6:7]
	s_waitcnt vmcnt(0)
	v_pk_add_f32 v[2:3], v[4:5], v[2:3] neg_lo:[0,1] neg_hi:[0,1]
	scratch_store_dwordx2 off, v[2:3], off offset:96
	s_and_saveexec_b64 s[0:1], vcc
	s_cbranch_execz .LBB53_315
; %bb.314:
	scratch_load_dwordx2 v[2:3], off, off offset:88
	v_mov_b32_e32 v103, v102
	scratch_store_dwordx2 off, v[102:103], off offset:88
	s_waitcnt vmcnt(1)
	ds_write_b64 v1, v[2:3]
.LBB53_315:
	s_or_b64 exec, exec, s[0:1]
	s_waitcnt lgkmcnt(0)
	; wave barrier
	ds_read_b128 v[14:17], v102 offset:528
	ds_read_b128 v[10:13], v102 offset:544
	;; [unrolled: 1-line block ×4, first 2 shown]
	scratch_load_dwordx4 v[18:21], off, off offset:96
	scratch_load_dwordx4 v[38:41], off, off offset:160
	;; [unrolled: 1-line block ×11, first 2 shown]
	v_cmp_lt_u32_e32 vcc, 10, v0
	scratch_load_dwordx4 v[46:49], off, off offset:176
	scratch_load_dwordx4 v[54:57], off, off offset:192
	;; [unrolled: 1-line block ×3, first 2 shown]
	s_waitcnt vmcnt(13) lgkmcnt(3)
	v_mul_f32_e32 v22, v14, v19
	v_fmac_f32_e32 v22, v15, v18
	v_mul_f32_e32 v23, v16, v21
	v_add_f32_e32 v22, 0, v22
	v_fmac_f32_e32 v23, v17, v20
	v_add_f32_e32 v26, v22, v23
	scratch_load_dwordx4 v[22:25], off, off offset:112
	v_mul_f32_e32 v15, v15, v19
	v_fma_f32 v14, v14, v18, -v15
	v_mul_f32_e32 v15, v17, v21
	v_add_f32_e32 v14, 0, v14
	v_fma_f32 v15, v16, v20, -v15
	v_add_f32_e32 v14, v14, v15
	s_waitcnt vmcnt(0) lgkmcnt(2)
	v_mul_f32_e32 v27, v10, v23
	v_fmac_f32_e32 v27, v11, v22
	v_add_f32_e32 v26, v26, v27
	v_mul_f32_e32 v27, v12, v25
	v_fmac_f32_e32 v27, v13, v24
	v_add_f32_e32 v30, v26, v27
	scratch_load_dwordx4 v[26:29], off, off offset:128
	v_mul_f32_e32 v11, v11, v23
	v_fma_f32 v10, v10, v22, -v11
	v_mul_f32_e32 v11, v13, v25
	v_add_f32_e32 v10, v14, v10
	v_fma_f32 v11, v12, v24, -v11
	v_add_f32_e32 v10, v10, v11
	s_waitcnt vmcnt(0) lgkmcnt(1)
	v_mul_f32_e32 v31, v6, v27
	v_fmac_f32_e32 v31, v7, v26
	v_add_f32_e32 v30, v30, v31
	v_mul_f32_e32 v31, v8, v29
	;; [unrolled: 14-line block ×3, first 2 shown]
	v_fmac_f32_e32 v35, v5, v32
	v_add_f32_e32 v42, v34, v35
	ds_read_b128 v[34:37], v102 offset:592
	v_mul_f32_e32 v3, v3, v31
	v_fma_f32 v2, v2, v30, -v3
	v_mul_f32_e32 v3, v5, v33
	v_add_f32_e32 v2, v6, v2
	s_waitcnt lgkmcnt(0)
	v_mul_f32_e32 v43, v34, v39
	v_fmac_f32_e32 v43, v35, v38
	v_add_f32_e32 v42, v42, v43
	v_mul_f32_e32 v43, v36, v41
	v_fmac_f32_e32 v43, v37, v40
	v_add_f32_e32 v50, v42, v43
	ds_read_b128 v[42:45], v102 offset:608
	v_fma_f32 v3, v4, v32, -v3
	v_add_f32_e32 v2, v2, v3
	v_mul_f32_e32 v3, v35, v39
	v_fma_f32 v3, v34, v38, -v3
	s_waitcnt lgkmcnt(0)
	v_mul_f32_e32 v51, v42, v47
	v_fmac_f32_e32 v51, v43, v46
	v_add_f32_e32 v50, v50, v51
	v_mul_f32_e32 v51, v44, v49
	v_fmac_f32_e32 v51, v45, v48
	v_add_f32_e32 v58, v50, v51
	ds_read_b128 v[50:53], v102 offset:624
	v_add_f32_e32 v2, v2, v3
	v_mul_f32_e32 v3, v37, v41
	v_fma_f32 v3, v36, v40, -v3
	v_add_f32_e32 v2, v2, v3
	s_waitcnt lgkmcnt(0)
	v_mul_f32_e32 v59, v50, v55
	v_fmac_f32_e32 v59, v51, v54
	v_add_f32_e32 v58, v58, v59
	v_mul_f32_e32 v59, v52, v57
	v_fmac_f32_e32 v59, v53, v56
	v_add_f32_e32 v66, v58, v59
	ds_read_b128 v[58:61], v102 offset:640
	v_mul_f32_e32 v3, v43, v47
	v_fma_f32 v3, v42, v46, -v3
	v_add_f32_e32 v2, v2, v3
	v_mul_f32_e32 v3, v45, v49
	s_waitcnt lgkmcnt(0)
	v_mul_f32_e32 v67, v58, v63
	v_fmac_f32_e32 v67, v59, v62
	v_add_f32_e32 v66, v66, v67
	v_mul_f32_e32 v67, v60, v65
	v_fmac_f32_e32 v67, v61, v64
	v_add_f32_e32 v74, v66, v67
	ds_read_b128 v[66:69], v102 offset:656
	v_fma_f32 v3, v44, v48, -v3
	v_add_f32_e32 v2, v2, v3
	v_mul_f32_e32 v3, v51, v55
	v_fma_f32 v3, v50, v54, -v3
	s_waitcnt lgkmcnt(0)
	v_mul_f32_e32 v75, v66, v71
	v_fmac_f32_e32 v75, v67, v70
	v_add_f32_e32 v74, v74, v75
	v_mul_f32_e32 v75, v68, v73
	v_fmac_f32_e32 v75, v69, v72
	v_add_f32_e32 v82, v74, v75
	ds_read_b128 v[74:77], v102 offset:672
	v_add_f32_e32 v2, v2, v3
	v_mul_f32_e32 v3, v53, v57
	v_fma_f32 v3, v52, v56, -v3
	v_add_f32_e32 v2, v2, v3
	s_waitcnt lgkmcnt(0)
	v_mul_f32_e32 v83, v74, v79
	v_fmac_f32_e32 v83, v75, v78
	v_add_f32_e32 v82, v82, v83
	v_mul_f32_e32 v83, v76, v81
	v_fmac_f32_e32 v83, v77, v80
	v_add_f32_e32 v90, v82, v83
	ds_read_b128 v[82:85], v102 offset:688
	v_mul_f32_e32 v3, v59, v63
	v_fma_f32 v3, v58, v62, -v3
	v_add_f32_e32 v2, v2, v3
	v_mul_f32_e32 v3, v61, v65
	;; [unrolled: 36-line block ×3, first 2 shown]
	s_waitcnt lgkmcnt(0)
	v_mul_f32_e32 v116, v108, v113
	v_fmac_f32_e32 v116, v109, v112
	v_add_f32_e32 v103, v103, v116
	v_mul_f32_e32 v116, v110, v115
	v_fmac_f32_e32 v116, v111, v114
	v_add_f32_e32 v103, v103, v116
	ds_read_b128 v[116:119], v102 offset:752
	v_fma_f32 v3, v76, v80, -v3
	v_add_f32_e32 v2, v2, v3
	v_mul_f32_e32 v3, v83, v87
	v_fma_f32 v3, v82, v86, -v3
	s_waitcnt lgkmcnt(0)
	v_mul_f32_e32 v124, v116, v121
	v_fmac_f32_e32 v124, v117, v120
	v_add_f32_e32 v103, v103, v124
	v_mul_f32_e32 v124, v118, v123
	v_fmac_f32_e32 v124, v119, v122
	v_add_f32_e32 v103, v103, v124
	ds_read_b128 v[124:127], v102 offset:768
	v_add_f32_e32 v2, v2, v3
	v_mul_f32_e32 v3, v85, v89
	v_fma_f32 v3, v84, v88, -v3
	v_add_f32_e32 v2, v2, v3
	s_waitcnt lgkmcnt(0)
	v_mul_f32_e32 v132, v124, v129
	v_fmac_f32_e32 v132, v125, v128
	v_add_f32_e32 v103, v103, v132
	v_mul_f32_e32 v132, v126, v131
	v_fmac_f32_e32 v132, v127, v130
	v_add_f32_e32 v157, v103, v132
	ds_read_b128 v[132:135], v102 offset:784
	scratch_load_dwordx4 v[140:143], off, off offset:368
	scratch_load_dwordx4 v[144:147], off, off offset:384
	;; [unrolled: 1-line block ×4, first 2 shown]
	v_mul_f32_e32 v3, v91, v95
	v_fma_f32 v3, v90, v94, -v3
	v_add_f32_e32 v2, v2, v3
	v_mul_f32_e32 v3, v93, v97
	v_fma_f32 v3, v92, v96, -v3
	v_add_f32_e32 v2, v2, v3
	;; [unrolled: 3-line block ×10, first 2 shown]
	s_waitcnt lgkmcnt(0)
	v_mul_f32_e32 v2, v133, v137
	v_fma_f32 v158, v132, v136, -v2
	v_mul_f32_e32 v2, v135, v139
	v_fma_f32 v160, v134, v138, -v2
	ds_read_b128 v[2:5], v102 offset:800
	ds_read_b128 v[6:9], v102 offset:816
	;; [unrolled: 1-line block ×4, first 2 shown]
	v_mul_f32_e32 v159, v132, v137
	v_fmac_f32_e32 v159, v133, v136
	v_mul_f32_e32 v161, v134, v139
	v_fmac_f32_e32 v161, v135, v138
	v_pk_add_f32 v[18:19], v[156:157], v[158:159]
	s_waitcnt vmcnt(3) lgkmcnt(3)
	v_pk_mul_f32 v[20:21], v[2:3], v[140:141] op_sel:[1,1] op_sel_hi:[0,1]
	v_pk_fma_f32 v[22:23], v[2:3], v[140:141], v[20:21] neg_lo:[0,0,1] neg_hi:[0,0,1]
	v_pk_fma_f32 v[2:3], v[2:3], v[140:141], v[20:21] op_sel_hi:[1,0,1]
	v_pk_add_f32 v[18:19], v[18:19], v[160:161]
	v_mov_b32_e32 v23, v3
	v_pk_add_f32 v[2:3], v[18:19], v[22:23]
	v_mov_b32_e32 v18, v143
	v_pk_mul_f32 v[18:19], v[4:5], v[18:19] op_sel:[1,0] op_sel_hi:[0,0]
	v_pk_fma_f32 v[20:21], v[4:5], v[142:143], v[18:19] neg_lo:[0,0,1] neg_hi:[0,0,1]
	v_pk_fma_f32 v[4:5], v[4:5], v[142:143], v[18:19] op_sel_hi:[1,0,1]
	s_nop 0
	v_mov_b32_e32 v21, v5
	s_waitcnt vmcnt(2) lgkmcnt(2)
	v_pk_mul_f32 v[4:5], v[6:7], v[144:145] op_sel:[1,1] op_sel_hi:[0,1]
	v_pk_fma_f32 v[18:19], v[6:7], v[144:145], v[4:5] neg_lo:[0,0,1] neg_hi:[0,0,1]
	v_pk_fma_f32 v[4:5], v[6:7], v[144:145], v[4:5] op_sel_hi:[1,0,1]
	v_pk_add_f32 v[2:3], v[2:3], v[20:21]
	v_mov_b32_e32 v4, v147
	v_mov_b32_e32 v19, v5
	v_pk_mul_f32 v[4:5], v[8:9], v[4:5] op_sel:[1,0] op_sel_hi:[0,0]
	v_pk_fma_f32 v[6:7], v[8:9], v[146:147], v[4:5] neg_lo:[0,0,1] neg_hi:[0,0,1]
	v_pk_fma_f32 v[4:5], v[8:9], v[146:147], v[4:5] op_sel_hi:[1,0,1]
	v_pk_add_f32 v[2:3], v[2:3], v[18:19]
	v_mov_b32_e32 v7, v5
	s_waitcnt vmcnt(1) lgkmcnt(1)
	v_pk_mul_f32 v[4:5], v[10:11], v[148:149] op_sel:[1,1] op_sel_hi:[0,1]
	v_pk_add_f32 v[2:3], v[2:3], v[6:7]
	v_pk_fma_f32 v[6:7], v[10:11], v[148:149], v[4:5] neg_lo:[0,0,1] neg_hi:[0,0,1]
	v_pk_fma_f32 v[4:5], v[10:11], v[148:149], v[4:5] op_sel_hi:[1,0,1]
	s_nop 0
	v_mov_b32_e32 v4, v151
	v_mov_b32_e32 v7, v5
	v_pk_mul_f32 v[4:5], v[12:13], v[4:5] op_sel:[1,0] op_sel_hi:[0,0]
	v_pk_add_f32 v[2:3], v[2:3], v[6:7]
	v_pk_fma_f32 v[6:7], v[12:13], v[150:151], v[4:5] neg_lo:[0,0,1] neg_hi:[0,0,1]
	v_pk_fma_f32 v[4:5], v[12:13], v[150:151], v[4:5] op_sel_hi:[1,0,1]
	s_nop 0
	v_mov_b32_e32 v7, v5
	s_waitcnt vmcnt(0) lgkmcnt(0)
	v_pk_mul_f32 v[4:5], v[14:15], v[152:153] op_sel:[1,1] op_sel_hi:[0,1]
	v_pk_add_f32 v[2:3], v[2:3], v[6:7]
	v_pk_fma_f32 v[6:7], v[14:15], v[152:153], v[4:5] neg_lo:[0,0,1] neg_hi:[0,0,1]
	v_pk_fma_f32 v[4:5], v[14:15], v[152:153], v[4:5] op_sel_hi:[1,0,1]
	s_nop 0
	v_mov_b32_e32 v4, v155
	v_mov_b32_e32 v7, v5
	v_pk_mul_f32 v[4:5], v[16:17], v[4:5] op_sel:[1,0] op_sel_hi:[0,0]
	v_pk_add_f32 v[2:3], v[2:3], v[6:7]
	v_pk_fma_f32 v[6:7], v[16:17], v[154:155], v[4:5] neg_lo:[0,0,1] neg_hi:[0,0,1]
	v_pk_fma_f32 v[4:5], v[16:17], v[154:155], v[4:5] op_sel_hi:[1,0,1]
	s_nop 0
	v_mov_b32_e32 v7, v5
	scratch_load_dwordx2 v[4:5], off, off offset:88
	v_pk_add_f32 v[2:3], v[2:3], v[6:7]
	s_waitcnt vmcnt(0)
	v_pk_add_f32 v[2:3], v[4:5], v[2:3] neg_lo:[0,1] neg_hi:[0,1]
	scratch_store_dwordx2 off, v[2:3], off offset:88
	s_and_saveexec_b64 s[0:1], vcc
	s_cbranch_execz .LBB53_317
; %bb.316:
	scratch_load_dwordx2 v[2:3], off, off offset:80
	v_mov_b32_e32 v4, 0
	v_mov_b32_e32 v5, v4
	scratch_store_dwordx2 off, v[4:5], off offset:80
	s_waitcnt vmcnt(1)
	ds_write_b64 v1, v[2:3]
.LBB53_317:
	s_or_b64 exec, exec, s[0:1]
	s_waitcnt lgkmcnt(0)
	; wave barrier
	scratch_load_dwordx4 v[6:9], off, off offset:88
	scratch_load_dwordx4 v[14:17], off, off offset:104
	;; [unrolled: 1-line block ×10, first 2 shown]
	v_mov_b32_e32 v102, 0
	ds_read2_b64 v[2:5], v102 offset0:65 offset1:66
	scratch_load_dwordx4 v[86:89], off, off offset:248
	scratch_load_dwordx4 v[94:97], off, off offset:264
	;; [unrolled: 1-line block ×8, first 2 shown]
	v_cmp_lt_u32_e32 vcc, 9, v0
	s_waitcnt vmcnt(17) lgkmcnt(0)
	v_mul_f32_e32 v10, v2, v7
	v_fmac_f32_e32 v10, v3, v6
	v_mul_f32_e32 v11, v4, v9
	v_add_f32_e32 v10, 0, v10
	v_fmac_f32_e32 v11, v5, v8
	v_add_f32_e32 v18, v10, v11
	ds_read2_b64 v[10:13], v102 offset0:67 offset1:68
	v_mul_f32_e32 v3, v3, v7
	v_fma_f32 v2, v2, v6, -v3
	v_mul_f32_e32 v3, v5, v9
	v_add_f32_e32 v2, 0, v2
	s_waitcnt vmcnt(16) lgkmcnt(0)
	v_mul_f32_e32 v19, v10, v15
	v_fmac_f32_e32 v19, v11, v14
	v_add_f32_e32 v18, v18, v19
	v_mul_f32_e32 v19, v12, v17
	v_fmac_f32_e32 v19, v13, v16
	v_add_f32_e32 v26, v18, v19
	ds_read2_b64 v[18:21], v102 offset0:69 offset1:70
	v_fma_f32 v3, v4, v8, -v3
	v_add_f32_e32 v2, v2, v3
	v_mul_f32_e32 v3, v11, v15
	v_fma_f32 v3, v10, v14, -v3
	s_waitcnt vmcnt(15) lgkmcnt(0)
	v_mul_f32_e32 v27, v18, v23
	v_fmac_f32_e32 v27, v19, v22
	v_add_f32_e32 v26, v26, v27
	v_mul_f32_e32 v27, v20, v25
	v_fmac_f32_e32 v27, v21, v24
	v_add_f32_e32 v34, v26, v27
	ds_read2_b64 v[26:29], v102 offset0:71 offset1:72
	v_add_f32_e32 v2, v2, v3
	v_mul_f32_e32 v3, v13, v17
	v_fma_f32 v3, v12, v16, -v3
	v_add_f32_e32 v2, v2, v3
	s_waitcnt vmcnt(14) lgkmcnt(0)
	v_mul_f32_e32 v35, v26, v31
	v_fmac_f32_e32 v35, v27, v30
	v_add_f32_e32 v34, v34, v35
	v_mul_f32_e32 v35, v28, v33
	v_fmac_f32_e32 v35, v29, v32
	v_add_f32_e32 v42, v34, v35
	ds_read2_b64 v[34:37], v102 offset0:73 offset1:74
	v_mul_f32_e32 v3, v19, v23
	v_fma_f32 v3, v18, v22, -v3
	v_add_f32_e32 v2, v2, v3
	v_mul_f32_e32 v3, v21, v25
	s_waitcnt vmcnt(13) lgkmcnt(0)
	v_mul_f32_e32 v43, v34, v39
	v_fmac_f32_e32 v43, v35, v38
	v_add_f32_e32 v42, v42, v43
	v_mul_f32_e32 v43, v36, v41
	v_fmac_f32_e32 v43, v37, v40
	v_add_f32_e32 v50, v42, v43
	ds_read2_b64 v[42:45], v102 offset0:75 offset1:76
	v_fma_f32 v3, v20, v24, -v3
	v_add_f32_e32 v2, v2, v3
	v_mul_f32_e32 v3, v27, v31
	v_fma_f32 v3, v26, v30, -v3
	s_waitcnt vmcnt(12) lgkmcnt(0)
	v_mul_f32_e32 v51, v42, v47
	v_fmac_f32_e32 v51, v43, v46
	v_add_f32_e32 v50, v50, v51
	v_mul_f32_e32 v51, v44, v49
	v_fmac_f32_e32 v51, v45, v48
	v_add_f32_e32 v58, v50, v51
	ds_read2_b64 v[50:53], v102 offset0:77 offset1:78
	v_add_f32_e32 v2, v2, v3
	v_mul_f32_e32 v3, v29, v33
	v_fma_f32 v3, v28, v32, -v3
	v_add_f32_e32 v2, v2, v3
	s_waitcnt vmcnt(11) lgkmcnt(0)
	v_mul_f32_e32 v59, v50, v55
	v_fmac_f32_e32 v59, v51, v54
	v_add_f32_e32 v58, v58, v59
	v_mul_f32_e32 v59, v52, v57
	v_fmac_f32_e32 v59, v53, v56
	v_add_f32_e32 v66, v58, v59
	ds_read2_b64 v[58:61], v102 offset0:79 offset1:80
	v_mul_f32_e32 v3, v35, v39
	v_fma_f32 v3, v34, v38, -v3
	v_add_f32_e32 v2, v2, v3
	v_mul_f32_e32 v3, v37, v41
	s_waitcnt vmcnt(10) lgkmcnt(0)
	v_mul_f32_e32 v67, v58, v63
	v_fmac_f32_e32 v67, v59, v62
	v_add_f32_e32 v66, v66, v67
	v_mul_f32_e32 v67, v60, v65
	v_fmac_f32_e32 v67, v61, v64
	v_add_f32_e32 v74, v66, v67
	ds_read2_b64 v[66:69], v102 offset0:81 offset1:82
	v_fma_f32 v3, v36, v40, -v3
	v_add_f32_e32 v2, v2, v3
	v_mul_f32_e32 v3, v43, v47
	v_fma_f32 v3, v42, v46, -v3
	s_waitcnt vmcnt(9) lgkmcnt(0)
	v_mul_f32_e32 v75, v66, v71
	v_fmac_f32_e32 v75, v67, v70
	v_add_f32_e32 v74, v74, v75
	v_mul_f32_e32 v75, v68, v73
	v_fmac_f32_e32 v75, v69, v72
	v_add_f32_e32 v82, v74, v75
	ds_read2_b64 v[74:77], v102 offset0:83 offset1:84
	v_add_f32_e32 v2, v2, v3
	v_mul_f32_e32 v3, v45, v49
	v_fma_f32 v3, v44, v48, -v3
	v_add_f32_e32 v2, v2, v3
	s_waitcnt vmcnt(8) lgkmcnt(0)
	v_mul_f32_e32 v83, v74, v79
	v_fmac_f32_e32 v83, v75, v78
	v_add_f32_e32 v82, v82, v83
	v_mul_f32_e32 v83, v76, v81
	v_fmac_f32_e32 v83, v77, v80
	v_add_f32_e32 v90, v82, v83
	ds_read2_b64 v[82:85], v102 offset0:85 offset1:86
	v_mul_f32_e32 v3, v51, v55
	v_fma_f32 v3, v50, v54, -v3
	v_add_f32_e32 v2, v2, v3
	v_mul_f32_e32 v3, v53, v57
	s_waitcnt vmcnt(7) lgkmcnt(0)
	v_mul_f32_e32 v91, v82, v87
	v_fmac_f32_e32 v91, v83, v86
	v_add_f32_e32 v90, v90, v91
	v_mul_f32_e32 v91, v84, v89
	v_fmac_f32_e32 v91, v85, v88
	v_add_f32_e32 v98, v90, v91
	ds_read2_b64 v[90:93], v102 offset0:87 offset1:88
	v_fma_f32 v3, v52, v56, -v3
	v_add_f32_e32 v2, v2, v3
	v_mul_f32_e32 v3, v59, v63
	v_fma_f32 v3, v58, v62, -v3
	s_waitcnt vmcnt(6) lgkmcnt(0)
	v_mul_f32_e32 v99, v90, v95
	v_fmac_f32_e32 v99, v91, v94
	v_add_f32_e32 v98, v98, v99
	v_mul_f32_e32 v99, v92, v97
	v_fmac_f32_e32 v99, v93, v96
	v_add_f32_e32 v103, v98, v99
	ds_read2_b64 v[98:101], v102 offset0:89 offset1:90
	v_add_f32_e32 v2, v2, v3
	v_mul_f32_e32 v3, v61, v65
	v_fma_f32 v3, v60, v64, -v3
	v_add_f32_e32 v2, v2, v3
	s_waitcnt vmcnt(5) lgkmcnt(0)
	v_mul_f32_e32 v108, v98, v105
	v_fmac_f32_e32 v108, v99, v104
	v_add_f32_e32 v103, v103, v108
	v_mul_f32_e32 v108, v100, v107
	v_fmac_f32_e32 v108, v101, v106
	v_add_f32_e32 v103, v103, v108
	ds_read2_b64 v[108:111], v102 offset0:91 offset1:92
	v_mul_f32_e32 v3, v67, v71
	v_fma_f32 v3, v66, v70, -v3
	v_add_f32_e32 v2, v2, v3
	v_mul_f32_e32 v3, v69, v73
	s_waitcnt vmcnt(4) lgkmcnt(0)
	v_mul_f32_e32 v116, v108, v113
	v_fmac_f32_e32 v116, v109, v112
	v_add_f32_e32 v103, v103, v116
	v_mul_f32_e32 v116, v110, v115
	v_fmac_f32_e32 v116, v111, v114
	v_add_f32_e32 v103, v103, v116
	ds_read2_b64 v[116:119], v102 offset0:93 offset1:94
	v_fma_f32 v3, v68, v72, -v3
	v_add_f32_e32 v2, v2, v3
	v_mul_f32_e32 v3, v75, v79
	v_fma_f32 v3, v74, v78, -v3
	s_waitcnt vmcnt(3) lgkmcnt(0)
	v_mul_f32_e32 v124, v116, v121
	v_fmac_f32_e32 v124, v117, v120
	v_add_f32_e32 v103, v103, v124
	v_mul_f32_e32 v124, v118, v123
	v_fmac_f32_e32 v124, v119, v122
	v_add_f32_e32 v103, v103, v124
	ds_read2_b64 v[124:127], v102 offset0:95 offset1:96
	v_add_f32_e32 v2, v2, v3
	v_mul_f32_e32 v3, v77, v81
	v_fma_f32 v3, v76, v80, -v3
	v_add_f32_e32 v2, v2, v3
	s_waitcnt vmcnt(2) lgkmcnt(0)
	v_mul_f32_e32 v132, v124, v129
	v_fmac_f32_e32 v132, v125, v128
	v_add_f32_e32 v103, v103, v132
	v_mul_f32_e32 v132, v126, v131
	v_fmac_f32_e32 v132, v127, v130
	v_add_f32_e32 v103, v103, v132
	ds_read2_b64 v[132:135], v102 offset0:97 offset1:98
	v_mul_f32_e32 v3, v83, v87
	v_fma_f32 v3, v82, v86, -v3
	v_add_f32_e32 v2, v2, v3
	v_mul_f32_e32 v3, v85, v89
	s_waitcnt vmcnt(1) lgkmcnt(0)
	v_mul_f32_e32 v140, v132, v137
	v_fmac_f32_e32 v140, v133, v136
	v_add_f32_e32 v161, v103, v140
	ds_read2_b64 v[140:143], v102 offset0:99 offset1:100
	scratch_load_dwordx4 v[148:151], off, off offset:376
	scratch_load_dwordx4 v[152:155], off, off offset:392
	;; [unrolled: 1-line block ×3, first 2 shown]
	scratch_load_dwordx2 v[166:167], off, off offset:424
	v_fma_f32 v3, v84, v88, -v3
	v_add_f32_e32 v2, v2, v3
	v_mul_f32_e32 v3, v91, v95
	v_fma_f32 v3, v90, v94, -v3
	v_add_f32_e32 v2, v2, v3
	v_mul_f32_e32 v3, v93, v97
	;; [unrolled: 3-line block ×12, first 2 shown]
	v_mul_f32_e32 v163, v134, v139
	v_fma_f32 v162, v134, v138, -v2
	s_waitcnt vmcnt(4) lgkmcnt(0)
	v_mul_f32_e32 v2, v141, v145
	v_mov_b32_e32 v18, v147
	v_fmac_f32_e32 v163, v135, v138
	v_mul_f32_e32 v165, v140, v145
	v_fma_f32 v164, v140, v144, -v2
	ds_read2_b64 v[2:5], v102 offset0:101 offset1:102
	ds_read2_b64 v[6:9], v102 offset0:103 offset1:104
	;; [unrolled: 1-line block ×3, first 2 shown]
	ds_read_b64 v[14:15], v102 offset:856
	v_pk_mul_f32 v[18:19], v[142:143], v[18:19] op_sel:[1,0] op_sel_hi:[0,0]
	v_fmac_f32_e32 v165, v141, v144
	v_pk_add_f32 v[16:17], v[160:161], v[162:163]
	v_pk_fma_f32 v[20:21], v[142:143], v[146:147], v[18:19] neg_lo:[0,0,1] neg_hi:[0,0,1]
	v_pk_fma_f32 v[18:19], v[142:143], v[146:147], v[18:19] op_sel_hi:[1,0,1]
	v_pk_add_f32 v[16:17], v[16:17], v[164:165]
	v_mov_b32_e32 v21, v19
	v_pk_add_f32 v[16:17], v[16:17], v[20:21]
	s_waitcnt vmcnt(3) lgkmcnt(3)
	v_pk_mul_f32 v[18:19], v[2:3], v[148:149] op_sel:[1,1] op_sel_hi:[0,1]
	v_pk_fma_f32 v[20:21], v[2:3], v[148:149], v[18:19] neg_lo:[0,0,1] neg_hi:[0,0,1]
	v_pk_fma_f32 v[2:3], v[2:3], v[148:149], v[18:19] op_sel_hi:[1,0,1]
	s_nop 0
	v_mov_b32_e32 v21, v3
	v_pk_add_f32 v[2:3], v[16:17], v[20:21]
	v_mov_b32_e32 v16, v151
	v_pk_mul_f32 v[16:17], v[4:5], v[16:17] op_sel:[1,0] op_sel_hi:[0,0]
	v_pk_fma_f32 v[18:19], v[4:5], v[150:151], v[16:17] neg_lo:[0,0,1] neg_hi:[0,0,1]
	v_pk_fma_f32 v[4:5], v[4:5], v[150:151], v[16:17] op_sel_hi:[1,0,1]
	s_nop 0
	v_mov_b32_e32 v19, v5
	s_waitcnt vmcnt(2) lgkmcnt(2)
	v_pk_mul_f32 v[4:5], v[6:7], v[152:153] op_sel:[1,1] op_sel_hi:[0,1]
	v_pk_fma_f32 v[16:17], v[6:7], v[152:153], v[4:5] neg_lo:[0,0,1] neg_hi:[0,0,1]
	v_pk_fma_f32 v[4:5], v[6:7], v[152:153], v[4:5] op_sel_hi:[1,0,1]
	v_pk_add_f32 v[2:3], v[2:3], v[18:19]
	v_mov_b32_e32 v4, v155
	v_mov_b32_e32 v17, v5
	v_pk_mul_f32 v[4:5], v[8:9], v[4:5] op_sel:[1,0] op_sel_hi:[0,0]
	v_pk_fma_f32 v[6:7], v[8:9], v[154:155], v[4:5] neg_lo:[0,0,1] neg_hi:[0,0,1]
	v_pk_fma_f32 v[4:5], v[8:9], v[154:155], v[4:5] op_sel_hi:[1,0,1]
	v_pk_add_f32 v[2:3], v[2:3], v[16:17]
	v_mov_b32_e32 v7, v5
	s_waitcnt vmcnt(1) lgkmcnt(1)
	v_pk_mul_f32 v[4:5], v[10:11], v[156:157] op_sel:[1,1] op_sel_hi:[0,1]
	v_pk_add_f32 v[2:3], v[2:3], v[6:7]
	v_pk_fma_f32 v[6:7], v[10:11], v[156:157], v[4:5] neg_lo:[0,0,1] neg_hi:[0,0,1]
	v_pk_fma_f32 v[4:5], v[10:11], v[156:157], v[4:5] op_sel_hi:[1,0,1]
	s_nop 0
	v_mov_b32_e32 v4, v159
	v_mov_b32_e32 v7, v5
	v_pk_mul_f32 v[4:5], v[12:13], v[4:5] op_sel:[1,0] op_sel_hi:[0,0]
	v_pk_add_f32 v[2:3], v[2:3], v[6:7]
	v_pk_fma_f32 v[6:7], v[12:13], v[158:159], v[4:5] neg_lo:[0,0,1] neg_hi:[0,0,1]
	v_pk_fma_f32 v[4:5], v[12:13], v[158:159], v[4:5] op_sel_hi:[1,0,1]
	s_nop 0
	v_mov_b32_e32 v7, v5
	s_waitcnt vmcnt(0) lgkmcnt(0)
	v_pk_mul_f32 v[4:5], v[14:15], v[166:167] op_sel:[1,1] op_sel_hi:[0,1]
	v_pk_add_f32 v[2:3], v[2:3], v[6:7]
	v_pk_fma_f32 v[6:7], v[14:15], v[166:167], v[4:5] neg_lo:[0,0,1] neg_hi:[0,0,1]
	v_pk_fma_f32 v[4:5], v[14:15], v[166:167], v[4:5] op_sel_hi:[1,0,1]
	s_nop 0
	v_mov_b32_e32 v7, v5
	scratch_load_dwordx2 v[4:5], off, off offset:80
	v_pk_add_f32 v[2:3], v[2:3], v[6:7]
	s_waitcnt vmcnt(0)
	v_pk_add_f32 v[2:3], v[4:5], v[2:3] neg_lo:[0,1] neg_hi:[0,1]
	scratch_store_dwordx2 off, v[2:3], off offset:80
	s_and_saveexec_b64 s[0:1], vcc
	s_cbranch_execz .LBB53_319
; %bb.318:
	scratch_load_dwordx2 v[2:3], off, off offset:72
	v_mov_b32_e32 v103, v102
	scratch_store_dwordx2 off, v[102:103], off offset:72
	s_waitcnt vmcnt(1)
	ds_write_b64 v1, v[2:3]
.LBB53_319:
	s_or_b64 exec, exec, s[0:1]
	s_waitcnt lgkmcnt(0)
	; wave barrier
	ds_read_b128 v[14:17], v102 offset:512
	ds_read_b128 v[10:13], v102 offset:528
	;; [unrolled: 1-line block ×4, first 2 shown]
	scratch_load_dwordx4 v[18:21], off, off offset:80
	scratch_load_dwordx4 v[38:41], off, off offset:144
	;; [unrolled: 1-line block ×12, first 2 shown]
	v_cmp_lt_u32_e32 vcc, 8, v0
	scratch_load_dwordx4 v[46:49], off, off offset:160
	scratch_load_dwordx4 v[54:57], off, off offset:176
	;; [unrolled: 1-line block ×3, first 2 shown]
	s_waitcnt vmcnt(14) lgkmcnt(3)
	v_mul_f32_e32 v22, v14, v19
	v_fmac_f32_e32 v22, v15, v18
	v_mul_f32_e32 v23, v16, v21
	v_add_f32_e32 v22, 0, v22
	v_fmac_f32_e32 v23, v17, v20
	v_add_f32_e32 v26, v22, v23
	scratch_load_dwordx4 v[22:25], off, off offset:96
	v_mul_f32_e32 v15, v15, v19
	v_fma_f32 v14, v14, v18, -v15
	v_mul_f32_e32 v15, v17, v21
	v_add_f32_e32 v14, 0, v14
	v_fma_f32 v15, v16, v20, -v15
	v_add_f32_e32 v14, v14, v15
	s_waitcnt vmcnt(0) lgkmcnt(2)
	v_mul_f32_e32 v27, v10, v23
	v_fmac_f32_e32 v27, v11, v22
	v_add_f32_e32 v26, v26, v27
	v_mul_f32_e32 v27, v12, v25
	v_fmac_f32_e32 v27, v13, v24
	v_add_f32_e32 v30, v26, v27
	scratch_load_dwordx4 v[26:29], off, off offset:112
	v_mul_f32_e32 v11, v11, v23
	v_fma_f32 v10, v10, v22, -v11
	v_mul_f32_e32 v11, v13, v25
	v_add_f32_e32 v10, v14, v10
	v_fma_f32 v11, v12, v24, -v11
	v_add_f32_e32 v10, v10, v11
	s_waitcnt vmcnt(0) lgkmcnt(1)
	v_mul_f32_e32 v31, v6, v27
	v_fmac_f32_e32 v31, v7, v26
	v_add_f32_e32 v30, v30, v31
	v_mul_f32_e32 v31, v8, v29
	;; [unrolled: 14-line block ×3, first 2 shown]
	v_fmac_f32_e32 v35, v5, v32
	v_add_f32_e32 v42, v34, v35
	ds_read_b128 v[34:37], v102 offset:576
	v_mul_f32_e32 v3, v3, v31
	v_fma_f32 v2, v2, v30, -v3
	v_mul_f32_e32 v3, v5, v33
	v_add_f32_e32 v2, v6, v2
	s_waitcnt lgkmcnt(0)
	v_mul_f32_e32 v43, v34, v39
	v_fmac_f32_e32 v43, v35, v38
	v_add_f32_e32 v42, v42, v43
	v_mul_f32_e32 v43, v36, v41
	v_fmac_f32_e32 v43, v37, v40
	v_add_f32_e32 v50, v42, v43
	ds_read_b128 v[42:45], v102 offset:592
	v_fma_f32 v3, v4, v32, -v3
	v_add_f32_e32 v2, v2, v3
	v_mul_f32_e32 v3, v35, v39
	v_fma_f32 v3, v34, v38, -v3
	s_waitcnt lgkmcnt(0)
	v_mul_f32_e32 v51, v42, v47
	v_fmac_f32_e32 v51, v43, v46
	v_add_f32_e32 v50, v50, v51
	v_mul_f32_e32 v51, v44, v49
	v_fmac_f32_e32 v51, v45, v48
	v_add_f32_e32 v58, v50, v51
	ds_read_b128 v[50:53], v102 offset:608
	v_add_f32_e32 v2, v2, v3
	v_mul_f32_e32 v3, v37, v41
	v_fma_f32 v3, v36, v40, -v3
	v_add_f32_e32 v2, v2, v3
	s_waitcnt lgkmcnt(0)
	v_mul_f32_e32 v59, v50, v55
	v_fmac_f32_e32 v59, v51, v54
	v_add_f32_e32 v58, v58, v59
	v_mul_f32_e32 v59, v52, v57
	v_fmac_f32_e32 v59, v53, v56
	v_add_f32_e32 v66, v58, v59
	ds_read_b128 v[58:61], v102 offset:624
	v_mul_f32_e32 v3, v43, v47
	v_fma_f32 v3, v42, v46, -v3
	v_add_f32_e32 v2, v2, v3
	v_mul_f32_e32 v3, v45, v49
	s_waitcnt lgkmcnt(0)
	v_mul_f32_e32 v67, v58, v63
	v_fmac_f32_e32 v67, v59, v62
	v_add_f32_e32 v66, v66, v67
	v_mul_f32_e32 v67, v60, v65
	v_fmac_f32_e32 v67, v61, v64
	v_add_f32_e32 v74, v66, v67
	ds_read_b128 v[66:69], v102 offset:640
	v_fma_f32 v3, v44, v48, -v3
	v_add_f32_e32 v2, v2, v3
	v_mul_f32_e32 v3, v51, v55
	v_fma_f32 v3, v50, v54, -v3
	s_waitcnt lgkmcnt(0)
	v_mul_f32_e32 v75, v66, v71
	v_fmac_f32_e32 v75, v67, v70
	v_add_f32_e32 v74, v74, v75
	v_mul_f32_e32 v75, v68, v73
	v_fmac_f32_e32 v75, v69, v72
	v_add_f32_e32 v82, v74, v75
	ds_read_b128 v[74:77], v102 offset:656
	v_add_f32_e32 v2, v2, v3
	v_mul_f32_e32 v3, v53, v57
	v_fma_f32 v3, v52, v56, -v3
	v_add_f32_e32 v2, v2, v3
	s_waitcnt lgkmcnt(0)
	v_mul_f32_e32 v83, v74, v79
	v_fmac_f32_e32 v83, v75, v78
	v_add_f32_e32 v82, v82, v83
	v_mul_f32_e32 v83, v76, v81
	v_fmac_f32_e32 v83, v77, v80
	v_add_f32_e32 v90, v82, v83
	ds_read_b128 v[82:85], v102 offset:672
	v_mul_f32_e32 v3, v59, v63
	v_fma_f32 v3, v58, v62, -v3
	v_add_f32_e32 v2, v2, v3
	v_mul_f32_e32 v3, v61, v65
	;; [unrolled: 36-line block ×4, first 2 shown]
	s_waitcnt lgkmcnt(0)
	v_mul_f32_e32 v140, v132, v137
	v_fmac_f32_e32 v140, v133, v136
	v_add_f32_e32 v103, v103, v140
	v_mul_f32_e32 v140, v134, v139
	v_fmac_f32_e32 v140, v135, v138
	v_add_f32_e32 v165, v103, v140
	ds_read_b128 v[140:143], v102 offset:784
	scratch_load_dwordx4 v[148:151], off, off offset:368
	scratch_load_dwordx4 v[152:155], off, off offset:384
	;; [unrolled: 1-line block ×4, first 2 shown]
	v_fma_f32 v3, v92, v96, -v3
	v_add_f32_e32 v2, v2, v3
	v_mul_f32_e32 v3, v99, v105
	v_fma_f32 v3, v98, v104, -v3
	v_add_f32_e32 v2, v2, v3
	v_mul_f32_e32 v3, v101, v107
	;; [unrolled: 3-line block ×10, first 2 shown]
	v_fma_f32 v3, v134, v138, -v3
	v_add_f32_e32 v164, v2, v3
	s_waitcnt lgkmcnt(0)
	v_mul_f32_e32 v2, v141, v145
	v_fma_f32 v166, v140, v144, -v2
	v_mul_f32_e32 v2, v143, v147
	v_fma_f32 v168, v142, v146, -v2
	ds_read_b128 v[2:5], v102 offset:800
	ds_read_b128 v[6:9], v102 offset:816
	;; [unrolled: 1-line block ×4, first 2 shown]
	v_mul_f32_e32 v167, v140, v145
	v_fmac_f32_e32 v167, v141, v144
	v_mul_f32_e32 v169, v142, v147
	v_fmac_f32_e32 v169, v143, v146
	v_pk_add_f32 v[18:19], v[164:165], v[166:167]
	s_waitcnt vmcnt(3) lgkmcnt(3)
	v_pk_mul_f32 v[20:21], v[2:3], v[148:149] op_sel:[1,1] op_sel_hi:[0,1]
	v_pk_fma_f32 v[22:23], v[2:3], v[148:149], v[20:21] neg_lo:[0,0,1] neg_hi:[0,0,1]
	v_pk_fma_f32 v[2:3], v[2:3], v[148:149], v[20:21] op_sel_hi:[1,0,1]
	v_pk_add_f32 v[18:19], v[18:19], v[168:169]
	v_mov_b32_e32 v23, v3
	v_pk_add_f32 v[2:3], v[18:19], v[22:23]
	v_mov_b32_e32 v18, v151
	v_pk_mul_f32 v[18:19], v[4:5], v[18:19] op_sel:[1,0] op_sel_hi:[0,0]
	v_pk_fma_f32 v[20:21], v[4:5], v[150:151], v[18:19] neg_lo:[0,0,1] neg_hi:[0,0,1]
	v_pk_fma_f32 v[4:5], v[4:5], v[150:151], v[18:19] op_sel_hi:[1,0,1]
	s_nop 0
	v_mov_b32_e32 v21, v5
	s_waitcnt vmcnt(2) lgkmcnt(2)
	v_pk_mul_f32 v[4:5], v[6:7], v[152:153] op_sel:[1,1] op_sel_hi:[0,1]
	v_pk_fma_f32 v[18:19], v[6:7], v[152:153], v[4:5] neg_lo:[0,0,1] neg_hi:[0,0,1]
	v_pk_fma_f32 v[4:5], v[6:7], v[152:153], v[4:5] op_sel_hi:[1,0,1]
	v_pk_add_f32 v[2:3], v[2:3], v[20:21]
	v_mov_b32_e32 v4, v155
	v_mov_b32_e32 v19, v5
	v_pk_mul_f32 v[4:5], v[8:9], v[4:5] op_sel:[1,0] op_sel_hi:[0,0]
	v_pk_fma_f32 v[6:7], v[8:9], v[154:155], v[4:5] neg_lo:[0,0,1] neg_hi:[0,0,1]
	v_pk_fma_f32 v[4:5], v[8:9], v[154:155], v[4:5] op_sel_hi:[1,0,1]
	v_pk_add_f32 v[2:3], v[2:3], v[18:19]
	v_mov_b32_e32 v7, v5
	s_waitcnt vmcnt(1) lgkmcnt(1)
	v_pk_mul_f32 v[4:5], v[10:11], v[156:157] op_sel:[1,1] op_sel_hi:[0,1]
	v_pk_add_f32 v[2:3], v[2:3], v[6:7]
	v_pk_fma_f32 v[6:7], v[10:11], v[156:157], v[4:5] neg_lo:[0,0,1] neg_hi:[0,0,1]
	v_pk_fma_f32 v[4:5], v[10:11], v[156:157], v[4:5] op_sel_hi:[1,0,1]
	s_nop 0
	v_mov_b32_e32 v4, v159
	v_mov_b32_e32 v7, v5
	v_pk_mul_f32 v[4:5], v[12:13], v[4:5] op_sel:[1,0] op_sel_hi:[0,0]
	v_pk_add_f32 v[2:3], v[2:3], v[6:7]
	v_pk_fma_f32 v[6:7], v[12:13], v[158:159], v[4:5] neg_lo:[0,0,1] neg_hi:[0,0,1]
	v_pk_fma_f32 v[4:5], v[12:13], v[158:159], v[4:5] op_sel_hi:[1,0,1]
	s_nop 0
	v_mov_b32_e32 v7, v5
	s_waitcnt vmcnt(0) lgkmcnt(0)
	v_pk_mul_f32 v[4:5], v[14:15], v[160:161] op_sel:[1,1] op_sel_hi:[0,1]
	v_pk_add_f32 v[2:3], v[2:3], v[6:7]
	v_pk_fma_f32 v[6:7], v[14:15], v[160:161], v[4:5] neg_lo:[0,0,1] neg_hi:[0,0,1]
	v_pk_fma_f32 v[4:5], v[14:15], v[160:161], v[4:5] op_sel_hi:[1,0,1]
	s_nop 0
	v_mov_b32_e32 v4, v163
	v_mov_b32_e32 v7, v5
	v_pk_mul_f32 v[4:5], v[16:17], v[4:5] op_sel:[1,0] op_sel_hi:[0,0]
	v_pk_add_f32 v[2:3], v[2:3], v[6:7]
	v_pk_fma_f32 v[6:7], v[16:17], v[162:163], v[4:5] neg_lo:[0,0,1] neg_hi:[0,0,1]
	v_pk_fma_f32 v[4:5], v[16:17], v[162:163], v[4:5] op_sel_hi:[1,0,1]
	s_nop 0
	v_mov_b32_e32 v7, v5
	scratch_load_dwordx2 v[4:5], off, off offset:72
	v_pk_add_f32 v[2:3], v[2:3], v[6:7]
	s_waitcnt vmcnt(0)
	v_pk_add_f32 v[2:3], v[4:5], v[2:3] neg_lo:[0,1] neg_hi:[0,1]
	scratch_store_dwordx2 off, v[2:3], off offset:72
	s_and_saveexec_b64 s[0:1], vcc
	s_cbranch_execz .LBB53_321
; %bb.320:
	scratch_load_dwordx2 v[2:3], off, off offset:64
	v_mov_b32_e32 v4, 0
	v_mov_b32_e32 v5, v4
	scratch_store_dwordx2 off, v[4:5], off offset:64
	s_waitcnt vmcnt(1)
	ds_write_b64 v1, v[2:3]
.LBB53_321:
	s_or_b64 exec, exec, s[0:1]
	s_waitcnt lgkmcnt(0)
	; wave barrier
	scratch_load_dwordx4 v[6:9], off, off offset:72
	scratch_load_dwordx4 v[14:17], off, off offset:88
	;; [unrolled: 1-line block ×10, first 2 shown]
	v_mov_b32_e32 v110, 0
	ds_read2_b64 v[2:5], v110 offset0:63 offset1:64
	scratch_load_dwordx4 v[86:89], off, off offset:232
	scratch_load_dwordx4 v[94:97], off, off offset:248
	;; [unrolled: 1-line block ×9, first 2 shown]
	v_cmp_lt_u32_e32 vcc, 7, v0
	s_waitcnt vmcnt(18) lgkmcnt(0)
	v_mul_f32_e32 v10, v2, v7
	v_fmac_f32_e32 v10, v3, v6
	v_mul_f32_e32 v11, v4, v9
	v_add_f32_e32 v10, 0, v10
	v_fmac_f32_e32 v11, v5, v8
	v_add_f32_e32 v18, v10, v11
	ds_read2_b64 v[10:13], v110 offset0:65 offset1:66
	v_mul_f32_e32 v3, v3, v7
	v_fma_f32 v2, v2, v6, -v3
	v_mul_f32_e32 v3, v5, v9
	v_add_f32_e32 v2, 0, v2
	s_waitcnt vmcnt(17) lgkmcnt(0)
	v_mul_f32_e32 v19, v10, v15
	v_fmac_f32_e32 v19, v11, v14
	v_add_f32_e32 v18, v18, v19
	v_mul_f32_e32 v19, v12, v17
	v_fmac_f32_e32 v19, v13, v16
	v_add_f32_e32 v26, v18, v19
	ds_read2_b64 v[18:21], v110 offset0:67 offset1:68
	v_fma_f32 v3, v4, v8, -v3
	v_add_f32_e32 v2, v2, v3
	v_mul_f32_e32 v3, v11, v15
	v_fma_f32 v3, v10, v14, -v3
	s_waitcnt vmcnt(16) lgkmcnt(0)
	v_mul_f32_e32 v27, v18, v23
	v_fmac_f32_e32 v27, v19, v22
	v_add_f32_e32 v26, v26, v27
	v_mul_f32_e32 v27, v20, v25
	v_fmac_f32_e32 v27, v21, v24
	v_add_f32_e32 v34, v26, v27
	ds_read2_b64 v[26:29], v110 offset0:69 offset1:70
	v_add_f32_e32 v2, v2, v3
	v_mul_f32_e32 v3, v13, v17
	v_fma_f32 v3, v12, v16, -v3
	v_add_f32_e32 v2, v2, v3
	s_waitcnt vmcnt(15) lgkmcnt(0)
	v_mul_f32_e32 v35, v26, v31
	v_fmac_f32_e32 v35, v27, v30
	v_add_f32_e32 v34, v34, v35
	v_mul_f32_e32 v35, v28, v33
	v_fmac_f32_e32 v35, v29, v32
	v_add_f32_e32 v42, v34, v35
	ds_read2_b64 v[34:37], v110 offset0:71 offset1:72
	v_mul_f32_e32 v3, v19, v23
	v_fma_f32 v3, v18, v22, -v3
	v_add_f32_e32 v2, v2, v3
	v_mul_f32_e32 v3, v21, v25
	s_waitcnt vmcnt(14) lgkmcnt(0)
	v_mul_f32_e32 v43, v34, v39
	v_fmac_f32_e32 v43, v35, v38
	v_add_f32_e32 v42, v42, v43
	v_mul_f32_e32 v43, v36, v41
	v_fmac_f32_e32 v43, v37, v40
	v_add_f32_e32 v50, v42, v43
	ds_read2_b64 v[42:45], v110 offset0:73 offset1:74
	v_fma_f32 v3, v20, v24, -v3
	v_add_f32_e32 v2, v2, v3
	v_mul_f32_e32 v3, v27, v31
	v_fma_f32 v3, v26, v30, -v3
	s_waitcnt vmcnt(13) lgkmcnt(0)
	v_mul_f32_e32 v51, v42, v47
	v_fmac_f32_e32 v51, v43, v46
	v_add_f32_e32 v50, v50, v51
	v_mul_f32_e32 v51, v44, v49
	v_fmac_f32_e32 v51, v45, v48
	v_add_f32_e32 v58, v50, v51
	ds_read2_b64 v[50:53], v110 offset0:75 offset1:76
	v_add_f32_e32 v2, v2, v3
	v_mul_f32_e32 v3, v29, v33
	v_fma_f32 v3, v28, v32, -v3
	v_add_f32_e32 v2, v2, v3
	s_waitcnt vmcnt(12) lgkmcnt(0)
	v_mul_f32_e32 v59, v50, v55
	v_fmac_f32_e32 v59, v51, v54
	v_add_f32_e32 v58, v58, v59
	v_mul_f32_e32 v59, v52, v57
	v_fmac_f32_e32 v59, v53, v56
	v_add_f32_e32 v66, v58, v59
	ds_read2_b64 v[58:61], v110 offset0:77 offset1:78
	v_mul_f32_e32 v3, v35, v39
	v_fma_f32 v3, v34, v38, -v3
	v_add_f32_e32 v2, v2, v3
	v_mul_f32_e32 v3, v37, v41
	;; [unrolled: 36-line block ×5, first 2 shown]
	s_waitcnt vmcnt(2) lgkmcnt(0)
	v_mul_f32_e32 v140, v132, v137
	v_fmac_f32_e32 v140, v133, v136
	v_add_f32_e32 v111, v111, v140
	v_mul_f32_e32 v140, v134, v139
	v_fmac_f32_e32 v140, v135, v138
	v_add_f32_e32 v111, v111, v140
	ds_read2_b64 v[140:143], v110 offset0:97 offset1:98
	v_fma_f32 v3, v84, v88, -v3
	v_add_f32_e32 v2, v2, v3
	v_mul_f32_e32 v3, v91, v95
	v_fma_f32 v3, v90, v94, -v3
	s_waitcnt vmcnt(1) lgkmcnt(0)
	v_mul_f32_e32 v148, v140, v145
	v_fmac_f32_e32 v148, v141, v144
	v_add_f32_e32 v169, v111, v148
	ds_read2_b64 v[148:151], v110 offset0:99 offset1:100
	scratch_load_dwordx4 v[156:159], off, off offset:376
	scratch_load_dwordx4 v[160:163], off, off offset:392
	;; [unrolled: 1-line block ×3, first 2 shown]
	scratch_load_dwordx2 v[174:175], off, off offset:424
	v_add_f32_e32 v2, v2, v3
	v_mul_f32_e32 v3, v93, v97
	v_fma_f32 v3, v92, v96, -v3
	v_add_f32_e32 v2, v2, v3
	v_mul_f32_e32 v3, v99, v103
	v_fma_f32 v3, v98, v102, -v3
	;; [unrolled: 3-line block ×12, first 2 shown]
	v_add_f32_e32 v168, v2, v3
	v_mul_f32_e32 v2, v143, v147
	v_mul_f32_e32 v171, v142, v147
	v_fma_f32 v170, v142, v146, -v2
	s_waitcnt vmcnt(4) lgkmcnt(0)
	v_mul_f32_e32 v2, v149, v153
	v_mov_b32_e32 v18, v155
	v_fmac_f32_e32 v171, v143, v146
	v_mul_f32_e32 v173, v148, v153
	v_fma_f32 v172, v148, v152, -v2
	ds_read2_b64 v[2:5], v110 offset0:101 offset1:102
	ds_read2_b64 v[6:9], v110 offset0:103 offset1:104
	;; [unrolled: 1-line block ×3, first 2 shown]
	ds_read_b64 v[14:15], v110 offset:856
	v_pk_mul_f32 v[18:19], v[150:151], v[18:19] op_sel:[1,0] op_sel_hi:[0,0]
	v_fmac_f32_e32 v173, v149, v152
	v_pk_add_f32 v[16:17], v[168:169], v[170:171]
	v_pk_fma_f32 v[20:21], v[150:151], v[154:155], v[18:19] neg_lo:[0,0,1] neg_hi:[0,0,1]
	v_pk_fma_f32 v[18:19], v[150:151], v[154:155], v[18:19] op_sel_hi:[1,0,1]
	v_pk_add_f32 v[16:17], v[16:17], v[172:173]
	v_mov_b32_e32 v21, v19
	v_pk_add_f32 v[16:17], v[16:17], v[20:21]
	s_waitcnt vmcnt(3) lgkmcnt(3)
	v_pk_mul_f32 v[18:19], v[2:3], v[156:157] op_sel:[1,1] op_sel_hi:[0,1]
	v_pk_fma_f32 v[20:21], v[2:3], v[156:157], v[18:19] neg_lo:[0,0,1] neg_hi:[0,0,1]
	v_pk_fma_f32 v[2:3], v[2:3], v[156:157], v[18:19] op_sel_hi:[1,0,1]
	s_nop 0
	v_mov_b32_e32 v21, v3
	v_pk_add_f32 v[2:3], v[16:17], v[20:21]
	v_mov_b32_e32 v16, v159
	v_pk_mul_f32 v[16:17], v[4:5], v[16:17] op_sel:[1,0] op_sel_hi:[0,0]
	v_pk_fma_f32 v[18:19], v[4:5], v[158:159], v[16:17] neg_lo:[0,0,1] neg_hi:[0,0,1]
	v_pk_fma_f32 v[4:5], v[4:5], v[158:159], v[16:17] op_sel_hi:[1,0,1]
	s_nop 0
	v_mov_b32_e32 v19, v5
	s_waitcnt vmcnt(2) lgkmcnt(2)
	v_pk_mul_f32 v[4:5], v[6:7], v[160:161] op_sel:[1,1] op_sel_hi:[0,1]
	v_pk_fma_f32 v[16:17], v[6:7], v[160:161], v[4:5] neg_lo:[0,0,1] neg_hi:[0,0,1]
	v_pk_fma_f32 v[4:5], v[6:7], v[160:161], v[4:5] op_sel_hi:[1,0,1]
	v_pk_add_f32 v[2:3], v[2:3], v[18:19]
	v_mov_b32_e32 v4, v163
	v_mov_b32_e32 v17, v5
	v_pk_mul_f32 v[4:5], v[8:9], v[4:5] op_sel:[1,0] op_sel_hi:[0,0]
	v_pk_fma_f32 v[6:7], v[8:9], v[162:163], v[4:5] neg_lo:[0,0,1] neg_hi:[0,0,1]
	v_pk_fma_f32 v[4:5], v[8:9], v[162:163], v[4:5] op_sel_hi:[1,0,1]
	v_pk_add_f32 v[2:3], v[2:3], v[16:17]
	v_mov_b32_e32 v7, v5
	s_waitcnt vmcnt(1) lgkmcnt(1)
	v_pk_mul_f32 v[4:5], v[10:11], v[164:165] op_sel:[1,1] op_sel_hi:[0,1]
	v_pk_add_f32 v[2:3], v[2:3], v[6:7]
	v_pk_fma_f32 v[6:7], v[10:11], v[164:165], v[4:5] neg_lo:[0,0,1] neg_hi:[0,0,1]
	v_pk_fma_f32 v[4:5], v[10:11], v[164:165], v[4:5] op_sel_hi:[1,0,1]
	s_nop 0
	v_mov_b32_e32 v4, v167
	v_mov_b32_e32 v7, v5
	v_pk_mul_f32 v[4:5], v[12:13], v[4:5] op_sel:[1,0] op_sel_hi:[0,0]
	v_pk_add_f32 v[2:3], v[2:3], v[6:7]
	v_pk_fma_f32 v[6:7], v[12:13], v[166:167], v[4:5] neg_lo:[0,0,1] neg_hi:[0,0,1]
	v_pk_fma_f32 v[4:5], v[12:13], v[166:167], v[4:5] op_sel_hi:[1,0,1]
	s_nop 0
	v_mov_b32_e32 v7, v5
	s_waitcnt vmcnt(0) lgkmcnt(0)
	v_pk_mul_f32 v[4:5], v[14:15], v[174:175] op_sel:[1,1] op_sel_hi:[0,1]
	v_pk_add_f32 v[2:3], v[2:3], v[6:7]
	v_pk_fma_f32 v[6:7], v[14:15], v[174:175], v[4:5] neg_lo:[0,0,1] neg_hi:[0,0,1]
	v_pk_fma_f32 v[4:5], v[14:15], v[174:175], v[4:5] op_sel_hi:[1,0,1]
	s_nop 0
	v_mov_b32_e32 v7, v5
	scratch_load_dwordx2 v[4:5], off, off offset:64
	v_pk_add_f32 v[2:3], v[2:3], v[6:7]
	s_waitcnt vmcnt(0)
	v_pk_add_f32 v[2:3], v[4:5], v[2:3] neg_lo:[0,1] neg_hi:[0,1]
	scratch_store_dwordx2 off, v[2:3], off offset:64
	s_and_saveexec_b64 s[0:1], vcc
	s_cbranch_execz .LBB53_323
; %bb.322:
	scratch_load_dwordx2 v[2:3], off, off offset:56
	v_mov_b32_e32 v111, v110
	scratch_store_dwordx2 off, v[110:111], off offset:56
	s_waitcnt vmcnt(1)
	ds_write_b64 v1, v[2:3]
.LBB53_323:
	s_or_b64 exec, exec, s[0:1]
	s_waitcnt lgkmcnt(0)
	; wave barrier
	ds_read_b128 v[14:17], v110 offset:496
	ds_read_b128 v[10:13], v110 offset:512
	;; [unrolled: 1-line block ×4, first 2 shown]
	scratch_load_dwordx4 v[18:21], off, off offset:64
	scratch_load_dwordx4 v[38:41], off, off offset:128
	;; [unrolled: 1-line block ×13, first 2 shown]
	v_cmp_lt_u32_e32 vcc, 6, v0
	scratch_load_dwordx4 v[46:49], off, off offset:144
	scratch_load_dwordx4 v[54:57], off, off offset:160
	;; [unrolled: 1-line block ×3, first 2 shown]
	s_waitcnt vmcnt(15) lgkmcnt(3)
	v_mul_f32_e32 v22, v14, v19
	v_fmac_f32_e32 v22, v15, v18
	v_mul_f32_e32 v23, v16, v21
	v_add_f32_e32 v22, 0, v22
	v_fmac_f32_e32 v23, v17, v20
	v_add_f32_e32 v26, v22, v23
	scratch_load_dwordx4 v[22:25], off, off offset:80
	v_mul_f32_e32 v15, v15, v19
	v_fma_f32 v14, v14, v18, -v15
	v_mul_f32_e32 v15, v17, v21
	v_add_f32_e32 v14, 0, v14
	v_fma_f32 v15, v16, v20, -v15
	v_add_f32_e32 v14, v14, v15
	s_waitcnt vmcnt(0) lgkmcnt(2)
	v_mul_f32_e32 v27, v10, v23
	v_fmac_f32_e32 v27, v11, v22
	v_add_f32_e32 v26, v26, v27
	v_mul_f32_e32 v27, v12, v25
	v_fmac_f32_e32 v27, v13, v24
	v_add_f32_e32 v30, v26, v27
	scratch_load_dwordx4 v[26:29], off, off offset:96
	v_mul_f32_e32 v11, v11, v23
	v_fma_f32 v10, v10, v22, -v11
	v_mul_f32_e32 v11, v13, v25
	v_add_f32_e32 v10, v14, v10
	v_fma_f32 v11, v12, v24, -v11
	v_add_f32_e32 v10, v10, v11
	s_waitcnt vmcnt(0) lgkmcnt(1)
	v_mul_f32_e32 v31, v6, v27
	v_fmac_f32_e32 v31, v7, v26
	v_add_f32_e32 v30, v30, v31
	v_mul_f32_e32 v31, v8, v29
	;; [unrolled: 14-line block ×3, first 2 shown]
	v_fmac_f32_e32 v35, v5, v32
	v_add_f32_e32 v42, v34, v35
	ds_read_b128 v[34:37], v110 offset:560
	v_mul_f32_e32 v3, v3, v31
	v_fma_f32 v2, v2, v30, -v3
	v_mul_f32_e32 v3, v5, v33
	v_add_f32_e32 v2, v6, v2
	s_waitcnt lgkmcnt(0)
	v_mul_f32_e32 v43, v34, v39
	v_fmac_f32_e32 v43, v35, v38
	v_add_f32_e32 v42, v42, v43
	v_mul_f32_e32 v43, v36, v41
	v_fmac_f32_e32 v43, v37, v40
	v_add_f32_e32 v50, v42, v43
	ds_read_b128 v[42:45], v110 offset:576
	v_fma_f32 v3, v4, v32, -v3
	v_add_f32_e32 v2, v2, v3
	v_mul_f32_e32 v3, v35, v39
	v_fma_f32 v3, v34, v38, -v3
	s_waitcnt lgkmcnt(0)
	v_mul_f32_e32 v51, v42, v47
	v_fmac_f32_e32 v51, v43, v46
	v_add_f32_e32 v50, v50, v51
	v_mul_f32_e32 v51, v44, v49
	v_fmac_f32_e32 v51, v45, v48
	v_add_f32_e32 v58, v50, v51
	ds_read_b128 v[50:53], v110 offset:592
	v_add_f32_e32 v2, v2, v3
	v_mul_f32_e32 v3, v37, v41
	v_fma_f32 v3, v36, v40, -v3
	v_add_f32_e32 v2, v2, v3
	s_waitcnt lgkmcnt(0)
	v_mul_f32_e32 v59, v50, v55
	v_fmac_f32_e32 v59, v51, v54
	v_add_f32_e32 v58, v58, v59
	v_mul_f32_e32 v59, v52, v57
	v_fmac_f32_e32 v59, v53, v56
	v_add_f32_e32 v66, v58, v59
	ds_read_b128 v[58:61], v110 offset:608
	v_mul_f32_e32 v3, v43, v47
	v_fma_f32 v3, v42, v46, -v3
	v_add_f32_e32 v2, v2, v3
	v_mul_f32_e32 v3, v45, v49
	s_waitcnt lgkmcnt(0)
	v_mul_f32_e32 v67, v58, v63
	v_fmac_f32_e32 v67, v59, v62
	v_add_f32_e32 v66, v66, v67
	v_mul_f32_e32 v67, v60, v65
	v_fmac_f32_e32 v67, v61, v64
	v_add_f32_e32 v74, v66, v67
	ds_read_b128 v[66:69], v110 offset:624
	v_fma_f32 v3, v44, v48, -v3
	v_add_f32_e32 v2, v2, v3
	v_mul_f32_e32 v3, v51, v55
	v_fma_f32 v3, v50, v54, -v3
	s_waitcnt lgkmcnt(0)
	v_mul_f32_e32 v75, v66, v71
	v_fmac_f32_e32 v75, v67, v70
	v_add_f32_e32 v74, v74, v75
	v_mul_f32_e32 v75, v68, v73
	v_fmac_f32_e32 v75, v69, v72
	v_add_f32_e32 v82, v74, v75
	ds_read_b128 v[74:77], v110 offset:640
	v_add_f32_e32 v2, v2, v3
	v_mul_f32_e32 v3, v53, v57
	v_fma_f32 v3, v52, v56, -v3
	v_add_f32_e32 v2, v2, v3
	s_waitcnt lgkmcnt(0)
	v_mul_f32_e32 v83, v74, v79
	v_fmac_f32_e32 v83, v75, v78
	v_add_f32_e32 v82, v82, v83
	v_mul_f32_e32 v83, v76, v81
	v_fmac_f32_e32 v83, v77, v80
	v_add_f32_e32 v90, v82, v83
	ds_read_b128 v[82:85], v110 offset:656
	v_mul_f32_e32 v3, v59, v63
	v_fma_f32 v3, v58, v62, -v3
	v_add_f32_e32 v2, v2, v3
	v_mul_f32_e32 v3, v61, v65
	;; [unrolled: 36-line block ×4, first 2 shown]
	s_waitcnt lgkmcnt(0)
	v_mul_f32_e32 v140, v132, v137
	v_fmac_f32_e32 v140, v133, v136
	v_add_f32_e32 v111, v111, v140
	v_mul_f32_e32 v140, v134, v139
	v_fmac_f32_e32 v140, v135, v138
	v_add_f32_e32 v111, v111, v140
	ds_read_b128 v[140:143], v110 offset:768
	v_fma_f32 v3, v92, v96, -v3
	v_add_f32_e32 v2, v2, v3
	v_mul_f32_e32 v3, v99, v103
	v_fma_f32 v3, v98, v102, -v3
	s_waitcnt lgkmcnt(0)
	v_mul_f32_e32 v148, v140, v145
	v_fmac_f32_e32 v148, v141, v144
	v_add_f32_e32 v111, v111, v148
	v_mul_f32_e32 v148, v142, v147
	v_fmac_f32_e32 v148, v143, v146
	v_add_f32_e32 v173, v111, v148
	ds_read_b128 v[148:151], v110 offset:784
	scratch_load_dwordx4 v[156:159], off, off offset:368
	scratch_load_dwordx4 v[160:163], off, off offset:384
	;; [unrolled: 1-line block ×4, first 2 shown]
	v_add_f32_e32 v2, v2, v3
	v_mul_f32_e32 v3, v101, v105
	v_fma_f32 v3, v100, v104, -v3
	v_add_f32_e32 v2, v2, v3
	v_mul_f32_e32 v3, v107, v113
	v_fma_f32 v3, v106, v112, -v3
	;; [unrolled: 3-line block ×11, first 2 shown]
	v_add_f32_e32 v172, v2, v3
	s_waitcnt lgkmcnt(0)
	v_mul_f32_e32 v2, v149, v153
	v_fma_f32 v174, v148, v152, -v2
	v_mul_f32_e32 v2, v151, v155
	v_fma_f32 v176, v150, v154, -v2
	ds_read_b128 v[2:5], v110 offset:800
	ds_read_b128 v[6:9], v110 offset:816
	;; [unrolled: 1-line block ×4, first 2 shown]
	v_mul_f32_e32 v175, v148, v153
	v_fmac_f32_e32 v175, v149, v152
	v_mul_f32_e32 v177, v150, v155
	v_fmac_f32_e32 v177, v151, v154
	v_pk_add_f32 v[18:19], v[172:173], v[174:175]
	s_waitcnt vmcnt(3) lgkmcnt(3)
	v_pk_mul_f32 v[20:21], v[2:3], v[156:157] op_sel:[1,1] op_sel_hi:[0,1]
	v_pk_fma_f32 v[22:23], v[2:3], v[156:157], v[20:21] neg_lo:[0,0,1] neg_hi:[0,0,1]
	v_pk_fma_f32 v[2:3], v[2:3], v[156:157], v[20:21] op_sel_hi:[1,0,1]
	v_pk_add_f32 v[18:19], v[18:19], v[176:177]
	v_mov_b32_e32 v23, v3
	v_pk_add_f32 v[2:3], v[18:19], v[22:23]
	v_mov_b32_e32 v18, v159
	v_pk_mul_f32 v[18:19], v[4:5], v[18:19] op_sel:[1,0] op_sel_hi:[0,0]
	v_pk_fma_f32 v[20:21], v[4:5], v[158:159], v[18:19] neg_lo:[0,0,1] neg_hi:[0,0,1]
	v_pk_fma_f32 v[4:5], v[4:5], v[158:159], v[18:19] op_sel_hi:[1,0,1]
	s_nop 0
	v_mov_b32_e32 v21, v5
	s_waitcnt vmcnt(2) lgkmcnt(2)
	v_pk_mul_f32 v[4:5], v[6:7], v[160:161] op_sel:[1,1] op_sel_hi:[0,1]
	v_pk_fma_f32 v[18:19], v[6:7], v[160:161], v[4:5] neg_lo:[0,0,1] neg_hi:[0,0,1]
	v_pk_fma_f32 v[4:5], v[6:7], v[160:161], v[4:5] op_sel_hi:[1,0,1]
	v_pk_add_f32 v[2:3], v[2:3], v[20:21]
	v_mov_b32_e32 v4, v163
	v_mov_b32_e32 v19, v5
	v_pk_mul_f32 v[4:5], v[8:9], v[4:5] op_sel:[1,0] op_sel_hi:[0,0]
	v_pk_fma_f32 v[6:7], v[8:9], v[162:163], v[4:5] neg_lo:[0,0,1] neg_hi:[0,0,1]
	v_pk_fma_f32 v[4:5], v[8:9], v[162:163], v[4:5] op_sel_hi:[1,0,1]
	v_pk_add_f32 v[2:3], v[2:3], v[18:19]
	v_mov_b32_e32 v7, v5
	s_waitcnt vmcnt(1) lgkmcnt(1)
	v_pk_mul_f32 v[4:5], v[10:11], v[164:165] op_sel:[1,1] op_sel_hi:[0,1]
	v_pk_add_f32 v[2:3], v[2:3], v[6:7]
	v_pk_fma_f32 v[6:7], v[10:11], v[164:165], v[4:5] neg_lo:[0,0,1] neg_hi:[0,0,1]
	v_pk_fma_f32 v[4:5], v[10:11], v[164:165], v[4:5] op_sel_hi:[1,0,1]
	s_nop 0
	v_mov_b32_e32 v4, v167
	v_mov_b32_e32 v7, v5
	v_pk_mul_f32 v[4:5], v[12:13], v[4:5] op_sel:[1,0] op_sel_hi:[0,0]
	v_pk_add_f32 v[2:3], v[2:3], v[6:7]
	v_pk_fma_f32 v[6:7], v[12:13], v[166:167], v[4:5] neg_lo:[0,0,1] neg_hi:[0,0,1]
	v_pk_fma_f32 v[4:5], v[12:13], v[166:167], v[4:5] op_sel_hi:[1,0,1]
	s_nop 0
	v_mov_b32_e32 v7, v5
	s_waitcnt vmcnt(0) lgkmcnt(0)
	v_pk_mul_f32 v[4:5], v[14:15], v[168:169] op_sel:[1,1] op_sel_hi:[0,1]
	v_pk_add_f32 v[2:3], v[2:3], v[6:7]
	v_pk_fma_f32 v[6:7], v[14:15], v[168:169], v[4:5] neg_lo:[0,0,1] neg_hi:[0,0,1]
	v_pk_fma_f32 v[4:5], v[14:15], v[168:169], v[4:5] op_sel_hi:[1,0,1]
	s_nop 0
	v_mov_b32_e32 v4, v171
	v_mov_b32_e32 v7, v5
	v_pk_mul_f32 v[4:5], v[16:17], v[4:5] op_sel:[1,0] op_sel_hi:[0,0]
	v_pk_add_f32 v[2:3], v[2:3], v[6:7]
	v_pk_fma_f32 v[6:7], v[16:17], v[170:171], v[4:5] neg_lo:[0,0,1] neg_hi:[0,0,1]
	v_pk_fma_f32 v[4:5], v[16:17], v[170:171], v[4:5] op_sel_hi:[1,0,1]
	s_nop 0
	v_mov_b32_e32 v7, v5
	scratch_load_dwordx2 v[4:5], off, off offset:56
	v_pk_add_f32 v[2:3], v[2:3], v[6:7]
	s_waitcnt vmcnt(0)
	v_pk_add_f32 v[2:3], v[4:5], v[2:3] neg_lo:[0,1] neg_hi:[0,1]
	scratch_store_dwordx2 off, v[2:3], off offset:56
	s_and_saveexec_b64 s[0:1], vcc
	s_cbranch_execz .LBB53_325
; %bb.324:
	scratch_load_dwordx2 v[2:3], off, off offset:48
	v_mov_b32_e32 v4, 0
	v_mov_b32_e32 v5, v4
	scratch_store_dwordx2 off, v[4:5], off offset:48
	s_waitcnt vmcnt(1)
	ds_write_b64 v1, v[2:3]
.LBB53_325:
	s_or_b64 exec, exec, s[0:1]
	s_waitcnt lgkmcnt(0)
	; wave barrier
	scratch_load_dwordx4 v[6:9], off, off offset:56
	scratch_load_dwordx4 v[14:17], off, off offset:72
	;; [unrolled: 1-line block ×10, first 2 shown]
	v_mov_b32_e32 v118, 0
	ds_read2_b64 v[2:5], v118 offset0:61 offset1:62
	scratch_load_dwordx4 v[86:89], off, off offset:216
	scratch_load_dwordx4 v[94:97], off, off offset:232
	;; [unrolled: 1-line block ×10, first 2 shown]
	v_cmp_lt_u32_e32 vcc, 5, v0
	s_waitcnt vmcnt(19) lgkmcnt(0)
	v_mul_f32_e32 v10, v2, v7
	v_fmac_f32_e32 v10, v3, v6
	v_mul_f32_e32 v11, v4, v9
	v_add_f32_e32 v10, 0, v10
	v_fmac_f32_e32 v11, v5, v8
	v_add_f32_e32 v18, v10, v11
	ds_read2_b64 v[10:13], v118 offset0:63 offset1:64
	v_mul_f32_e32 v3, v3, v7
	v_fma_f32 v2, v2, v6, -v3
	v_mul_f32_e32 v3, v5, v9
	v_add_f32_e32 v2, 0, v2
	s_waitcnt vmcnt(18) lgkmcnt(0)
	v_mul_f32_e32 v19, v10, v15
	v_fmac_f32_e32 v19, v11, v14
	v_add_f32_e32 v18, v18, v19
	v_mul_f32_e32 v19, v12, v17
	v_fmac_f32_e32 v19, v13, v16
	v_add_f32_e32 v26, v18, v19
	ds_read2_b64 v[18:21], v118 offset0:65 offset1:66
	v_fma_f32 v3, v4, v8, -v3
	v_add_f32_e32 v2, v2, v3
	v_mul_f32_e32 v3, v11, v15
	v_fma_f32 v3, v10, v14, -v3
	s_waitcnt vmcnt(17) lgkmcnt(0)
	v_mul_f32_e32 v27, v18, v23
	v_fmac_f32_e32 v27, v19, v22
	v_add_f32_e32 v26, v26, v27
	v_mul_f32_e32 v27, v20, v25
	v_fmac_f32_e32 v27, v21, v24
	v_add_f32_e32 v34, v26, v27
	ds_read2_b64 v[26:29], v118 offset0:67 offset1:68
	v_add_f32_e32 v2, v2, v3
	v_mul_f32_e32 v3, v13, v17
	v_fma_f32 v3, v12, v16, -v3
	v_add_f32_e32 v2, v2, v3
	s_waitcnt vmcnt(16) lgkmcnt(0)
	v_mul_f32_e32 v35, v26, v31
	v_fmac_f32_e32 v35, v27, v30
	v_add_f32_e32 v34, v34, v35
	v_mul_f32_e32 v35, v28, v33
	v_fmac_f32_e32 v35, v29, v32
	v_add_f32_e32 v42, v34, v35
	ds_read2_b64 v[34:37], v118 offset0:69 offset1:70
	v_mul_f32_e32 v3, v19, v23
	v_fma_f32 v3, v18, v22, -v3
	v_add_f32_e32 v2, v2, v3
	v_mul_f32_e32 v3, v21, v25
	s_waitcnt vmcnt(15) lgkmcnt(0)
	v_mul_f32_e32 v43, v34, v39
	v_fmac_f32_e32 v43, v35, v38
	v_add_f32_e32 v42, v42, v43
	v_mul_f32_e32 v43, v36, v41
	v_fmac_f32_e32 v43, v37, v40
	v_add_f32_e32 v50, v42, v43
	ds_read2_b64 v[42:45], v118 offset0:71 offset1:72
	v_fma_f32 v3, v20, v24, -v3
	v_add_f32_e32 v2, v2, v3
	v_mul_f32_e32 v3, v27, v31
	v_fma_f32 v3, v26, v30, -v3
	s_waitcnt vmcnt(14) lgkmcnt(0)
	v_mul_f32_e32 v51, v42, v47
	v_fmac_f32_e32 v51, v43, v46
	v_add_f32_e32 v50, v50, v51
	v_mul_f32_e32 v51, v44, v49
	v_fmac_f32_e32 v51, v45, v48
	v_add_f32_e32 v58, v50, v51
	ds_read2_b64 v[50:53], v118 offset0:73 offset1:74
	v_add_f32_e32 v2, v2, v3
	v_mul_f32_e32 v3, v29, v33
	v_fma_f32 v3, v28, v32, -v3
	v_add_f32_e32 v2, v2, v3
	s_waitcnt vmcnt(13) lgkmcnt(0)
	v_mul_f32_e32 v59, v50, v55
	v_fmac_f32_e32 v59, v51, v54
	v_add_f32_e32 v58, v58, v59
	v_mul_f32_e32 v59, v52, v57
	v_fmac_f32_e32 v59, v53, v56
	v_add_f32_e32 v66, v58, v59
	ds_read2_b64 v[58:61], v118 offset0:75 offset1:76
	v_mul_f32_e32 v3, v35, v39
	v_fma_f32 v3, v34, v38, -v3
	v_add_f32_e32 v2, v2, v3
	v_mul_f32_e32 v3, v37, v41
	s_waitcnt vmcnt(12) lgkmcnt(0)
	v_mul_f32_e32 v67, v58, v63
	v_fmac_f32_e32 v67, v59, v62
	v_add_f32_e32 v66, v66, v67
	v_mul_f32_e32 v67, v60, v65
	v_fmac_f32_e32 v67, v61, v64
	v_add_f32_e32 v74, v66, v67
	ds_read2_b64 v[66:69], v118 offset0:77 offset1:78
	v_fma_f32 v3, v36, v40, -v3
	v_add_f32_e32 v2, v2, v3
	v_mul_f32_e32 v3, v43, v47
	v_fma_f32 v3, v42, v46, -v3
	s_waitcnt vmcnt(11) lgkmcnt(0)
	v_mul_f32_e32 v75, v66, v71
	v_fmac_f32_e32 v75, v67, v70
	v_add_f32_e32 v74, v74, v75
	v_mul_f32_e32 v75, v68, v73
	v_fmac_f32_e32 v75, v69, v72
	v_add_f32_e32 v82, v74, v75
	ds_read2_b64 v[74:77], v118 offset0:79 offset1:80
	v_add_f32_e32 v2, v2, v3
	v_mul_f32_e32 v3, v45, v49
	v_fma_f32 v3, v44, v48, -v3
	v_add_f32_e32 v2, v2, v3
	s_waitcnt vmcnt(10) lgkmcnt(0)
	v_mul_f32_e32 v83, v74, v79
	v_fmac_f32_e32 v83, v75, v78
	v_add_f32_e32 v82, v82, v83
	v_mul_f32_e32 v83, v76, v81
	v_fmac_f32_e32 v83, v77, v80
	v_add_f32_e32 v90, v82, v83
	ds_read2_b64 v[82:85], v118 offset0:81 offset1:82
	v_mul_f32_e32 v3, v51, v55
	v_fma_f32 v3, v50, v54, -v3
	v_add_f32_e32 v2, v2, v3
	v_mul_f32_e32 v3, v53, v57
	s_waitcnt vmcnt(9) lgkmcnt(0)
	v_mul_f32_e32 v91, v82, v87
	v_fmac_f32_e32 v91, v83, v86
	v_add_f32_e32 v90, v90, v91
	v_mul_f32_e32 v91, v84, v89
	v_fmac_f32_e32 v91, v85, v88
	v_add_f32_e32 v98, v90, v91
	ds_read2_b64 v[90:93], v118 offset0:83 offset1:84
	v_fma_f32 v3, v52, v56, -v3
	v_add_f32_e32 v2, v2, v3
	v_mul_f32_e32 v3, v59, v63
	v_fma_f32 v3, v58, v62, -v3
	s_waitcnt vmcnt(8) lgkmcnt(0)
	v_mul_f32_e32 v99, v90, v95
	v_fmac_f32_e32 v99, v91, v94
	v_add_f32_e32 v98, v98, v99
	v_mul_f32_e32 v99, v92, v97
	v_fmac_f32_e32 v99, v93, v96
	v_add_f32_e32 v106, v98, v99
	ds_read2_b64 v[98:101], v118 offset0:85 offset1:86
	v_add_f32_e32 v2, v2, v3
	v_mul_f32_e32 v3, v61, v65
	v_fma_f32 v3, v60, v64, -v3
	v_add_f32_e32 v2, v2, v3
	s_waitcnt vmcnt(7) lgkmcnt(0)
	v_mul_f32_e32 v107, v98, v103
	v_fmac_f32_e32 v107, v99, v102
	v_add_f32_e32 v106, v106, v107
	v_mul_f32_e32 v107, v100, v105
	v_fmac_f32_e32 v107, v101, v104
	v_add_f32_e32 v114, v106, v107
	ds_read2_b64 v[106:109], v118 offset0:87 offset1:88
	v_mul_f32_e32 v3, v67, v71
	v_fma_f32 v3, v66, v70, -v3
	v_add_f32_e32 v2, v2, v3
	v_mul_f32_e32 v3, v69, v73
	s_waitcnt vmcnt(6) lgkmcnt(0)
	v_mul_f32_e32 v115, v106, v111
	v_fmac_f32_e32 v115, v107, v110
	v_add_f32_e32 v114, v114, v115
	v_mul_f32_e32 v115, v108, v113
	v_fmac_f32_e32 v115, v109, v112
	v_add_f32_e32 v119, v114, v115
	ds_read2_b64 v[114:117], v118 offset0:89 offset1:90
	v_fma_f32 v3, v68, v72, -v3
	v_add_f32_e32 v2, v2, v3
	v_mul_f32_e32 v3, v75, v79
	v_fma_f32 v3, v74, v78, -v3
	s_waitcnt vmcnt(5) lgkmcnt(0)
	v_mul_f32_e32 v124, v114, v121
	v_fmac_f32_e32 v124, v115, v120
	v_add_f32_e32 v119, v119, v124
	v_mul_f32_e32 v124, v116, v123
	v_fmac_f32_e32 v124, v117, v122
	v_add_f32_e32 v119, v119, v124
	ds_read2_b64 v[124:127], v118 offset0:91 offset1:92
	v_add_f32_e32 v2, v2, v3
	v_mul_f32_e32 v3, v77, v81
	v_fma_f32 v3, v76, v80, -v3
	v_add_f32_e32 v2, v2, v3
	s_waitcnt vmcnt(4) lgkmcnt(0)
	v_mul_f32_e32 v132, v124, v129
	v_fmac_f32_e32 v132, v125, v128
	v_add_f32_e32 v119, v119, v132
	v_mul_f32_e32 v132, v126, v131
	v_fmac_f32_e32 v132, v127, v130
	v_add_f32_e32 v119, v119, v132
	ds_read2_b64 v[132:135], v118 offset0:93 offset1:94
	v_mul_f32_e32 v3, v83, v87
	v_fma_f32 v3, v82, v86, -v3
	v_add_f32_e32 v2, v2, v3
	v_mul_f32_e32 v3, v85, v89
	s_waitcnt vmcnt(3) lgkmcnt(0)
	v_mul_f32_e32 v140, v132, v137
	v_fmac_f32_e32 v140, v133, v136
	v_add_f32_e32 v119, v119, v140
	v_mul_f32_e32 v140, v134, v139
	v_fmac_f32_e32 v140, v135, v138
	v_add_f32_e32 v119, v119, v140
	ds_read2_b64 v[140:143], v118 offset0:95 offset1:96
	v_fma_f32 v3, v84, v88, -v3
	v_add_f32_e32 v2, v2, v3
	v_mul_f32_e32 v3, v91, v95
	v_fma_f32 v3, v90, v94, -v3
	s_waitcnt vmcnt(2) lgkmcnt(0)
	v_mul_f32_e32 v148, v140, v145
	v_fmac_f32_e32 v148, v141, v144
	v_add_f32_e32 v119, v119, v148
	v_mul_f32_e32 v148, v142, v147
	v_fmac_f32_e32 v148, v143, v146
	v_add_f32_e32 v119, v119, v148
	ds_read2_b64 v[148:151], v118 offset0:97 offset1:98
	v_add_f32_e32 v2, v2, v3
	v_mul_f32_e32 v3, v93, v97
	v_fma_f32 v3, v92, v96, -v3
	v_add_f32_e32 v2, v2, v3
	s_waitcnt vmcnt(1) lgkmcnt(0)
	v_mul_f32_e32 v156, v148, v153
	v_fmac_f32_e32 v156, v149, v152
	v_add_f32_e32 v177, v119, v156
	ds_read2_b64 v[156:159], v118 offset0:99 offset1:100
	scratch_load_dwordx4 v[164:167], off, off offset:376
	scratch_load_dwordx4 v[168:171], off, off offset:392
	;; [unrolled: 1-line block ×3, first 2 shown]
	scratch_load_dwordx2 v[182:183], off, off offset:424
	v_mul_f32_e32 v3, v99, v103
	v_fma_f32 v3, v98, v102, -v3
	v_add_f32_e32 v2, v2, v3
	v_mul_f32_e32 v3, v101, v105
	v_fma_f32 v3, v100, v104, -v3
	v_add_f32_e32 v2, v2, v3
	;; [unrolled: 3-line block ×13, first 2 shown]
	v_mul_f32_e32 v2, v151, v155
	v_mul_f32_e32 v179, v150, v155
	v_fma_f32 v178, v150, v154, -v2
	s_waitcnt vmcnt(4) lgkmcnt(0)
	v_mul_f32_e32 v2, v157, v161
	v_mov_b32_e32 v18, v163
	v_fmac_f32_e32 v179, v151, v154
	v_mul_f32_e32 v181, v156, v161
	v_fma_f32 v180, v156, v160, -v2
	ds_read2_b64 v[2:5], v118 offset0:101 offset1:102
	ds_read2_b64 v[6:9], v118 offset0:103 offset1:104
	;; [unrolled: 1-line block ×3, first 2 shown]
	ds_read_b64 v[14:15], v118 offset:856
	v_pk_mul_f32 v[18:19], v[158:159], v[18:19] op_sel:[1,0] op_sel_hi:[0,0]
	v_fmac_f32_e32 v181, v157, v160
	v_pk_add_f32 v[16:17], v[176:177], v[178:179]
	v_pk_fma_f32 v[20:21], v[158:159], v[162:163], v[18:19] neg_lo:[0,0,1] neg_hi:[0,0,1]
	v_pk_fma_f32 v[18:19], v[158:159], v[162:163], v[18:19] op_sel_hi:[1,0,1]
	v_pk_add_f32 v[16:17], v[16:17], v[180:181]
	v_mov_b32_e32 v21, v19
	v_pk_add_f32 v[16:17], v[16:17], v[20:21]
	s_waitcnt vmcnt(3) lgkmcnt(3)
	v_pk_mul_f32 v[18:19], v[2:3], v[164:165] op_sel:[1,1] op_sel_hi:[0,1]
	v_pk_fma_f32 v[20:21], v[2:3], v[164:165], v[18:19] neg_lo:[0,0,1] neg_hi:[0,0,1]
	v_pk_fma_f32 v[2:3], v[2:3], v[164:165], v[18:19] op_sel_hi:[1,0,1]
	s_nop 0
	v_mov_b32_e32 v21, v3
	v_pk_add_f32 v[2:3], v[16:17], v[20:21]
	v_mov_b32_e32 v16, v167
	v_pk_mul_f32 v[16:17], v[4:5], v[16:17] op_sel:[1,0] op_sel_hi:[0,0]
	v_pk_fma_f32 v[18:19], v[4:5], v[166:167], v[16:17] neg_lo:[0,0,1] neg_hi:[0,0,1]
	v_pk_fma_f32 v[4:5], v[4:5], v[166:167], v[16:17] op_sel_hi:[1,0,1]
	s_nop 0
	v_mov_b32_e32 v19, v5
	s_waitcnt vmcnt(2) lgkmcnt(2)
	v_pk_mul_f32 v[4:5], v[6:7], v[168:169] op_sel:[1,1] op_sel_hi:[0,1]
	v_pk_fma_f32 v[16:17], v[6:7], v[168:169], v[4:5] neg_lo:[0,0,1] neg_hi:[0,0,1]
	v_pk_fma_f32 v[4:5], v[6:7], v[168:169], v[4:5] op_sel_hi:[1,0,1]
	v_pk_add_f32 v[2:3], v[2:3], v[18:19]
	v_mov_b32_e32 v4, v171
	v_mov_b32_e32 v17, v5
	v_pk_mul_f32 v[4:5], v[8:9], v[4:5] op_sel:[1,0] op_sel_hi:[0,0]
	v_pk_fma_f32 v[6:7], v[8:9], v[170:171], v[4:5] neg_lo:[0,0,1] neg_hi:[0,0,1]
	v_pk_fma_f32 v[4:5], v[8:9], v[170:171], v[4:5] op_sel_hi:[1,0,1]
	v_pk_add_f32 v[2:3], v[2:3], v[16:17]
	v_mov_b32_e32 v7, v5
	s_waitcnt vmcnt(1) lgkmcnt(1)
	v_pk_mul_f32 v[4:5], v[10:11], v[172:173] op_sel:[1,1] op_sel_hi:[0,1]
	v_pk_add_f32 v[2:3], v[2:3], v[6:7]
	v_pk_fma_f32 v[6:7], v[10:11], v[172:173], v[4:5] neg_lo:[0,0,1] neg_hi:[0,0,1]
	v_pk_fma_f32 v[4:5], v[10:11], v[172:173], v[4:5] op_sel_hi:[1,0,1]
	s_nop 0
	v_mov_b32_e32 v4, v175
	v_mov_b32_e32 v7, v5
	v_pk_mul_f32 v[4:5], v[12:13], v[4:5] op_sel:[1,0] op_sel_hi:[0,0]
	v_pk_add_f32 v[2:3], v[2:3], v[6:7]
	v_pk_fma_f32 v[6:7], v[12:13], v[174:175], v[4:5] neg_lo:[0,0,1] neg_hi:[0,0,1]
	v_pk_fma_f32 v[4:5], v[12:13], v[174:175], v[4:5] op_sel_hi:[1,0,1]
	s_nop 0
	v_mov_b32_e32 v7, v5
	s_waitcnt vmcnt(0) lgkmcnt(0)
	v_pk_mul_f32 v[4:5], v[14:15], v[182:183] op_sel:[1,1] op_sel_hi:[0,1]
	v_pk_add_f32 v[2:3], v[2:3], v[6:7]
	v_pk_fma_f32 v[6:7], v[14:15], v[182:183], v[4:5] neg_lo:[0,0,1] neg_hi:[0,0,1]
	v_pk_fma_f32 v[4:5], v[14:15], v[182:183], v[4:5] op_sel_hi:[1,0,1]
	s_nop 0
	v_mov_b32_e32 v7, v5
	scratch_load_dwordx2 v[4:5], off, off offset:48
	v_pk_add_f32 v[2:3], v[2:3], v[6:7]
	s_waitcnt vmcnt(0)
	v_pk_add_f32 v[2:3], v[4:5], v[2:3] neg_lo:[0,1] neg_hi:[0,1]
	scratch_store_dwordx2 off, v[2:3], off offset:48
	s_and_saveexec_b64 s[0:1], vcc
	s_cbranch_execz .LBB53_327
; %bb.326:
	scratch_load_dwordx2 v[2:3], off, off offset:40
	v_mov_b32_e32 v119, v118
	scratch_store_dwordx2 off, v[118:119], off offset:40
	s_waitcnt vmcnt(1)
	ds_write_b64 v1, v[2:3]
.LBB53_327:
	s_or_b64 exec, exec, s[0:1]
	s_waitcnt lgkmcnt(0)
	; wave barrier
	ds_read_b128 v[14:17], v118 offset:480
	ds_read_b128 v[10:13], v118 offset:496
	;; [unrolled: 1-line block ×4, first 2 shown]
	scratch_load_dwordx4 v[18:21], off, off offset:48
	scratch_load_dwordx4 v[38:41], off, off offset:112
	;; [unrolled: 1-line block ×14, first 2 shown]
	v_cmp_lt_u32_e32 vcc, 4, v0
	scratch_load_dwordx4 v[46:49], off, off offset:128
	scratch_load_dwordx4 v[54:57], off, off offset:144
	;; [unrolled: 1-line block ×3, first 2 shown]
	s_waitcnt vmcnt(16) lgkmcnt(3)
	v_mul_f32_e32 v22, v14, v19
	v_fmac_f32_e32 v22, v15, v18
	v_mul_f32_e32 v23, v16, v21
	v_add_f32_e32 v22, 0, v22
	v_fmac_f32_e32 v23, v17, v20
	v_add_f32_e32 v26, v22, v23
	scratch_load_dwordx4 v[22:25], off, off offset:64
	v_mul_f32_e32 v15, v15, v19
	v_fma_f32 v14, v14, v18, -v15
	v_mul_f32_e32 v15, v17, v21
	v_add_f32_e32 v14, 0, v14
	v_fma_f32 v15, v16, v20, -v15
	v_add_f32_e32 v14, v14, v15
	s_waitcnt vmcnt(0) lgkmcnt(2)
	v_mul_f32_e32 v27, v10, v23
	v_fmac_f32_e32 v27, v11, v22
	v_add_f32_e32 v26, v26, v27
	v_mul_f32_e32 v27, v12, v25
	v_fmac_f32_e32 v27, v13, v24
	v_add_f32_e32 v30, v26, v27
	scratch_load_dwordx4 v[26:29], off, off offset:80
	v_mul_f32_e32 v11, v11, v23
	v_fma_f32 v10, v10, v22, -v11
	v_mul_f32_e32 v11, v13, v25
	v_add_f32_e32 v10, v14, v10
	v_fma_f32 v11, v12, v24, -v11
	v_add_f32_e32 v10, v10, v11
	s_waitcnt vmcnt(0) lgkmcnt(1)
	v_mul_f32_e32 v31, v6, v27
	v_fmac_f32_e32 v31, v7, v26
	v_add_f32_e32 v30, v30, v31
	v_mul_f32_e32 v31, v8, v29
	;; [unrolled: 14-line block ×3, first 2 shown]
	v_fmac_f32_e32 v35, v5, v32
	v_add_f32_e32 v42, v34, v35
	ds_read_b128 v[34:37], v118 offset:544
	v_mul_f32_e32 v3, v3, v31
	v_fma_f32 v2, v2, v30, -v3
	v_mul_f32_e32 v3, v5, v33
	v_add_f32_e32 v2, v6, v2
	s_waitcnt lgkmcnt(0)
	v_mul_f32_e32 v43, v34, v39
	v_fmac_f32_e32 v43, v35, v38
	v_add_f32_e32 v42, v42, v43
	v_mul_f32_e32 v43, v36, v41
	v_fmac_f32_e32 v43, v37, v40
	v_add_f32_e32 v50, v42, v43
	ds_read_b128 v[42:45], v118 offset:560
	v_fma_f32 v3, v4, v32, -v3
	v_add_f32_e32 v2, v2, v3
	v_mul_f32_e32 v3, v35, v39
	v_fma_f32 v3, v34, v38, -v3
	s_waitcnt lgkmcnt(0)
	v_mul_f32_e32 v51, v42, v47
	v_fmac_f32_e32 v51, v43, v46
	v_add_f32_e32 v50, v50, v51
	v_mul_f32_e32 v51, v44, v49
	v_fmac_f32_e32 v51, v45, v48
	v_add_f32_e32 v58, v50, v51
	ds_read_b128 v[50:53], v118 offset:576
	v_add_f32_e32 v2, v2, v3
	v_mul_f32_e32 v3, v37, v41
	v_fma_f32 v3, v36, v40, -v3
	v_add_f32_e32 v2, v2, v3
	s_waitcnt lgkmcnt(0)
	v_mul_f32_e32 v59, v50, v55
	v_fmac_f32_e32 v59, v51, v54
	v_add_f32_e32 v58, v58, v59
	v_mul_f32_e32 v59, v52, v57
	v_fmac_f32_e32 v59, v53, v56
	v_add_f32_e32 v66, v58, v59
	ds_read_b128 v[58:61], v118 offset:592
	v_mul_f32_e32 v3, v43, v47
	v_fma_f32 v3, v42, v46, -v3
	v_add_f32_e32 v2, v2, v3
	v_mul_f32_e32 v3, v45, v49
	s_waitcnt lgkmcnt(0)
	v_mul_f32_e32 v67, v58, v63
	v_fmac_f32_e32 v67, v59, v62
	v_add_f32_e32 v66, v66, v67
	v_mul_f32_e32 v67, v60, v65
	v_fmac_f32_e32 v67, v61, v64
	v_add_f32_e32 v74, v66, v67
	ds_read_b128 v[66:69], v118 offset:608
	v_fma_f32 v3, v44, v48, -v3
	v_add_f32_e32 v2, v2, v3
	v_mul_f32_e32 v3, v51, v55
	v_fma_f32 v3, v50, v54, -v3
	s_waitcnt lgkmcnt(0)
	v_mul_f32_e32 v75, v66, v71
	v_fmac_f32_e32 v75, v67, v70
	v_add_f32_e32 v74, v74, v75
	v_mul_f32_e32 v75, v68, v73
	v_fmac_f32_e32 v75, v69, v72
	v_add_f32_e32 v82, v74, v75
	ds_read_b128 v[74:77], v118 offset:624
	v_add_f32_e32 v2, v2, v3
	v_mul_f32_e32 v3, v53, v57
	v_fma_f32 v3, v52, v56, -v3
	v_add_f32_e32 v2, v2, v3
	s_waitcnt lgkmcnt(0)
	v_mul_f32_e32 v83, v74, v79
	v_fmac_f32_e32 v83, v75, v78
	v_add_f32_e32 v82, v82, v83
	v_mul_f32_e32 v83, v76, v81
	v_fmac_f32_e32 v83, v77, v80
	v_add_f32_e32 v90, v82, v83
	ds_read_b128 v[82:85], v118 offset:640
	v_mul_f32_e32 v3, v59, v63
	v_fma_f32 v3, v58, v62, -v3
	v_add_f32_e32 v2, v2, v3
	v_mul_f32_e32 v3, v61, v65
	;; [unrolled: 36-line block ×4, first 2 shown]
	s_waitcnt lgkmcnt(0)
	v_mul_f32_e32 v140, v132, v137
	v_fmac_f32_e32 v140, v133, v136
	v_add_f32_e32 v119, v119, v140
	v_mul_f32_e32 v140, v134, v139
	v_fmac_f32_e32 v140, v135, v138
	v_add_f32_e32 v119, v119, v140
	ds_read_b128 v[140:143], v118 offset:752
	v_fma_f32 v3, v92, v96, -v3
	v_add_f32_e32 v2, v2, v3
	v_mul_f32_e32 v3, v99, v103
	v_fma_f32 v3, v98, v102, -v3
	s_waitcnt lgkmcnt(0)
	v_mul_f32_e32 v148, v140, v145
	v_fmac_f32_e32 v148, v141, v144
	v_add_f32_e32 v119, v119, v148
	v_mul_f32_e32 v148, v142, v147
	v_fmac_f32_e32 v148, v143, v146
	v_add_f32_e32 v119, v119, v148
	ds_read_b128 v[148:151], v118 offset:768
	v_add_f32_e32 v2, v2, v3
	v_mul_f32_e32 v3, v101, v105
	v_fma_f32 v3, v100, v104, -v3
	v_add_f32_e32 v2, v2, v3
	s_waitcnt lgkmcnt(0)
	v_mul_f32_e32 v156, v148, v153
	v_fmac_f32_e32 v156, v149, v152
	v_add_f32_e32 v119, v119, v156
	v_mul_f32_e32 v156, v150, v155
	v_fmac_f32_e32 v156, v151, v154
	v_add_f32_e32 v181, v119, v156
	ds_read_b128 v[156:159], v118 offset:784
	scratch_load_dwordx4 v[164:167], off, off offset:368
	scratch_load_dwordx4 v[168:171], off, off offset:384
	;; [unrolled: 1-line block ×4, first 2 shown]
	v_mul_f32_e32 v3, v107, v111
	v_fma_f32 v3, v106, v110, -v3
	v_add_f32_e32 v2, v2, v3
	v_mul_f32_e32 v3, v109, v113
	v_fma_f32 v3, v108, v112, -v3
	v_add_f32_e32 v2, v2, v3
	;; [unrolled: 3-line block ×12, first 2 shown]
	s_waitcnt lgkmcnt(0)
	v_mul_f32_e32 v2, v157, v161
	v_fma_f32 v182, v156, v160, -v2
	v_mul_f32_e32 v2, v159, v163
	v_fma_f32 v184, v158, v162, -v2
	ds_read_b128 v[2:5], v118 offset:800
	ds_read_b128 v[6:9], v118 offset:816
	;; [unrolled: 1-line block ×4, first 2 shown]
	v_mul_f32_e32 v183, v156, v161
	v_fmac_f32_e32 v183, v157, v160
	v_mul_f32_e32 v185, v158, v163
	v_fmac_f32_e32 v185, v159, v162
	v_pk_add_f32 v[18:19], v[180:181], v[182:183]
	s_waitcnt vmcnt(3) lgkmcnt(3)
	v_pk_mul_f32 v[20:21], v[2:3], v[164:165] op_sel:[1,1] op_sel_hi:[0,1]
	v_pk_fma_f32 v[22:23], v[2:3], v[164:165], v[20:21] neg_lo:[0,0,1] neg_hi:[0,0,1]
	v_pk_fma_f32 v[2:3], v[2:3], v[164:165], v[20:21] op_sel_hi:[1,0,1]
	v_pk_add_f32 v[18:19], v[18:19], v[184:185]
	v_mov_b32_e32 v23, v3
	v_pk_add_f32 v[2:3], v[18:19], v[22:23]
	v_mov_b32_e32 v18, v167
	v_pk_mul_f32 v[18:19], v[4:5], v[18:19] op_sel:[1,0] op_sel_hi:[0,0]
	v_pk_fma_f32 v[20:21], v[4:5], v[166:167], v[18:19] neg_lo:[0,0,1] neg_hi:[0,0,1]
	v_pk_fma_f32 v[4:5], v[4:5], v[166:167], v[18:19] op_sel_hi:[1,0,1]
	s_nop 0
	v_mov_b32_e32 v21, v5
	s_waitcnt vmcnt(2) lgkmcnt(2)
	v_pk_mul_f32 v[4:5], v[6:7], v[168:169] op_sel:[1,1] op_sel_hi:[0,1]
	v_pk_fma_f32 v[18:19], v[6:7], v[168:169], v[4:5] neg_lo:[0,0,1] neg_hi:[0,0,1]
	v_pk_fma_f32 v[4:5], v[6:7], v[168:169], v[4:5] op_sel_hi:[1,0,1]
	v_pk_add_f32 v[2:3], v[2:3], v[20:21]
	v_mov_b32_e32 v4, v171
	v_mov_b32_e32 v19, v5
	v_pk_mul_f32 v[4:5], v[8:9], v[4:5] op_sel:[1,0] op_sel_hi:[0,0]
	v_pk_fma_f32 v[6:7], v[8:9], v[170:171], v[4:5] neg_lo:[0,0,1] neg_hi:[0,0,1]
	v_pk_fma_f32 v[4:5], v[8:9], v[170:171], v[4:5] op_sel_hi:[1,0,1]
	v_pk_add_f32 v[2:3], v[2:3], v[18:19]
	v_mov_b32_e32 v7, v5
	s_waitcnt vmcnt(1) lgkmcnt(1)
	v_pk_mul_f32 v[4:5], v[10:11], v[172:173] op_sel:[1,1] op_sel_hi:[0,1]
	v_pk_add_f32 v[2:3], v[2:3], v[6:7]
	v_pk_fma_f32 v[6:7], v[10:11], v[172:173], v[4:5] neg_lo:[0,0,1] neg_hi:[0,0,1]
	v_pk_fma_f32 v[4:5], v[10:11], v[172:173], v[4:5] op_sel_hi:[1,0,1]
	s_nop 0
	v_mov_b32_e32 v4, v175
	v_mov_b32_e32 v7, v5
	v_pk_mul_f32 v[4:5], v[12:13], v[4:5] op_sel:[1,0] op_sel_hi:[0,0]
	v_pk_add_f32 v[2:3], v[2:3], v[6:7]
	v_pk_fma_f32 v[6:7], v[12:13], v[174:175], v[4:5] neg_lo:[0,0,1] neg_hi:[0,0,1]
	v_pk_fma_f32 v[4:5], v[12:13], v[174:175], v[4:5] op_sel_hi:[1,0,1]
	s_nop 0
	v_mov_b32_e32 v7, v5
	s_waitcnt vmcnt(0) lgkmcnt(0)
	v_pk_mul_f32 v[4:5], v[14:15], v[176:177] op_sel:[1,1] op_sel_hi:[0,1]
	v_pk_add_f32 v[2:3], v[2:3], v[6:7]
	v_pk_fma_f32 v[6:7], v[14:15], v[176:177], v[4:5] neg_lo:[0,0,1] neg_hi:[0,0,1]
	v_pk_fma_f32 v[4:5], v[14:15], v[176:177], v[4:5] op_sel_hi:[1,0,1]
	s_nop 0
	v_mov_b32_e32 v4, v179
	v_mov_b32_e32 v7, v5
	v_pk_mul_f32 v[4:5], v[16:17], v[4:5] op_sel:[1,0] op_sel_hi:[0,0]
	v_pk_add_f32 v[2:3], v[2:3], v[6:7]
	v_pk_fma_f32 v[6:7], v[16:17], v[178:179], v[4:5] neg_lo:[0,0,1] neg_hi:[0,0,1]
	v_pk_fma_f32 v[4:5], v[16:17], v[178:179], v[4:5] op_sel_hi:[1,0,1]
	s_nop 0
	v_mov_b32_e32 v7, v5
	scratch_load_dwordx2 v[4:5], off, off offset:40
	v_pk_add_f32 v[2:3], v[2:3], v[6:7]
	s_waitcnt vmcnt(0)
	v_pk_add_f32 v[2:3], v[4:5], v[2:3] neg_lo:[0,1] neg_hi:[0,1]
	scratch_store_dwordx2 off, v[2:3], off offset:40
	s_and_saveexec_b64 s[0:1], vcc
	s_cbranch_execz .LBB53_329
; %bb.328:
	scratch_load_dwordx2 v[2:3], off, off offset:32
	v_mov_b32_e32 v4, 0
	v_mov_b32_e32 v5, v4
	scratch_store_dwordx2 off, v[4:5], off offset:32
	s_waitcnt vmcnt(1)
	ds_write_b64 v1, v[2:3]
.LBB53_329:
	s_or_b64 exec, exec, s[0:1]
	s_waitcnt lgkmcnt(0)
	; wave barrier
	scratch_load_dwordx4 v[6:9], off, off offset:40
	scratch_load_dwordx4 v[14:17], off, off offset:56
	;; [unrolled: 1-line block ×10, first 2 shown]
	v_mov_b32_e32 v134, 0
	ds_read2_b64 v[2:5], v134 offset0:59 offset1:60
	scratch_load_dwordx4 v[86:89], off, off offset:200
	scratch_load_dwordx4 v[94:97], off, off offset:216
	;; [unrolled: 1-line block ×11, first 2 shown]
	v_cmp_lt_u32_e32 vcc, 3, v0
	s_waitcnt vmcnt(20) lgkmcnt(0)
	v_mul_f32_e32 v10, v2, v7
	v_fmac_f32_e32 v10, v3, v6
	v_mul_f32_e32 v11, v4, v9
	v_add_f32_e32 v10, 0, v10
	v_fmac_f32_e32 v11, v5, v8
	v_add_f32_e32 v18, v10, v11
	ds_read2_b64 v[10:13], v134 offset0:61 offset1:62
	v_mul_f32_e32 v3, v3, v7
	v_fma_f32 v2, v2, v6, -v3
	v_mul_f32_e32 v3, v5, v9
	v_add_f32_e32 v2, 0, v2
	s_waitcnt vmcnt(19) lgkmcnt(0)
	v_mul_f32_e32 v19, v10, v15
	v_fmac_f32_e32 v19, v11, v14
	v_add_f32_e32 v18, v18, v19
	v_mul_f32_e32 v19, v12, v17
	v_fmac_f32_e32 v19, v13, v16
	v_add_f32_e32 v26, v18, v19
	ds_read2_b64 v[18:21], v134 offset0:63 offset1:64
	v_fma_f32 v3, v4, v8, -v3
	v_add_f32_e32 v2, v2, v3
	v_mul_f32_e32 v3, v11, v15
	v_fma_f32 v3, v10, v14, -v3
	s_waitcnt vmcnt(18) lgkmcnt(0)
	v_mul_f32_e32 v27, v18, v23
	v_fmac_f32_e32 v27, v19, v22
	v_add_f32_e32 v26, v26, v27
	v_mul_f32_e32 v27, v20, v25
	v_fmac_f32_e32 v27, v21, v24
	v_add_f32_e32 v34, v26, v27
	ds_read2_b64 v[26:29], v134 offset0:65 offset1:66
	v_add_f32_e32 v2, v2, v3
	v_mul_f32_e32 v3, v13, v17
	v_fma_f32 v3, v12, v16, -v3
	v_add_f32_e32 v2, v2, v3
	s_waitcnt vmcnt(17) lgkmcnt(0)
	v_mul_f32_e32 v35, v26, v31
	v_fmac_f32_e32 v35, v27, v30
	v_add_f32_e32 v34, v34, v35
	v_mul_f32_e32 v35, v28, v33
	v_fmac_f32_e32 v35, v29, v32
	v_add_f32_e32 v42, v34, v35
	ds_read2_b64 v[34:37], v134 offset0:67 offset1:68
	v_mul_f32_e32 v3, v19, v23
	v_fma_f32 v3, v18, v22, -v3
	v_add_f32_e32 v2, v2, v3
	v_mul_f32_e32 v3, v21, v25
	s_waitcnt vmcnt(16) lgkmcnt(0)
	v_mul_f32_e32 v43, v34, v39
	v_fmac_f32_e32 v43, v35, v38
	v_add_f32_e32 v42, v42, v43
	v_mul_f32_e32 v43, v36, v41
	v_fmac_f32_e32 v43, v37, v40
	v_add_f32_e32 v50, v42, v43
	ds_read2_b64 v[42:45], v134 offset0:69 offset1:70
	v_fma_f32 v3, v20, v24, -v3
	v_add_f32_e32 v2, v2, v3
	v_mul_f32_e32 v3, v27, v31
	v_fma_f32 v3, v26, v30, -v3
	s_waitcnt vmcnt(15) lgkmcnt(0)
	v_mul_f32_e32 v51, v42, v47
	v_fmac_f32_e32 v51, v43, v46
	v_add_f32_e32 v50, v50, v51
	v_mul_f32_e32 v51, v44, v49
	v_fmac_f32_e32 v51, v45, v48
	v_add_f32_e32 v58, v50, v51
	ds_read2_b64 v[50:53], v134 offset0:71 offset1:72
	v_add_f32_e32 v2, v2, v3
	v_mul_f32_e32 v3, v29, v33
	v_fma_f32 v3, v28, v32, -v3
	v_add_f32_e32 v2, v2, v3
	s_waitcnt vmcnt(14) lgkmcnt(0)
	v_mul_f32_e32 v59, v50, v55
	v_fmac_f32_e32 v59, v51, v54
	v_add_f32_e32 v58, v58, v59
	v_mul_f32_e32 v59, v52, v57
	v_fmac_f32_e32 v59, v53, v56
	v_add_f32_e32 v66, v58, v59
	ds_read2_b64 v[58:61], v134 offset0:73 offset1:74
	v_mul_f32_e32 v3, v35, v39
	v_fma_f32 v3, v34, v38, -v3
	v_add_f32_e32 v2, v2, v3
	v_mul_f32_e32 v3, v37, v41
	;; [unrolled: 36-line block ×6, first 2 shown]
	s_waitcnt vmcnt(1) lgkmcnt(0)
	v_mul_f32_e32 v164, v156, v161
	v_fmac_f32_e32 v164, v157, v160
	v_add_f32_e32 v185, v135, v164
	ds_read2_b64 v[164:167], v134 offset0:99 offset1:100
	scratch_load_dwordx4 v[172:175], off, off offset:376
	scratch_load_dwordx4 v[176:179], off, off offset:392
	scratch_load_dwordx4 v[180:183], off, off offset:408
	scratch_load_dwordx2 v[190:191], off, off offset:424
	v_fma_f32 v3, v100, v104, -v3
	v_add_f32_e32 v2, v2, v3
	v_mul_f32_e32 v3, v107, v111
	v_fma_f32 v3, v106, v110, -v3
	v_add_f32_e32 v2, v2, v3
	v_mul_f32_e32 v3, v109, v113
	;; [unrolled: 3-line block ×14, first 2 shown]
	v_mul_f32_e32 v187, v158, v163
	v_fma_f32 v186, v158, v162, -v2
	s_waitcnt vmcnt(4) lgkmcnt(0)
	v_mul_f32_e32 v2, v165, v169
	v_mov_b32_e32 v18, v171
	v_fmac_f32_e32 v187, v159, v162
	v_mul_f32_e32 v189, v164, v169
	v_fma_f32 v188, v164, v168, -v2
	ds_read2_b64 v[2:5], v134 offset0:101 offset1:102
	ds_read2_b64 v[6:9], v134 offset0:103 offset1:104
	;; [unrolled: 1-line block ×3, first 2 shown]
	ds_read_b64 v[14:15], v134 offset:856
	v_pk_mul_f32 v[18:19], v[166:167], v[18:19] op_sel:[1,0] op_sel_hi:[0,0]
	v_fmac_f32_e32 v189, v165, v168
	v_pk_add_f32 v[16:17], v[184:185], v[186:187]
	v_pk_fma_f32 v[20:21], v[166:167], v[170:171], v[18:19] neg_lo:[0,0,1] neg_hi:[0,0,1]
	v_pk_fma_f32 v[18:19], v[166:167], v[170:171], v[18:19] op_sel_hi:[1,0,1]
	v_pk_add_f32 v[16:17], v[16:17], v[188:189]
	v_mov_b32_e32 v21, v19
	v_pk_add_f32 v[16:17], v[16:17], v[20:21]
	s_waitcnt vmcnt(3) lgkmcnt(3)
	v_pk_mul_f32 v[18:19], v[2:3], v[172:173] op_sel:[1,1] op_sel_hi:[0,1]
	v_pk_fma_f32 v[20:21], v[2:3], v[172:173], v[18:19] neg_lo:[0,0,1] neg_hi:[0,0,1]
	v_pk_fma_f32 v[2:3], v[2:3], v[172:173], v[18:19] op_sel_hi:[1,0,1]
	s_nop 0
	v_mov_b32_e32 v21, v3
	v_pk_add_f32 v[2:3], v[16:17], v[20:21]
	v_mov_b32_e32 v16, v175
	v_pk_mul_f32 v[16:17], v[4:5], v[16:17] op_sel:[1,0] op_sel_hi:[0,0]
	v_pk_fma_f32 v[18:19], v[4:5], v[174:175], v[16:17] neg_lo:[0,0,1] neg_hi:[0,0,1]
	v_pk_fma_f32 v[4:5], v[4:5], v[174:175], v[16:17] op_sel_hi:[1,0,1]
	s_nop 0
	v_mov_b32_e32 v19, v5
	s_waitcnt vmcnt(2) lgkmcnt(2)
	v_pk_mul_f32 v[4:5], v[6:7], v[176:177] op_sel:[1,1] op_sel_hi:[0,1]
	v_pk_fma_f32 v[16:17], v[6:7], v[176:177], v[4:5] neg_lo:[0,0,1] neg_hi:[0,0,1]
	v_pk_fma_f32 v[4:5], v[6:7], v[176:177], v[4:5] op_sel_hi:[1,0,1]
	v_pk_add_f32 v[2:3], v[2:3], v[18:19]
	v_mov_b32_e32 v4, v179
	v_mov_b32_e32 v17, v5
	v_pk_mul_f32 v[4:5], v[8:9], v[4:5] op_sel:[1,0] op_sel_hi:[0,0]
	v_pk_fma_f32 v[6:7], v[8:9], v[178:179], v[4:5] neg_lo:[0,0,1] neg_hi:[0,0,1]
	v_pk_fma_f32 v[4:5], v[8:9], v[178:179], v[4:5] op_sel_hi:[1,0,1]
	v_pk_add_f32 v[2:3], v[2:3], v[16:17]
	v_mov_b32_e32 v7, v5
	s_waitcnt vmcnt(1) lgkmcnt(1)
	v_pk_mul_f32 v[4:5], v[10:11], v[180:181] op_sel:[1,1] op_sel_hi:[0,1]
	v_pk_add_f32 v[2:3], v[2:3], v[6:7]
	v_pk_fma_f32 v[6:7], v[10:11], v[180:181], v[4:5] neg_lo:[0,0,1] neg_hi:[0,0,1]
	v_pk_fma_f32 v[4:5], v[10:11], v[180:181], v[4:5] op_sel_hi:[1,0,1]
	s_nop 0
	v_mov_b32_e32 v4, v183
	v_mov_b32_e32 v7, v5
	v_pk_mul_f32 v[4:5], v[12:13], v[4:5] op_sel:[1,0] op_sel_hi:[0,0]
	v_pk_add_f32 v[2:3], v[2:3], v[6:7]
	v_pk_fma_f32 v[6:7], v[12:13], v[182:183], v[4:5] neg_lo:[0,0,1] neg_hi:[0,0,1]
	v_pk_fma_f32 v[4:5], v[12:13], v[182:183], v[4:5] op_sel_hi:[1,0,1]
	s_nop 0
	v_mov_b32_e32 v7, v5
	s_waitcnt vmcnt(0) lgkmcnt(0)
	v_pk_mul_f32 v[4:5], v[14:15], v[190:191] op_sel:[1,1] op_sel_hi:[0,1]
	v_pk_add_f32 v[2:3], v[2:3], v[6:7]
	v_pk_fma_f32 v[6:7], v[14:15], v[190:191], v[4:5] neg_lo:[0,0,1] neg_hi:[0,0,1]
	v_pk_fma_f32 v[4:5], v[14:15], v[190:191], v[4:5] op_sel_hi:[1,0,1]
	s_nop 0
	v_mov_b32_e32 v7, v5
	scratch_load_dwordx2 v[4:5], off, off offset:32
	v_pk_add_f32 v[2:3], v[2:3], v[6:7]
	s_waitcnt vmcnt(0)
	v_pk_add_f32 v[2:3], v[4:5], v[2:3] neg_lo:[0,1] neg_hi:[0,1]
	scratch_store_dwordx2 off, v[2:3], off offset:32
	s_and_saveexec_b64 s[0:1], vcc
	s_cbranch_execz .LBB53_331
; %bb.330:
	scratch_load_dwordx2 v[2:3], off, off offset:24
	v_mov_b32_e32 v135, v134
	scratch_store_dwordx2 off, v[134:135], off offset:24
	s_waitcnt vmcnt(1)
	ds_write_b64 v1, v[2:3]
.LBB53_331:
	s_or_b64 exec, exec, s[0:1]
	s_waitcnt lgkmcnt(0)
	; wave barrier
	ds_read_b128 v[14:17], v134 offset:464
	ds_read_b128 v[10:13], v134 offset:480
	;; [unrolled: 1-line block ×4, first 2 shown]
	scratch_load_dwordx4 v[18:21], off, off offset:32
	scratch_load_dwordx4 v[38:41], off, off offset:96
	;; [unrolled: 1-line block ×15, first 2 shown]
	v_cmp_lt_u32_e32 vcc, 2, v0
	scratch_load_dwordx4 v[46:49], off, off offset:112
	scratch_load_dwordx4 v[54:57], off, off offset:128
	;; [unrolled: 1-line block ×3, first 2 shown]
	s_waitcnt vmcnt(17) lgkmcnt(3)
	v_mul_f32_e32 v22, v14, v19
	v_fmac_f32_e32 v22, v15, v18
	v_mul_f32_e32 v23, v16, v21
	v_add_f32_e32 v22, 0, v22
	v_fmac_f32_e32 v23, v17, v20
	v_add_f32_e32 v26, v22, v23
	scratch_load_dwordx4 v[22:25], off, off offset:48
	v_mul_f32_e32 v15, v15, v19
	v_fma_f32 v14, v14, v18, -v15
	v_mul_f32_e32 v15, v17, v21
	v_add_f32_e32 v14, 0, v14
	v_fma_f32 v15, v16, v20, -v15
	v_add_f32_e32 v14, v14, v15
	s_waitcnt vmcnt(0) lgkmcnt(2)
	v_mul_f32_e32 v27, v10, v23
	v_fmac_f32_e32 v27, v11, v22
	v_add_f32_e32 v26, v26, v27
	v_mul_f32_e32 v27, v12, v25
	v_fmac_f32_e32 v27, v13, v24
	v_add_f32_e32 v30, v26, v27
	scratch_load_dwordx4 v[26:29], off, off offset:64
	v_mul_f32_e32 v11, v11, v23
	v_fma_f32 v10, v10, v22, -v11
	v_mul_f32_e32 v11, v13, v25
	v_add_f32_e32 v10, v14, v10
	v_fma_f32 v11, v12, v24, -v11
	v_add_f32_e32 v10, v10, v11
	s_waitcnt vmcnt(0) lgkmcnt(1)
	v_mul_f32_e32 v31, v6, v27
	v_fmac_f32_e32 v31, v7, v26
	v_add_f32_e32 v30, v30, v31
	v_mul_f32_e32 v31, v8, v29
	;; [unrolled: 14-line block ×3, first 2 shown]
	v_fmac_f32_e32 v35, v5, v32
	v_add_f32_e32 v42, v34, v35
	ds_read_b128 v[34:37], v134 offset:528
	v_mul_f32_e32 v3, v3, v31
	v_fma_f32 v2, v2, v30, -v3
	v_mul_f32_e32 v3, v5, v33
	v_add_f32_e32 v2, v6, v2
	s_waitcnt lgkmcnt(0)
	v_mul_f32_e32 v43, v34, v39
	v_fmac_f32_e32 v43, v35, v38
	v_add_f32_e32 v42, v42, v43
	v_mul_f32_e32 v43, v36, v41
	v_fmac_f32_e32 v43, v37, v40
	v_add_f32_e32 v50, v42, v43
	ds_read_b128 v[42:45], v134 offset:544
	v_fma_f32 v3, v4, v32, -v3
	v_add_f32_e32 v2, v2, v3
	v_mul_f32_e32 v3, v35, v39
	v_fma_f32 v3, v34, v38, -v3
	s_waitcnt lgkmcnt(0)
	v_mul_f32_e32 v51, v42, v47
	v_fmac_f32_e32 v51, v43, v46
	v_add_f32_e32 v50, v50, v51
	v_mul_f32_e32 v51, v44, v49
	v_fmac_f32_e32 v51, v45, v48
	v_add_f32_e32 v58, v50, v51
	ds_read_b128 v[50:53], v134 offset:560
	v_add_f32_e32 v2, v2, v3
	v_mul_f32_e32 v3, v37, v41
	v_fma_f32 v3, v36, v40, -v3
	v_add_f32_e32 v2, v2, v3
	s_waitcnt lgkmcnt(0)
	v_mul_f32_e32 v59, v50, v55
	v_fmac_f32_e32 v59, v51, v54
	v_add_f32_e32 v58, v58, v59
	v_mul_f32_e32 v59, v52, v57
	v_fmac_f32_e32 v59, v53, v56
	v_add_f32_e32 v66, v58, v59
	ds_read_b128 v[58:61], v134 offset:576
	v_mul_f32_e32 v3, v43, v47
	v_fma_f32 v3, v42, v46, -v3
	v_add_f32_e32 v2, v2, v3
	v_mul_f32_e32 v3, v45, v49
	s_waitcnt lgkmcnt(0)
	v_mul_f32_e32 v67, v58, v63
	v_fmac_f32_e32 v67, v59, v62
	v_add_f32_e32 v66, v66, v67
	v_mul_f32_e32 v67, v60, v65
	v_fmac_f32_e32 v67, v61, v64
	v_add_f32_e32 v74, v66, v67
	ds_read_b128 v[66:69], v134 offset:592
	v_fma_f32 v3, v44, v48, -v3
	v_add_f32_e32 v2, v2, v3
	v_mul_f32_e32 v3, v51, v55
	v_fma_f32 v3, v50, v54, -v3
	s_waitcnt lgkmcnt(0)
	v_mul_f32_e32 v75, v66, v71
	v_fmac_f32_e32 v75, v67, v70
	v_add_f32_e32 v74, v74, v75
	v_mul_f32_e32 v75, v68, v73
	v_fmac_f32_e32 v75, v69, v72
	v_add_f32_e32 v82, v74, v75
	ds_read_b128 v[74:77], v134 offset:608
	v_add_f32_e32 v2, v2, v3
	v_mul_f32_e32 v3, v53, v57
	v_fma_f32 v3, v52, v56, -v3
	v_add_f32_e32 v2, v2, v3
	s_waitcnt lgkmcnt(0)
	v_mul_f32_e32 v83, v74, v79
	v_fmac_f32_e32 v83, v75, v78
	v_add_f32_e32 v82, v82, v83
	v_mul_f32_e32 v83, v76, v81
	v_fmac_f32_e32 v83, v77, v80
	v_add_f32_e32 v90, v82, v83
	ds_read_b128 v[82:85], v134 offset:624
	v_mul_f32_e32 v3, v59, v63
	v_fma_f32 v3, v58, v62, -v3
	v_add_f32_e32 v2, v2, v3
	v_mul_f32_e32 v3, v61, v65
	;; [unrolled: 36-line block ×5, first 2 shown]
	s_waitcnt lgkmcnt(0)
	v_mul_f32_e32 v164, v156, v161
	v_fmac_f32_e32 v164, v157, v160
	v_add_f32_e32 v135, v135, v164
	v_mul_f32_e32 v164, v158, v163
	v_fmac_f32_e32 v164, v159, v162
	v_add_f32_e32 v189, v135, v164
	ds_read_b128 v[164:167], v134 offset:784
	scratch_load_dwordx4 v[172:175], off, off offset:368
	scratch_load_dwordx4 v[176:179], off, off offset:384
	;; [unrolled: 1-line block ×4, first 2 shown]
	v_fma_f32 v3, v108, v112, -v3
	v_add_f32_e32 v2, v2, v3
	v_mul_f32_e32 v3, v115, v119
	v_fma_f32 v3, v114, v118, -v3
	v_add_f32_e32 v2, v2, v3
	v_mul_f32_e32 v3, v117, v121
	;; [unrolled: 3-line block ×12, first 2 shown]
	v_fma_f32 v3, v158, v162, -v3
	v_add_f32_e32 v188, v2, v3
	s_waitcnt lgkmcnt(0)
	v_mul_f32_e32 v2, v165, v169
	v_fma_f32 v190, v164, v168, -v2
	v_mul_f32_e32 v2, v167, v171
	v_fma_f32 v192, v166, v170, -v2
	ds_read_b128 v[2:5], v134 offset:800
	ds_read_b128 v[6:9], v134 offset:816
	;; [unrolled: 1-line block ×4, first 2 shown]
	v_mul_f32_e32 v191, v164, v169
	v_fmac_f32_e32 v191, v165, v168
	v_mul_f32_e32 v193, v166, v171
	v_fmac_f32_e32 v193, v167, v170
	v_pk_add_f32 v[18:19], v[188:189], v[190:191]
	s_waitcnt vmcnt(3) lgkmcnt(3)
	v_pk_mul_f32 v[20:21], v[2:3], v[172:173] op_sel:[1,1] op_sel_hi:[0,1]
	v_pk_fma_f32 v[22:23], v[2:3], v[172:173], v[20:21] neg_lo:[0,0,1] neg_hi:[0,0,1]
	v_pk_fma_f32 v[2:3], v[2:3], v[172:173], v[20:21] op_sel_hi:[1,0,1]
	v_pk_add_f32 v[18:19], v[18:19], v[192:193]
	v_mov_b32_e32 v23, v3
	v_pk_add_f32 v[2:3], v[18:19], v[22:23]
	v_mov_b32_e32 v18, v175
	v_pk_mul_f32 v[18:19], v[4:5], v[18:19] op_sel:[1,0] op_sel_hi:[0,0]
	v_pk_fma_f32 v[20:21], v[4:5], v[174:175], v[18:19] neg_lo:[0,0,1] neg_hi:[0,0,1]
	v_pk_fma_f32 v[4:5], v[4:5], v[174:175], v[18:19] op_sel_hi:[1,0,1]
	s_nop 0
	v_mov_b32_e32 v21, v5
	s_waitcnt vmcnt(2) lgkmcnt(2)
	v_pk_mul_f32 v[4:5], v[6:7], v[176:177] op_sel:[1,1] op_sel_hi:[0,1]
	v_pk_fma_f32 v[18:19], v[6:7], v[176:177], v[4:5] neg_lo:[0,0,1] neg_hi:[0,0,1]
	v_pk_fma_f32 v[4:5], v[6:7], v[176:177], v[4:5] op_sel_hi:[1,0,1]
	v_pk_add_f32 v[2:3], v[2:3], v[20:21]
	v_mov_b32_e32 v4, v179
	v_mov_b32_e32 v19, v5
	v_pk_mul_f32 v[4:5], v[8:9], v[4:5] op_sel:[1,0] op_sel_hi:[0,0]
	v_pk_fma_f32 v[6:7], v[8:9], v[178:179], v[4:5] neg_lo:[0,0,1] neg_hi:[0,0,1]
	v_pk_fma_f32 v[4:5], v[8:9], v[178:179], v[4:5] op_sel_hi:[1,0,1]
	v_pk_add_f32 v[2:3], v[2:3], v[18:19]
	v_mov_b32_e32 v7, v5
	s_waitcnt vmcnt(1) lgkmcnt(1)
	v_pk_mul_f32 v[4:5], v[10:11], v[180:181] op_sel:[1,1] op_sel_hi:[0,1]
	v_pk_add_f32 v[2:3], v[2:3], v[6:7]
	v_pk_fma_f32 v[6:7], v[10:11], v[180:181], v[4:5] neg_lo:[0,0,1] neg_hi:[0,0,1]
	v_pk_fma_f32 v[4:5], v[10:11], v[180:181], v[4:5] op_sel_hi:[1,0,1]
	s_nop 0
	v_mov_b32_e32 v4, v183
	v_mov_b32_e32 v7, v5
	v_pk_mul_f32 v[4:5], v[12:13], v[4:5] op_sel:[1,0] op_sel_hi:[0,0]
	v_pk_add_f32 v[2:3], v[2:3], v[6:7]
	v_pk_fma_f32 v[6:7], v[12:13], v[182:183], v[4:5] neg_lo:[0,0,1] neg_hi:[0,0,1]
	v_pk_fma_f32 v[4:5], v[12:13], v[182:183], v[4:5] op_sel_hi:[1,0,1]
	s_nop 0
	v_mov_b32_e32 v7, v5
	s_waitcnt vmcnt(0) lgkmcnt(0)
	v_pk_mul_f32 v[4:5], v[14:15], v[184:185] op_sel:[1,1] op_sel_hi:[0,1]
	v_pk_add_f32 v[2:3], v[2:3], v[6:7]
	v_pk_fma_f32 v[6:7], v[14:15], v[184:185], v[4:5] neg_lo:[0,0,1] neg_hi:[0,0,1]
	v_pk_fma_f32 v[4:5], v[14:15], v[184:185], v[4:5] op_sel_hi:[1,0,1]
	s_nop 0
	v_mov_b32_e32 v4, v187
	v_mov_b32_e32 v7, v5
	v_pk_mul_f32 v[4:5], v[16:17], v[4:5] op_sel:[1,0] op_sel_hi:[0,0]
	v_pk_add_f32 v[2:3], v[2:3], v[6:7]
	v_pk_fma_f32 v[6:7], v[16:17], v[186:187], v[4:5] neg_lo:[0,0,1] neg_hi:[0,0,1]
	v_pk_fma_f32 v[4:5], v[16:17], v[186:187], v[4:5] op_sel_hi:[1,0,1]
	s_nop 0
	v_mov_b32_e32 v7, v5
	scratch_load_dwordx2 v[4:5], off, off offset:24
	v_pk_add_f32 v[2:3], v[2:3], v[6:7]
	s_waitcnt vmcnt(0)
	v_pk_add_f32 v[2:3], v[4:5], v[2:3] neg_lo:[0,1] neg_hi:[0,1]
	scratch_store_dwordx2 off, v[2:3], off offset:24
	s_and_saveexec_b64 s[0:1], vcc
	s_cbranch_execz .LBB53_333
; %bb.332:
	scratch_load_dwordx2 v[2:3], off, off offset:16
	v_mov_b32_e32 v4, 0
	v_mov_b32_e32 v5, v4
	scratch_store_dwordx2 off, v[4:5], off offset:16
	s_waitcnt vmcnt(1)
	ds_write_b64 v1, v[2:3]
.LBB53_333:
	s_or_b64 exec, exec, s[0:1]
	s_waitcnt lgkmcnt(0)
	; wave barrier
	scratch_load_dwordx4 v[6:9], off, off offset:24
	scratch_load_dwordx4 v[14:17], off, off offset:40
	;; [unrolled: 1-line block ×10, first 2 shown]
	v_mov_b32_e32 v142, 0
	ds_read2_b64 v[2:5], v142 offset0:57 offset1:58
	scratch_load_dwordx4 v[86:89], off, off offset:184
	scratch_load_dwordx4 v[94:97], off, off offset:200
	;; [unrolled: 1-line block ×12, first 2 shown]
	v_cmp_lt_u32_e32 vcc, 1, v0
	s_waitcnt vmcnt(21) lgkmcnt(0)
	v_mul_f32_e32 v10, v2, v7
	v_fmac_f32_e32 v10, v3, v6
	v_mul_f32_e32 v11, v4, v9
	v_add_f32_e32 v10, 0, v10
	v_fmac_f32_e32 v11, v5, v8
	v_add_f32_e32 v18, v10, v11
	ds_read2_b64 v[10:13], v142 offset0:59 offset1:60
	v_mul_f32_e32 v3, v3, v7
	v_fma_f32 v2, v2, v6, -v3
	v_mul_f32_e32 v3, v5, v9
	v_add_f32_e32 v2, 0, v2
	s_waitcnt vmcnt(20) lgkmcnt(0)
	v_mul_f32_e32 v19, v10, v15
	v_fmac_f32_e32 v19, v11, v14
	v_add_f32_e32 v18, v18, v19
	v_mul_f32_e32 v19, v12, v17
	v_fmac_f32_e32 v19, v13, v16
	v_add_f32_e32 v26, v18, v19
	ds_read2_b64 v[18:21], v142 offset0:61 offset1:62
	v_fma_f32 v3, v4, v8, -v3
	v_add_f32_e32 v2, v2, v3
	v_mul_f32_e32 v3, v11, v15
	v_fma_f32 v3, v10, v14, -v3
	s_waitcnt vmcnt(19) lgkmcnt(0)
	v_mul_f32_e32 v27, v18, v23
	v_fmac_f32_e32 v27, v19, v22
	v_add_f32_e32 v26, v26, v27
	v_mul_f32_e32 v27, v20, v25
	v_fmac_f32_e32 v27, v21, v24
	v_add_f32_e32 v34, v26, v27
	ds_read2_b64 v[26:29], v142 offset0:63 offset1:64
	v_add_f32_e32 v2, v2, v3
	v_mul_f32_e32 v3, v13, v17
	v_fma_f32 v3, v12, v16, -v3
	v_add_f32_e32 v2, v2, v3
	s_waitcnt vmcnt(18) lgkmcnt(0)
	v_mul_f32_e32 v35, v26, v31
	v_fmac_f32_e32 v35, v27, v30
	v_add_f32_e32 v34, v34, v35
	v_mul_f32_e32 v35, v28, v33
	v_fmac_f32_e32 v35, v29, v32
	v_add_f32_e32 v42, v34, v35
	ds_read2_b64 v[34:37], v142 offset0:65 offset1:66
	v_mul_f32_e32 v3, v19, v23
	v_fma_f32 v3, v18, v22, -v3
	v_add_f32_e32 v2, v2, v3
	v_mul_f32_e32 v3, v21, v25
	s_waitcnt vmcnt(17) lgkmcnt(0)
	v_mul_f32_e32 v43, v34, v39
	v_fmac_f32_e32 v43, v35, v38
	v_add_f32_e32 v42, v42, v43
	v_mul_f32_e32 v43, v36, v41
	v_fmac_f32_e32 v43, v37, v40
	v_add_f32_e32 v50, v42, v43
	ds_read2_b64 v[42:45], v142 offset0:67 offset1:68
	v_fma_f32 v3, v20, v24, -v3
	v_add_f32_e32 v2, v2, v3
	v_mul_f32_e32 v3, v27, v31
	v_fma_f32 v3, v26, v30, -v3
	s_waitcnt vmcnt(16) lgkmcnt(0)
	v_mul_f32_e32 v51, v42, v47
	v_fmac_f32_e32 v51, v43, v46
	v_add_f32_e32 v50, v50, v51
	v_mul_f32_e32 v51, v44, v49
	v_fmac_f32_e32 v51, v45, v48
	v_add_f32_e32 v58, v50, v51
	ds_read2_b64 v[50:53], v142 offset0:69 offset1:70
	v_add_f32_e32 v2, v2, v3
	v_mul_f32_e32 v3, v29, v33
	v_fma_f32 v3, v28, v32, -v3
	v_add_f32_e32 v2, v2, v3
	s_waitcnt vmcnt(15) lgkmcnt(0)
	v_mul_f32_e32 v59, v50, v55
	v_fmac_f32_e32 v59, v51, v54
	v_add_f32_e32 v58, v58, v59
	v_mul_f32_e32 v59, v52, v57
	v_fmac_f32_e32 v59, v53, v56
	v_add_f32_e32 v66, v58, v59
	ds_read2_b64 v[58:61], v142 offset0:71 offset1:72
	v_mul_f32_e32 v3, v35, v39
	v_fma_f32 v3, v34, v38, -v3
	v_add_f32_e32 v2, v2, v3
	v_mul_f32_e32 v3, v37, v41
	;; [unrolled: 36-line block ×6, first 2 shown]
	s_waitcnt vmcnt(2) lgkmcnt(0)
	v_mul_f32_e32 v164, v156, v161
	v_fmac_f32_e32 v164, v157, v160
	v_add_f32_e32 v143, v143, v164
	v_mul_f32_e32 v164, v158, v163
	v_fmac_f32_e32 v164, v159, v162
	v_add_f32_e32 v143, v143, v164
	ds_read2_b64 v[164:167], v142 offset0:97 offset1:98
	v_fma_f32 v3, v100, v104, -v3
	v_add_f32_e32 v2, v2, v3
	v_mul_f32_e32 v3, v107, v111
	v_fma_f32 v3, v106, v110, -v3
	s_waitcnt vmcnt(1) lgkmcnt(0)
	v_mul_f32_e32 v172, v164, v169
	v_fmac_f32_e32 v172, v165, v168
	v_add_f32_e32 v193, v143, v172
	ds_read2_b64 v[172:175], v142 offset0:99 offset1:100
	scratch_load_dwordx4 v[180:183], off, off offset:376
	scratch_load_dwordx4 v[184:187], off, off offset:392
	;; [unrolled: 1-line block ×3, first 2 shown]
	scratch_load_dwordx2 v[198:199], off, off offset:424
	v_add_f32_e32 v2, v2, v3
	v_mul_f32_e32 v3, v109, v113
	v_fma_f32 v3, v108, v112, -v3
	v_add_f32_e32 v2, v2, v3
	v_mul_f32_e32 v3, v115, v119
	v_fma_f32 v3, v114, v118, -v3
	;; [unrolled: 3-line block ×14, first 2 shown]
	v_add_f32_e32 v192, v2, v3
	v_mul_f32_e32 v2, v167, v171
	v_mul_f32_e32 v195, v166, v171
	v_fma_f32 v194, v166, v170, -v2
	s_waitcnt vmcnt(4) lgkmcnt(0)
	v_mul_f32_e32 v2, v173, v177
	v_mov_b32_e32 v18, v179
	v_fmac_f32_e32 v195, v167, v170
	v_mul_f32_e32 v197, v172, v177
	v_fma_f32 v196, v172, v176, -v2
	ds_read2_b64 v[2:5], v142 offset0:101 offset1:102
	ds_read2_b64 v[6:9], v142 offset0:103 offset1:104
	;; [unrolled: 1-line block ×3, first 2 shown]
	ds_read_b64 v[14:15], v142 offset:856
	v_pk_mul_f32 v[18:19], v[174:175], v[18:19] op_sel:[1,0] op_sel_hi:[0,0]
	v_fmac_f32_e32 v197, v173, v176
	v_pk_add_f32 v[16:17], v[192:193], v[194:195]
	v_pk_fma_f32 v[20:21], v[174:175], v[178:179], v[18:19] neg_lo:[0,0,1] neg_hi:[0,0,1]
	v_pk_fma_f32 v[18:19], v[174:175], v[178:179], v[18:19] op_sel_hi:[1,0,1]
	v_pk_add_f32 v[16:17], v[16:17], v[196:197]
	v_mov_b32_e32 v21, v19
	v_pk_add_f32 v[16:17], v[16:17], v[20:21]
	s_waitcnt vmcnt(3) lgkmcnt(3)
	v_pk_mul_f32 v[18:19], v[2:3], v[180:181] op_sel:[1,1] op_sel_hi:[0,1]
	v_pk_fma_f32 v[20:21], v[2:3], v[180:181], v[18:19] neg_lo:[0,0,1] neg_hi:[0,0,1]
	v_pk_fma_f32 v[2:3], v[2:3], v[180:181], v[18:19] op_sel_hi:[1,0,1]
	s_nop 0
	v_mov_b32_e32 v21, v3
	v_pk_add_f32 v[2:3], v[16:17], v[20:21]
	v_mov_b32_e32 v16, v183
	v_pk_mul_f32 v[16:17], v[4:5], v[16:17] op_sel:[1,0] op_sel_hi:[0,0]
	v_pk_fma_f32 v[18:19], v[4:5], v[182:183], v[16:17] neg_lo:[0,0,1] neg_hi:[0,0,1]
	v_pk_fma_f32 v[4:5], v[4:5], v[182:183], v[16:17] op_sel_hi:[1,0,1]
	s_nop 0
	v_mov_b32_e32 v19, v5
	s_waitcnt vmcnt(2) lgkmcnt(2)
	v_pk_mul_f32 v[4:5], v[6:7], v[184:185] op_sel:[1,1] op_sel_hi:[0,1]
	v_pk_fma_f32 v[16:17], v[6:7], v[184:185], v[4:5] neg_lo:[0,0,1] neg_hi:[0,0,1]
	v_pk_fma_f32 v[4:5], v[6:7], v[184:185], v[4:5] op_sel_hi:[1,0,1]
	v_pk_add_f32 v[2:3], v[2:3], v[18:19]
	v_mov_b32_e32 v4, v187
	v_mov_b32_e32 v17, v5
	v_pk_mul_f32 v[4:5], v[8:9], v[4:5] op_sel:[1,0] op_sel_hi:[0,0]
	v_pk_fma_f32 v[6:7], v[8:9], v[186:187], v[4:5] neg_lo:[0,0,1] neg_hi:[0,0,1]
	v_pk_fma_f32 v[4:5], v[8:9], v[186:187], v[4:5] op_sel_hi:[1,0,1]
	v_pk_add_f32 v[2:3], v[2:3], v[16:17]
	v_mov_b32_e32 v7, v5
	s_waitcnt vmcnt(1) lgkmcnt(1)
	v_pk_mul_f32 v[4:5], v[10:11], v[188:189] op_sel:[1,1] op_sel_hi:[0,1]
	v_pk_add_f32 v[2:3], v[2:3], v[6:7]
	v_pk_fma_f32 v[6:7], v[10:11], v[188:189], v[4:5] neg_lo:[0,0,1] neg_hi:[0,0,1]
	v_pk_fma_f32 v[4:5], v[10:11], v[188:189], v[4:5] op_sel_hi:[1,0,1]
	s_nop 0
	v_mov_b32_e32 v4, v191
	v_mov_b32_e32 v7, v5
	v_pk_mul_f32 v[4:5], v[12:13], v[4:5] op_sel:[1,0] op_sel_hi:[0,0]
	v_pk_add_f32 v[2:3], v[2:3], v[6:7]
	v_pk_fma_f32 v[6:7], v[12:13], v[190:191], v[4:5] neg_lo:[0,0,1] neg_hi:[0,0,1]
	v_pk_fma_f32 v[4:5], v[12:13], v[190:191], v[4:5] op_sel_hi:[1,0,1]
	s_nop 0
	v_mov_b32_e32 v7, v5
	s_waitcnt vmcnt(0) lgkmcnt(0)
	v_pk_mul_f32 v[4:5], v[14:15], v[198:199] op_sel:[1,1] op_sel_hi:[0,1]
	v_pk_add_f32 v[2:3], v[2:3], v[6:7]
	v_pk_fma_f32 v[6:7], v[14:15], v[198:199], v[4:5] neg_lo:[0,0,1] neg_hi:[0,0,1]
	v_pk_fma_f32 v[4:5], v[14:15], v[198:199], v[4:5] op_sel_hi:[1,0,1]
	s_nop 0
	v_mov_b32_e32 v7, v5
	scratch_load_dwordx2 v[4:5], off, off offset:16
	v_pk_add_f32 v[2:3], v[2:3], v[6:7]
	s_waitcnt vmcnt(0)
	v_pk_add_f32 v[2:3], v[4:5], v[2:3] neg_lo:[0,1] neg_hi:[0,1]
	scratch_store_dwordx2 off, v[2:3], off offset:16
	s_and_saveexec_b64 s[0:1], vcc
	s_cbranch_execz .LBB53_335
; %bb.334:
	scratch_load_dwordx2 v[2:3], off, off offset:8
	v_mov_b32_e32 v143, v142
	scratch_store_dwordx2 off, v[142:143], off offset:8
	s_waitcnt vmcnt(1)
	ds_write_b64 v1, v[2:3]
.LBB53_335:
	s_or_b64 exec, exec, s[0:1]
	s_waitcnt lgkmcnt(0)
	; wave barrier
	ds_read_b128 v[14:17], v142 offset:448
	ds_read_b128 v[10:13], v142 offset:464
	ds_read_b128 v[6:9], v142 offset:480
	ds_read_b128 v[2:5], v142 offset:496
	scratch_load_dwordx4 v[18:21], off, off offset:16
	scratch_load_dwordx4 v[38:41], off, off offset:80
	;; [unrolled: 1-line block ×16, first 2 shown]
	v_cmp_ne_u32_e32 vcc, 0, v0
	scratch_load_dwordx4 v[46:49], off, off offset:96
	scratch_load_dwordx4 v[54:57], off, off offset:112
	;; [unrolled: 1-line block ×3, first 2 shown]
	s_waitcnt vmcnt(18) lgkmcnt(3)
	v_mul_f32_e32 v22, v14, v19
	v_fmac_f32_e32 v22, v15, v18
	v_mul_f32_e32 v23, v16, v21
	v_add_f32_e32 v22, 0, v22
	v_fmac_f32_e32 v23, v17, v20
	v_add_f32_e32 v26, v22, v23
	scratch_load_dwordx4 v[22:25], off, off offset:32
	v_mul_f32_e32 v15, v15, v19
	v_fma_f32 v14, v14, v18, -v15
	v_mul_f32_e32 v15, v17, v21
	v_add_f32_e32 v14, 0, v14
	v_fma_f32 v15, v16, v20, -v15
	v_add_f32_e32 v14, v14, v15
	s_waitcnt vmcnt(0) lgkmcnt(2)
	v_mul_f32_e32 v27, v10, v23
	v_fmac_f32_e32 v27, v11, v22
	v_add_f32_e32 v26, v26, v27
	v_mul_f32_e32 v27, v12, v25
	v_fmac_f32_e32 v27, v13, v24
	v_add_f32_e32 v30, v26, v27
	scratch_load_dwordx4 v[26:29], off, off offset:48
	v_mul_f32_e32 v11, v11, v23
	v_fma_f32 v10, v10, v22, -v11
	v_mul_f32_e32 v11, v13, v25
	v_add_f32_e32 v10, v14, v10
	v_fma_f32 v11, v12, v24, -v11
	v_add_f32_e32 v10, v10, v11
	s_waitcnt vmcnt(0) lgkmcnt(1)
	v_mul_f32_e32 v31, v6, v27
	v_fmac_f32_e32 v31, v7, v26
	v_add_f32_e32 v30, v30, v31
	v_mul_f32_e32 v31, v8, v29
	;; [unrolled: 14-line block ×3, first 2 shown]
	v_fmac_f32_e32 v35, v5, v32
	v_add_f32_e32 v42, v34, v35
	ds_read_b128 v[34:37], v142 offset:512
	v_mul_f32_e32 v3, v3, v31
	v_fma_f32 v2, v2, v30, -v3
	v_mul_f32_e32 v3, v5, v33
	v_add_f32_e32 v2, v6, v2
	s_waitcnt lgkmcnt(0)
	v_mul_f32_e32 v43, v34, v39
	v_fmac_f32_e32 v43, v35, v38
	v_add_f32_e32 v42, v42, v43
	v_mul_f32_e32 v43, v36, v41
	v_fmac_f32_e32 v43, v37, v40
	v_add_f32_e32 v50, v42, v43
	ds_read_b128 v[42:45], v142 offset:528
	v_fma_f32 v3, v4, v32, -v3
	v_add_f32_e32 v2, v2, v3
	v_mul_f32_e32 v3, v35, v39
	v_fma_f32 v3, v34, v38, -v3
	s_waitcnt lgkmcnt(0)
	v_mul_f32_e32 v51, v42, v47
	v_fmac_f32_e32 v51, v43, v46
	v_add_f32_e32 v50, v50, v51
	v_mul_f32_e32 v51, v44, v49
	v_fmac_f32_e32 v51, v45, v48
	v_add_f32_e32 v58, v50, v51
	ds_read_b128 v[50:53], v142 offset:544
	v_add_f32_e32 v2, v2, v3
	v_mul_f32_e32 v3, v37, v41
	v_fma_f32 v3, v36, v40, -v3
	v_add_f32_e32 v2, v2, v3
	s_waitcnt lgkmcnt(0)
	v_mul_f32_e32 v59, v50, v55
	v_fmac_f32_e32 v59, v51, v54
	v_add_f32_e32 v58, v58, v59
	v_mul_f32_e32 v59, v52, v57
	v_fmac_f32_e32 v59, v53, v56
	v_add_f32_e32 v66, v58, v59
	ds_read_b128 v[58:61], v142 offset:560
	v_mul_f32_e32 v3, v43, v47
	v_fma_f32 v3, v42, v46, -v3
	v_add_f32_e32 v2, v2, v3
	v_mul_f32_e32 v3, v45, v49
	s_waitcnt lgkmcnt(0)
	v_mul_f32_e32 v67, v58, v63
	v_fmac_f32_e32 v67, v59, v62
	v_add_f32_e32 v66, v66, v67
	v_mul_f32_e32 v67, v60, v65
	v_fmac_f32_e32 v67, v61, v64
	v_add_f32_e32 v74, v66, v67
	ds_read_b128 v[66:69], v142 offset:576
	v_fma_f32 v3, v44, v48, -v3
	v_add_f32_e32 v2, v2, v3
	v_mul_f32_e32 v3, v51, v55
	v_fma_f32 v3, v50, v54, -v3
	s_waitcnt lgkmcnt(0)
	v_mul_f32_e32 v75, v66, v71
	v_fmac_f32_e32 v75, v67, v70
	v_add_f32_e32 v74, v74, v75
	v_mul_f32_e32 v75, v68, v73
	v_fmac_f32_e32 v75, v69, v72
	v_add_f32_e32 v82, v74, v75
	ds_read_b128 v[74:77], v142 offset:592
	v_add_f32_e32 v2, v2, v3
	v_mul_f32_e32 v3, v53, v57
	v_fma_f32 v3, v52, v56, -v3
	v_add_f32_e32 v2, v2, v3
	s_waitcnt lgkmcnt(0)
	v_mul_f32_e32 v83, v74, v79
	v_fmac_f32_e32 v83, v75, v78
	v_add_f32_e32 v82, v82, v83
	v_mul_f32_e32 v83, v76, v81
	v_fmac_f32_e32 v83, v77, v80
	v_add_f32_e32 v90, v82, v83
	ds_read_b128 v[82:85], v142 offset:608
	v_mul_f32_e32 v3, v59, v63
	v_fma_f32 v3, v58, v62, -v3
	v_add_f32_e32 v2, v2, v3
	v_mul_f32_e32 v3, v61, v65
	;; [unrolled: 36-line block ×5, first 2 shown]
	s_waitcnt lgkmcnt(0)
	v_mul_f32_e32 v164, v156, v161
	v_fmac_f32_e32 v164, v157, v160
	v_add_f32_e32 v143, v143, v164
	v_mul_f32_e32 v164, v158, v163
	v_fmac_f32_e32 v164, v159, v162
	v_add_f32_e32 v143, v143, v164
	ds_read_b128 v[164:167], v142 offset:768
	v_fma_f32 v3, v108, v112, -v3
	v_add_f32_e32 v2, v2, v3
	v_mul_f32_e32 v3, v115, v119
	v_fma_f32 v3, v114, v118, -v3
	s_waitcnt lgkmcnt(0)
	v_mul_f32_e32 v172, v164, v169
	v_fmac_f32_e32 v172, v165, v168
	v_add_f32_e32 v143, v143, v172
	v_mul_f32_e32 v172, v166, v171
	v_fmac_f32_e32 v172, v167, v170
	v_add_f32_e32 v197, v143, v172
	ds_read_b128 v[172:175], v142 offset:784
	scratch_load_dwordx4 v[180:183], off, off offset:368
	scratch_load_dwordx4 v[184:187], off, off offset:384
	scratch_load_dwordx4 v[188:191], off, off offset:400
	scratch_load_dwordx4 v[192:195], off, off offset:416
	v_add_f32_e32 v2, v2, v3
	v_mul_f32_e32 v3, v117, v121
	v_fma_f32 v3, v116, v120, -v3
	v_add_f32_e32 v2, v2, v3
	v_mul_f32_e32 v3, v123, v127
	v_fma_f32 v3, v122, v126, -v3
	;; [unrolled: 3-line block ×13, first 2 shown]
	v_add_f32_e32 v196, v2, v3
	s_waitcnt lgkmcnt(0)
	v_mul_f32_e32 v2, v173, v177
	v_fma_f32 v198, v172, v176, -v2
	v_mul_f32_e32 v2, v175, v179
	v_fma_f32 v200, v174, v178, -v2
	ds_read_b128 v[2:5], v142 offset:800
	ds_read_b128 v[6:9], v142 offset:816
	;; [unrolled: 1-line block ×4, first 2 shown]
	v_mul_f32_e32 v199, v172, v177
	v_fmac_f32_e32 v199, v173, v176
	v_mul_f32_e32 v201, v174, v179
	v_fmac_f32_e32 v201, v175, v178
	v_pk_add_f32 v[18:19], v[196:197], v[198:199]
	s_waitcnt vmcnt(3) lgkmcnt(3)
	v_pk_mul_f32 v[20:21], v[2:3], v[180:181] op_sel:[1,1] op_sel_hi:[0,1]
	v_pk_fma_f32 v[22:23], v[2:3], v[180:181], v[20:21] neg_lo:[0,0,1] neg_hi:[0,0,1]
	v_pk_fma_f32 v[2:3], v[2:3], v[180:181], v[20:21] op_sel_hi:[1,0,1]
	v_pk_add_f32 v[18:19], v[18:19], v[200:201]
	v_mov_b32_e32 v23, v3
	v_pk_add_f32 v[2:3], v[18:19], v[22:23]
	v_mov_b32_e32 v18, v183
	v_pk_mul_f32 v[18:19], v[4:5], v[18:19] op_sel:[1,0] op_sel_hi:[0,0]
	v_pk_fma_f32 v[20:21], v[4:5], v[182:183], v[18:19] neg_lo:[0,0,1] neg_hi:[0,0,1]
	v_pk_fma_f32 v[4:5], v[4:5], v[182:183], v[18:19] op_sel_hi:[1,0,1]
	s_nop 0
	v_mov_b32_e32 v21, v5
	s_waitcnt vmcnt(2) lgkmcnt(2)
	v_pk_mul_f32 v[4:5], v[6:7], v[184:185] op_sel:[1,1] op_sel_hi:[0,1]
	v_pk_fma_f32 v[18:19], v[6:7], v[184:185], v[4:5] neg_lo:[0,0,1] neg_hi:[0,0,1]
	v_pk_fma_f32 v[4:5], v[6:7], v[184:185], v[4:5] op_sel_hi:[1,0,1]
	v_pk_add_f32 v[2:3], v[2:3], v[20:21]
	v_mov_b32_e32 v4, v187
	v_mov_b32_e32 v19, v5
	v_pk_mul_f32 v[4:5], v[8:9], v[4:5] op_sel:[1,0] op_sel_hi:[0,0]
	v_pk_fma_f32 v[6:7], v[8:9], v[186:187], v[4:5] neg_lo:[0,0,1] neg_hi:[0,0,1]
	v_pk_fma_f32 v[4:5], v[8:9], v[186:187], v[4:5] op_sel_hi:[1,0,1]
	v_pk_add_f32 v[2:3], v[2:3], v[18:19]
	v_mov_b32_e32 v7, v5
	s_waitcnt vmcnt(1) lgkmcnt(1)
	v_pk_mul_f32 v[4:5], v[10:11], v[188:189] op_sel:[1,1] op_sel_hi:[0,1]
	v_pk_add_f32 v[2:3], v[2:3], v[6:7]
	v_pk_fma_f32 v[6:7], v[10:11], v[188:189], v[4:5] neg_lo:[0,0,1] neg_hi:[0,0,1]
	v_pk_fma_f32 v[4:5], v[10:11], v[188:189], v[4:5] op_sel_hi:[1,0,1]
	s_nop 0
	v_mov_b32_e32 v4, v191
	v_mov_b32_e32 v7, v5
	v_pk_mul_f32 v[4:5], v[12:13], v[4:5] op_sel:[1,0] op_sel_hi:[0,0]
	v_pk_add_f32 v[2:3], v[2:3], v[6:7]
	v_pk_fma_f32 v[6:7], v[12:13], v[190:191], v[4:5] neg_lo:[0,0,1] neg_hi:[0,0,1]
	v_pk_fma_f32 v[4:5], v[12:13], v[190:191], v[4:5] op_sel_hi:[1,0,1]
	s_nop 0
	v_mov_b32_e32 v7, v5
	s_waitcnt vmcnt(0) lgkmcnt(0)
	v_pk_mul_f32 v[4:5], v[14:15], v[192:193] op_sel:[1,1] op_sel_hi:[0,1]
	v_pk_add_f32 v[2:3], v[2:3], v[6:7]
	v_pk_fma_f32 v[6:7], v[14:15], v[192:193], v[4:5] neg_lo:[0,0,1] neg_hi:[0,0,1]
	v_pk_fma_f32 v[4:5], v[14:15], v[192:193], v[4:5] op_sel_hi:[1,0,1]
	s_nop 0
	v_mov_b32_e32 v4, v195
	v_mov_b32_e32 v7, v5
	v_pk_mul_f32 v[4:5], v[16:17], v[4:5] op_sel:[1,0] op_sel_hi:[0,0]
	v_pk_add_f32 v[2:3], v[2:3], v[6:7]
	v_pk_fma_f32 v[6:7], v[16:17], v[194:195], v[4:5] neg_lo:[0,0,1] neg_hi:[0,0,1]
	v_pk_fma_f32 v[4:5], v[16:17], v[194:195], v[4:5] op_sel_hi:[1,0,1]
	s_nop 0
	v_mov_b32_e32 v7, v5
	scratch_load_dwordx2 v[4:5], off, off offset:8
	v_pk_add_f32 v[2:3], v[2:3], v[6:7]
	s_waitcnt vmcnt(0)
	v_pk_add_f32 v[2:3], v[4:5], v[2:3] neg_lo:[0,1] neg_hi:[0,1]
	scratch_store_dwordx2 off, v[2:3], off offset:8
	s_and_saveexec_b64 s[0:1], vcc
	s_cbranch_execz .LBB53_337
; %bb.336:
	scratch_load_dwordx2 v[2:3], off, off
	v_mov_b32_e32 v4, 0
	v_mov_b32_e32 v5, v4
	scratch_store_dwordx2 off, v[4:5], off
	s_waitcnt vmcnt(1)
	ds_write_b64 v1, v[2:3]
.LBB53_337:
	s_or_b64 exec, exec, s[0:1]
	s_waitcnt lgkmcnt(0)
	; wave barrier
	scratch_load_dwordx4 v[4:7], off, off offset:8
	scratch_load_dwordx4 v[12:15], off, off offset:24
	;; [unrolled: 1-line block ×10, first 2 shown]
	v_mov_b32_e32 v148, 0
	ds_read2_b64 v[0:3], v148 offset0:55 offset1:56
	scratch_load_dwordx4 v[84:87], off, off offset:168
	scratch_load_dwordx4 v[92:95], off, off offset:184
	;; [unrolled: 1-line block ×13, first 2 shown]
	s_and_b64 vcc, exec, s[18:19]
	s_waitcnt vmcnt(22) lgkmcnt(0)
	v_mul_f32_e32 v8, v0, v5
	v_fmac_f32_e32 v8, v1, v4
	v_mul_f32_e32 v9, v2, v7
	v_add_f32_e32 v8, 0, v8
	v_fmac_f32_e32 v9, v3, v6
	v_add_f32_e32 v16, v8, v9
	ds_read2_b64 v[8:11], v148 offset0:57 offset1:58
	v_mul_f32_e32 v1, v1, v5
	v_fma_f32 v0, v0, v4, -v1
	v_mul_f32_e32 v1, v3, v7
	v_add_f32_e32 v0, 0, v0
	s_waitcnt vmcnt(21) lgkmcnt(0)
	v_mul_f32_e32 v17, v8, v13
	v_fmac_f32_e32 v17, v9, v12
	v_add_f32_e32 v16, v16, v17
	v_mul_f32_e32 v17, v10, v15
	v_fmac_f32_e32 v17, v11, v14
	v_add_f32_e32 v24, v16, v17
	ds_read2_b64 v[16:19], v148 offset0:59 offset1:60
	v_fma_f32 v1, v2, v6, -v1
	v_add_f32_e32 v0, v0, v1
	v_mul_f32_e32 v1, v9, v13
	v_fma_f32 v1, v8, v12, -v1
	s_waitcnt vmcnt(20) lgkmcnt(0)
	v_mul_f32_e32 v25, v16, v21
	v_fmac_f32_e32 v25, v17, v20
	v_add_f32_e32 v24, v24, v25
	v_mul_f32_e32 v25, v18, v23
	v_fmac_f32_e32 v25, v19, v22
	v_add_f32_e32 v32, v24, v25
	ds_read2_b64 v[24:27], v148 offset0:61 offset1:62
	v_add_f32_e32 v0, v0, v1
	v_mul_f32_e32 v1, v11, v15
	v_fma_f32 v1, v10, v14, -v1
	v_add_f32_e32 v0, v0, v1
	s_waitcnt vmcnt(19) lgkmcnt(0)
	v_mul_f32_e32 v33, v24, v29
	v_fmac_f32_e32 v33, v25, v28
	v_add_f32_e32 v32, v32, v33
	v_mul_f32_e32 v33, v26, v31
	v_fmac_f32_e32 v33, v27, v30
	v_add_f32_e32 v40, v32, v33
	ds_read2_b64 v[32:35], v148 offset0:63 offset1:64
	v_mul_f32_e32 v1, v17, v21
	v_fma_f32 v1, v16, v20, -v1
	v_add_f32_e32 v0, v0, v1
	v_mul_f32_e32 v1, v19, v23
	s_waitcnt vmcnt(18) lgkmcnt(0)
	v_mul_f32_e32 v41, v32, v37
	v_fmac_f32_e32 v41, v33, v36
	v_add_f32_e32 v40, v40, v41
	v_mul_f32_e32 v41, v34, v39
	v_fmac_f32_e32 v41, v35, v38
	v_add_f32_e32 v48, v40, v41
	ds_read2_b64 v[40:43], v148 offset0:65 offset1:66
	v_fma_f32 v1, v18, v22, -v1
	v_add_f32_e32 v0, v0, v1
	v_mul_f32_e32 v1, v25, v29
	v_fma_f32 v1, v24, v28, -v1
	s_waitcnt vmcnt(17) lgkmcnt(0)
	v_mul_f32_e32 v49, v40, v45
	v_fmac_f32_e32 v49, v41, v44
	v_add_f32_e32 v48, v48, v49
	v_mul_f32_e32 v49, v42, v47
	v_fmac_f32_e32 v49, v43, v46
	v_add_f32_e32 v56, v48, v49
	ds_read2_b64 v[48:51], v148 offset0:67 offset1:68
	v_add_f32_e32 v0, v0, v1
	v_mul_f32_e32 v1, v27, v31
	v_fma_f32 v1, v26, v30, -v1
	v_add_f32_e32 v0, v0, v1
	s_waitcnt vmcnt(16) lgkmcnt(0)
	v_mul_f32_e32 v57, v48, v53
	v_fmac_f32_e32 v57, v49, v52
	v_add_f32_e32 v56, v56, v57
	v_mul_f32_e32 v57, v50, v55
	v_fmac_f32_e32 v57, v51, v54
	v_add_f32_e32 v64, v56, v57
	ds_read2_b64 v[56:59], v148 offset0:69 offset1:70
	v_mul_f32_e32 v1, v33, v37
	v_fma_f32 v1, v32, v36, -v1
	v_add_f32_e32 v0, v0, v1
	v_mul_f32_e32 v1, v35, v39
	;; [unrolled: 36-line block ×6, first 2 shown]
	s_waitcnt vmcnt(3) lgkmcnt(0)
	v_mul_f32_e32 v162, v154, v159
	v_fmac_f32_e32 v162, v155, v158
	v_add_f32_e32 v149, v149, v162
	v_mul_f32_e32 v162, v156, v161
	v_fmac_f32_e32 v162, v157, v160
	v_add_f32_e32 v149, v149, v162
	ds_read2_b64 v[162:165], v148 offset0:95 offset1:96
	v_fma_f32 v1, v98, v102, -v1
	v_add_f32_e32 v0, v0, v1
	v_mul_f32_e32 v1, v105, v109
	v_fma_f32 v1, v104, v108, -v1
	s_waitcnt vmcnt(2) lgkmcnt(0)
	v_mul_f32_e32 v170, v162, v167
	v_fmac_f32_e32 v170, v163, v166
	v_add_f32_e32 v149, v149, v170
	v_mul_f32_e32 v170, v164, v169
	v_fmac_f32_e32 v170, v165, v168
	v_add_f32_e32 v149, v149, v170
	ds_read2_b64 v[170:173], v148 offset0:97 offset1:98
	v_add_f32_e32 v0, v0, v1
	v_mul_f32_e32 v1, v107, v111
	v_fma_f32 v1, v106, v110, -v1
	v_add_f32_e32 v0, v0, v1
	s_waitcnt vmcnt(1) lgkmcnt(0)
	v_mul_f32_e32 v178, v170, v175
	v_fmac_f32_e32 v178, v171, v174
	v_add_f32_e32 v199, v149, v178
	ds_read2_b64 v[178:181], v148 offset0:99 offset1:100
	scratch_load_dwordx4 v[186:189], off, off offset:376
	scratch_load_dwordx4 v[190:193], off, off offset:392
	;; [unrolled: 1-line block ×3, first 2 shown]
	scratch_load_dwordx2 v[204:205], off, off offset:424
	v_mul_f32_e32 v1, v113, v117
	v_fma_f32 v1, v112, v116, -v1
	v_add_f32_e32 v0, v0, v1
	v_mul_f32_e32 v1, v115, v119
	v_fma_f32 v1, v114, v118, -v1
	v_add_f32_e32 v0, v0, v1
	;; [unrolled: 3-line block ×15, first 2 shown]
	v_mul_f32_e32 v0, v173, v177
	v_mul_f32_e32 v201, v172, v177
	v_fma_f32 v200, v172, v176, -v0
	s_waitcnt vmcnt(4) lgkmcnt(0)
	v_mul_f32_e32 v0, v179, v183
	v_mov_b32_e32 v16, v185
	v_fmac_f32_e32 v201, v173, v176
	v_mul_f32_e32 v203, v178, v183
	v_fma_f32 v202, v178, v182, -v0
	ds_read2_b64 v[0:3], v148 offset0:101 offset1:102
	ds_read2_b64 v[4:7], v148 offset0:103 offset1:104
	;; [unrolled: 1-line block ×3, first 2 shown]
	ds_read_b64 v[12:13], v148 offset:856
	v_pk_mul_f32 v[16:17], v[180:181], v[16:17] op_sel:[1,0] op_sel_hi:[0,0]
	v_fmac_f32_e32 v203, v179, v182
	v_pk_add_f32 v[14:15], v[198:199], v[200:201]
	v_pk_fma_f32 v[18:19], v[180:181], v[184:185], v[16:17] neg_lo:[0,0,1] neg_hi:[0,0,1]
	v_pk_fma_f32 v[16:17], v[180:181], v[184:185], v[16:17] op_sel_hi:[1,0,1]
	v_pk_add_f32 v[14:15], v[14:15], v[202:203]
	v_mov_b32_e32 v19, v17
	v_pk_add_f32 v[14:15], v[14:15], v[18:19]
	s_waitcnt vmcnt(3) lgkmcnt(3)
	v_pk_mul_f32 v[16:17], v[0:1], v[186:187] op_sel:[1,1] op_sel_hi:[0,1]
	v_pk_fma_f32 v[18:19], v[0:1], v[186:187], v[16:17] neg_lo:[0,0,1] neg_hi:[0,0,1]
	v_pk_fma_f32 v[0:1], v[0:1], v[186:187], v[16:17] op_sel_hi:[1,0,1]
	s_nop 0
	v_mov_b32_e32 v19, v1
	v_pk_add_f32 v[0:1], v[14:15], v[18:19]
	v_mov_b32_e32 v14, v189
	v_pk_mul_f32 v[14:15], v[2:3], v[14:15] op_sel:[1,0] op_sel_hi:[0,0]
	v_pk_fma_f32 v[16:17], v[2:3], v[188:189], v[14:15] neg_lo:[0,0,1] neg_hi:[0,0,1]
	v_pk_fma_f32 v[2:3], v[2:3], v[188:189], v[14:15] op_sel_hi:[1,0,1]
	s_nop 0
	v_mov_b32_e32 v17, v3
	s_waitcnt vmcnt(2) lgkmcnt(2)
	v_pk_mul_f32 v[2:3], v[4:5], v[190:191] op_sel:[1,1] op_sel_hi:[0,1]
	v_pk_fma_f32 v[14:15], v[4:5], v[190:191], v[2:3] neg_lo:[0,0,1] neg_hi:[0,0,1]
	v_pk_fma_f32 v[2:3], v[4:5], v[190:191], v[2:3] op_sel_hi:[1,0,1]
	v_pk_add_f32 v[0:1], v[0:1], v[16:17]
	v_mov_b32_e32 v2, v193
	v_mov_b32_e32 v15, v3
	v_pk_mul_f32 v[2:3], v[6:7], v[2:3] op_sel:[1,0] op_sel_hi:[0,0]
	v_pk_fma_f32 v[4:5], v[6:7], v[192:193], v[2:3] neg_lo:[0,0,1] neg_hi:[0,0,1]
	v_pk_fma_f32 v[2:3], v[6:7], v[192:193], v[2:3] op_sel_hi:[1,0,1]
	v_pk_add_f32 v[0:1], v[0:1], v[14:15]
	v_mov_b32_e32 v5, v3
	s_waitcnt vmcnt(1) lgkmcnt(1)
	v_pk_mul_f32 v[2:3], v[8:9], v[194:195] op_sel:[1,1] op_sel_hi:[0,1]
	v_pk_add_f32 v[0:1], v[0:1], v[4:5]
	v_pk_fma_f32 v[4:5], v[8:9], v[194:195], v[2:3] neg_lo:[0,0,1] neg_hi:[0,0,1]
	v_pk_fma_f32 v[2:3], v[8:9], v[194:195], v[2:3] op_sel_hi:[1,0,1]
	s_nop 0
	v_mov_b32_e32 v2, v197
	v_mov_b32_e32 v5, v3
	v_pk_mul_f32 v[2:3], v[10:11], v[2:3] op_sel:[1,0] op_sel_hi:[0,0]
	v_pk_add_f32 v[0:1], v[0:1], v[4:5]
	v_pk_fma_f32 v[4:5], v[10:11], v[196:197], v[2:3] neg_lo:[0,0,1] neg_hi:[0,0,1]
	v_pk_fma_f32 v[2:3], v[10:11], v[196:197], v[2:3] op_sel_hi:[1,0,1]
	s_nop 0
	v_mov_b32_e32 v5, v3
	s_waitcnt vmcnt(0) lgkmcnt(0)
	v_pk_mul_f32 v[2:3], v[12:13], v[204:205] op_sel:[1,1] op_sel_hi:[0,1]
	v_pk_add_f32 v[0:1], v[0:1], v[4:5]
	v_pk_fma_f32 v[4:5], v[12:13], v[204:205], v[2:3] neg_lo:[0,0,1] neg_hi:[0,0,1]
	v_pk_fma_f32 v[2:3], v[12:13], v[204:205], v[2:3] op_sel_hi:[1,0,1]
	s_nop 0
	v_mov_b32_e32 v5, v3
	scratch_load_dwordx2 v[2:3], off, off
	v_pk_add_f32 v[0:1], v[0:1], v[4:5]
	s_waitcnt vmcnt(0)
	v_pk_add_f32 v[0:1], v[2:3], v[0:1] neg_lo:[0,1] neg_hi:[0,1]
	scratch_store_dwordx2 off, v[0:1], off
	s_cbranch_vccz .LBB53_444
; %bb.338:
	global_load_dword v0, v148, s[16:17] offset:208
	s_waitcnt vmcnt(0)
	v_readfirstlane_b32 s0, v0
	s_add_i32 s0, s0, -1
	s_cmp_lg_u32 s0, 52
	s_cbranch_scc0 .LBB53_340
; %bb.339:
	s_lshl_b32 s0, s0, 3
	s_nop 0
	scratch_load_dwordx2 v[0:1], off, s0
	scratch_load_dwordx2 v[2:3], off, off offset:416
	s_waitcnt vmcnt(1)
	scratch_store_dwordx2 off, v[0:1], off offset:416
	s_waitcnt vmcnt(1)
	scratch_store_dwordx2 off, v[2:3], s0
.LBB53_340:
	v_mov_b32_e32 v0, 0
	global_load_dword v1, v0, s[16:17] offset:204
	s_waitcnt vmcnt(0)
	v_readfirstlane_b32 s0, v1
	s_add_i32 s0, s0, -1
	s_cmp_eq_u32 s0, 51
	s_cbranch_scc1 .LBB53_342
; %bb.341:
	s_lshl_b32 s0, s0, 3
	s_nop 0
	scratch_load_dwordx2 v[2:3], off, s0
	scratch_load_dwordx2 v[4:5], off, off offset:408
	s_waitcnt vmcnt(1)
	scratch_store_dwordx2 off, v[2:3], off offset:408
	s_waitcnt vmcnt(1)
	scratch_store_dwordx2 off, v[4:5], s0
.LBB53_342:
	global_load_dword v0, v0, s[16:17] offset:200
	s_waitcnt vmcnt(0)
	v_readfirstlane_b32 s0, v0
	s_add_i32 s0, s0, -1
	s_cmp_eq_u32 s0, 50
	s_cbranch_scc1 .LBB53_344
; %bb.343:
	s_lshl_b32 s0, s0, 3
	s_nop 0
	scratch_load_dwordx2 v[0:1], off, s0
	scratch_load_dwordx2 v[2:3], off, off offset:400
	s_waitcnt vmcnt(1)
	scratch_store_dwordx2 off, v[0:1], off offset:400
	s_waitcnt vmcnt(1)
	scratch_store_dwordx2 off, v[2:3], s0
.LBB53_344:
	v_mov_b32_e32 v0, 0
	global_load_dword v1, v0, s[16:17] offset:196
	s_waitcnt vmcnt(0)
	v_readfirstlane_b32 s0, v1
	s_add_i32 s0, s0, -1
	s_cmp_eq_u32 s0, 49
	s_cbranch_scc1 .LBB53_346
; %bb.345:
	s_lshl_b32 s0, s0, 3
	s_nop 0
	scratch_load_dwordx2 v[2:3], off, s0
	scratch_load_dwordx2 v[4:5], off, off offset:392
	s_waitcnt vmcnt(1)
	scratch_store_dwordx2 off, v[2:3], off offset:392
	s_waitcnt vmcnt(1)
	scratch_store_dwordx2 off, v[4:5], s0
.LBB53_346:
	global_load_dword v0, v0, s[16:17] offset:192
	s_waitcnt vmcnt(0)
	v_readfirstlane_b32 s0, v0
	s_add_i32 s0, s0, -1
	s_cmp_eq_u32 s0, 48
	s_cbranch_scc1 .LBB53_348
; %bb.347:
	s_lshl_b32 s0, s0, 3
	s_nop 0
	scratch_load_dwordx2 v[0:1], off, s0
	scratch_load_dwordx2 v[2:3], off, off offset:384
	s_waitcnt vmcnt(1)
	scratch_store_dwordx2 off, v[0:1], off offset:384
	s_waitcnt vmcnt(1)
	scratch_store_dwordx2 off, v[2:3], s0
.LBB53_348:
	;; [unrolled: 33-line block ×25, first 2 shown]
	v_mov_b32_e32 v0, 0
	global_load_dword v1, v0, s[16:17] offset:4
	s_waitcnt vmcnt(0)
	v_readfirstlane_b32 s0, v1
	s_add_i32 s0, s0, -1
	s_cmp_eq_u32 s0, 1
	s_cbranch_scc1 .LBB53_442
; %bb.441:
	s_lshl_b32 s0, s0, 3
	s_nop 0
	scratch_load_dwordx2 v[2:3], off, s0
	scratch_load_dwordx2 v[4:5], off, off offset:8
	s_waitcnt vmcnt(1)
	scratch_store_dwordx2 off, v[2:3], off offset:8
	s_waitcnt vmcnt(1)
	scratch_store_dwordx2 off, v[4:5], s0
.LBB53_442:
	global_load_dword v2, v0, s[16:17]
	s_nop 0
	scratch_load_dwordx2 v[0:1], off, off
	s_waitcnt vmcnt(1)
	v_readfirstlane_b32 s0, v2
	s_add_i32 s0, s0, -1
	s_cmp_eq_u32 s0, 0
	s_cbranch_scc1 .LBB53_444
; %bb.443:
	s_lshl_b32 s0, s0, 3
	s_nop 0
	scratch_load_dwordx2 v[2:3], off, s0
	s_waitcnt vmcnt(0)
	scratch_store_dwordx2 off, v[2:3], off
	scratch_store_dwordx2 off, v[0:1], s0
	scratch_load_dwordx2 v[0:1], off, off
.LBB53_444:
	s_nop 0
	scratch_load_dwordx4 v[4:7], off, off offset:8
	scratch_load_dwordx4 v[8:11], off, off offset:24
	;; [unrolled: 1-line block ×26, first 2 shown]
	scratch_load_dwordx2 v[2:3], off, off offset:424
	v_accvgpr_read_b32 v109, a1
	v_accvgpr_read_b32 v108, a0
	s_waitcnt vmcnt(27)
	global_store_dwordx2 v[108:109], v[0:1], off
	v_accvgpr_read_b32 v0, a2
	v_accvgpr_read_b32 v1, a3
	s_waitcnt vmcnt(27)
	global_store_dwordx2 v[0:1], v[4:5], off
	v_accvgpr_read_b32 v0, a4
	v_accvgpr_read_b32 v1, a5
	global_store_dwordx2 v[0:1], v[6:7], off
	v_accvgpr_read_b32 v0, a6
	v_accvgpr_read_b32 v1, a7
	s_waitcnt vmcnt(28)
	global_store_dwordx2 v[0:1], v[8:9], off
	v_accvgpr_read_b32 v0, a8
	v_accvgpr_read_b32 v1, a9
	;; [unrolled: 7-line block ×14, first 2 shown]
	global_store_dwordx2 v[0:1], v[58:59], off
	s_waitcnt vmcnt(41)
	global_store_dwordx2 v[206:207], v[60:61], off
	global_store_dwordx2 v[208:209], v[62:63], off
	s_waitcnt vmcnt(42)
	global_store_dwordx2 v[210:211], v[64:65], off
	;; [unrolled: 3-line block ×13, first 2 shown]
	s_endpgm
	.section	.rodata,"a",@progbits
	.p2align	6, 0x0
	.amdhsa_kernel _ZN9rocsolver6v33100L18getri_kernel_smallILi54E19rocblas_complex_numIfEPS3_EEvT1_iilPiilS6_bb
		.amdhsa_group_segment_fixed_size 868
		.amdhsa_private_segment_fixed_size 448
		.amdhsa_kernarg_size 60
		.amdhsa_user_sgpr_count 2
		.amdhsa_user_sgpr_dispatch_ptr 0
		.amdhsa_user_sgpr_queue_ptr 0
		.amdhsa_user_sgpr_kernarg_segment_ptr 1
		.amdhsa_user_sgpr_dispatch_id 0
		.amdhsa_user_sgpr_kernarg_preload_length 0
		.amdhsa_user_sgpr_kernarg_preload_offset 0
		.amdhsa_user_sgpr_private_segment_size 0
		.amdhsa_uses_dynamic_stack 0
		.amdhsa_enable_private_segment 1
		.amdhsa_system_sgpr_workgroup_id_x 1
		.amdhsa_system_sgpr_workgroup_id_y 0
		.amdhsa_system_sgpr_workgroup_id_z 0
		.amdhsa_system_sgpr_workgroup_info 0
		.amdhsa_system_vgpr_workitem_id 0
		.amdhsa_next_free_vgpr 314
		.amdhsa_next_free_sgpr 20
		.amdhsa_accum_offset 256
		.amdhsa_reserve_vcc 1
		.amdhsa_float_round_mode_32 0
		.amdhsa_float_round_mode_16_64 0
		.amdhsa_float_denorm_mode_32 3
		.amdhsa_float_denorm_mode_16_64 3
		.amdhsa_dx10_clamp 1
		.amdhsa_ieee_mode 1
		.amdhsa_fp16_overflow 0
		.amdhsa_tg_split 0
		.amdhsa_exception_fp_ieee_invalid_op 0
		.amdhsa_exception_fp_denorm_src 0
		.amdhsa_exception_fp_ieee_div_zero 0
		.amdhsa_exception_fp_ieee_overflow 0
		.amdhsa_exception_fp_ieee_underflow 0
		.amdhsa_exception_fp_ieee_inexact 0
		.amdhsa_exception_int_div_zero 0
	.end_amdhsa_kernel
	.section	.text._ZN9rocsolver6v33100L18getri_kernel_smallILi54E19rocblas_complex_numIfEPS3_EEvT1_iilPiilS6_bb,"axG",@progbits,_ZN9rocsolver6v33100L18getri_kernel_smallILi54E19rocblas_complex_numIfEPS3_EEvT1_iilPiilS6_bb,comdat
.Lfunc_end53:
	.size	_ZN9rocsolver6v33100L18getri_kernel_smallILi54E19rocblas_complex_numIfEPS3_EEvT1_iilPiilS6_bb, .Lfunc_end53-_ZN9rocsolver6v33100L18getri_kernel_smallILi54E19rocblas_complex_numIfEPS3_EEvT1_iilPiilS6_bb
                                        ; -- End function
	.set _ZN9rocsolver6v33100L18getri_kernel_smallILi54E19rocblas_complex_numIfEPS3_EEvT1_iilPiilS6_bb.num_vgpr, 256
	.set _ZN9rocsolver6v33100L18getri_kernel_smallILi54E19rocblas_complex_numIfEPS3_EEvT1_iilPiilS6_bb.num_agpr, 58
	.set _ZN9rocsolver6v33100L18getri_kernel_smallILi54E19rocblas_complex_numIfEPS3_EEvT1_iilPiilS6_bb.numbered_sgpr, 20
	.set _ZN9rocsolver6v33100L18getri_kernel_smallILi54E19rocblas_complex_numIfEPS3_EEvT1_iilPiilS6_bb.num_named_barrier, 0
	.set _ZN9rocsolver6v33100L18getri_kernel_smallILi54E19rocblas_complex_numIfEPS3_EEvT1_iilPiilS6_bb.private_seg_size, 448
	.set _ZN9rocsolver6v33100L18getri_kernel_smallILi54E19rocblas_complex_numIfEPS3_EEvT1_iilPiilS6_bb.uses_vcc, 1
	.set _ZN9rocsolver6v33100L18getri_kernel_smallILi54E19rocblas_complex_numIfEPS3_EEvT1_iilPiilS6_bb.uses_flat_scratch, 0
	.set _ZN9rocsolver6v33100L18getri_kernel_smallILi54E19rocblas_complex_numIfEPS3_EEvT1_iilPiilS6_bb.has_dyn_sized_stack, 0
	.set _ZN9rocsolver6v33100L18getri_kernel_smallILi54E19rocblas_complex_numIfEPS3_EEvT1_iilPiilS6_bb.has_recursion, 0
	.set _ZN9rocsolver6v33100L18getri_kernel_smallILi54E19rocblas_complex_numIfEPS3_EEvT1_iilPiilS6_bb.has_indirect_call, 0
	.section	.AMDGPU.csdata,"",@progbits
; Kernel info:
; codeLenInByte = 83664
; TotalNumSgprs: 26
; NumVgprs: 256
; NumAgprs: 58
; TotalNumVgprs: 314
; ScratchSize: 448
; MemoryBound: 0
; FloatMode: 240
; IeeeMode: 1
; LDSByteSize: 868 bytes/workgroup (compile time only)
; SGPRBlocks: 3
; VGPRBlocks: 39
; NumSGPRsForWavesPerEU: 26
; NumVGPRsForWavesPerEU: 314
; AccumOffset: 256
; Occupancy: 1
; WaveLimiterHint : 1
; COMPUTE_PGM_RSRC2:SCRATCH_EN: 1
; COMPUTE_PGM_RSRC2:USER_SGPR: 2
; COMPUTE_PGM_RSRC2:TRAP_HANDLER: 0
; COMPUTE_PGM_RSRC2:TGID_X_EN: 1
; COMPUTE_PGM_RSRC2:TGID_Y_EN: 0
; COMPUTE_PGM_RSRC2:TGID_Z_EN: 0
; COMPUTE_PGM_RSRC2:TIDIG_COMP_CNT: 0
; COMPUTE_PGM_RSRC3_GFX90A:ACCUM_OFFSET: 63
; COMPUTE_PGM_RSRC3_GFX90A:TG_SPLIT: 0
	.section	.text._ZN9rocsolver6v33100L18getri_kernel_smallILi55E19rocblas_complex_numIfEPS3_EEvT1_iilPiilS6_bb,"axG",@progbits,_ZN9rocsolver6v33100L18getri_kernel_smallILi55E19rocblas_complex_numIfEPS3_EEvT1_iilPiilS6_bb,comdat
	.globl	_ZN9rocsolver6v33100L18getri_kernel_smallILi55E19rocblas_complex_numIfEPS3_EEvT1_iilPiilS6_bb ; -- Begin function _ZN9rocsolver6v33100L18getri_kernel_smallILi55E19rocblas_complex_numIfEPS3_EEvT1_iilPiilS6_bb
	.p2align	8
	.type	_ZN9rocsolver6v33100L18getri_kernel_smallILi55E19rocblas_complex_numIfEPS3_EEvT1_iilPiilS6_bb,@function
_ZN9rocsolver6v33100L18getri_kernel_smallILi55E19rocblas_complex_numIfEPS3_EEvT1_iilPiilS6_bb: ; @_ZN9rocsolver6v33100L18getri_kernel_smallILi55E19rocblas_complex_numIfEPS3_EEvT1_iilPiilS6_bb
; %bb.0:
	v_cmp_gt_u32_e32 vcc, 55, v0
	s_and_saveexec_b64 s[4:5], vcc
	s_cbranch_execz .LBB54_234
; %bb.1:
	s_load_dword s8, s[0:1], 0x38
	s_load_dwordx4 s[12:15], s[0:1], 0x10
	s_load_dwordx4 s[4:7], s[0:1], 0x28
                                        ; implicit-def: $sgpr16_sgpr17
	s_waitcnt lgkmcnt(0)
	s_bitcmp1_b32 s8, 8
	s_cselect_b64 s[18:19], -1, 0
	s_ashr_i32 s3, s2, 31
	s_bfe_u32 s8, s8, 0x10008
	s_cmp_eq_u32 s8, 0
	s_cbranch_scc1 .LBB54_3
; %bb.2:
	s_load_dword s8, s[0:1], 0x20
	s_mul_i32 s9, s4, s3
	s_mul_hi_u32 s10, s4, s2
	s_mul_i32 s5, s5, s2
	s_add_i32 s10, s10, s9
	s_add_i32 s5, s10, s5
	s_mul_i32 s4, s4, s2
	s_waitcnt lgkmcnt(0)
	s_ashr_i32 s9, s8, 31
	s_lshl_b64 s[4:5], s[4:5], 2
	s_add_u32 s10, s14, s4
	s_addc_u32 s11, s15, s5
	s_lshl_b64 s[4:5], s[8:9], 2
	s_add_u32 s16, s10, s4
	s_addc_u32 s17, s11, s5
.LBB54_3:
	s_load_dwordx4 s[8:11], s[0:1], 0x0
	s_load_dword s4, s[0:1], 0x38
	s_mul_i32 s5, s12, s3
	s_mul_hi_u32 s14, s12, s2
	s_add_i32 s5, s14, s5
	s_waitcnt lgkmcnt(0)
	s_ashr_i32 s1, s10, 31
	s_mov_b32 s0, s10
	s_mul_i32 s10, s13, s2
	s_add_i32 s13, s5, s10
	s_mul_i32 s12, s12, s2
	s_lshl_b64 s[12:13], s[12:13], 3
	s_add_u32 s5, s8, s12
	s_addc_u32 s8, s9, s13
	s_lshl_b64 s[0:1], s[0:1], 3
	s_add_u32 s0, s5, s0
	s_addc_u32 s1, s8, s1
	v_lshlrev_b32_e32 v2, 3, v0
	v_mov_b32_e32 v3, 0
	v_lshl_add_u64 v[6:7], s[0:1], 0, v[2:3]
	s_ashr_i32 s9, s11, 31
	s_mov_b32 s8, s11
	v_accvgpr_write_b32 a0, v6
	s_add_i32 s5, s11, s11
	v_accvgpr_write_b32 a1, v7
	v_lshl_add_u64 v[8:9], s[8:9], 3, v[6:7]
	v_add_u32_e32 v6, s5, v0
	v_ashrrev_i32_e32 v7, 31, v6
	v_lshl_add_u64 v[10:11], v[6:7], 3, s[0:1]
	v_add_u32_e32 v6, s11, v6
	v_add_u32_e32 v14, s11, v6
	v_ashrrev_i32_e32 v7, 31, v6
	v_ashrrev_i32_e32 v15, 31, v14
	v_lshl_add_u64 v[12:13], v[6:7], 3, s[0:1]
	v_lshl_add_u64 v[16:17], v[14:15], 3, s[0:1]
	v_add_u32_e32 v14, s11, v14
	v_accvgpr_write_b32 a2, v8
	v_accvgpr_write_b32 a4, v10
	;; [unrolled: 1-line block ×4, first 2 shown]
	v_ashrrev_i32_e32 v15, 31, v14
	global_load_dwordx2 v[4:5], v2, s[0:1]
	global_load_dwordx2 v[6:7], v[8:9], off
	v_accvgpr_write_b32 a3, v9
	v_accvgpr_write_b32 a5, v11
	global_load_dwordx2 v[8:9], v[10:11], off
	v_accvgpr_write_b32 a7, v13
	global_load_dwordx2 v[10:11], v[12:13], off
	;; [unrolled: 2-line block ×3, first 2 shown]
	v_lshl_add_u64 v[16:17], v[14:15], 3, s[0:1]
	v_add_u32_e32 v14, s11, v14
	v_ashrrev_i32_e32 v15, 31, v14
	v_lshl_add_u64 v[18:19], v[14:15], 3, s[0:1]
	v_add_u32_e32 v14, s11, v14
	v_add_u32_e32 v22, s11, v14
	v_ashrrev_i32_e32 v15, 31, v14
	v_ashrrev_i32_e32 v23, 31, v22
	v_lshl_add_u64 v[20:21], v[14:15], 3, s[0:1]
	v_lshl_add_u64 v[24:25], v[22:23], 3, s[0:1]
	v_add_u32_e32 v22, s11, v22
	v_accvgpr_write_b32 a10, v16
	v_accvgpr_write_b32 a12, v18
	;; [unrolled: 1-line block ×4, first 2 shown]
	v_ashrrev_i32_e32 v23, 31, v22
	v_accvgpr_write_b32 a11, v17
	global_load_dwordx2 v[14:15], v[16:17], off
	v_accvgpr_write_b32 a13, v19
	global_load_dwordx2 v[16:17], v[18:19], off
	;; [unrolled: 2-line block ×4, first 2 shown]
	v_lshl_add_u64 v[24:25], v[22:23], 3, s[0:1]
	v_add_u32_e32 v22, s11, v22
	v_ashrrev_i32_e32 v23, 31, v22
	v_lshl_add_u64 v[26:27], v[22:23], 3, s[0:1]
	v_add_u32_e32 v22, s11, v22
	v_add_u32_e32 v30, s11, v22
	v_ashrrev_i32_e32 v31, 31, v30
	v_lshl_add_u64 v[32:33], v[30:31], 3, s[0:1]
	v_add_u32_e32 v30, s11, v30
	v_ashrrev_i32_e32 v31, 31, v30
	v_ashrrev_i32_e32 v23, 31, v22
	v_lshl_add_u64 v[34:35], v[30:31], 3, s[0:1]
	v_add_u32_e32 v30, s11, v30
	v_lshl_add_u64 v[28:29], v[22:23], 3, s[0:1]
	v_ashrrev_i32_e32 v31, 31, v30
	v_accvgpr_write_b32 a18, v24
	v_accvgpr_write_b32 a20, v26
	;; [unrolled: 1-line block ×4, first 2 shown]
	v_lshl_add_u64 v[36:37], v[30:31], 3, s[0:1]
	v_add_u32_e32 v30, s11, v30
	v_accvgpr_write_b32 a19, v25
	global_load_dwordx2 v[22:23], v[24:25], off
	v_accvgpr_write_b32 a21, v27
	global_load_dwordx2 v[24:25], v[26:27], off
	;; [unrolled: 2-line block ×4, first 2 shown]
	v_add_u32_e32 v32, s11, v30
	v_ashrrev_i32_e32 v31, 31, v30
	v_ashrrev_i32_e32 v33, 31, v32
	v_lshl_add_u64 v[38:39], v[30:31], 3, s[0:1]
	v_lshl_add_u64 v[40:41], v[32:33], 3, s[0:1]
	v_add_u32_e32 v32, s11, v32
	v_accvgpr_write_b32 a26, v34
	v_accvgpr_write_b32 a28, v36
	;; [unrolled: 1-line block ×4, first 2 shown]
	v_ashrrev_i32_e32 v33, 31, v32
	v_accvgpr_write_b32 a27, v35
	global_load_dwordx2 v[30:31], v[34:35], off
	v_accvgpr_write_b32 a29, v37
	global_load_dwordx2 v[34:35], v[36:37], off
	;; [unrolled: 2-line block ×4, first 2 shown]
	v_lshl_add_u64 v[40:41], v[32:33], 3, s[0:1]
	v_add_u32_e32 v32, s11, v32
	v_ashrrev_i32_e32 v33, 31, v32
	v_lshl_add_u64 v[42:43], v[32:33], 3, s[0:1]
	v_add_u32_e32 v32, s11, v32
	v_ashrrev_i32_e32 v33, 31, v32
	;; [unrolled: 3-line block ×36, first 2 shown]
	v_lshl_add_u64 v[150:151], v[32:33], 3, s[0:1]
	v_add_u32_e32 v32, s11, v32
	v_accvgpr_write_b32 a34, v40
	v_accvgpr_write_b32 a36, v42
	;; [unrolled: 1-line block ×14, first 2 shown]
	v_ashrrev_i32_e32 v33, 31, v32
	v_accvgpr_write_b32 a35, v41
	global_load_dwordx2 v[40:41], v[40:41], off
	v_accvgpr_write_b32 a37, v43
	global_load_dwordx2 v[42:43], v[42:43], off
	;; [unrolled: 2-line block ×14, first 2 shown]
	s_nop 0
	global_load_dwordx2 v[68:69], v[212:213], off
	global_load_dwordx2 v[70:71], v[214:215], off
	;; [unrolled: 1-line block ×22, first 2 shown]
	v_lshl_add_u64 v[152:153], v[32:33], 3, s[0:1]
	global_load_dwordx2 v[112:113], v[150:151], off
	global_load_dwordx2 v[32:33], v[152:153], off
	s_bitcmp0_b32 s4, 0
	s_mov_b64 s[4:5], -1
	s_waitcnt vmcnt(53)
	scratch_store_dwordx4 off, v[4:7], off
	s_waitcnt vmcnt(52)
	scratch_store_dwordx4 off, v[8:11], off offset:16
	s_waitcnt vmcnt(51)
	scratch_store_dwordx4 off, v[12:15], off offset:32
	;; [unrolled: 2-line block ×26, first 2 shown]
	s_waitcnt vmcnt(27)
	scratch_store_dwordx2 off, v[32:33], off offset:432
	s_cbranch_scc1 .LBB54_232
; %bb.4:
	v_cmp_eq_u32_e64 s[0:1], 0, v0
	s_and_saveexec_b64 s[4:5], s[0:1]
; %bb.5:
	v_mov_b32_e32 v1, 0
	ds_write_b32 v1, v1 offset:440
; %bb.6:
	s_or_b64 exec, exec, s[4:5]
	s_waitcnt lgkmcnt(0)
	; wave barrier
	scratch_load_dwordx2 v[4:5], v2, off
	s_waitcnt vmcnt(0)
	v_cmp_eq_f32_e32 vcc, 0, v4
	v_cmp_eq_f32_e64 s[4:5], 0, v5
	s_and_b64 s[4:5], vcc, s[4:5]
	s_and_saveexec_b64 s[8:9], s[4:5]
	s_cbranch_execz .LBB54_10
; %bb.7:
	v_mov_b32_e32 v1, 0
	ds_read_b32 v4, v1 offset:440
	v_add_u32_e32 v3, 1, v0
	s_waitcnt lgkmcnt(0)
	v_readfirstlane_b32 s4, v4
	s_cmp_eq_u32 s4, 0
	s_cselect_b64 s[10:11], -1, 0
	v_cmp_gt_i32_e32 vcc, s4, v3
	s_or_b64 s[10:11], s[10:11], vcc
	s_and_b64 exec, exec, s[10:11]
	s_cbranch_execz .LBB54_10
; %bb.8:
	s_mov_b64 s[10:11], 0
	v_mov_b32_e32 v4, s4
.LBB54_9:                               ; =>This Inner Loop Header: Depth=1
	ds_cmpst_rtn_b32 v4, v1, v4, v3 offset:440
	s_waitcnt lgkmcnt(0)
	v_cmp_ne_u32_e32 vcc, 0, v4
	v_cmp_le_i32_e64 s[4:5], v4, v3
	s_and_b64 s[4:5], vcc, s[4:5]
	s_and_b64 s[4:5], exec, s[4:5]
	s_or_b64 s[10:11], s[4:5], s[10:11]
	s_andn2_b64 exec, exec, s[10:11]
	s_cbranch_execnz .LBB54_9
.LBB54_10:
	s_or_b64 exec, exec, s[8:9]
	v_mov_b32_e32 v3, 0
	; wave barrier
	ds_read_b32 v1, v3 offset:440
	s_and_saveexec_b64 s[4:5], s[0:1]
	s_cbranch_execz .LBB54_12
; %bb.11:
	s_lshl_b64 s[8:9], s[2:3], 2
	s_add_u32 s8, s6, s8
	s_addc_u32 s9, s7, s9
	s_waitcnt lgkmcnt(0)
	global_store_dword v3, v1, s[8:9]
.LBB54_12:
	s_or_b64 exec, exec, s[4:5]
	s_waitcnt lgkmcnt(0)
	v_cmp_ne_u32_e32 vcc, 0, v1
	s_mov_b64 s[4:5], 0
	s_cbranch_vccnz .LBB54_232
; %bb.13:
	v_mov_b32_e32 v3, v2
	scratch_load_dwordx2 v[4:5], v3, off
                                        ; implicit-def: $vgpr7
                                        ; implicit-def: $vgpr8
	s_waitcnt vmcnt(0)
	v_cmp_ngt_f32_e64 s[4:5], |v4|, |v5|
	s_and_saveexec_b64 s[8:9], s[4:5]
	s_xor_b64 s[4:5], exec, s[8:9]
	s_cbranch_execz .LBB54_15
; %bb.14:
	v_div_scale_f32 v1, s[8:9], v5, v5, v4
	v_rcp_f32_e32 v6, v1
	v_div_scale_f32 v7, vcc, v4, v5, v4
	v_fma_f32 v8, -v1, v6, 1.0
	v_fmac_f32_e32 v6, v8, v6
	v_mul_f32_e32 v8, v7, v6
	v_fma_f32 v9, -v1, v8, v7
	v_fmac_f32_e32 v8, v9, v6
	v_fma_f32 v1, -v1, v8, v7
	v_div_fmas_f32 v1, v1, v6, v8
	v_div_fixup_f32 v1, v1, v5, v4
	v_fmac_f32_e32 v5, v4, v1
	v_div_scale_f32 v4, s[8:9], v5, v5, -1.0
	v_rcp_f32_e32 v6, v4
	s_nop 0
	v_fma_f32 v7, -v4, v6, 1.0
	v_fmac_f32_e32 v6, v7, v6
	v_div_scale_f32 v7, vcc, -1.0, v5, -1.0
	v_mul_f32_e32 v8, v7, v6
	v_fma_f32 v9, -v4, v8, v7
	v_fmac_f32_e32 v8, v9, v6
	v_fma_f32 v4, -v4, v8, v7
	v_div_fmas_f32 v4, v4, v6, v8
	v_div_fixup_f32 v7, v4, v5, -1.0
	v_mul_f32_e32 v8, v1, v7
	v_xor_b32_e32 v6, 0x80000000, v8
                                        ; implicit-def: $vgpr4_vgpr5
.LBB54_15:
	s_andn2_saveexec_b64 s[4:5], s[4:5]
	s_cbranch_execz .LBB54_17
; %bb.16:
	v_div_scale_f32 v1, s[8:9], v4, v4, v5
	v_rcp_f32_e32 v6, v1
	v_div_scale_f32 v7, vcc, v5, v4, v5
	v_fma_f32 v8, -v1, v6, 1.0
	v_fmac_f32_e32 v6, v8, v6
	v_mul_f32_e32 v8, v7, v6
	v_fma_f32 v9, -v1, v8, v7
	v_fmac_f32_e32 v8, v9, v6
	v_fma_f32 v1, -v1, v8, v7
	v_div_fmas_f32 v1, v1, v6, v8
	v_div_fixup_f32 v1, v1, v4, v5
	v_fmac_f32_e32 v4, v5, v1
	v_div_scale_f32 v5, s[8:9], v4, v4, 1.0
	v_rcp_f32_e32 v6, v5
	s_nop 0
	v_fma_f32 v7, -v5, v6, 1.0
	v_fmac_f32_e32 v6, v7, v6
	v_div_scale_f32 v7, vcc, 1.0, v4, 1.0
	v_mul_f32_e32 v8, v7, v6
	v_fma_f32 v9, -v5, v8, v7
	v_fmac_f32_e32 v8, v9, v6
	v_fma_f32 v5, -v5, v8, v7
	v_div_fmas_f32 v5, v5, v6, v8
	v_div_fixup_f32 v6, v5, v4, 1.0
	v_xor_b32_e32 v8, 0x80000000, v6
	v_mul_f32_e64 v7, v1, -v6
.LBB54_17:
	s_or_b64 exec, exec, s[4:5]
	scratch_store_dwordx2 v3, v[6:7], off
	scratch_load_dwordx2 v[4:5], off, off offset:8
	v_xor_b32_e32 v9, 0x80000000, v7
	v_add_u32_e32 v1, 0x1c0, v2
	s_waitcnt vmcnt(0)
	ds_write2_b64 v2, v[8:9], v[4:5] offset1:56
	s_waitcnt lgkmcnt(0)
	; wave barrier
	s_and_saveexec_b64 s[4:5], s[0:1]
	s_cbranch_execz .LBB54_19
; %bb.18:
	scratch_load_dwordx2 v[4:5], v3, off
	ds_read_b64 v[6:7], v1
	v_mov_b32_e32 v8, 0
	ds_read_b64 v[8:9], v8 offset:8
	s_waitcnt vmcnt(0) lgkmcnt(1)
	v_pk_mul_f32 v[10:11], v[6:7], v[4:5] op_sel:[1,1] op_sel_hi:[0,1]
	v_pk_fma_f32 v[12:13], v[6:7], v[4:5], v[10:11] neg_lo:[0,0,1] neg_hi:[0,0,1]
	v_pk_fma_f32 v[4:5], v[6:7], v[4:5], v[10:11] op_sel_hi:[1,0,1]
	s_nop 0
	v_mov_b32_e32 v13, v5
	v_pk_add_f32 v[4:5], v[12:13], 0 op_sel_hi:[1,0]
	s_waitcnt lgkmcnt(0)
	v_pk_mul_f32 v[6:7], v[4:5], v[8:9] op_sel:[1,1] op_sel_hi:[0,1]
	v_pk_fma_f32 v[10:11], v[4:5], v[8:9], v[6:7] neg_lo:[0,0,1] neg_hi:[0,0,1]
	v_pk_fma_f32 v[4:5], v[4:5], v[8:9], v[6:7] op_sel_hi:[1,0,1]
	s_nop 0
	v_mov_b32_e32 v11, v5
	scratch_store_dwordx2 off, v[10:11], off offset:8
.LBB54_19:
	s_or_b64 exec, exec, s[4:5]
	; wave barrier
	scratch_load_dwordx2 v[4:5], off, off offset:16
	v_cmp_gt_u32_e32 vcc, 2, v0
	s_waitcnt vmcnt(0)
	ds_write_b64 v1, v[4:5]
	s_waitcnt lgkmcnt(0)
	; wave barrier
	s_and_saveexec_b64 s[4:5], vcc
	s_cbranch_execz .LBB54_23
; %bb.20:
	scratch_load_dwordx2 v[4:5], v3, off
	ds_read_b64 v[6:7], v1
	s_waitcnt vmcnt(0) lgkmcnt(0)
	v_pk_mul_f32 v[8:9], v[6:7], v[4:5] op_sel:[1,1] op_sel_hi:[0,1]
	v_pk_fma_f32 v[10:11], v[6:7], v[4:5], v[8:9] neg_lo:[0,0,1] neg_hi:[0,0,1]
	v_pk_fma_f32 v[4:5], v[6:7], v[4:5], v[8:9] op_sel_hi:[1,0,1]
	s_nop 0
	v_mov_b32_e32 v11, v5
	v_pk_add_f32 v[4:5], v[10:11], 0 op_sel_hi:[1,0]
	s_and_saveexec_b64 s[8:9], s[0:1]
	s_cbranch_execz .LBB54_22
; %bb.21:
	scratch_load_dwordx2 v[6:7], off, off offset:8
	v_mov_b32_e32 v3, 0
	ds_read_b64 v[8:9], v3 offset:456
	s_waitcnt vmcnt(0) lgkmcnt(0)
	v_pk_mul_f32 v[10:11], v[8:9], v[6:7] op_sel:[1,1] op_sel_hi:[0,1]
	v_pk_fma_f32 v[12:13], v[8:9], v[6:7], v[10:11] neg_lo:[0,0,1] neg_hi:[0,0,1]
	v_pk_fma_f32 v[6:7], v[8:9], v[6:7], v[10:11] op_sel_hi:[1,0,1]
	s_nop 0
	v_mov_b32_e32 v13, v7
	v_pk_add_f32 v[4:5], v[4:5], v[12:13]
.LBB54_22:
	s_or_b64 exec, exec, s[8:9]
	v_mov_b32_e32 v3, 0
	ds_read_b64 v[6:7], v3 offset:16
	s_waitcnt lgkmcnt(0)
	v_pk_mul_f32 v[8:9], v[4:5], v[6:7] op_sel:[1,1] op_sel_hi:[0,1]
	v_pk_fma_f32 v[10:11], v[4:5], v[6:7], v[8:9] neg_lo:[0,0,1] neg_hi:[0,0,1]
	v_pk_fma_f32 v[4:5], v[4:5], v[6:7], v[8:9] op_sel_hi:[1,0,1]
	s_nop 0
	v_mov_b32_e32 v11, v5
	scratch_store_dwordx2 off, v[10:11], off offset:16
.LBB54_23:
	s_or_b64 exec, exec, s[4:5]
	; wave barrier
	scratch_load_dwordx2 v[4:5], off, off offset:24
	v_cmp_gt_u32_e32 vcc, 3, v0
	v_add_u32_e32 v6, -1, v0
	s_waitcnt vmcnt(0)
	ds_write_b64 v1, v[4:5]
	s_waitcnt lgkmcnt(0)
	; wave barrier
	s_and_saveexec_b64 s[0:1], vcc
	s_cbranch_execz .LBB54_27
; %bb.24:
	v_mov_b32_e32 v4, 0
	v_add_u32_e32 v3, -1, v0
	v_add_u32_e32 v7, 0x1c0, v2
	v_mov_b32_e32 v8, v2
	s_mov_b64 s[4:5], 0
	v_mov_b32_e32 v5, v4
.LBB54_25:                              ; =>This Inner Loop Header: Depth=1
	scratch_load_dwordx2 v[10:11], v8, off
	ds_read_b64 v[12:13], v7
	v_add_u32_e32 v3, 1, v3
	v_cmp_lt_u32_e32 vcc, 1, v3
	v_add_u32_e32 v7, 8, v7
	v_add_u32_e32 v8, 8, v8
	s_or_b64 s[4:5], vcc, s[4:5]
	s_waitcnt vmcnt(0) lgkmcnt(0)
	v_pk_mul_f32 v[14:15], v[12:13], v[10:11] op_sel:[1,1] op_sel_hi:[0,1]
	v_pk_fma_f32 v[16:17], v[12:13], v[10:11], v[14:15] neg_lo:[0,0,1] neg_hi:[0,0,1]
	v_pk_fma_f32 v[10:11], v[12:13], v[10:11], v[14:15] op_sel_hi:[1,0,1]
	s_nop 0
	v_mov_b32_e32 v17, v11
	v_pk_add_f32 v[4:5], v[4:5], v[16:17]
	s_andn2_b64 exec, exec, s[4:5]
	s_cbranch_execnz .LBB54_25
; %bb.26:
	s_or_b64 exec, exec, s[4:5]
	v_mov_b32_e32 v3, 0
	ds_read_b64 v[8:9], v3 offset:24
	s_waitcnt lgkmcnt(0)
	v_pk_mul_f32 v[10:11], v[4:5], v[8:9] op_sel:[1,1] op_sel_hi:[0,1]
	v_pk_fma_f32 v[12:13], v[4:5], v[8:9], v[10:11] neg_lo:[0,0,1] neg_hi:[0,0,1]
	v_pk_fma_f32 v[4:5], v[4:5], v[8:9], v[10:11] op_sel_hi:[1,0,1]
	s_nop 0
	v_mov_b32_e32 v13, v5
	scratch_store_dwordx2 off, v[12:13], off offset:24
.LBB54_27:
	s_or_b64 exec, exec, s[0:1]
	; wave barrier
	scratch_load_dwordx2 v[4:5], off, off offset:32
	v_cmp_gt_u32_e32 vcc, 4, v0
	s_waitcnt vmcnt(0)
	ds_write_b64 v1, v[4:5]
	s_waitcnt lgkmcnt(0)
	; wave barrier
	s_and_saveexec_b64 s[0:1], vcc
	s_cbranch_execz .LBB54_31
; %bb.28:
	v_mov_b32_e32 v4, 0
	v_add_u32_e32 v3, -1, v0
	v_add_u32_e32 v7, 0x1c0, v2
	v_mov_b32_e32 v8, v2
	s_mov_b64 s[4:5], 0
	v_mov_b32_e32 v5, v4
.LBB54_29:                              ; =>This Inner Loop Header: Depth=1
	scratch_load_dwordx2 v[10:11], v8, off
	ds_read_b64 v[12:13], v7
	v_add_u32_e32 v3, 1, v3
	v_cmp_lt_u32_e32 vcc, 2, v3
	v_add_u32_e32 v7, 8, v7
	v_add_u32_e32 v8, 8, v8
	s_or_b64 s[4:5], vcc, s[4:5]
	s_waitcnt vmcnt(0) lgkmcnt(0)
	v_pk_mul_f32 v[14:15], v[12:13], v[10:11] op_sel:[1,1] op_sel_hi:[0,1]
	v_pk_fma_f32 v[16:17], v[12:13], v[10:11], v[14:15] neg_lo:[0,0,1] neg_hi:[0,0,1]
	v_pk_fma_f32 v[10:11], v[12:13], v[10:11], v[14:15] op_sel_hi:[1,0,1]
	s_nop 0
	v_mov_b32_e32 v17, v11
	v_pk_add_f32 v[4:5], v[4:5], v[16:17]
	s_andn2_b64 exec, exec, s[4:5]
	s_cbranch_execnz .LBB54_29
; %bb.30:
	s_or_b64 exec, exec, s[4:5]
	v_mov_b32_e32 v3, 0
	ds_read_b64 v[8:9], v3 offset:32
	s_waitcnt lgkmcnt(0)
	v_pk_mul_f32 v[10:11], v[4:5], v[8:9] op_sel:[1,1] op_sel_hi:[0,1]
	v_pk_fma_f32 v[12:13], v[4:5], v[8:9], v[10:11] neg_lo:[0,0,1] neg_hi:[0,0,1]
	v_pk_fma_f32 v[4:5], v[4:5], v[8:9], v[10:11] op_sel_hi:[1,0,1]
	s_nop 0
	v_mov_b32_e32 v13, v5
	scratch_store_dwordx2 off, v[12:13], off offset:32
.LBB54_31:
	s_or_b64 exec, exec, s[0:1]
	; wave barrier
	scratch_load_dwordx2 v[4:5], off, off offset:40
	v_cmp_gt_u32_e32 vcc, 5, v0
	;; [unrolled: 46-line block ×19, first 2 shown]
	s_waitcnt vmcnt(0)
	ds_write_b64 v1, v[4:5]
	s_waitcnt lgkmcnt(0)
	; wave barrier
	s_and_saveexec_b64 s[0:1], vcc
	s_cbranch_execz .LBB54_103
; %bb.100:
	v_mov_b32_e32 v4, 0
	v_add_u32_e32 v3, -1, v0
	v_add_u32_e32 v7, 0x1c0, v2
	v_mov_b32_e32 v8, v2
	s_mov_b64 s[4:5], 0
	v_mov_b32_e32 v5, v4
.LBB54_101:                             ; =>This Inner Loop Header: Depth=1
	scratch_load_dwordx2 v[10:11], v8, off
	ds_read_b64 v[12:13], v7
	v_add_u32_e32 v3, 1, v3
	v_cmp_lt_u32_e32 vcc, 20, v3
	v_add_u32_e32 v7, 8, v7
	v_add_u32_e32 v8, 8, v8
	s_or_b64 s[4:5], vcc, s[4:5]
	s_waitcnt vmcnt(0) lgkmcnt(0)
	v_pk_mul_f32 v[14:15], v[12:13], v[10:11] op_sel:[1,1] op_sel_hi:[0,1]
	v_pk_fma_f32 v[16:17], v[12:13], v[10:11], v[14:15] neg_lo:[0,0,1] neg_hi:[0,0,1]
	v_pk_fma_f32 v[10:11], v[12:13], v[10:11], v[14:15] op_sel_hi:[1,0,1]
	s_nop 0
	v_mov_b32_e32 v17, v11
	v_pk_add_f32 v[4:5], v[4:5], v[16:17]
	s_andn2_b64 exec, exec, s[4:5]
	s_cbranch_execnz .LBB54_101
; %bb.102:
	s_or_b64 exec, exec, s[4:5]
	v_mov_b32_e32 v3, 0
	ds_read_b64 v[8:9], v3 offset:176
	s_waitcnt lgkmcnt(0)
	v_pk_mul_f32 v[10:11], v[4:5], v[8:9] op_sel:[1,1] op_sel_hi:[0,1]
	v_pk_fma_f32 v[12:13], v[4:5], v[8:9], v[10:11] neg_lo:[0,0,1] neg_hi:[0,0,1]
	v_pk_fma_f32 v[4:5], v[4:5], v[8:9], v[10:11] op_sel_hi:[1,0,1]
	s_nop 0
	v_mov_b32_e32 v13, v5
	scratch_store_dwordx2 off, v[12:13], off offset:176
.LBB54_103:
	s_or_b64 exec, exec, s[0:1]
	; wave barrier
	scratch_load_dwordx2 v[4:5], off, off offset:184
	v_cmp_gt_u32_e32 vcc, 23, v0
	s_waitcnt vmcnt(0)
	ds_write_b64 v1, v[4:5]
	s_waitcnt lgkmcnt(0)
	; wave barrier
	s_and_saveexec_b64 s[0:1], vcc
	s_cbranch_execz .LBB54_107
; %bb.104:
	v_mov_b32_e32 v4, 0
	v_add_u32_e32 v3, -1, v0
	v_add_u32_e32 v7, 0x1c0, v2
	v_mov_b32_e32 v8, v2
	s_mov_b64 s[4:5], 0
	v_mov_b32_e32 v5, v4
.LBB54_105:                             ; =>This Inner Loop Header: Depth=1
	scratch_load_dwordx2 v[10:11], v8, off
	ds_read_b64 v[12:13], v7
	v_add_u32_e32 v3, 1, v3
	v_cmp_lt_u32_e32 vcc, 21, v3
	v_add_u32_e32 v7, 8, v7
	v_add_u32_e32 v8, 8, v8
	s_or_b64 s[4:5], vcc, s[4:5]
	s_waitcnt vmcnt(0) lgkmcnt(0)
	v_pk_mul_f32 v[14:15], v[12:13], v[10:11] op_sel:[1,1] op_sel_hi:[0,1]
	v_pk_fma_f32 v[16:17], v[12:13], v[10:11], v[14:15] neg_lo:[0,0,1] neg_hi:[0,0,1]
	v_pk_fma_f32 v[10:11], v[12:13], v[10:11], v[14:15] op_sel_hi:[1,0,1]
	s_nop 0
	v_mov_b32_e32 v17, v11
	v_pk_add_f32 v[4:5], v[4:5], v[16:17]
	s_andn2_b64 exec, exec, s[4:5]
	s_cbranch_execnz .LBB54_105
; %bb.106:
	s_or_b64 exec, exec, s[4:5]
	v_mov_b32_e32 v3, 0
	ds_read_b64 v[8:9], v3 offset:184
	s_waitcnt lgkmcnt(0)
	v_pk_mul_f32 v[10:11], v[4:5], v[8:9] op_sel:[1,1] op_sel_hi:[0,1]
	v_pk_fma_f32 v[12:13], v[4:5], v[8:9], v[10:11] neg_lo:[0,0,1] neg_hi:[0,0,1]
	v_pk_fma_f32 v[4:5], v[4:5], v[8:9], v[10:11] op_sel_hi:[1,0,1]
	s_nop 0
	v_mov_b32_e32 v13, v5
	scratch_store_dwordx2 off, v[12:13], off offset:184
.LBB54_107:
	s_or_b64 exec, exec, s[0:1]
	; wave barrier
	scratch_load_dwordx2 v[4:5], off, off offset:192
	v_cmp_gt_u32_e32 vcc, 24, v0
	;; [unrolled: 46-line block ×31, first 2 shown]
	s_waitcnt vmcnt(0)
	ds_write_b64 v1, v[4:5]
	s_waitcnt lgkmcnt(0)
	; wave barrier
	s_and_saveexec_b64 s[0:1], vcc
	s_cbranch_execz .LBB54_227
; %bb.224:
	v_mov_b32_e32 v4, 0
	v_add_u32_e32 v3, -1, v0
	v_add_u32_e32 v7, 0x1c0, v2
	v_mov_b32_e32 v8, v2
	s_mov_b64 s[4:5], 0
	v_mov_b32_e32 v5, v4
.LBB54_225:                             ; =>This Inner Loop Header: Depth=1
	scratch_load_dwordx2 v[10:11], v8, off
	ds_read_b64 v[12:13], v7
	v_add_u32_e32 v3, 1, v3
	v_cmp_lt_u32_e32 vcc, 51, v3
	v_add_u32_e32 v7, 8, v7
	v_add_u32_e32 v8, 8, v8
	s_or_b64 s[4:5], vcc, s[4:5]
	s_waitcnt vmcnt(0) lgkmcnt(0)
	v_pk_mul_f32 v[14:15], v[12:13], v[10:11] op_sel:[1,1] op_sel_hi:[0,1]
	v_pk_fma_f32 v[16:17], v[12:13], v[10:11], v[14:15] neg_lo:[0,0,1] neg_hi:[0,0,1]
	v_pk_fma_f32 v[10:11], v[12:13], v[10:11], v[14:15] op_sel_hi:[1,0,1]
	s_nop 0
	v_mov_b32_e32 v17, v11
	v_pk_add_f32 v[4:5], v[4:5], v[16:17]
	s_andn2_b64 exec, exec, s[4:5]
	s_cbranch_execnz .LBB54_225
; %bb.226:
	s_or_b64 exec, exec, s[4:5]
	v_mov_b32_e32 v3, 0
	ds_read_b64 v[8:9], v3 offset:424
	s_waitcnt lgkmcnt(0)
	v_pk_mul_f32 v[10:11], v[4:5], v[8:9] op_sel:[1,1] op_sel_hi:[0,1]
	v_pk_fma_f32 v[12:13], v[4:5], v[8:9], v[10:11] neg_lo:[0,0,1] neg_hi:[0,0,1]
	v_pk_fma_f32 v[4:5], v[4:5], v[8:9], v[10:11] op_sel_hi:[1,0,1]
	s_nop 0
	v_mov_b32_e32 v13, v5
	scratch_store_dwordx2 off, v[12:13], off offset:424
.LBB54_227:
	s_or_b64 exec, exec, s[0:1]
	; wave barrier
	scratch_load_dwordx2 v[4:5], off, off offset:432
	v_cmp_ne_u32_e32 vcc, 54, v0
	s_waitcnt vmcnt(0)
	ds_write_b64 v1, v[4:5]
	s_waitcnt lgkmcnt(0)
	; wave barrier
	s_and_saveexec_b64 s[0:1], vcc
	s_cbranch_execz .LBB54_231
; %bb.228:
	v_add_u32_e32 v1, 0x1c0, v2
	v_mov_b32_e32 v4, v2
	v_mov_b32_e32 v2, 0
	s_mov_b64 s[4:5], 0
	v_mov_b32_e32 v3, v2
.LBB54_229:                             ; =>This Inner Loop Header: Depth=1
	scratch_load_dwordx2 v[8:9], v4, off
	ds_read_b64 v[10:11], v1
	v_add_u32_e32 v6, 1, v6
	v_cmp_lt_u32_e32 vcc, 52, v6
	v_add_u32_e32 v1, 8, v1
	v_add_u32_e32 v4, 8, v4
	s_or_b64 s[4:5], vcc, s[4:5]
	s_waitcnt vmcnt(0) lgkmcnt(0)
	v_pk_mul_f32 v[12:13], v[10:11], v[8:9] op_sel:[1,1] op_sel_hi:[0,1]
	v_pk_fma_f32 v[14:15], v[10:11], v[8:9], v[12:13] neg_lo:[0,0,1] neg_hi:[0,0,1]
	v_pk_fma_f32 v[8:9], v[10:11], v[8:9], v[12:13] op_sel_hi:[1,0,1]
	s_nop 0
	v_mov_b32_e32 v15, v9
	v_pk_add_f32 v[2:3], v[2:3], v[14:15]
	s_andn2_b64 exec, exec, s[4:5]
	s_cbranch_execnz .LBB54_229
; %bb.230:
	s_or_b64 exec, exec, s[4:5]
	v_mov_b32_e32 v1, 0
	ds_read_b64 v[4:5], v1 offset:432
	s_waitcnt lgkmcnt(0)
	v_pk_mul_f32 v[6:7], v[2:3], v[4:5] op_sel:[1,1] op_sel_hi:[0,1]
	v_pk_fma_f32 v[8:9], v[2:3], v[4:5], v[6:7] neg_lo:[0,0,1] neg_hi:[0,0,1]
	v_pk_fma_f32 v[2:3], v[2:3], v[4:5], v[6:7] op_sel_hi:[1,0,1]
	s_nop 0
	v_mov_b32_e32 v9, v3
	scratch_store_dwordx2 off, v[8:9], off offset:432
.LBB54_231:
	s_or_b64 exec, exec, s[0:1]
	s_mov_b64 s[4:5], -1
	; wave barrier
.LBB54_232:
	s_and_b64 vcc, exec, s[4:5]
	s_cbranch_vccz .LBB54_234
; %bb.233:
	s_lshl_b64 s[0:1], s[2:3], 2
	s_add_u32 s0, s6, s0
	s_addc_u32 s1, s7, s1
	v_mov_b32_e32 v1, 0
	global_load_dword v1, v1, s[0:1]
	s_waitcnt vmcnt(0)
	v_cmp_ne_u32_e32 vcc, 0, v1
	s_cbranch_vccz .LBB54_235
.LBB54_234:
	s_endpgm
.LBB54_235:
	v_mov_b32_e32 v1, 0x1c0
	v_lshl_add_u32 v1, v0, 3, v1
	v_cmp_eq_u32_e32 vcc, 54, v0
	s_and_saveexec_b64 s[0:1], vcc
	s_cbranch_execz .LBB54_237
; %bb.236:
	scratch_load_dwordx2 v[2:3], off, off offset:424
	v_mov_b32_e32 v4, 0
	v_mov_b32_e32 v5, v4
	scratch_store_dwordx2 off, v[4:5], off offset:424
	s_waitcnt vmcnt(1)
	ds_write_b64 v1, v[2:3]
.LBB54_237:
	s_or_b64 exec, exec, s[0:1]
	s_waitcnt lgkmcnt(0)
	; wave barrier
	scratch_load_dwordx2 v[4:5], off, off offset:432
	scratch_load_dwordx2 v[6:7], off, off offset:424
	v_mov_b32_e32 v2, 0
	ds_read_b64 v[8:9], v2 offset:880
	v_cmp_lt_u32_e32 vcc, 52, v0
	s_waitcnt vmcnt(1) lgkmcnt(0)
	v_pk_mul_f32 v[10:11], v[8:9], v[4:5] op_sel:[1,1] op_sel_hi:[0,1]
	v_pk_fma_f32 v[12:13], v[8:9], v[4:5], v[10:11] neg_lo:[0,0,1] neg_hi:[0,0,1]
	v_pk_fma_f32 v[4:5], v[8:9], v[4:5], v[10:11] op_sel_hi:[1,0,1]
	s_nop 0
	v_mov_b32_e32 v13, v5
	v_pk_add_f32 v[4:5], v[12:13], 0 op_sel_hi:[1,0]
	s_waitcnt vmcnt(0)
	v_pk_add_f32 v[4:5], v[6:7], v[4:5] neg_lo:[0,1] neg_hi:[0,1]
	scratch_store_dwordx2 off, v[4:5], off offset:424
	s_and_saveexec_b64 s[0:1], vcc
	s_cbranch_execz .LBB54_239
; %bb.238:
	scratch_load_dwordx2 v[4:5], off, off offset:416
	v_mov_b32_e32 v3, v2
	scratch_store_dwordx2 off, v[2:3], off offset:416
	s_waitcnt vmcnt(1)
	ds_write_b64 v1, v[4:5]
.LBB54_239:
	s_or_b64 exec, exec, s[0:1]
	s_waitcnt lgkmcnt(0)
	; wave barrier
	scratch_load_dwordx4 v[4:7], off, off offset:424
	scratch_load_dwordx2 v[12:13], off, off offset:416
	ds_read2_b64 v[8:11], v2 offset0:109 offset1:110
	v_cmp_lt_u32_e32 vcc, 51, v0
	s_waitcnt vmcnt(1) lgkmcnt(0)
	v_pk_mul_f32 v[2:3], v[8:9], v[4:5] op_sel:[1,1] op_sel_hi:[0,1]
	v_mov_b32_e32 v14, v7
	v_pk_fma_f32 v[16:17], v[8:9], v[4:5], v[2:3] neg_lo:[0,0,1] neg_hi:[0,0,1]
	v_pk_fma_f32 v[2:3], v[8:9], v[4:5], v[2:3] op_sel_hi:[1,0,1]
	v_pk_mul_f32 v[4:5], v[10:11], v[14:15] op_sel:[1,0] op_sel_hi:[0,0]
	v_mov_b32_e32 v17, v3
	v_pk_fma_f32 v[2:3], v[10:11], v[6:7], v[4:5] neg_lo:[0,0,1] neg_hi:[0,0,1]
	v_pk_fma_f32 v[4:5], v[10:11], v[6:7], v[4:5] op_sel_hi:[1,0,1]
	v_pk_add_f32 v[6:7], v[16:17], 0 op_sel_hi:[1,0]
	v_mov_b32_e32 v3, v5
	v_pk_add_f32 v[2:3], v[6:7], v[2:3]
	s_waitcnt vmcnt(0)
	v_pk_add_f32 v[2:3], v[12:13], v[2:3] neg_lo:[0,1] neg_hi:[0,1]
	scratch_store_dwordx2 off, v[2:3], off offset:416
	s_and_saveexec_b64 s[0:1], vcc
	s_cbranch_execz .LBB54_241
; %bb.240:
	scratch_load_dwordx2 v[2:3], off, off offset:408
	v_mov_b32_e32 v4, 0
	v_mov_b32_e32 v5, v4
	scratch_store_dwordx2 off, v[4:5], off offset:408
	s_waitcnt vmcnt(1)
	ds_write_b64 v1, v[2:3]
.LBB54_241:
	s_or_b64 exec, exec, s[0:1]
	s_waitcnt lgkmcnt(0)
	; wave barrier
	scratch_load_dwordx4 v[4:7], off, off offset:416
	scratch_load_dwordx2 v[12:13], off, off offset:432
	scratch_load_dwordx2 v[14:15], off, off offset:408
	v_mov_b32_e32 v2, 0
	ds_read_b128 v[8:11], v2 offset:864
	ds_read_b64 v[16:17], v2 offset:880
	v_cmp_lt_u32_e32 vcc, 50, v0
	s_waitcnt vmcnt(2) lgkmcnt(1)
	v_pk_mul_f32 v[18:19], v[8:9], v[4:5] op_sel:[1,1] op_sel_hi:[0,1]
	v_mov_b32_e32 v20, v7
	v_pk_fma_f32 v[24:25], v[8:9], v[4:5], v[18:19] neg_lo:[0,0,1] neg_hi:[0,0,1]
	v_pk_fma_f32 v[4:5], v[8:9], v[4:5], v[18:19] op_sel_hi:[1,0,1]
	v_pk_mul_f32 v[8:9], v[10:11], v[20:21] op_sel:[1,0] op_sel_hi:[0,0]
	s_waitcnt vmcnt(1) lgkmcnt(0)
	v_pk_mul_f32 v[22:23], v[16:17], v[12:13] op_sel:[1,1] op_sel_hi:[0,1]
	v_mov_b32_e32 v25, v5
	v_pk_fma_f32 v[4:5], v[10:11], v[6:7], v[8:9] neg_lo:[0,0,1] neg_hi:[0,0,1]
	v_pk_fma_f32 v[6:7], v[10:11], v[6:7], v[8:9] op_sel_hi:[1,0,1]
	v_pk_fma_f32 v[18:19], v[16:17], v[12:13], v[22:23] neg_lo:[0,0,1] neg_hi:[0,0,1]
	v_pk_fma_f32 v[12:13], v[16:17], v[12:13], v[22:23] op_sel_hi:[1,0,1]
	v_pk_add_f32 v[8:9], v[24:25], 0 op_sel_hi:[1,0]
	v_mov_b32_e32 v5, v7
	v_mov_b32_e32 v19, v13
	v_pk_add_f32 v[4:5], v[8:9], v[4:5]
	s_nop 0
	v_pk_add_f32 v[4:5], v[4:5], v[18:19]
	s_waitcnt vmcnt(0)
	v_pk_add_f32 v[4:5], v[14:15], v[4:5] neg_lo:[0,1] neg_hi:[0,1]
	scratch_store_dwordx2 off, v[4:5], off offset:408
	s_and_saveexec_b64 s[0:1], vcc
	s_cbranch_execz .LBB54_243
; %bb.242:
	scratch_load_dwordx2 v[4:5], off, off offset:400
	v_mov_b32_e32 v3, v2
	scratch_store_dwordx2 off, v[2:3], off offset:400
	s_waitcnt vmcnt(1)
	ds_write_b64 v1, v[4:5]
.LBB54_243:
	s_or_b64 exec, exec, s[0:1]
	s_waitcnt lgkmcnt(0)
	; wave barrier
	scratch_load_dwordx4 v[4:7], off, off offset:408
	scratch_load_dwordx4 v[8:11], off, off offset:424
	scratch_load_dwordx2 v[20:21], off, off offset:400
	ds_read2_b64 v[12:15], v2 offset0:107 offset1:108
	ds_read2_b64 v[16:19], v2 offset0:109 offset1:110
	v_cmp_lt_u32_e32 vcc, 49, v0
	s_waitcnt vmcnt(2) lgkmcnt(1)
	v_pk_mul_f32 v[2:3], v[12:13], v[4:5] op_sel:[1,1] op_sel_hi:[0,1]
	v_mov_b32_e32 v22, v7
	s_waitcnt vmcnt(1) lgkmcnt(0)
	v_pk_mul_f32 v[24:25], v[16:17], v[8:9] op_sel:[1,1] op_sel_hi:[0,1]
	v_mov_b32_e32 v26, v11
	v_pk_fma_f32 v[28:29], v[12:13], v[4:5], v[2:3] neg_lo:[0,0,1] neg_hi:[0,0,1]
	v_pk_fma_f32 v[2:3], v[12:13], v[4:5], v[2:3] op_sel_hi:[1,0,1]
	v_pk_mul_f32 v[4:5], v[14:15], v[22:23] op_sel:[1,0] op_sel_hi:[0,0]
	v_pk_fma_f32 v[12:13], v[16:17], v[8:9], v[24:25] neg_lo:[0,0,1] neg_hi:[0,0,1]
	v_pk_fma_f32 v[8:9], v[16:17], v[8:9], v[24:25] op_sel_hi:[1,0,1]
	v_pk_mul_f32 v[16:17], v[18:19], v[26:27] op_sel:[1,0] op_sel_hi:[0,0]
	v_mov_b32_e32 v29, v3
	v_pk_fma_f32 v[2:3], v[14:15], v[6:7], v[4:5] neg_lo:[0,0,1] neg_hi:[0,0,1]
	v_pk_fma_f32 v[4:5], v[14:15], v[6:7], v[4:5] op_sel_hi:[1,0,1]
	v_mov_b32_e32 v13, v9
	v_pk_fma_f32 v[6:7], v[18:19], v[10:11], v[16:17] neg_lo:[0,0,1] neg_hi:[0,0,1]
	v_pk_fma_f32 v[8:9], v[18:19], v[10:11], v[16:17] op_sel_hi:[1,0,1]
	v_pk_add_f32 v[10:11], v[28:29], 0 op_sel_hi:[1,0]
	v_mov_b32_e32 v3, v5
	v_pk_add_f32 v[2:3], v[10:11], v[2:3]
	v_mov_b32_e32 v7, v9
	v_pk_add_f32 v[2:3], v[2:3], v[12:13]
	s_nop 0
	v_pk_add_f32 v[2:3], v[2:3], v[6:7]
	s_waitcnt vmcnt(0)
	v_pk_add_f32 v[2:3], v[20:21], v[2:3] neg_lo:[0,1] neg_hi:[0,1]
	scratch_store_dwordx2 off, v[2:3], off offset:400
	s_and_saveexec_b64 s[0:1], vcc
	s_cbranch_execz .LBB54_245
; %bb.244:
	scratch_load_dwordx2 v[2:3], off, off offset:392
	v_mov_b32_e32 v4, 0
	v_mov_b32_e32 v5, v4
	scratch_store_dwordx2 off, v[4:5], off offset:392
	s_waitcnt vmcnt(1)
	ds_write_b64 v1, v[2:3]
.LBB54_245:
	s_or_b64 exec, exec, s[0:1]
	s_waitcnt lgkmcnt(0)
	; wave barrier
	scratch_load_dwordx4 v[4:7], off, off offset:400
	scratch_load_dwordx4 v[8:11], off, off offset:416
	scratch_load_dwordx2 v[20:21], off, off offset:432
	scratch_load_dwordx2 v[22:23], off, off offset:392
	v_mov_b32_e32 v2, 0
	ds_read_b128 v[12:15], v2 offset:848
	ds_read_b128 v[16:19], v2 offset:864
	ds_read_b64 v[24:25], v2 offset:880
	v_cmp_lt_u32_e32 vcc, 48, v0
	s_waitcnt vmcnt(3) lgkmcnt(2)
	v_pk_mul_f32 v[26:27], v[12:13], v[4:5] op_sel:[1,1] op_sel_hi:[0,1]
	v_mov_b32_e32 v28, v7
	v_pk_fma_f32 v[36:37], v[12:13], v[4:5], v[26:27] neg_lo:[0,0,1] neg_hi:[0,0,1]
	v_pk_fma_f32 v[4:5], v[12:13], v[4:5], v[26:27] op_sel_hi:[1,0,1]
	v_pk_mul_f32 v[12:13], v[14:15], v[28:29] op_sel:[1,0] op_sel_hi:[0,0]
	s_waitcnt vmcnt(2) lgkmcnt(1)
	v_pk_mul_f32 v[30:31], v[16:17], v[8:9] op_sel:[1,1] op_sel_hi:[0,1]
	v_mov_b32_e32 v32, v11
	v_mov_b32_e32 v37, v5
	v_pk_fma_f32 v[4:5], v[14:15], v[6:7], v[12:13] neg_lo:[0,0,1] neg_hi:[0,0,1]
	v_pk_fma_f32 v[6:7], v[14:15], v[6:7], v[12:13] op_sel_hi:[1,0,1]
	v_pk_fma_f32 v[26:27], v[16:17], v[8:9], v[30:31] neg_lo:[0,0,1] neg_hi:[0,0,1]
	v_pk_fma_f32 v[8:9], v[16:17], v[8:9], v[30:31] op_sel_hi:[1,0,1]
	v_pk_mul_f32 v[16:17], v[18:19], v[32:33] op_sel:[1,0] op_sel_hi:[0,0]
	v_pk_add_f32 v[12:13], v[36:37], 0 op_sel_hi:[1,0]
	v_mov_b32_e32 v5, v7
	s_waitcnt vmcnt(1) lgkmcnt(0)
	v_pk_mul_f32 v[34:35], v[24:25], v[20:21] op_sel:[1,1] op_sel_hi:[0,1]
	v_mov_b32_e32 v27, v9
	v_pk_fma_f32 v[8:9], v[18:19], v[10:11], v[16:17] neg_lo:[0,0,1] neg_hi:[0,0,1]
	v_pk_fma_f32 v[10:11], v[18:19], v[10:11], v[16:17] op_sel_hi:[1,0,1]
	v_pk_add_f32 v[4:5], v[12:13], v[4:5]
	v_pk_fma_f32 v[28:29], v[24:25], v[20:21], v[34:35] neg_lo:[0,0,1] neg_hi:[0,0,1]
	v_pk_fma_f32 v[20:21], v[24:25], v[20:21], v[34:35] op_sel_hi:[1,0,1]
	v_mov_b32_e32 v9, v11
	v_pk_add_f32 v[4:5], v[4:5], v[26:27]
	v_mov_b32_e32 v29, v21
	v_pk_add_f32 v[4:5], v[4:5], v[8:9]
	s_nop 0
	v_pk_add_f32 v[4:5], v[4:5], v[28:29]
	s_waitcnt vmcnt(0)
	v_pk_add_f32 v[4:5], v[22:23], v[4:5] neg_lo:[0,1] neg_hi:[0,1]
	scratch_store_dwordx2 off, v[4:5], off offset:392
	s_and_saveexec_b64 s[0:1], vcc
	s_cbranch_execz .LBB54_247
; %bb.246:
	scratch_load_dwordx2 v[4:5], off, off offset:384
	v_mov_b32_e32 v3, v2
	scratch_store_dwordx2 off, v[2:3], off offset:384
	s_waitcnt vmcnt(1)
	ds_write_b64 v1, v[4:5]
.LBB54_247:
	s_or_b64 exec, exec, s[0:1]
	s_waitcnt lgkmcnt(0)
	; wave barrier
	scratch_load_dwordx4 v[4:7], off, off offset:392
	scratch_load_dwordx4 v[8:11], off, off offset:408
	scratch_load_dwordx4 v[12:15], off, off offset:424
	scratch_load_dwordx2 v[28:29], off, off offset:384
	ds_read2_b64 v[16:19], v2 offset0:105 offset1:106
	ds_read2_b64 v[20:23], v2 offset0:107 offset1:108
	ds_read2_b64 v[24:27], v2 offset0:109 offset1:110
	v_cmp_lt_u32_e32 vcc, 47, v0
	s_waitcnt vmcnt(3) lgkmcnt(2)
	v_pk_mul_f32 v[2:3], v[16:17], v[4:5] op_sel:[1,1] op_sel_hi:[0,1]
	v_mov_b32_e32 v30, v7
	s_waitcnt vmcnt(2) lgkmcnt(1)
	v_pk_mul_f32 v[32:33], v[20:21], v[8:9] op_sel:[1,1] op_sel_hi:[0,1]
	v_mov_b32_e32 v34, v11
	;; [unrolled: 3-line block ×3, first 2 shown]
	v_pk_fma_f32 v[40:41], v[16:17], v[4:5], v[2:3] neg_lo:[0,0,1] neg_hi:[0,0,1]
	v_pk_fma_f32 v[2:3], v[16:17], v[4:5], v[2:3] op_sel_hi:[1,0,1]
	v_pk_mul_f32 v[4:5], v[18:19], v[30:31] op_sel:[1,0] op_sel_hi:[0,0]
	v_pk_fma_f32 v[16:17], v[20:21], v[8:9], v[32:33] neg_lo:[0,0,1] neg_hi:[0,0,1]
	v_pk_fma_f32 v[8:9], v[20:21], v[8:9], v[32:33] op_sel_hi:[1,0,1]
	v_pk_mul_f32 v[20:21], v[22:23], v[34:35] op_sel:[1,0] op_sel_hi:[0,0]
	;; [unrolled: 3-line block ×3, first 2 shown]
	v_mov_b32_e32 v41, v3
	v_pk_fma_f32 v[2:3], v[18:19], v[6:7], v[4:5] neg_lo:[0,0,1] neg_hi:[0,0,1]
	v_pk_fma_f32 v[4:5], v[18:19], v[6:7], v[4:5] op_sel_hi:[1,0,1]
	v_mov_b32_e32 v17, v9
	v_pk_fma_f32 v[6:7], v[22:23], v[10:11], v[20:21] neg_lo:[0,0,1] neg_hi:[0,0,1]
	v_pk_fma_f32 v[8:9], v[22:23], v[10:11], v[20:21] op_sel_hi:[1,0,1]
	;; [unrolled: 3-line block ×3, first 2 shown]
	v_pk_add_f32 v[14:15], v[40:41], 0 op_sel_hi:[1,0]
	v_mov_b32_e32 v3, v5
	v_pk_add_f32 v[2:3], v[14:15], v[2:3]
	v_mov_b32_e32 v7, v9
	v_pk_add_f32 v[2:3], v[2:3], v[16:17]
	;; [unrolled: 2-line block ×3, first 2 shown]
	s_nop 0
	v_pk_add_f32 v[2:3], v[2:3], v[30:31]
	s_nop 0
	v_pk_add_f32 v[2:3], v[2:3], v[10:11]
	s_waitcnt vmcnt(0)
	v_pk_add_f32 v[2:3], v[28:29], v[2:3] neg_lo:[0,1] neg_hi:[0,1]
	scratch_store_dwordx2 off, v[2:3], off offset:384
	s_and_saveexec_b64 s[0:1], vcc
	s_cbranch_execz .LBB54_249
; %bb.248:
	scratch_load_dwordx2 v[2:3], off, off offset:376
	v_mov_b32_e32 v4, 0
	v_mov_b32_e32 v5, v4
	scratch_store_dwordx2 off, v[4:5], off offset:376
	s_waitcnt vmcnt(1)
	ds_write_b64 v1, v[2:3]
.LBB54_249:
	s_or_b64 exec, exec, s[0:1]
	s_waitcnt lgkmcnt(0)
	; wave barrier
	scratch_load_dwordx4 v[4:7], off, off offset:384
	scratch_load_dwordx4 v[8:11], off, off offset:400
	;; [unrolled: 1-line block ×3, first 2 shown]
	scratch_load_dwordx2 v[28:29], off, off offset:432
	scratch_load_dwordx2 v[30:31], off, off offset:376
	v_mov_b32_e32 v2, 0
	ds_read_b128 v[16:19], v2 offset:832
	ds_read_b128 v[20:23], v2 offset:848
	;; [unrolled: 1-line block ×3, first 2 shown]
	ds_read_b64 v[32:33], v2 offset:880
	v_cmp_lt_u32_e32 vcc, 46, v0
	s_waitcnt vmcnt(4) lgkmcnt(3)
	v_pk_mul_f32 v[34:35], v[16:17], v[4:5] op_sel:[1,1] op_sel_hi:[0,1]
	v_mov_b32_e32 v36, v7
	v_pk_fma_f32 v[48:49], v[16:17], v[4:5], v[34:35] neg_lo:[0,0,1] neg_hi:[0,0,1]
	v_pk_fma_f32 v[4:5], v[16:17], v[4:5], v[34:35] op_sel_hi:[1,0,1]
	v_pk_mul_f32 v[16:17], v[18:19], v[36:37] op_sel:[1,0] op_sel_hi:[0,0]
	s_waitcnt vmcnt(3) lgkmcnt(2)
	v_pk_mul_f32 v[38:39], v[20:21], v[8:9] op_sel:[1,1] op_sel_hi:[0,1]
	v_mov_b32_e32 v40, v11
	v_mov_b32_e32 v49, v5
	v_pk_fma_f32 v[4:5], v[18:19], v[6:7], v[16:17] neg_lo:[0,0,1] neg_hi:[0,0,1]
	v_pk_fma_f32 v[6:7], v[18:19], v[6:7], v[16:17] op_sel_hi:[1,0,1]
	v_pk_fma_f32 v[34:35], v[20:21], v[8:9], v[38:39] neg_lo:[0,0,1] neg_hi:[0,0,1]
	v_pk_fma_f32 v[8:9], v[20:21], v[8:9], v[38:39] op_sel_hi:[1,0,1]
	v_pk_mul_f32 v[20:21], v[22:23], v[40:41] op_sel:[1,0] op_sel_hi:[0,0]
	v_pk_add_f32 v[16:17], v[48:49], 0 op_sel_hi:[1,0]
	v_mov_b32_e32 v5, v7
	s_waitcnt vmcnt(2) lgkmcnt(1)
	v_pk_mul_f32 v[42:43], v[24:25], v[12:13] op_sel:[1,1] op_sel_hi:[0,1]
	v_mov_b32_e32 v44, v15
	v_mov_b32_e32 v35, v9
	v_pk_fma_f32 v[8:9], v[22:23], v[10:11], v[20:21] neg_lo:[0,0,1] neg_hi:[0,0,1]
	v_pk_fma_f32 v[10:11], v[22:23], v[10:11], v[20:21] op_sel_hi:[1,0,1]
	v_pk_add_f32 v[4:5], v[16:17], v[4:5]
	v_pk_fma_f32 v[36:37], v[24:25], v[12:13], v[42:43] neg_lo:[0,0,1] neg_hi:[0,0,1]
	v_pk_fma_f32 v[12:13], v[24:25], v[12:13], v[42:43] op_sel_hi:[1,0,1]
	v_pk_mul_f32 v[24:25], v[26:27], v[44:45] op_sel:[1,0] op_sel_hi:[0,0]
	v_mov_b32_e32 v9, v11
	v_pk_add_f32 v[4:5], v[4:5], v[34:35]
	s_waitcnt vmcnt(1) lgkmcnt(0)
	v_pk_mul_f32 v[46:47], v[32:33], v[28:29] op_sel:[1,1] op_sel_hi:[0,1]
	v_mov_b32_e32 v37, v13
	v_pk_fma_f32 v[12:13], v[26:27], v[14:15], v[24:25] neg_lo:[0,0,1] neg_hi:[0,0,1]
	v_pk_fma_f32 v[14:15], v[26:27], v[14:15], v[24:25] op_sel_hi:[1,0,1]
	v_pk_add_f32 v[4:5], v[4:5], v[8:9]
	v_pk_fma_f32 v[38:39], v[32:33], v[28:29], v[46:47] neg_lo:[0,0,1] neg_hi:[0,0,1]
	v_pk_fma_f32 v[28:29], v[32:33], v[28:29], v[46:47] op_sel_hi:[1,0,1]
	v_mov_b32_e32 v13, v15
	v_pk_add_f32 v[4:5], v[4:5], v[36:37]
	v_mov_b32_e32 v39, v29
	v_pk_add_f32 v[4:5], v[4:5], v[12:13]
	s_nop 0
	v_pk_add_f32 v[4:5], v[4:5], v[38:39]
	s_waitcnt vmcnt(0)
	v_pk_add_f32 v[4:5], v[30:31], v[4:5] neg_lo:[0,1] neg_hi:[0,1]
	scratch_store_dwordx2 off, v[4:5], off offset:376
	s_and_saveexec_b64 s[0:1], vcc
	s_cbranch_execz .LBB54_251
; %bb.250:
	scratch_load_dwordx2 v[4:5], off, off offset:368
	v_mov_b32_e32 v3, v2
	scratch_store_dwordx2 off, v[2:3], off offset:368
	s_waitcnt vmcnt(1)
	ds_write_b64 v1, v[4:5]
.LBB54_251:
	s_or_b64 exec, exec, s[0:1]
	s_waitcnt lgkmcnt(0)
	; wave barrier
	scratch_load_dwordx4 v[4:7], off, off offset:376
	scratch_load_dwordx4 v[8:11], off, off offset:392
	;; [unrolled: 1-line block ×4, first 2 shown]
	scratch_load_dwordx2 v[36:37], off, off offset:368
	ds_read2_b64 v[20:23], v2 offset0:103 offset1:104
	ds_read2_b64 v[24:27], v2 offset0:105 offset1:106
	;; [unrolled: 1-line block ×4, first 2 shown]
	v_cmp_lt_u32_e32 vcc, 45, v0
	s_waitcnt vmcnt(4) lgkmcnt(3)
	v_pk_mul_f32 v[2:3], v[20:21], v[4:5] op_sel:[1,1] op_sel_hi:[0,1]
	v_mov_b32_e32 v38, v7
	s_waitcnt vmcnt(3) lgkmcnt(2)
	v_pk_mul_f32 v[40:41], v[24:25], v[8:9] op_sel:[1,1] op_sel_hi:[0,1]
	v_mov_b32_e32 v42, v11
	;; [unrolled: 3-line block ×4, first 2 shown]
	v_pk_fma_f32 v[52:53], v[20:21], v[4:5], v[2:3] neg_lo:[0,0,1] neg_hi:[0,0,1]
	v_pk_fma_f32 v[2:3], v[20:21], v[4:5], v[2:3] op_sel_hi:[1,0,1]
	v_pk_mul_f32 v[4:5], v[22:23], v[38:39] op_sel:[1,0] op_sel_hi:[0,0]
	v_pk_fma_f32 v[20:21], v[24:25], v[8:9], v[40:41] neg_lo:[0,0,1] neg_hi:[0,0,1]
	v_pk_fma_f32 v[8:9], v[24:25], v[8:9], v[40:41] op_sel_hi:[1,0,1]
	v_pk_mul_f32 v[24:25], v[26:27], v[42:43] op_sel:[1,0] op_sel_hi:[0,0]
	;; [unrolled: 3-line block ×4, first 2 shown]
	v_mov_b32_e32 v53, v3
	v_pk_fma_f32 v[2:3], v[22:23], v[6:7], v[4:5] neg_lo:[0,0,1] neg_hi:[0,0,1]
	v_pk_fma_f32 v[4:5], v[22:23], v[6:7], v[4:5] op_sel_hi:[1,0,1]
	v_mov_b32_e32 v21, v9
	v_pk_fma_f32 v[6:7], v[26:27], v[10:11], v[24:25] neg_lo:[0,0,1] neg_hi:[0,0,1]
	v_pk_fma_f32 v[8:9], v[26:27], v[10:11], v[24:25] op_sel_hi:[1,0,1]
	;; [unrolled: 3-line block ×4, first 2 shown]
	v_pk_add_f32 v[18:19], v[52:53], 0 op_sel_hi:[1,0]
	v_mov_b32_e32 v3, v5
	v_pk_add_f32 v[2:3], v[18:19], v[2:3]
	v_mov_b32_e32 v7, v9
	v_pk_add_f32 v[2:3], v[2:3], v[20:21]
	v_mov_b32_e32 v11, v13
	v_pk_add_f32 v[2:3], v[2:3], v[6:7]
	v_mov_b32_e32 v15, v17
	v_pk_add_f32 v[2:3], v[2:3], v[38:39]
	s_nop 0
	v_pk_add_f32 v[2:3], v[2:3], v[10:11]
	s_nop 0
	v_pk_add_f32 v[2:3], v[2:3], v[40:41]
	;; [unrolled: 2-line block ×3, first 2 shown]
	s_waitcnt vmcnt(0)
	v_pk_add_f32 v[2:3], v[36:37], v[2:3] neg_lo:[0,1] neg_hi:[0,1]
	scratch_store_dwordx2 off, v[2:3], off offset:368
	s_and_saveexec_b64 s[0:1], vcc
	s_cbranch_execz .LBB54_253
; %bb.252:
	scratch_load_dwordx2 v[2:3], off, off offset:360
	v_mov_b32_e32 v4, 0
	v_mov_b32_e32 v5, v4
	scratch_store_dwordx2 off, v[4:5], off offset:360
	s_waitcnt vmcnt(1)
	ds_write_b64 v1, v[2:3]
.LBB54_253:
	s_or_b64 exec, exec, s[0:1]
	s_waitcnt lgkmcnt(0)
	; wave barrier
	scratch_load_dwordx4 v[4:7], off, off offset:368
	scratch_load_dwordx4 v[8:11], off, off offset:384
	;; [unrolled: 1-line block ×4, first 2 shown]
	scratch_load_dwordx2 v[36:37], off, off offset:432
	scratch_load_dwordx2 v[38:39], off, off offset:360
	v_mov_b32_e32 v2, 0
	ds_read_b128 v[20:23], v2 offset:816
	ds_read_b128 v[24:27], v2 offset:832
	;; [unrolled: 1-line block ×4, first 2 shown]
	ds_read_b64 v[40:41], v2 offset:880
	v_cmp_lt_u32_e32 vcc, 44, v0
	s_waitcnt vmcnt(5) lgkmcnt(4)
	v_mul_f32_e32 v43, v20, v5
	v_mul_f32_e32 v3, v21, v5
	v_mov_b32_e32 v44, v7
	s_waitcnt vmcnt(4) lgkmcnt(3)
	v_pk_mul_f32 v[46:47], v[24:25], v[8:9] op_sel:[1,1] op_sel_hi:[0,1]
	v_mov_b32_e32 v48, v11
	s_waitcnt vmcnt(1) lgkmcnt(0)
	v_pk_mul_f32 v[58:59], v[40:41], v[36:37] op_sel:[1,1] op_sel_hi:[0,1]
	v_fmac_f32_e32 v43, v21, v4
	v_fma_f32 v42, v20, v4, -v3
	v_pk_mul_f32 v[4:5], v[22:23], v[44:45] op_sel:[1,0] op_sel_hi:[0,0]
	v_pk_fma_f32 v[20:21], v[24:25], v[8:9], v[46:47] neg_lo:[0,0,1] neg_hi:[0,0,1]
	v_pk_fma_f32 v[8:9], v[24:25], v[8:9], v[46:47] op_sel_hi:[1,0,1]
	v_pk_mul_f32 v[24:25], v[26:27], v[48:49] op_sel:[1,0] op_sel_hi:[0,0]
	v_pk_fma_f32 v[48:49], v[40:41], v[36:37], v[58:59] neg_lo:[0,0,1] neg_hi:[0,0,1]
	v_pk_fma_f32 v[36:37], v[40:41], v[36:37], v[58:59] op_sel_hi:[1,0,1]
	v_pk_add_f32 v[40:41], v[42:43], 0 op_sel_hi:[1,0]
	v_pk_fma_f32 v[42:43], v[22:23], v[6:7], v[4:5] neg_lo:[0,0,1] neg_hi:[0,0,1]
	v_pk_fma_f32 v[4:5], v[22:23], v[6:7], v[4:5] op_sel_hi:[1,0,1]
	v_pk_mul_f32 v[50:51], v[28:29], v[12:13] op_sel:[1,1] op_sel_hi:[0,1]
	v_mov_b32_e32 v43, v5
	v_mov_b32_e32 v52, v15
	;; [unrolled: 1-line block ×3, first 2 shown]
	v_pk_fma_f32 v[6:7], v[26:27], v[10:11], v[24:25] neg_lo:[0,0,1] neg_hi:[0,0,1]
	v_pk_fma_f32 v[8:9], v[26:27], v[10:11], v[24:25] op_sel_hi:[1,0,1]
	v_pk_add_f32 v[4:5], v[40:41], v[42:43]
	v_pk_fma_f32 v[44:45], v[28:29], v[12:13], v[50:51] neg_lo:[0,0,1] neg_hi:[0,0,1]
	v_pk_fma_f32 v[12:13], v[28:29], v[12:13], v[50:51] op_sel_hi:[1,0,1]
	v_pk_mul_f32 v[28:29], v[30:31], v[52:53] op_sel:[1,0] op_sel_hi:[0,0]
	v_mov_b32_e32 v7, v9
	v_pk_add_f32 v[4:5], v[4:5], v[20:21]
	v_pk_mul_f32 v[54:55], v[32:33], v[16:17] op_sel:[1,1] op_sel_hi:[0,1]
	v_mov_b32_e32 v56, v19
	v_mov_b32_e32 v45, v13
	v_pk_fma_f32 v[10:11], v[30:31], v[14:15], v[28:29] neg_lo:[0,0,1] neg_hi:[0,0,1]
	v_pk_fma_f32 v[12:13], v[30:31], v[14:15], v[28:29] op_sel_hi:[1,0,1]
	v_pk_add_f32 v[4:5], v[4:5], v[6:7]
	v_pk_fma_f32 v[46:47], v[32:33], v[16:17], v[54:55] neg_lo:[0,0,1] neg_hi:[0,0,1]
	v_pk_fma_f32 v[16:17], v[32:33], v[16:17], v[54:55] op_sel_hi:[1,0,1]
	v_pk_mul_f32 v[32:33], v[34:35], v[56:57] op_sel:[1,0] op_sel_hi:[0,0]
	v_mov_b32_e32 v11, v13
	v_pk_add_f32 v[4:5], v[4:5], v[44:45]
	v_mov_b32_e32 v47, v17
	v_pk_fma_f32 v[14:15], v[34:35], v[18:19], v[32:33] neg_lo:[0,0,1] neg_hi:[0,0,1]
	v_pk_fma_f32 v[16:17], v[34:35], v[18:19], v[32:33] op_sel_hi:[1,0,1]
	v_pk_add_f32 v[4:5], v[4:5], v[10:11]
	v_mov_b32_e32 v15, v17
	v_pk_add_f32 v[4:5], v[4:5], v[46:47]
	v_mov_b32_e32 v49, v37
	v_pk_add_f32 v[4:5], v[4:5], v[14:15]
	s_nop 0
	v_pk_add_f32 v[4:5], v[4:5], v[48:49]
	s_waitcnt vmcnt(0)
	v_pk_add_f32 v[4:5], v[38:39], v[4:5] neg_lo:[0,1] neg_hi:[0,1]
	scratch_store_dwordx2 off, v[4:5], off offset:360
	s_and_saveexec_b64 s[0:1], vcc
	s_cbranch_execz .LBB54_255
; %bb.254:
	scratch_load_dwordx2 v[4:5], off, off offset:352
	v_mov_b32_e32 v3, v2
	scratch_store_dwordx2 off, v[2:3], off offset:352
	s_waitcnt vmcnt(1)
	ds_write_b64 v1, v[4:5]
.LBB54_255:
	s_or_b64 exec, exec, s[0:1]
	s_waitcnt lgkmcnt(0)
	; wave barrier
	scratch_load_dwordx4 v[4:7], off, off offset:360
	scratch_load_dwordx4 v[8:11], off, off offset:376
	;; [unrolled: 1-line block ×5, first 2 shown]
	scratch_load_dwordx2 v[44:45], off, off offset:352
	ds_read2_b64 v[24:27], v2 offset0:101 offset1:102
	ds_read2_b64 v[28:31], v2 offset0:103 offset1:104
	ds_read2_b64 v[32:35], v2 offset0:105 offset1:106
	ds_read2_b64 v[36:39], v2 offset0:107 offset1:108
	ds_read2_b64 v[40:43], v2 offset0:109 offset1:110
	v_cmp_lt_u32_e32 vcc, 43, v0
	s_waitcnt vmcnt(5) lgkmcnt(4)
	v_mul_f32_e32 v3, v24, v5
	v_mul_f32_e32 v2, v25, v5
	;; [unrolled: 1-line block ×4, first 2 shown]
	s_waitcnt vmcnt(4) lgkmcnt(3)
	v_pk_mul_f32 v[48:49], v[28:29], v[8:9] op_sel:[1,1] op_sel_hi:[0,1]
	v_mov_b32_e32 v50, v11
	v_fmac_f32_e32 v3, v25, v4
	v_fma_f32 v2, v24, v4, -v2
	v_fmac_f32_e32 v47, v27, v6
	v_fma_f32 v46, v26, v6, -v5
	v_pk_fma_f32 v[4:5], v[28:29], v[8:9], v[48:49] neg_lo:[0,0,1] neg_hi:[0,0,1]
	v_pk_fma_f32 v[6:7], v[28:29], v[8:9], v[48:49] op_sel_hi:[1,0,1]
	v_pk_mul_f32 v[8:9], v[30:31], v[50:51] op_sel:[1,0] op_sel_hi:[0,0]
	v_pk_add_f32 v[2:3], v[2:3], 0 op_sel_hi:[1,0]
	s_waitcnt vmcnt(3) lgkmcnt(2)
	v_pk_mul_f32 v[52:53], v[32:33], v[12:13] op_sel:[1,1] op_sel_hi:[0,1]
	v_mov_b32_e32 v54, v15
	v_mov_b32_e32 v5, v7
	v_pk_fma_f32 v[6:7], v[30:31], v[10:11], v[8:9] neg_lo:[0,0,1] neg_hi:[0,0,1]
	v_pk_fma_f32 v[8:9], v[30:31], v[10:11], v[8:9] op_sel_hi:[1,0,1]
	v_pk_add_f32 v[2:3], v[2:3], v[46:47]
	v_pk_fma_f32 v[24:25], v[32:33], v[12:13], v[52:53] neg_lo:[0,0,1] neg_hi:[0,0,1]
	v_pk_fma_f32 v[12:13], v[32:33], v[12:13], v[52:53] op_sel_hi:[1,0,1]
	v_pk_mul_f32 v[26:27], v[34:35], v[54:55] op_sel:[1,0] op_sel_hi:[0,0]
	v_mov_b32_e32 v7, v9
	v_pk_add_f32 v[2:3], v[2:3], v[4:5]
	s_waitcnt vmcnt(2) lgkmcnt(1)
	v_pk_mul_f32 v[56:57], v[36:37], v[16:17] op_sel:[1,1] op_sel_hi:[0,1]
	v_mov_b32_e32 v58, v19
	v_mov_b32_e32 v25, v13
	v_pk_fma_f32 v[10:11], v[34:35], v[14:15], v[26:27] neg_lo:[0,0,1] neg_hi:[0,0,1]
	v_pk_fma_f32 v[12:13], v[34:35], v[14:15], v[26:27] op_sel_hi:[1,0,1]
	v_pk_add_f32 v[2:3], v[2:3], v[6:7]
	v_pk_fma_f32 v[28:29], v[36:37], v[16:17], v[56:57] neg_lo:[0,0,1] neg_hi:[0,0,1]
	v_pk_fma_f32 v[16:17], v[36:37], v[16:17], v[56:57] op_sel_hi:[1,0,1]
	v_pk_mul_f32 v[32:33], v[38:39], v[58:59] op_sel:[1,0] op_sel_hi:[0,0]
	v_mov_b32_e32 v11, v13
	v_pk_add_f32 v[2:3], v[2:3], v[24:25]
	;; [unrolled: 12-line block ×3, first 2 shown]
	v_mov_b32_e32 v37, v21
	v_pk_fma_f32 v[18:19], v[42:43], v[22:23], v[40:41] neg_lo:[0,0,1] neg_hi:[0,0,1]
	v_pk_fma_f32 v[20:21], v[42:43], v[22:23], v[40:41] op_sel_hi:[1,0,1]
	v_pk_add_f32 v[2:3], v[2:3], v[14:15]
	v_mov_b32_e32 v19, v21
	v_pk_add_f32 v[2:3], v[2:3], v[36:37]
	s_nop 0
	v_pk_add_f32 v[2:3], v[2:3], v[18:19]
	s_waitcnt vmcnt(0)
	v_pk_add_f32 v[2:3], v[44:45], v[2:3] neg_lo:[0,1] neg_hi:[0,1]
	scratch_store_dwordx2 off, v[2:3], off offset:352
	s_and_saveexec_b64 s[0:1], vcc
	s_cbranch_execz .LBB54_257
; %bb.256:
	scratch_load_dwordx2 v[2:3], off, off offset:344
	v_mov_b32_e32 v4, 0
	v_mov_b32_e32 v5, v4
	scratch_store_dwordx2 off, v[4:5], off offset:344
	s_waitcnt vmcnt(1)
	ds_write_b64 v1, v[2:3]
.LBB54_257:
	s_or_b64 exec, exec, s[0:1]
	v_mov_b32_e32 v2, 0
	s_waitcnt lgkmcnt(0)
	; wave barrier
	ds_read_b128 v[4:7], v2 offset:800
	ds_read_b128 v[8:11], v2 offset:816
	ds_read_b128 v[12:15], v2 offset:832
	ds_read_b128 v[16:19], v2 offset:848
	scratch_load_dwordx4 v[20:23], off, off offset:352
	scratch_load_dwordx4 v[24:27], off, off offset:368
	scratch_load_dwordx4 v[28:31], off, off offset:384
	scratch_load_dwordx4 v[32:35], off, off offset:400
	scratch_load_dwordx4 v[36:39], off, off offset:416
	scratch_load_dwordx2 v[46:47], off, off offset:432
	v_cmp_lt_u32_e32 vcc, 42, v0
	s_waitcnt vmcnt(5) lgkmcnt(3)
	v_mul_f32_e32 v3, v4, v21
	v_fmac_f32_e32 v3, v5, v20
	v_add_f32_e32 v41, 0, v3
	v_mul_f32_e32 v3, v5, v21
	v_fma_f32 v3, v4, v20, -v3
	v_mul_f32_e32 v43, v6, v23
	v_add_f32_e32 v40, 0, v3
	v_mul_f32_e32 v3, v7, v23
	v_fmac_f32_e32 v43, v7, v22
	v_fma_f32 v42, v6, v22, -v3
	s_waitcnt vmcnt(4)
	v_mov_b32_e32 v22, v27
	s_waitcnt lgkmcnt(2)
	v_mul_f32_e32 v45, v8, v25
	v_mul_f32_e32 v3, v9, v25
	v_pk_mul_f32 v[22:23], v[10:11], v[22:23] op_sel:[1,0] op_sel_hi:[0,0]
	v_fmac_f32_e32 v45, v9, v24
	v_fma_f32 v44, v8, v24, -v3
	v_pk_add_f32 v[20:21], v[40:41], v[42:43]
	v_pk_fma_f32 v[24:25], v[10:11], v[26:27], v[22:23] neg_lo:[0,0,1] neg_hi:[0,0,1]
	v_pk_fma_f32 v[10:11], v[10:11], v[26:27], v[22:23] op_sel_hi:[1,0,1]
	v_pk_add_f32 v[20:21], v[20:21], v[44:45]
	v_mov_b32_e32 v25, v11
	v_pk_add_f32 v[10:11], v[20:21], v[24:25]
	s_waitcnt vmcnt(3) lgkmcnt(1)
	v_pk_mul_f32 v[20:21], v[12:13], v[28:29] op_sel:[1,1] op_sel_hi:[0,1]
	v_pk_fma_f32 v[22:23], v[12:13], v[28:29], v[20:21] neg_lo:[0,0,1] neg_hi:[0,0,1]
	v_pk_fma_f32 v[12:13], v[12:13], v[28:29], v[20:21] op_sel_hi:[1,0,1]
	ds_read_b128 v[4:7], v2 offset:864
	ds_read_b64 v[8:9], v2 offset:880
	v_mov_b32_e32 v12, v31
	v_mov_b32_e32 v23, v13
	v_pk_mul_f32 v[12:13], v[14:15], v[12:13] op_sel:[1,0] op_sel_hi:[0,0]
	v_pk_fma_f32 v[20:21], v[14:15], v[30:31], v[12:13] neg_lo:[0,0,1] neg_hi:[0,0,1]
	v_pk_fma_f32 v[12:13], v[14:15], v[30:31], v[12:13] op_sel_hi:[1,0,1]
	v_pk_add_f32 v[10:11], v[10:11], v[22:23]
	v_mov_b32_e32 v21, v13
	s_waitcnt vmcnt(2) lgkmcnt(2)
	v_pk_mul_f32 v[12:13], v[16:17], v[32:33] op_sel:[1,1] op_sel_hi:[0,1]
	v_pk_fma_f32 v[14:15], v[16:17], v[32:33], v[12:13] neg_lo:[0,0,1] neg_hi:[0,0,1]
	v_pk_fma_f32 v[12:13], v[16:17], v[32:33], v[12:13] op_sel_hi:[1,0,1]
	v_pk_add_f32 v[10:11], v[10:11], v[20:21]
	v_mov_b32_e32 v12, v35
	v_mov_b32_e32 v15, v13
	v_pk_mul_f32 v[12:13], v[18:19], v[12:13] op_sel:[1,0] op_sel_hi:[0,0]
	v_pk_add_f32 v[10:11], v[10:11], v[14:15]
	v_pk_fma_f32 v[14:15], v[18:19], v[34:35], v[12:13] neg_lo:[0,0,1] neg_hi:[0,0,1]
	v_pk_fma_f32 v[12:13], v[18:19], v[34:35], v[12:13] op_sel_hi:[1,0,1]
	s_nop 0
	v_mov_b32_e32 v15, v13
	s_waitcnt vmcnt(1) lgkmcnt(1)
	v_pk_mul_f32 v[12:13], v[4:5], v[36:37] op_sel:[1,1] op_sel_hi:[0,1]
	v_pk_add_f32 v[10:11], v[10:11], v[14:15]
	v_pk_fma_f32 v[14:15], v[4:5], v[36:37], v[12:13] neg_lo:[0,0,1] neg_hi:[0,0,1]
	v_pk_fma_f32 v[4:5], v[4:5], v[36:37], v[12:13] op_sel_hi:[1,0,1]
	s_nop 0
	v_mov_b32_e32 v15, v5
	v_pk_add_f32 v[4:5], v[10:11], v[14:15]
	v_mov_b32_e32 v10, v39
	v_pk_mul_f32 v[10:11], v[6:7], v[10:11] op_sel:[1,0] op_sel_hi:[0,0]
	v_pk_fma_f32 v[12:13], v[6:7], v[38:39], v[10:11] neg_lo:[0,0,1] neg_hi:[0,0,1]
	v_pk_fma_f32 v[6:7], v[6:7], v[38:39], v[10:11] op_sel_hi:[1,0,1]
	s_nop 0
	v_mov_b32_e32 v13, v7
	s_waitcnt vmcnt(0) lgkmcnt(0)
	v_pk_mul_f32 v[6:7], v[8:9], v[46:47] op_sel:[1,1] op_sel_hi:[0,1]
	v_pk_fma_f32 v[10:11], v[8:9], v[46:47], v[6:7] neg_lo:[0,0,1] neg_hi:[0,0,1]
	v_pk_fma_f32 v[6:7], v[8:9], v[46:47], v[6:7] op_sel_hi:[1,0,1]
	v_pk_add_f32 v[4:5], v[4:5], v[12:13]
	v_mov_b32_e32 v11, v7
	scratch_load_dwordx2 v[6:7], off, off offset:344
	v_pk_add_f32 v[4:5], v[4:5], v[10:11]
	s_waitcnt vmcnt(0)
	v_pk_add_f32 v[4:5], v[6:7], v[4:5] neg_lo:[0,1] neg_hi:[0,1]
	scratch_store_dwordx2 off, v[4:5], off offset:344
	s_and_saveexec_b64 s[0:1], vcc
	s_cbranch_execz .LBB54_259
; %bb.258:
	scratch_load_dwordx2 v[4:5], off, off offset:336
	v_mov_b32_e32 v3, v2
	scratch_store_dwordx2 off, v[2:3], off offset:336
	s_waitcnt vmcnt(1)
	ds_write_b64 v1, v[4:5]
.LBB54_259:
	s_or_b64 exec, exec, s[0:1]
	s_waitcnt lgkmcnt(0)
	; wave barrier
	scratch_load_dwordx4 v[8:11], off, off offset:344
	scratch_load_dwordx4 v[16:19], off, off offset:360
	ds_read2_b64 v[4:7], v2 offset0:99 offset1:100
	v_cmp_lt_u32_e32 vcc, 41, v0
	s_waitcnt vmcnt(1) lgkmcnt(0)
	v_mul_f32_e32 v3, v4, v9
	v_fmac_f32_e32 v3, v5, v8
	v_mul_f32_e32 v12, v6, v11
	v_add_f32_e32 v3, 0, v3
	v_fmac_f32_e32 v12, v7, v10
	v_add_f32_e32 v37, v3, v12
	ds_read2_b64 v[12:15], v2 offset0:101 offset1:102
	scratch_load_dwordx4 v[20:23], off, off offset:376
	scratch_load_dwordx4 v[24:27], off, off offset:392
	;; [unrolled: 1-line block ×4, first 2 shown]
	v_mul_f32_e32 v3, v5, v9
	v_fma_f32 v3, v4, v8, -v3
	v_mul_f32_e32 v4, v7, v11
	v_add_f32_e32 v3, 0, v3
	v_fma_f32 v4, v6, v10, -v4
	v_add_f32_e32 v36, v3, v4
	s_waitcnt vmcnt(4) lgkmcnt(0)
	v_mul_f32_e32 v3, v13, v17
	v_mul_f32_e32 v39, v12, v17
	v_mul_f32_e32 v41, v14, v19
	v_fma_f32 v38, v12, v16, -v3
	v_mul_f32_e32 v3, v15, v19
	v_fmac_f32_e32 v39, v13, v16
	v_fmac_f32_e32 v41, v15, v18
	v_fma_f32 v40, v14, v18, -v3
	ds_read2_b64 v[4:7], v2 offset0:103 offset1:104
	ds_read2_b64 v[8:11], v2 offset0:105 offset1:106
	;; [unrolled: 1-line block ×4, first 2 shown]
	v_pk_add_f32 v[2:3], v[36:37], v[38:39]
	s_waitcnt vmcnt(3) lgkmcnt(3)
	v_pk_mul_f32 v[36:37], v[4:5], v[20:21] op_sel:[1,1] op_sel_hi:[0,1]
	v_pk_fma_f32 v[38:39], v[4:5], v[20:21], v[36:37] neg_lo:[0,0,1] neg_hi:[0,0,1]
	v_pk_fma_f32 v[4:5], v[4:5], v[20:21], v[36:37] op_sel_hi:[1,0,1]
	v_pk_add_f32 v[2:3], v[2:3], v[40:41]
	v_mov_b32_e32 v4, v23
	v_mov_b32_e32 v39, v5
	v_pk_mul_f32 v[4:5], v[6:7], v[4:5] op_sel:[1,0] op_sel_hi:[0,0]
	v_pk_fma_f32 v[20:21], v[6:7], v[22:23], v[4:5] neg_lo:[0,0,1] neg_hi:[0,0,1]
	v_pk_fma_f32 v[4:5], v[6:7], v[22:23], v[4:5] op_sel_hi:[1,0,1]
	v_pk_add_f32 v[2:3], v[2:3], v[38:39]
	v_mov_b32_e32 v21, v5
	s_waitcnt vmcnt(2) lgkmcnt(2)
	v_pk_mul_f32 v[4:5], v[8:9], v[24:25] op_sel:[1,1] op_sel_hi:[0,1]
	v_pk_fma_f32 v[6:7], v[8:9], v[24:25], v[4:5] neg_lo:[0,0,1] neg_hi:[0,0,1]
	v_pk_fma_f32 v[4:5], v[8:9], v[24:25], v[4:5] op_sel_hi:[1,0,1]
	v_pk_add_f32 v[2:3], v[2:3], v[20:21]
	v_mov_b32_e32 v4, v27
	v_mov_b32_e32 v7, v5
	v_pk_mul_f32 v[4:5], v[10:11], v[4:5] op_sel:[1,0] op_sel_hi:[0,0]
	v_pk_add_f32 v[2:3], v[2:3], v[6:7]
	v_pk_fma_f32 v[6:7], v[10:11], v[26:27], v[4:5] neg_lo:[0,0,1] neg_hi:[0,0,1]
	v_pk_fma_f32 v[4:5], v[10:11], v[26:27], v[4:5] op_sel_hi:[1,0,1]
	s_nop 0
	v_mov_b32_e32 v7, v5
	s_waitcnt vmcnt(1) lgkmcnt(1)
	v_pk_mul_f32 v[4:5], v[12:13], v[28:29] op_sel:[1,1] op_sel_hi:[0,1]
	v_pk_add_f32 v[2:3], v[2:3], v[6:7]
	v_pk_fma_f32 v[6:7], v[12:13], v[28:29], v[4:5] neg_lo:[0,0,1] neg_hi:[0,0,1]
	v_pk_fma_f32 v[4:5], v[12:13], v[28:29], v[4:5] op_sel_hi:[1,0,1]
	s_nop 0
	v_mov_b32_e32 v4, v31
	v_mov_b32_e32 v7, v5
	v_pk_mul_f32 v[4:5], v[14:15], v[4:5] op_sel:[1,0] op_sel_hi:[0,0]
	v_pk_add_f32 v[2:3], v[2:3], v[6:7]
	v_pk_fma_f32 v[6:7], v[14:15], v[30:31], v[4:5] neg_lo:[0,0,1] neg_hi:[0,0,1]
	v_pk_fma_f32 v[4:5], v[14:15], v[30:31], v[4:5] op_sel_hi:[1,0,1]
	s_nop 0
	v_mov_b32_e32 v7, v5
	s_waitcnt vmcnt(0) lgkmcnt(0)
	v_pk_mul_f32 v[4:5], v[16:17], v[32:33] op_sel:[1,1] op_sel_hi:[0,1]
	v_pk_add_f32 v[2:3], v[2:3], v[6:7]
	v_pk_fma_f32 v[6:7], v[16:17], v[32:33], v[4:5] neg_lo:[0,0,1] neg_hi:[0,0,1]
	v_pk_fma_f32 v[4:5], v[16:17], v[32:33], v[4:5] op_sel_hi:[1,0,1]
	s_nop 0
	v_mov_b32_e32 v4, v35
	v_mov_b32_e32 v7, v5
	v_pk_mul_f32 v[4:5], v[18:19], v[4:5] op_sel:[1,0] op_sel_hi:[0,0]
	v_pk_add_f32 v[2:3], v[2:3], v[6:7]
	v_pk_fma_f32 v[6:7], v[18:19], v[34:35], v[4:5] neg_lo:[0,0,1] neg_hi:[0,0,1]
	v_pk_fma_f32 v[4:5], v[18:19], v[34:35], v[4:5] op_sel_hi:[1,0,1]
	s_nop 0
	v_mov_b32_e32 v7, v5
	scratch_load_dwordx2 v[4:5], off, off offset:336
	v_pk_add_f32 v[2:3], v[2:3], v[6:7]
	s_waitcnt vmcnt(0)
	v_pk_add_f32 v[2:3], v[4:5], v[2:3] neg_lo:[0,1] neg_hi:[0,1]
	scratch_store_dwordx2 off, v[2:3], off offset:336
	s_and_saveexec_b64 s[0:1], vcc
	s_cbranch_execz .LBB54_261
; %bb.260:
	scratch_load_dwordx2 v[2:3], off, off offset:328
	v_mov_b32_e32 v4, 0
	v_mov_b32_e32 v5, v4
	scratch_store_dwordx2 off, v[4:5], off offset:328
	s_waitcnt vmcnt(1)
	ds_write_b64 v1, v[2:3]
.LBB54_261:
	s_or_b64 exec, exec, s[0:1]
	v_mov_b32_e32 v2, 0
	s_waitcnt lgkmcnt(0)
	; wave barrier
	ds_read_b128 v[4:7], v2 offset:784
	ds_read_b128 v[8:11], v2 offset:800
	;; [unrolled: 1-line block ×4, first 2 shown]
	scratch_load_dwordx4 v[20:23], off, off offset:336
	v_cmp_lt_u32_e32 vcc, 40, v0
	s_waitcnt vmcnt(0) lgkmcnt(3)
	v_mul_f32_e32 v3, v4, v21
	v_fmac_f32_e32 v3, v5, v20
	v_mul_f32_e32 v24, v6, v23
	v_add_f32_e32 v3, 0, v3
	v_fmac_f32_e32 v24, v7, v22
	v_add_f32_e32 v3, v3, v24
	scratch_load_dwordx4 v[24:27], off, off offset:352
	s_waitcnt vmcnt(0) lgkmcnt(2)
	v_mul_f32_e32 v28, v8, v25
	v_fmac_f32_e32 v28, v9, v24
	v_add_f32_e32 v45, v3, v28
	scratch_load_dwordx4 v[28:31], off, off offset:368
	scratch_load_dwordx4 v[32:35], off, off offset:384
	;; [unrolled: 1-line block ×4, first 2 shown]
	scratch_load_dwordx2 v[50:51], off, off offset:432
	v_mul_f32_e32 v3, v5, v21
	v_fma_f32 v3, v4, v20, -v3
	v_mul_f32_e32 v4, v7, v23
	v_add_f32_e32 v3, 0, v3
	v_fma_f32 v4, v6, v22, -v4
	v_add_f32_e32 v3, v3, v4
	v_mul_f32_e32 v4, v9, v25
	v_fma_f32 v4, v8, v24, -v4
	v_mul_f32_e32 v47, v10, v27
	v_add_f32_e32 v44, v3, v4
	v_mul_f32_e32 v3, v11, v27
	v_fmac_f32_e32 v47, v11, v26
	v_fma_f32 v46, v10, v26, -v3
	v_pk_add_f32 v[20:21], v[44:45], v[46:47]
	s_waitcnt vmcnt(4)
	v_mov_b32_e32 v22, v31
	s_waitcnt lgkmcnt(1)
	v_mul_f32_e32 v49, v12, v29
	v_mul_f32_e32 v3, v13, v29
	v_pk_mul_f32 v[22:23], v[14:15], v[22:23] op_sel:[1,0] op_sel_hi:[0,0]
	v_fmac_f32_e32 v49, v13, v28
	v_fma_f32 v48, v12, v28, -v3
	v_pk_fma_f32 v[24:25], v[14:15], v[30:31], v[22:23] neg_lo:[0,0,1] neg_hi:[0,0,1]
	v_pk_fma_f32 v[14:15], v[14:15], v[30:31], v[22:23] op_sel_hi:[1,0,1]
	v_pk_add_f32 v[20:21], v[20:21], v[48:49]
	v_mov_b32_e32 v25, v15
	v_pk_add_f32 v[14:15], v[20:21], v[24:25]
	s_waitcnt vmcnt(3) lgkmcnt(0)
	v_pk_mul_f32 v[20:21], v[16:17], v[32:33] op_sel:[1,1] op_sel_hi:[0,1]
	v_pk_fma_f32 v[22:23], v[16:17], v[32:33], v[20:21] neg_lo:[0,0,1] neg_hi:[0,0,1]
	v_pk_fma_f32 v[16:17], v[16:17], v[32:33], v[20:21] op_sel_hi:[1,0,1]
	ds_read_b128 v[4:7], v2 offset:848
	ds_read_b128 v[8:11], v2 offset:864
	ds_read_b64 v[12:13], v2 offset:880
	v_mov_b32_e32 v16, v35
	v_mov_b32_e32 v23, v17
	v_pk_mul_f32 v[16:17], v[18:19], v[16:17] op_sel:[1,0] op_sel_hi:[0,0]
	v_pk_fma_f32 v[20:21], v[18:19], v[34:35], v[16:17] neg_lo:[0,0,1] neg_hi:[0,0,1]
	v_pk_fma_f32 v[16:17], v[18:19], v[34:35], v[16:17] op_sel_hi:[1,0,1]
	v_pk_add_f32 v[14:15], v[14:15], v[22:23]
	v_mov_b32_e32 v21, v17
	s_waitcnt vmcnt(2) lgkmcnt(2)
	v_pk_mul_f32 v[16:17], v[4:5], v[36:37] op_sel:[1,1] op_sel_hi:[0,1]
	v_pk_fma_f32 v[18:19], v[4:5], v[36:37], v[16:17] neg_lo:[0,0,1] neg_hi:[0,0,1]
	v_pk_fma_f32 v[4:5], v[4:5], v[36:37], v[16:17] op_sel_hi:[1,0,1]
	v_pk_add_f32 v[14:15], v[14:15], v[20:21]
	v_mov_b32_e32 v19, v5
	v_pk_add_f32 v[4:5], v[14:15], v[18:19]
	v_mov_b32_e32 v14, v39
	v_pk_mul_f32 v[14:15], v[6:7], v[14:15] op_sel:[1,0] op_sel_hi:[0,0]
	v_pk_fma_f32 v[16:17], v[6:7], v[38:39], v[14:15] neg_lo:[0,0,1] neg_hi:[0,0,1]
	v_pk_fma_f32 v[6:7], v[6:7], v[38:39], v[14:15] op_sel_hi:[1,0,1]
	s_nop 0
	v_mov_b32_e32 v17, v7
	s_waitcnt vmcnt(1) lgkmcnt(1)
	v_pk_mul_f32 v[6:7], v[8:9], v[40:41] op_sel:[1,1] op_sel_hi:[0,1]
	v_pk_fma_f32 v[14:15], v[8:9], v[40:41], v[6:7] neg_lo:[0,0,1] neg_hi:[0,0,1]
	v_pk_fma_f32 v[6:7], v[8:9], v[40:41], v[6:7] op_sel_hi:[1,0,1]
	v_pk_add_f32 v[4:5], v[4:5], v[16:17]
	v_mov_b32_e32 v6, v43
	v_mov_b32_e32 v15, v7
	v_pk_mul_f32 v[6:7], v[10:11], v[6:7] op_sel:[1,0] op_sel_hi:[0,0]
	v_pk_fma_f32 v[8:9], v[10:11], v[42:43], v[6:7] neg_lo:[0,0,1] neg_hi:[0,0,1]
	v_pk_fma_f32 v[6:7], v[10:11], v[42:43], v[6:7] op_sel_hi:[1,0,1]
	v_pk_add_f32 v[4:5], v[4:5], v[14:15]
	v_mov_b32_e32 v9, v7
	s_waitcnt vmcnt(0) lgkmcnt(0)
	v_pk_mul_f32 v[6:7], v[12:13], v[50:51] op_sel:[1,1] op_sel_hi:[0,1]
	v_pk_add_f32 v[4:5], v[4:5], v[8:9]
	v_pk_fma_f32 v[8:9], v[12:13], v[50:51], v[6:7] neg_lo:[0,0,1] neg_hi:[0,0,1]
	v_pk_fma_f32 v[6:7], v[12:13], v[50:51], v[6:7] op_sel_hi:[1,0,1]
	s_nop 0
	v_mov_b32_e32 v9, v7
	scratch_load_dwordx2 v[6:7], off, off offset:328
	v_pk_add_f32 v[4:5], v[4:5], v[8:9]
	s_waitcnt vmcnt(0)
	v_pk_add_f32 v[4:5], v[6:7], v[4:5] neg_lo:[0,1] neg_hi:[0,1]
	scratch_store_dwordx2 off, v[4:5], off offset:328
	s_and_saveexec_b64 s[0:1], vcc
	s_cbranch_execz .LBB54_263
; %bb.262:
	scratch_load_dwordx2 v[4:5], off, off offset:320
	v_mov_b32_e32 v3, v2
	scratch_store_dwordx2 off, v[2:3], off offset:320
	s_waitcnt vmcnt(1)
	ds_write_b64 v1, v[4:5]
.LBB54_263:
	s_or_b64 exec, exec, s[0:1]
	s_waitcnt lgkmcnt(0)
	; wave barrier
	scratch_load_dwordx4 v[8:11], off, off offset:328
	scratch_load_dwordx4 v[16:19], off, off offset:344
	ds_read2_b64 v[4:7], v2 offset0:97 offset1:98
	scratch_load_dwordx4 v[24:27], off, off offset:360
	v_cmp_lt_u32_e32 vcc, 39, v0
	s_waitcnt vmcnt(2) lgkmcnt(0)
	v_mul_f32_e32 v3, v4, v9
	v_fmac_f32_e32 v3, v5, v8
	v_mul_f32_e32 v12, v6, v11
	v_add_f32_e32 v3, 0, v3
	v_fmac_f32_e32 v12, v7, v10
	v_add_f32_e32 v3, v3, v12
	ds_read2_b64 v[12:15], v2 offset0:99 offset1:100
	s_waitcnt vmcnt(1) lgkmcnt(0)
	v_mul_f32_e32 v20, v12, v17
	v_fmac_f32_e32 v20, v13, v16
	v_add_f32_e32 v3, v3, v20
	v_mul_f32_e32 v20, v14, v19
	v_fmac_f32_e32 v20, v15, v18
	v_add_f32_e32 v45, v3, v20
	ds_read2_b64 v[20:23], v2 offset0:101 offset1:102
	scratch_load_dwordx4 v[28:31], off, off offset:376
	scratch_load_dwordx4 v[32:35], off, off offset:392
	;; [unrolled: 1-line block ×4, first 2 shown]
	v_mul_f32_e32 v3, v5, v9
	v_fma_f32 v3, v4, v8, -v3
	v_mul_f32_e32 v4, v7, v11
	v_add_f32_e32 v3, 0, v3
	v_fma_f32 v4, v6, v10, -v4
	v_add_f32_e32 v3, v3, v4
	v_mul_f32_e32 v4, v13, v17
	v_fma_f32 v4, v12, v16, -v4
	v_add_f32_e32 v3, v3, v4
	v_mul_f32_e32 v4, v15, v19
	v_fma_f32 v4, v14, v18, -v4
	v_add_f32_e32 v44, v3, v4
	ds_read2_b64 v[4:7], v2 offset0:103 offset1:104
	ds_read2_b64 v[8:11], v2 offset0:105 offset1:106
	;; [unrolled: 1-line block ×4, first 2 shown]
	s_waitcnt vmcnt(4) lgkmcnt(4)
	v_mul_f32_e32 v47, v20, v25
	v_mul_f32_e32 v3, v21, v25
	v_fmac_f32_e32 v47, v21, v24
	v_mul_f32_e32 v49, v22, v27
	v_fma_f32 v46, v20, v24, -v3
	v_mul_f32_e32 v3, v23, v27
	v_fmac_f32_e32 v49, v23, v26
	v_fma_f32 v48, v22, v26, -v3
	v_pk_add_f32 v[2:3], v[44:45], v[46:47]
	s_waitcnt vmcnt(3) lgkmcnt(3)
	v_pk_mul_f32 v[20:21], v[4:5], v[28:29] op_sel:[1,1] op_sel_hi:[0,1]
	v_pk_fma_f32 v[22:23], v[4:5], v[28:29], v[20:21] neg_lo:[0,0,1] neg_hi:[0,0,1]
	v_pk_fma_f32 v[4:5], v[4:5], v[28:29], v[20:21] op_sel_hi:[1,0,1]
	v_pk_add_f32 v[2:3], v[2:3], v[48:49]
	v_mov_b32_e32 v4, v31
	v_mov_b32_e32 v23, v5
	v_pk_mul_f32 v[4:5], v[6:7], v[4:5] op_sel:[1,0] op_sel_hi:[0,0]
	v_pk_fma_f32 v[20:21], v[6:7], v[30:31], v[4:5] neg_lo:[0,0,1] neg_hi:[0,0,1]
	v_pk_fma_f32 v[4:5], v[6:7], v[30:31], v[4:5] op_sel_hi:[1,0,1]
	v_pk_add_f32 v[2:3], v[2:3], v[22:23]
	v_mov_b32_e32 v21, v5
	s_waitcnt vmcnt(2) lgkmcnt(2)
	v_pk_mul_f32 v[4:5], v[8:9], v[32:33] op_sel:[1,1] op_sel_hi:[0,1]
	v_pk_fma_f32 v[6:7], v[8:9], v[32:33], v[4:5] neg_lo:[0,0,1] neg_hi:[0,0,1]
	v_pk_fma_f32 v[4:5], v[8:9], v[32:33], v[4:5] op_sel_hi:[1,0,1]
	v_pk_add_f32 v[2:3], v[2:3], v[20:21]
	v_mov_b32_e32 v4, v35
	v_mov_b32_e32 v7, v5
	v_pk_mul_f32 v[4:5], v[10:11], v[4:5] op_sel:[1,0] op_sel_hi:[0,0]
	v_pk_add_f32 v[2:3], v[2:3], v[6:7]
	v_pk_fma_f32 v[6:7], v[10:11], v[34:35], v[4:5] neg_lo:[0,0,1] neg_hi:[0,0,1]
	v_pk_fma_f32 v[4:5], v[10:11], v[34:35], v[4:5] op_sel_hi:[1,0,1]
	s_nop 0
	v_mov_b32_e32 v7, v5
	s_waitcnt vmcnt(1) lgkmcnt(1)
	v_pk_mul_f32 v[4:5], v[12:13], v[36:37] op_sel:[1,1] op_sel_hi:[0,1]
	v_pk_add_f32 v[2:3], v[2:3], v[6:7]
	v_pk_fma_f32 v[6:7], v[12:13], v[36:37], v[4:5] neg_lo:[0,0,1] neg_hi:[0,0,1]
	v_pk_fma_f32 v[4:5], v[12:13], v[36:37], v[4:5] op_sel_hi:[1,0,1]
	s_nop 0
	v_mov_b32_e32 v4, v39
	v_mov_b32_e32 v7, v5
	v_pk_mul_f32 v[4:5], v[14:15], v[4:5] op_sel:[1,0] op_sel_hi:[0,0]
	v_pk_add_f32 v[2:3], v[2:3], v[6:7]
	v_pk_fma_f32 v[6:7], v[14:15], v[38:39], v[4:5] neg_lo:[0,0,1] neg_hi:[0,0,1]
	v_pk_fma_f32 v[4:5], v[14:15], v[38:39], v[4:5] op_sel_hi:[1,0,1]
	s_nop 0
	v_mov_b32_e32 v7, v5
	s_waitcnt vmcnt(0) lgkmcnt(0)
	v_pk_mul_f32 v[4:5], v[16:17], v[40:41] op_sel:[1,1] op_sel_hi:[0,1]
	v_pk_add_f32 v[2:3], v[2:3], v[6:7]
	v_pk_fma_f32 v[6:7], v[16:17], v[40:41], v[4:5] neg_lo:[0,0,1] neg_hi:[0,0,1]
	v_pk_fma_f32 v[4:5], v[16:17], v[40:41], v[4:5] op_sel_hi:[1,0,1]
	s_nop 0
	v_mov_b32_e32 v4, v43
	v_mov_b32_e32 v7, v5
	v_pk_mul_f32 v[4:5], v[18:19], v[4:5] op_sel:[1,0] op_sel_hi:[0,0]
	v_pk_add_f32 v[2:3], v[2:3], v[6:7]
	v_pk_fma_f32 v[6:7], v[18:19], v[42:43], v[4:5] neg_lo:[0,0,1] neg_hi:[0,0,1]
	v_pk_fma_f32 v[4:5], v[18:19], v[42:43], v[4:5] op_sel_hi:[1,0,1]
	s_nop 0
	v_mov_b32_e32 v7, v5
	scratch_load_dwordx2 v[4:5], off, off offset:320
	v_pk_add_f32 v[2:3], v[2:3], v[6:7]
	s_waitcnt vmcnt(0)
	v_pk_add_f32 v[2:3], v[4:5], v[2:3] neg_lo:[0,1] neg_hi:[0,1]
	scratch_store_dwordx2 off, v[2:3], off offset:320
	s_and_saveexec_b64 s[0:1], vcc
	s_cbranch_execz .LBB54_265
; %bb.264:
	scratch_load_dwordx2 v[2:3], off, off offset:312
	v_mov_b32_e32 v4, 0
	v_mov_b32_e32 v5, v4
	scratch_store_dwordx2 off, v[4:5], off offset:312
	s_waitcnt vmcnt(1)
	ds_write_b64 v1, v[2:3]
.LBB54_265:
	s_or_b64 exec, exec, s[0:1]
	v_mov_b32_e32 v2, 0
	s_waitcnt lgkmcnt(0)
	; wave barrier
	ds_read_b128 v[4:7], v2 offset:768
	ds_read_b128 v[8:11], v2 offset:784
	;; [unrolled: 1-line block ×4, first 2 shown]
	scratch_load_dwordx4 v[20:23], off, off offset:320
	v_cmp_lt_u32_e32 vcc, 38, v0
	s_waitcnt vmcnt(0) lgkmcnt(3)
	v_mul_f32_e32 v3, v4, v21
	v_fmac_f32_e32 v3, v5, v20
	v_mul_f32_e32 v24, v6, v23
	v_add_f32_e32 v3, 0, v3
	v_fmac_f32_e32 v24, v7, v22
	v_add_f32_e32 v3, v3, v24
	scratch_load_dwordx4 v[24:27], off, off offset:336
	s_waitcnt vmcnt(0) lgkmcnt(2)
	v_mul_f32_e32 v28, v8, v25
	v_fmac_f32_e32 v28, v9, v24
	v_add_f32_e32 v3, v3, v28
	v_mul_f32_e32 v28, v10, v27
	v_fmac_f32_e32 v28, v11, v26
	v_add_f32_e32 v3, v3, v28
	scratch_load_dwordx4 v[28:31], off, off offset:352
	s_waitcnt vmcnt(0) lgkmcnt(1)
	v_mul_f32_e32 v32, v12, v29
	v_fmac_f32_e32 v32, v13, v28
	v_add_f32_e32 v49, v3, v32
	scratch_load_dwordx4 v[32:35], off, off offset:368
	scratch_load_dwordx4 v[36:39], off, off offset:384
	;; [unrolled: 1-line block ×4, first 2 shown]
	scratch_load_dwordx2 v[54:55], off, off offset:432
	v_mul_f32_e32 v3, v5, v21
	v_fma_f32 v3, v4, v20, -v3
	v_mul_f32_e32 v4, v7, v23
	v_add_f32_e32 v3, 0, v3
	v_fma_f32 v4, v6, v22, -v4
	v_add_f32_e32 v3, v3, v4
	v_mul_f32_e32 v4, v9, v25
	v_fma_f32 v4, v8, v24, -v4
	v_add_f32_e32 v3, v3, v4
	v_mul_f32_e32 v4, v11, v27
	;; [unrolled: 3-line block ×3, first 2 shown]
	v_fma_f32 v4, v12, v28, -v4
	v_mul_f32_e32 v51, v14, v31
	v_add_f32_e32 v48, v3, v4
	v_mul_f32_e32 v3, v15, v31
	v_fmac_f32_e32 v51, v15, v30
	v_fma_f32 v50, v14, v30, -v3
	v_pk_add_f32 v[20:21], v[48:49], v[50:51]
	s_waitcnt vmcnt(4)
	v_mov_b32_e32 v22, v35
	s_waitcnt lgkmcnt(0)
	v_mul_f32_e32 v53, v16, v33
	v_mul_f32_e32 v3, v17, v33
	v_pk_mul_f32 v[22:23], v[18:19], v[22:23] op_sel:[1,0] op_sel_hi:[0,0]
	v_fmac_f32_e32 v53, v17, v32
	v_fma_f32 v52, v16, v32, -v3
	ds_read_b128 v[4:7], v2 offset:832
	ds_read_b128 v[8:11], v2 offset:848
	;; [unrolled: 1-line block ×3, first 2 shown]
	ds_read_b64 v[16:17], v2 offset:880
	v_pk_fma_f32 v[24:25], v[18:19], v[34:35], v[22:23] neg_lo:[0,0,1] neg_hi:[0,0,1]
	v_pk_fma_f32 v[18:19], v[18:19], v[34:35], v[22:23] op_sel_hi:[1,0,1]
	v_pk_add_f32 v[20:21], v[20:21], v[52:53]
	v_mov_b32_e32 v25, v19
	v_pk_add_f32 v[18:19], v[20:21], v[24:25]
	s_waitcnt vmcnt(3) lgkmcnt(3)
	v_pk_mul_f32 v[20:21], v[4:5], v[36:37] op_sel:[1,1] op_sel_hi:[0,1]
	v_pk_fma_f32 v[22:23], v[4:5], v[36:37], v[20:21] neg_lo:[0,0,1] neg_hi:[0,0,1]
	v_pk_fma_f32 v[4:5], v[4:5], v[36:37], v[20:21] op_sel_hi:[1,0,1]
	s_nop 0
	v_mov_b32_e32 v23, v5
	v_pk_add_f32 v[4:5], v[18:19], v[22:23]
	v_mov_b32_e32 v18, v39
	v_pk_mul_f32 v[18:19], v[6:7], v[18:19] op_sel:[1,0] op_sel_hi:[0,0]
	v_pk_fma_f32 v[20:21], v[6:7], v[38:39], v[18:19] neg_lo:[0,0,1] neg_hi:[0,0,1]
	v_pk_fma_f32 v[6:7], v[6:7], v[38:39], v[18:19] op_sel_hi:[1,0,1]
	s_nop 0
	v_mov_b32_e32 v21, v7
	s_waitcnt vmcnt(2) lgkmcnt(2)
	v_pk_mul_f32 v[6:7], v[8:9], v[40:41] op_sel:[1,1] op_sel_hi:[0,1]
	v_pk_fma_f32 v[18:19], v[8:9], v[40:41], v[6:7] neg_lo:[0,0,1] neg_hi:[0,0,1]
	v_pk_fma_f32 v[6:7], v[8:9], v[40:41], v[6:7] op_sel_hi:[1,0,1]
	v_pk_add_f32 v[4:5], v[4:5], v[20:21]
	v_mov_b32_e32 v6, v43
	v_mov_b32_e32 v19, v7
	v_pk_mul_f32 v[6:7], v[10:11], v[6:7] op_sel:[1,0] op_sel_hi:[0,0]
	v_pk_fma_f32 v[8:9], v[10:11], v[42:43], v[6:7] neg_lo:[0,0,1] neg_hi:[0,0,1]
	v_pk_fma_f32 v[6:7], v[10:11], v[42:43], v[6:7] op_sel_hi:[1,0,1]
	v_pk_add_f32 v[4:5], v[4:5], v[18:19]
	v_mov_b32_e32 v9, v7
	s_waitcnt vmcnt(1) lgkmcnt(1)
	v_pk_mul_f32 v[6:7], v[12:13], v[44:45] op_sel:[1,1] op_sel_hi:[0,1]
	v_pk_add_f32 v[4:5], v[4:5], v[8:9]
	v_pk_fma_f32 v[8:9], v[12:13], v[44:45], v[6:7] neg_lo:[0,0,1] neg_hi:[0,0,1]
	v_pk_fma_f32 v[6:7], v[12:13], v[44:45], v[6:7] op_sel_hi:[1,0,1]
	s_nop 0
	v_mov_b32_e32 v6, v47
	v_mov_b32_e32 v9, v7
	v_pk_mul_f32 v[6:7], v[14:15], v[6:7] op_sel:[1,0] op_sel_hi:[0,0]
	v_pk_add_f32 v[4:5], v[4:5], v[8:9]
	v_pk_fma_f32 v[8:9], v[14:15], v[46:47], v[6:7] neg_lo:[0,0,1] neg_hi:[0,0,1]
	v_pk_fma_f32 v[6:7], v[14:15], v[46:47], v[6:7] op_sel_hi:[1,0,1]
	s_nop 0
	v_mov_b32_e32 v9, v7
	s_waitcnt vmcnt(0) lgkmcnt(0)
	v_pk_mul_f32 v[6:7], v[16:17], v[54:55] op_sel:[1,1] op_sel_hi:[0,1]
	v_pk_add_f32 v[4:5], v[4:5], v[8:9]
	v_pk_fma_f32 v[8:9], v[16:17], v[54:55], v[6:7] neg_lo:[0,0,1] neg_hi:[0,0,1]
	v_pk_fma_f32 v[6:7], v[16:17], v[54:55], v[6:7] op_sel_hi:[1,0,1]
	s_nop 0
	v_mov_b32_e32 v9, v7
	scratch_load_dwordx2 v[6:7], off, off offset:312
	v_pk_add_f32 v[4:5], v[4:5], v[8:9]
	s_waitcnt vmcnt(0)
	v_pk_add_f32 v[4:5], v[6:7], v[4:5] neg_lo:[0,1] neg_hi:[0,1]
	scratch_store_dwordx2 off, v[4:5], off offset:312
	s_and_saveexec_b64 s[0:1], vcc
	s_cbranch_execz .LBB54_267
; %bb.266:
	scratch_load_dwordx2 v[4:5], off, off offset:304
	v_mov_b32_e32 v3, v2
	scratch_store_dwordx2 off, v[2:3], off offset:304
	s_waitcnt vmcnt(1)
	ds_write_b64 v1, v[4:5]
.LBB54_267:
	s_or_b64 exec, exec, s[0:1]
	s_waitcnt lgkmcnt(0)
	; wave barrier
	scratch_load_dwordx4 v[8:11], off, off offset:312
	scratch_load_dwordx4 v[16:19], off, off offset:328
	;; [unrolled: 1-line block ×4, first 2 shown]
	ds_read2_b64 v[4:7], v2 offset0:95 offset1:96
	v_cmp_lt_u32_e32 vcc, 37, v0
	s_waitcnt vmcnt(3) lgkmcnt(0)
	v_mul_f32_e32 v3, v4, v9
	v_fmac_f32_e32 v3, v5, v8
	v_mul_f32_e32 v12, v6, v11
	v_add_f32_e32 v3, 0, v3
	v_fmac_f32_e32 v12, v7, v10
	v_add_f32_e32 v3, v3, v12
	ds_read2_b64 v[12:15], v2 offset0:97 offset1:98
	s_waitcnt vmcnt(2) lgkmcnt(0)
	v_mul_f32_e32 v20, v12, v17
	v_fmac_f32_e32 v20, v13, v16
	v_add_f32_e32 v3, v3, v20
	v_mul_f32_e32 v20, v14, v19
	v_fmac_f32_e32 v20, v15, v18
	v_add_f32_e32 v3, v3, v20
	ds_read2_b64 v[20:23], v2 offset0:99 offset1:100
	s_waitcnt vmcnt(1) lgkmcnt(0)
	v_mul_f32_e32 v28, v20, v25
	v_fmac_f32_e32 v28, v21, v24
	v_add_f32_e32 v3, v3, v28
	v_mul_f32_e32 v28, v22, v27
	v_fmac_f32_e32 v28, v23, v26
	v_add_f32_e32 v53, v3, v28
	ds_read2_b64 v[28:31], v2 offset0:101 offset1:102
	scratch_load_dwordx4 v[36:39], off, off offset:376
	scratch_load_dwordx4 v[40:43], off, off offset:392
	;; [unrolled: 1-line block ×4, first 2 shown]
	v_mul_f32_e32 v3, v5, v9
	v_fma_f32 v3, v4, v8, -v3
	v_mul_f32_e32 v4, v7, v11
	v_add_f32_e32 v3, 0, v3
	v_fma_f32 v4, v6, v10, -v4
	v_add_f32_e32 v3, v3, v4
	v_mul_f32_e32 v4, v13, v17
	v_fma_f32 v4, v12, v16, -v4
	v_add_f32_e32 v3, v3, v4
	v_mul_f32_e32 v4, v15, v19
	;; [unrolled: 3-line block ×4, first 2 shown]
	v_fma_f32 v4, v22, v26, -v4
	v_add_f32_e32 v52, v3, v4
	ds_read2_b64 v[4:7], v2 offset0:103 offset1:104
	ds_read2_b64 v[8:11], v2 offset0:105 offset1:106
	;; [unrolled: 1-line block ×4, first 2 shown]
	s_waitcnt vmcnt(4) lgkmcnt(4)
	v_mul_f32_e32 v55, v28, v33
	v_mul_f32_e32 v3, v29, v33
	v_fmac_f32_e32 v55, v29, v32
	v_mul_f32_e32 v57, v30, v35
	v_fma_f32 v54, v28, v32, -v3
	v_mul_f32_e32 v3, v31, v35
	v_fmac_f32_e32 v57, v31, v34
	v_fma_f32 v56, v30, v34, -v3
	v_pk_add_f32 v[2:3], v[52:53], v[54:55]
	s_waitcnt vmcnt(3) lgkmcnt(3)
	v_pk_mul_f32 v[20:21], v[4:5], v[36:37] op_sel:[1,1] op_sel_hi:[0,1]
	v_pk_fma_f32 v[22:23], v[4:5], v[36:37], v[20:21] neg_lo:[0,0,1] neg_hi:[0,0,1]
	v_pk_fma_f32 v[4:5], v[4:5], v[36:37], v[20:21] op_sel_hi:[1,0,1]
	v_pk_add_f32 v[2:3], v[2:3], v[56:57]
	v_mov_b32_e32 v4, v39
	v_mov_b32_e32 v23, v5
	v_pk_mul_f32 v[4:5], v[6:7], v[4:5] op_sel:[1,0] op_sel_hi:[0,0]
	v_pk_fma_f32 v[20:21], v[6:7], v[38:39], v[4:5] neg_lo:[0,0,1] neg_hi:[0,0,1]
	v_pk_fma_f32 v[4:5], v[6:7], v[38:39], v[4:5] op_sel_hi:[1,0,1]
	v_pk_add_f32 v[2:3], v[2:3], v[22:23]
	v_mov_b32_e32 v21, v5
	s_waitcnt vmcnt(2) lgkmcnt(2)
	v_pk_mul_f32 v[4:5], v[8:9], v[40:41] op_sel:[1,1] op_sel_hi:[0,1]
	v_pk_fma_f32 v[6:7], v[8:9], v[40:41], v[4:5] neg_lo:[0,0,1] neg_hi:[0,0,1]
	v_pk_fma_f32 v[4:5], v[8:9], v[40:41], v[4:5] op_sel_hi:[1,0,1]
	v_pk_add_f32 v[2:3], v[2:3], v[20:21]
	v_mov_b32_e32 v4, v43
	v_mov_b32_e32 v7, v5
	v_pk_mul_f32 v[4:5], v[10:11], v[4:5] op_sel:[1,0] op_sel_hi:[0,0]
	v_pk_add_f32 v[2:3], v[2:3], v[6:7]
	v_pk_fma_f32 v[6:7], v[10:11], v[42:43], v[4:5] neg_lo:[0,0,1] neg_hi:[0,0,1]
	v_pk_fma_f32 v[4:5], v[10:11], v[42:43], v[4:5] op_sel_hi:[1,0,1]
	s_nop 0
	v_mov_b32_e32 v7, v5
	s_waitcnt vmcnt(1) lgkmcnt(1)
	v_pk_mul_f32 v[4:5], v[12:13], v[44:45] op_sel:[1,1] op_sel_hi:[0,1]
	v_pk_add_f32 v[2:3], v[2:3], v[6:7]
	v_pk_fma_f32 v[6:7], v[12:13], v[44:45], v[4:5] neg_lo:[0,0,1] neg_hi:[0,0,1]
	v_pk_fma_f32 v[4:5], v[12:13], v[44:45], v[4:5] op_sel_hi:[1,0,1]
	s_nop 0
	v_mov_b32_e32 v4, v47
	v_mov_b32_e32 v7, v5
	v_pk_mul_f32 v[4:5], v[14:15], v[4:5] op_sel:[1,0] op_sel_hi:[0,0]
	v_pk_add_f32 v[2:3], v[2:3], v[6:7]
	v_pk_fma_f32 v[6:7], v[14:15], v[46:47], v[4:5] neg_lo:[0,0,1] neg_hi:[0,0,1]
	v_pk_fma_f32 v[4:5], v[14:15], v[46:47], v[4:5] op_sel_hi:[1,0,1]
	s_nop 0
	v_mov_b32_e32 v7, v5
	s_waitcnt vmcnt(0) lgkmcnt(0)
	v_pk_mul_f32 v[4:5], v[16:17], v[48:49] op_sel:[1,1] op_sel_hi:[0,1]
	v_pk_add_f32 v[2:3], v[2:3], v[6:7]
	v_pk_fma_f32 v[6:7], v[16:17], v[48:49], v[4:5] neg_lo:[0,0,1] neg_hi:[0,0,1]
	v_pk_fma_f32 v[4:5], v[16:17], v[48:49], v[4:5] op_sel_hi:[1,0,1]
	s_nop 0
	v_mov_b32_e32 v4, v51
	v_mov_b32_e32 v7, v5
	v_pk_mul_f32 v[4:5], v[18:19], v[4:5] op_sel:[1,0] op_sel_hi:[0,0]
	v_pk_add_f32 v[2:3], v[2:3], v[6:7]
	v_pk_fma_f32 v[6:7], v[18:19], v[50:51], v[4:5] neg_lo:[0,0,1] neg_hi:[0,0,1]
	v_pk_fma_f32 v[4:5], v[18:19], v[50:51], v[4:5] op_sel_hi:[1,0,1]
	s_nop 0
	v_mov_b32_e32 v7, v5
	scratch_load_dwordx2 v[4:5], off, off offset:304
	v_pk_add_f32 v[2:3], v[2:3], v[6:7]
	s_waitcnt vmcnt(0)
	v_pk_add_f32 v[2:3], v[4:5], v[2:3] neg_lo:[0,1] neg_hi:[0,1]
	scratch_store_dwordx2 off, v[2:3], off offset:304
	s_and_saveexec_b64 s[0:1], vcc
	s_cbranch_execz .LBB54_269
; %bb.268:
	scratch_load_dwordx2 v[2:3], off, off offset:296
	v_mov_b32_e32 v4, 0
	v_mov_b32_e32 v5, v4
	scratch_store_dwordx2 off, v[4:5], off offset:296
	s_waitcnt vmcnt(1)
	ds_write_b64 v1, v[2:3]
.LBB54_269:
	s_or_b64 exec, exec, s[0:1]
	s_waitcnt lgkmcnt(0)
	; wave barrier
	scratch_load_dwordx4 v[4:7], off, off offset:304
	scratch_load_dwordx4 v[8:11], off, off offset:320
	;; [unrolled: 1-line block ×8, first 2 shown]
	scratch_load_dwordx2 v[68:69], off, off offset:432
	scratch_load_dwordx2 v[70:71], off, off offset:296
	v_mov_b32_e32 v2, 0
	ds_read_b128 v[36:39], v2 offset:752
	ds_read_b128 v[40:43], v2 offset:768
	;; [unrolled: 1-line block ×8, first 2 shown]
	ds_read_b64 v[72:73], v2 offset:880
	v_cmp_lt_u32_e32 vcc, 36, v0
	s_waitcnt vmcnt(9) lgkmcnt(8)
	v_mul_f32_e32 v79, v38, v7
	v_mul_f32_e32 v3, v36, v5
	s_waitcnt vmcnt(8) lgkmcnt(7)
	v_mul_f32_e32 v83, v40, v9
	s_waitcnt vmcnt(7) lgkmcnt(6)
	v_mul_f32_e32 v87, v44, v13
	v_mul_f32_e32 v5, v37, v5
	;; [unrolled: 1-line block ×5, first 2 shown]
	s_waitcnt vmcnt(5)
	v_mov_b32_e32 v78, v23
	s_waitcnt vmcnt(3) lgkmcnt(2)
	v_pk_mul_f32 v[84:85], v[60:61], v[28:29] op_sel:[1,1] op_sel_hi:[0,1]
	v_fmac_f32_e32 v79, v39, v6
	v_mul_f32_e32 v86, v42, v11
	v_mul_f32_e32 v89, v48, v17
	;; [unrolled: 1-line block ×4, first 2 shown]
	v_fmac_f32_e32 v3, v37, v4
	v_fmac_f32_e32 v87, v45, v12
	v_fma_f32 v36, v36, v4, -v5
	v_fma_f32 v37, v38, v6, -v7
	;; [unrolled: 1-line block ×4, first 2 shown]
	v_pk_mul_f32 v[4:5], v[54:55], v[78:79] op_sel:[1,0] op_sel_hi:[0,0]
	v_pk_fma_f32 v[12:13], v[60:61], v[28:29], v[84:85] neg_lo:[0,0,1] neg_hi:[0,0,1]
	v_fmac_f32_e32 v89, v49, v16
	v_fma_f32 v39, v42, v10, -v11
	v_fma_f32 v42, v48, v16, -v17
	v_add_f32_e32 v3, 0, v3
	v_add_f32_e32 v13, 0, v36
	v_pk_fma_f32 v[16:17], v[54:55], v[22:23], v[4:5] neg_lo:[0,0,1] neg_hi:[0,0,1]
	v_pk_fma_f32 v[4:5], v[54:55], v[22:23], v[4:5] op_sel_hi:[1,0,1]
	v_fmac_f32_e32 v83, v41, v8
	v_add_f32_e32 v3, v3, v79
	v_add_f32_e32 v4, v13, v37
	v_fmac_f32_e32 v86, v43, v10
	v_add_f32_e32 v3, v3, v83
	v_add_f32_e32 v4, v4, v38
	v_mul_f32_e32 v88, v46, v15
	v_mul_f32_e32 v15, v47, v15
	v_add_f32_e32 v3, v3, v86
	v_add_f32_e32 v4, v4, v39
	v_fmac_f32_e32 v88, v47, v14
	v_fma_f32 v41, v46, v14, -v15
	v_add_f32_e32 v3, v3, v87
	v_add_f32_e32 v4, v4, v40
	v_mul_f32_e32 v75, v50, v19
	v_mul_f32_e32 v19, v51, v19
	v_add_f32_e32 v3, v3, v88
	v_add_f32_e32 v4, v4, v41
	v_mul_f32_e32 v77, v52, v21
	v_mul_f32_e32 v21, v53, v21
	v_fmac_f32_e32 v75, v51, v18
	v_fma_f32 v74, v50, v18, -v19
	v_mov_b32_e32 v17, v5
	v_add_f32_e32 v5, v3, v89
	v_add_f32_e32 v4, v4, v42
	v_pk_mul_f32 v[80:81], v[56:57], v[24:25] op_sel:[1,1] op_sel_hi:[0,1]
	v_fmac_f32_e32 v77, v53, v20
	v_fma_f32 v76, v52, v20, -v21
	v_pk_add_f32 v[4:5], v[4:5], v[74:75]
	v_mov_b32_e32 v82, v27
	v_pk_fma_f32 v[6:7], v[56:57], v[24:25], v[80:81] neg_lo:[0,0,1] neg_hi:[0,0,1]
	v_pk_fma_f32 v[8:9], v[56:57], v[24:25], v[80:81] op_sel_hi:[1,0,1]
	v_pk_add_f32 v[4:5], v[4:5], v[76:77]
	v_pk_mul_f32 v[10:11], v[58:59], v[82:83] op_sel:[1,0] op_sel_hi:[0,0]
	v_mov_b32_e32 v7, v9
	v_pk_add_f32 v[4:5], v[4:5], v[16:17]
	v_pk_fma_f32 v[8:9], v[58:59], v[26:27], v[10:11] neg_lo:[0,0,1] neg_hi:[0,0,1]
	v_pk_fma_f32 v[10:11], v[58:59], v[26:27], v[10:11] op_sel_hi:[1,0,1]
	v_pk_add_f32 v[4:5], v[4:5], v[6:7]
	v_mov_b32_e32 v6, v31
	v_pk_fma_f32 v[14:15], v[60:61], v[28:29], v[84:85] op_sel_hi:[1,0,1]
	v_mov_b32_e32 v9, v11
	v_pk_mul_f32 v[6:7], v[62:63], v[6:7] op_sel:[1,0] op_sel_hi:[0,0]
	v_pk_add_f32 v[4:5], v[4:5], v[8:9]
	v_mov_b32_e32 v13, v15
	v_pk_fma_f32 v[8:9], v[62:63], v[30:31], v[6:7] neg_lo:[0,0,1] neg_hi:[0,0,1]
	v_pk_fma_f32 v[6:7], v[62:63], v[30:31], v[6:7] op_sel_hi:[1,0,1]
	v_pk_add_f32 v[4:5], v[4:5], v[12:13]
	v_mov_b32_e32 v9, v7
	s_waitcnt vmcnt(2) lgkmcnt(1)
	v_pk_mul_f32 v[6:7], v[64:65], v[32:33] op_sel:[1,1] op_sel_hi:[0,1]
	v_pk_add_f32 v[4:5], v[4:5], v[8:9]
	v_pk_fma_f32 v[8:9], v[64:65], v[32:33], v[6:7] neg_lo:[0,0,1] neg_hi:[0,0,1]
	v_pk_fma_f32 v[6:7], v[64:65], v[32:33], v[6:7] op_sel_hi:[1,0,1]
	s_nop 0
	v_mov_b32_e32 v6, v35
	v_mov_b32_e32 v9, v7
	v_pk_mul_f32 v[6:7], v[66:67], v[6:7] op_sel:[1,0] op_sel_hi:[0,0]
	v_pk_add_f32 v[4:5], v[4:5], v[8:9]
	v_pk_fma_f32 v[8:9], v[66:67], v[34:35], v[6:7] neg_lo:[0,0,1] neg_hi:[0,0,1]
	v_pk_fma_f32 v[6:7], v[66:67], v[34:35], v[6:7] op_sel_hi:[1,0,1]
	s_nop 0
	v_mov_b32_e32 v9, v7
	s_waitcnt vmcnt(1) lgkmcnt(0)
	v_pk_mul_f32 v[6:7], v[72:73], v[68:69] op_sel:[1,1] op_sel_hi:[0,1]
	v_pk_add_f32 v[4:5], v[4:5], v[8:9]
	v_pk_fma_f32 v[8:9], v[72:73], v[68:69], v[6:7] neg_lo:[0,0,1] neg_hi:[0,0,1]
	v_pk_fma_f32 v[6:7], v[72:73], v[68:69], v[6:7] op_sel_hi:[1,0,1]
	s_nop 0
	v_mov_b32_e32 v9, v7
	v_pk_add_f32 v[4:5], v[4:5], v[8:9]
	s_waitcnt vmcnt(0)
	v_pk_add_f32 v[4:5], v[70:71], v[4:5] neg_lo:[0,1] neg_hi:[0,1]
	scratch_store_dwordx2 off, v[4:5], off offset:296
	s_and_saveexec_b64 s[0:1], vcc
	s_cbranch_execz .LBB54_271
; %bb.270:
	scratch_load_dwordx2 v[4:5], off, off offset:288
	v_mov_b32_e32 v3, v2
	scratch_store_dwordx2 off, v[2:3], off offset:288
	s_waitcnt vmcnt(1)
	ds_write_b64 v1, v[4:5]
.LBB54_271:
	s_or_b64 exec, exec, s[0:1]
	s_waitcnt lgkmcnt(0)
	; wave barrier
	scratch_load_dwordx4 v[4:7], off, off offset:296
	scratch_load_dwordx4 v[8:11], off, off offset:312
	;; [unrolled: 1-line block ×7, first 2 shown]
	ds_read2_b64 v[32:35], v2 offset0:93 offset1:94
	ds_read2_b64 v[36:39], v2 offset0:95 offset1:96
	;; [unrolled: 1-line block ×4, first 2 shown]
	scratch_load_dwordx4 v[48:51], off, off offset:408
	scratch_load_dwordx4 v[52:55], off, off offset:424
	ds_read2_b64 v[56:59], v2 offset0:101 offset1:102
	ds_read2_b64 v[60:63], v2 offset0:103 offset1:104
	;; [unrolled: 1-line block ×5, first 2 shown]
	scratch_load_dwordx2 v[2:3], off, off offset:288
	v_cmp_lt_u32_e32 vcc, 35, v0
	s_waitcnt vmcnt(9) lgkmcnt(8)
	v_mul_f32_e32 v83, v32, v5
	v_mul_f32_e32 v86, v34, v7
	s_waitcnt vmcnt(8) lgkmcnt(7)
	v_mul_f32_e32 v87, v36, v9
	s_waitcnt vmcnt(7) lgkmcnt(6)
	v_mul_f32_e32 v89, v40, v13
	v_mul_f32_e32 v5, v33, v5
	;; [unrolled: 1-line block ×5, first 2 shown]
	s_waitcnt vmcnt(4) lgkmcnt(3)
	v_pk_mul_f32 v[80:81], v[60:61], v[24:25] op_sel:[1,1] op_sel_hi:[0,1]
	v_mov_b32_e32 v82, v27
	s_waitcnt vmcnt(3) lgkmcnt(2)
	v_pk_mul_f32 v[84:85], v[64:65], v[28:29] op_sel:[1,1] op_sel_hi:[0,1]
	v_fmac_f32_e32 v83, v33, v4
	v_mul_f32_e32 v90, v42, v15
	v_mul_f32_e32 v91, v44, v17
	;; [unrolled: 1-line block ×4, first 2 shown]
	v_fmac_f32_e32 v86, v35, v6
	v_fmac_f32_e32 v87, v37, v8
	v_fmac_f32_e32 v89, v41, v12
	v_fma_f32 v32, v32, v4, -v5
	v_fma_f32 v33, v34, v6, -v7
	;; [unrolled: 1-line block ×4, first 2 shown]
	v_pk_fma_f32 v[4:5], v[60:61], v[24:25], v[80:81] neg_lo:[0,0,1] neg_hi:[0,0,1]
	v_pk_fma_f32 v[6:7], v[60:61], v[24:25], v[80:81] op_sel_hi:[1,0,1]
	v_pk_mul_f32 v[8:9], v[62:63], v[82:83] op_sel:[1,0] op_sel_hi:[0,0]
	v_pk_fma_f32 v[12:13], v[64:65], v[28:29], v[84:85] op_sel_hi:[1,0,1]
	v_fmac_f32_e32 v90, v43, v14
	v_fma_f32 v14, v42, v14, -v15
	v_fma_f32 v15, v44, v16, -v17
	v_add_f32_e32 v12, 0, v83
	v_add_f32_e32 v17, 0, v32
	v_mov_b32_e32 v5, v7
	v_pk_fma_f32 v[6:7], v[62:63], v[26:27], v[8:9] neg_lo:[0,0,1] neg_hi:[0,0,1]
	v_pk_fma_f32 v[8:9], v[62:63], v[26:27], v[8:9] op_sel_hi:[1,0,1]
	v_mul_f32_e32 v88, v38, v11
	v_mul_f32_e32 v11, v39, v11
	v_add_f32_e32 v8, v12, v86
	v_add_f32_e32 v12, v17, v33
	v_fmac_f32_e32 v88, v39, v10
	v_fma_f32 v35, v38, v10, -v11
	v_mov_b32_e32 v7, v9
	v_add_f32_e32 v8, v8, v87
	v_add_f32_e32 v9, v12, v34
	;; [unrolled: 1-line block ×6, first 2 shown]
	v_mul_f32_e32 v92, v46, v19
	v_mul_f32_e32 v19, v47, v19
	v_fmac_f32_e32 v91, v45, v16
	v_add_f32_e32 v8, v8, v90
	v_add_f32_e32 v9, v9, v14
	v_mul_f32_e32 v77, v56, v21
	v_mul_f32_e32 v21, v57, v21
	v_fmac_f32_e32 v92, v47, v18
	v_fma_f32 v16, v46, v18, -v19
	v_add_f32_e32 v8, v8, v91
	v_add_f32_e32 v12, v9, v15
	v_mul_f32_e32 v79, v58, v23
	v_mul_f32_e32 v23, v59, v23
	v_fmac_f32_e32 v77, v57, v20
	v_fma_f32 v76, v56, v20, -v21
	v_add_f32_e32 v9, v8, v92
	v_add_f32_e32 v8, v12, v16
	v_fmac_f32_e32 v79, v59, v22
	v_fma_f32 v78, v58, v22, -v23
	v_pk_add_f32 v[8:9], v[8:9], v[76:77]
	v_pk_fma_f32 v[10:11], v[64:65], v[28:29], v[84:85] neg_lo:[0,0,1] neg_hi:[0,0,1]
	v_pk_add_f32 v[8:9], v[8:9], v[78:79]
	v_mov_b32_e32 v11, v13
	v_pk_add_f32 v[4:5], v[8:9], v[4:5]
	s_nop 0
	v_pk_add_f32 v[4:5], v[4:5], v[6:7]
	v_mov_b32_e32 v6, v31
	v_pk_mul_f32 v[6:7], v[66:67], v[6:7] op_sel:[1,0] op_sel_hi:[0,0]
	v_pk_fma_f32 v[8:9], v[66:67], v[30:31], v[6:7] neg_lo:[0,0,1] neg_hi:[0,0,1]
	v_pk_fma_f32 v[6:7], v[66:67], v[30:31], v[6:7] op_sel_hi:[1,0,1]
	v_pk_add_f32 v[4:5], v[4:5], v[10:11]
	v_mov_b32_e32 v9, v7
	s_waitcnt vmcnt(2) lgkmcnt(1)
	v_pk_mul_f32 v[6:7], v[68:69], v[48:49] op_sel:[1,1] op_sel_hi:[0,1]
	v_pk_add_f32 v[4:5], v[4:5], v[8:9]
	v_pk_fma_f32 v[8:9], v[68:69], v[48:49], v[6:7] neg_lo:[0,0,1] neg_hi:[0,0,1]
	v_pk_fma_f32 v[6:7], v[68:69], v[48:49], v[6:7] op_sel_hi:[1,0,1]
	s_nop 0
	v_mov_b32_e32 v6, v51
	v_mov_b32_e32 v9, v7
	v_pk_mul_f32 v[6:7], v[70:71], v[6:7] op_sel:[1,0] op_sel_hi:[0,0]
	v_pk_add_f32 v[4:5], v[4:5], v[8:9]
	v_pk_fma_f32 v[8:9], v[70:71], v[50:51], v[6:7] neg_lo:[0,0,1] neg_hi:[0,0,1]
	v_pk_fma_f32 v[6:7], v[70:71], v[50:51], v[6:7] op_sel_hi:[1,0,1]
	s_nop 0
	v_mov_b32_e32 v9, v7
	s_waitcnt vmcnt(1) lgkmcnt(0)
	v_pk_mul_f32 v[6:7], v[72:73], v[52:53] op_sel:[1,1] op_sel_hi:[0,1]
	v_pk_add_f32 v[4:5], v[4:5], v[8:9]
	v_pk_fma_f32 v[8:9], v[72:73], v[52:53], v[6:7] neg_lo:[0,0,1] neg_hi:[0,0,1]
	v_pk_fma_f32 v[6:7], v[72:73], v[52:53], v[6:7] op_sel_hi:[1,0,1]
	s_nop 0
	v_mov_b32_e32 v6, v55
	v_mov_b32_e32 v9, v7
	v_pk_mul_f32 v[6:7], v[74:75], v[6:7] op_sel:[1,0] op_sel_hi:[0,0]
	v_pk_add_f32 v[4:5], v[4:5], v[8:9]
	v_pk_fma_f32 v[8:9], v[74:75], v[54:55], v[6:7] neg_lo:[0,0,1] neg_hi:[0,0,1]
	v_pk_fma_f32 v[6:7], v[74:75], v[54:55], v[6:7] op_sel_hi:[1,0,1]
	s_nop 0
	v_mov_b32_e32 v9, v7
	v_pk_add_f32 v[4:5], v[4:5], v[8:9]
	s_waitcnt vmcnt(0)
	v_pk_add_f32 v[2:3], v[2:3], v[4:5] neg_lo:[0,1] neg_hi:[0,1]
	scratch_store_dwordx2 off, v[2:3], off offset:288
	s_and_saveexec_b64 s[0:1], vcc
	s_cbranch_execz .LBB54_273
; %bb.272:
	scratch_load_dwordx2 v[2:3], off, off offset:280
	v_mov_b32_e32 v4, 0
	v_mov_b32_e32 v5, v4
	scratch_store_dwordx2 off, v[4:5], off offset:280
	s_waitcnt vmcnt(1)
	ds_write_b64 v1, v[2:3]
.LBB54_273:
	s_or_b64 exec, exec, s[0:1]
	s_waitcnt lgkmcnt(0)
	; wave barrier
	scratch_load_dwordx4 v[4:7], off, off offset:288
	scratch_load_dwordx4 v[8:11], off, off offset:304
	scratch_load_dwordx4 v[12:15], off, off offset:320
	scratch_load_dwordx4 v[16:19], off, off offset:336
	scratch_load_dwordx4 v[20:23], off, off offset:352
	scratch_load_dwordx4 v[24:27], off, off offset:368
	scratch_load_dwordx4 v[28:31], off, off offset:384
	scratch_load_dwordx4 v[32:35], off, off offset:400
	scratch_load_dwordx4 v[36:39], off, off offset:416
	scratch_load_dwordx2 v[76:77], off, off offset:432
	scratch_load_dwordx2 v[78:79], off, off offset:280
	v_mov_b32_e32 v2, 0
	ds_read_b128 v[40:43], v2 offset:736
	ds_read_b128 v[44:47], v2 offset:752
	;; [unrolled: 1-line block ×9, first 2 shown]
	ds_read_b64 v[80:81], v2 offset:880
	v_cmp_lt_u32_e32 vcc, 34, v0
	s_waitcnt vmcnt(10) lgkmcnt(9)
	v_mul_f32_e32 v87, v42, v7
	v_mul_f32_e32 v3, v40, v5
	;; [unrolled: 1-line block ×3, first 2 shown]
	v_fmac_f32_e32 v87, v43, v6
	s_waitcnt vmcnt(9) lgkmcnt(8)
	v_mul_f32_e32 v88, v44, v9
	s_waitcnt vmcnt(5)
	v_mov_b32_e32 v86, v27
	v_mul_f32_e32 v89, v46, v11
	s_waitcnt lgkmcnt(7)
	v_mul_f32_e32 v91, v50, v15
	v_mul_f32_e32 v7, v43, v7
	;; [unrolled: 1-line block ×5, first 2 shown]
	v_fmac_f32_e32 v3, v41, v4
	v_fma_f32 v40, v40, v4, -v5
	s_waitcnt lgkmcnt(4)
	v_pk_mul_f32 v[4:5], v[62:63], v[86:87] op_sel:[1,0] op_sel_hi:[0,0]
	v_fmac_f32_e32 v88, v45, v8
	v_fma_f32 v41, v42, v6, -v7
	v_fma_f32 v8, v44, v8, -v9
	;; [unrolled: 1-line block ×4, first 2 shown]
	v_add_f32_e32 v3, 0, v3
	v_add_f32_e32 v15, 0, v40
	v_pk_fma_f32 v[6:7], v[62:63], v[26:27], v[4:5] neg_lo:[0,0,1] neg_hi:[0,0,1]
	v_pk_fma_f32 v[4:5], v[62:63], v[26:27], v[4:5] op_sel_hi:[1,0,1]
	v_add_f32_e32 v3, v3, v87
	v_add_f32_e32 v4, v15, v41
	v_mul_f32_e32 v90, v48, v13
	v_mul_f32_e32 v13, v49, v13
	v_fmac_f32_e32 v89, v47, v10
	v_add_f32_e32 v3, v3, v88
	v_add_f32_e32 v4, v4, v8
	v_fmac_f32_e32 v90, v49, v12
	v_fma_f32 v10, v48, v12, -v13
	v_add_f32_e32 v3, v3, v89
	v_add_f32_e32 v4, v4, v9
	v_mul_f32_e32 v92, v52, v17
	v_mul_f32_e32 v17, v53, v17
	v_fmac_f32_e32 v91, v51, v14
	v_add_f32_e32 v3, v3, v90
	v_add_f32_e32 v4, v4, v10
	v_mul_f32_e32 v93, v54, v19
	v_mul_f32_e32 v19, v55, v19
	v_fmac_f32_e32 v92, v53, v16
	v_fma_f32 v12, v52, v16, -v17
	v_add_f32_e32 v3, v3, v91
	v_add_f32_e32 v4, v4, v11
	v_mul_f32_e32 v94, v56, v21
	v_mul_f32_e32 v21, v57, v21
	v_fmac_f32_e32 v93, v55, v18
	v_fma_f32 v13, v54, v18, -v19
	;; [unrolled: 6-line block ×4, first 2 shown]
	v_mov_b32_e32 v7, v5
	v_add_f32_e32 v5, v3, v94
	v_add_f32_e32 v4, v4, v14
	v_fmac_f32_e32 v85, v61, v24
	v_fma_f32 v84, v60, v24, -v25
	v_pk_add_f32 v[4:5], v[4:5], v[82:83]
	s_nop 0
	v_pk_add_f32 v[4:5], v[4:5], v[84:85]
	s_nop 0
	v_pk_add_f32 v[4:5], v[4:5], v[6:7]
	s_waitcnt vmcnt(4) lgkmcnt(3)
	v_pk_mul_f32 v[6:7], v[64:65], v[28:29] op_sel:[1,1] op_sel_hi:[0,1]
	v_pk_fma_f32 v[8:9], v[64:65], v[28:29], v[6:7] neg_lo:[0,0,1] neg_hi:[0,0,1]
	v_pk_fma_f32 v[6:7], v[64:65], v[28:29], v[6:7] op_sel_hi:[1,0,1]
	s_nop 0
	v_mov_b32_e32 v6, v31
	v_mov_b32_e32 v9, v7
	v_pk_mul_f32 v[6:7], v[66:67], v[6:7] op_sel:[1,0] op_sel_hi:[0,0]
	v_pk_add_f32 v[4:5], v[4:5], v[8:9]
	v_pk_fma_f32 v[8:9], v[66:67], v[30:31], v[6:7] neg_lo:[0,0,1] neg_hi:[0,0,1]
	v_pk_fma_f32 v[6:7], v[66:67], v[30:31], v[6:7] op_sel_hi:[1,0,1]
	s_nop 0
	v_mov_b32_e32 v9, v7
	s_waitcnt vmcnt(3) lgkmcnt(2)
	v_pk_mul_f32 v[6:7], v[68:69], v[32:33] op_sel:[1,1] op_sel_hi:[0,1]
	v_pk_add_f32 v[4:5], v[4:5], v[8:9]
	v_pk_fma_f32 v[8:9], v[68:69], v[32:33], v[6:7] neg_lo:[0,0,1] neg_hi:[0,0,1]
	v_pk_fma_f32 v[6:7], v[68:69], v[32:33], v[6:7] op_sel_hi:[1,0,1]
	s_nop 0
	v_mov_b32_e32 v6, v35
	v_mov_b32_e32 v9, v7
	v_pk_mul_f32 v[6:7], v[70:71], v[6:7] op_sel:[1,0] op_sel_hi:[0,0]
	v_pk_add_f32 v[4:5], v[4:5], v[8:9]
	v_pk_fma_f32 v[8:9], v[70:71], v[34:35], v[6:7] neg_lo:[0,0,1] neg_hi:[0,0,1]
	v_pk_fma_f32 v[6:7], v[70:71], v[34:35], v[6:7] op_sel_hi:[1,0,1]
	s_nop 0
	v_mov_b32_e32 v9, v7
	s_waitcnt vmcnt(2) lgkmcnt(1)
	v_pk_mul_f32 v[6:7], v[72:73], v[36:37] op_sel:[1,1] op_sel_hi:[0,1]
	v_pk_add_f32 v[4:5], v[4:5], v[8:9]
	;; [unrolled: 14-line block ×3, first 2 shown]
	v_pk_fma_f32 v[8:9], v[80:81], v[76:77], v[6:7] neg_lo:[0,0,1] neg_hi:[0,0,1]
	v_pk_fma_f32 v[6:7], v[80:81], v[76:77], v[6:7] op_sel_hi:[1,0,1]
	s_nop 0
	v_mov_b32_e32 v9, v7
	v_pk_add_f32 v[4:5], v[4:5], v[8:9]
	s_waitcnt vmcnt(0)
	v_pk_add_f32 v[4:5], v[78:79], v[4:5] neg_lo:[0,1] neg_hi:[0,1]
	scratch_store_dwordx2 off, v[4:5], off offset:280
	s_and_saveexec_b64 s[0:1], vcc
	s_cbranch_execz .LBB54_275
; %bb.274:
	scratch_load_dwordx2 v[4:5], off, off offset:272
	v_mov_b32_e32 v3, v2
	scratch_store_dwordx2 off, v[2:3], off offset:272
	s_waitcnt vmcnt(1)
	ds_write_b64 v1, v[4:5]
.LBB54_275:
	s_or_b64 exec, exec, s[0:1]
	s_waitcnt lgkmcnt(0)
	; wave barrier
	scratch_load_dwordx4 v[4:7], off, off offset:280
	scratch_load_dwordx4 v[8:11], off, off offset:296
	;; [unrolled: 1-line block ×7, first 2 shown]
	ds_read2_b64 v[32:35], v2 offset0:91 offset1:92
	ds_read2_b64 v[36:39], v2 offset0:93 offset1:94
	;; [unrolled: 1-line block ×6, first 2 shown]
	scratch_load_dwordx4 v[56:59], off, off offset:392
	scratch_load_dwordx4 v[60:63], off, off offset:408
	;; [unrolled: 1-line block ×3, first 2 shown]
	ds_read2_b64 v[68:71], v2 offset0:103 offset1:104
	ds_read2_b64 v[72:75], v2 offset0:105 offset1:106
	;; [unrolled: 1-line block ×4, first 2 shown]
	scratch_load_dwordx2 v[2:3], off, off offset:272
	v_cmp_lt_u32_e32 vcc, 33, v0
	s_waitcnt vmcnt(10) lgkmcnt(9)
	v_mul_f32_e32 v90, v32, v5
	v_mul_f32_e32 v5, v33, v5
	;; [unrolled: 1-line block ×3, first 2 shown]
	s_waitcnt vmcnt(9) lgkmcnt(8)
	v_mul_f32_e32 v92, v36, v9
	s_waitcnt vmcnt(8) lgkmcnt(7)
	v_mul_f32_e32 v95, v42, v15
	v_mul_f32_e32 v7, v35, v7
	;; [unrolled: 1-line block ×4, first 2 shown]
	v_fmac_f32_e32 v90, v33, v4
	v_fma_f32 v4, v32, v4, -v5
	v_fmac_f32_e32 v91, v35, v6
	v_fmac_f32_e32 v95, v43, v14
	v_fma_f32 v5, v34, v6, -v7
	v_fma_f32 v6, v36, v8, -v9
	;; [unrolled: 1-line block ×3, first 2 shown]
	v_add_f32_e32 v14, 0, v90
	v_add_f32_e32 v4, 0, v4
	v_mul_f32_e32 v93, v38, v11
	v_mul_f32_e32 v11, v39, v11
	v_fmac_f32_e32 v92, v37, v8
	v_add_f32_e32 v14, v14, v91
	v_add_f32_e32 v4, v4, v5
	v_mul_f32_e32 v94, v40, v13
	v_mul_f32_e32 v13, v41, v13
	v_fmac_f32_e32 v93, v39, v10
	v_fma_f32 v7, v38, v10, -v11
	v_add_f32_e32 v5, v14, v92
	v_add_f32_e32 v4, v4, v6
	v_fmac_f32_e32 v94, v41, v12
	v_fma_f32 v8, v40, v12, -v13
	v_add_f32_e32 v5, v5, v93
	v_add_f32_e32 v4, v4, v7
	s_waitcnt vmcnt(7) lgkmcnt(6)
	v_mul_f32_e32 v96, v44, v17
	v_mul_f32_e32 v17, v45, v17
	v_add_f32_e32 v5, v5, v94
	v_add_f32_e32 v4, v4, v8
	v_mul_f32_e32 v97, v46, v19
	v_mul_f32_e32 v19, v47, v19
	v_fmac_f32_e32 v96, v45, v16
	v_fma_f32 v10, v44, v16, -v17
	v_add_f32_e32 v5, v5, v95
	v_add_f32_e32 v4, v4, v9
	s_waitcnt vmcnt(6) lgkmcnt(5)
	v_mul_f32_e32 v98, v48, v21
	v_mul_f32_e32 v21, v49, v21
	v_fmac_f32_e32 v97, v47, v18
	v_fma_f32 v11, v46, v18, -v19
	v_add_f32_e32 v5, v5, v96
	v_add_f32_e32 v4, v4, v10
	v_mul_f32_e32 v99, v50, v23
	v_mul_f32_e32 v23, v51, v23
	v_fmac_f32_e32 v98, v49, v20
	v_fma_f32 v12, v48, v20, -v21
	v_add_f32_e32 v5, v5, v97
	v_add_f32_e32 v4, v4, v11
	s_waitcnt vmcnt(5) lgkmcnt(4)
	v_mul_f32_e32 v85, v52, v25
	v_mul_f32_e32 v25, v53, v25
	v_fmac_f32_e32 v99, v51, v22
	v_fma_f32 v13, v50, v22, -v23
	v_add_f32_e32 v5, v5, v98
	v_add_f32_e32 v4, v4, v12
	v_mul_f32_e32 v87, v54, v27
	v_mul_f32_e32 v27, v55, v27
	s_waitcnt vmcnt(4) lgkmcnt(3)
	v_pk_mul_f32 v[88:89], v[68:69], v[28:29] op_sel:[1,1] op_sel_hi:[0,1]
	v_fmac_f32_e32 v85, v53, v24
	v_fma_f32 v84, v52, v24, -v25
	v_add_f32_e32 v5, v5, v99
	v_add_f32_e32 v4, v4, v13
	v_fmac_f32_e32 v87, v55, v26
	v_fma_f32 v86, v54, v26, -v27
	v_pk_add_f32 v[4:5], v[4:5], v[84:85]
	v_pk_fma_f32 v[6:7], v[68:69], v[28:29], v[88:89] neg_lo:[0,0,1] neg_hi:[0,0,1]
	v_pk_fma_f32 v[8:9], v[68:69], v[28:29], v[88:89] op_sel_hi:[1,0,1]
	v_pk_add_f32 v[4:5], v[4:5], v[86:87]
	v_mov_b32_e32 v7, v9
	v_pk_add_f32 v[4:5], v[4:5], v[6:7]
	v_mov_b32_e32 v6, v31
	v_pk_mul_f32 v[6:7], v[70:71], v[6:7] op_sel:[1,0] op_sel_hi:[0,0]
	v_pk_fma_f32 v[8:9], v[70:71], v[30:31], v[6:7] neg_lo:[0,0,1] neg_hi:[0,0,1]
	v_pk_fma_f32 v[6:7], v[70:71], v[30:31], v[6:7] op_sel_hi:[1,0,1]
	s_nop 0
	v_mov_b32_e32 v9, v7
	s_waitcnt vmcnt(3) lgkmcnt(2)
	v_pk_mul_f32 v[6:7], v[72:73], v[56:57] op_sel:[1,1] op_sel_hi:[0,1]
	v_pk_add_f32 v[4:5], v[4:5], v[8:9]
	v_pk_fma_f32 v[8:9], v[72:73], v[56:57], v[6:7] neg_lo:[0,0,1] neg_hi:[0,0,1]
	v_pk_fma_f32 v[6:7], v[72:73], v[56:57], v[6:7] op_sel_hi:[1,0,1]
	s_nop 0
	v_mov_b32_e32 v6, v59
	v_mov_b32_e32 v9, v7
	v_pk_mul_f32 v[6:7], v[74:75], v[6:7] op_sel:[1,0] op_sel_hi:[0,0]
	v_pk_add_f32 v[4:5], v[4:5], v[8:9]
	v_pk_fma_f32 v[8:9], v[74:75], v[58:59], v[6:7] neg_lo:[0,0,1] neg_hi:[0,0,1]
	v_pk_fma_f32 v[6:7], v[74:75], v[58:59], v[6:7] op_sel_hi:[1,0,1]
	s_nop 0
	v_mov_b32_e32 v9, v7
	s_waitcnt vmcnt(2) lgkmcnt(1)
	v_pk_mul_f32 v[6:7], v[76:77], v[60:61] op_sel:[1,1] op_sel_hi:[0,1]
	v_pk_add_f32 v[4:5], v[4:5], v[8:9]
	v_pk_fma_f32 v[8:9], v[76:77], v[60:61], v[6:7] neg_lo:[0,0,1] neg_hi:[0,0,1]
	v_pk_fma_f32 v[6:7], v[76:77], v[60:61], v[6:7] op_sel_hi:[1,0,1]
	s_nop 0
	v_mov_b32_e32 v6, v63
	v_mov_b32_e32 v9, v7
	v_pk_mul_f32 v[6:7], v[78:79], v[6:7] op_sel:[1,0] op_sel_hi:[0,0]
	v_pk_add_f32 v[4:5], v[4:5], v[8:9]
	;; [unrolled: 14-line block ×3, first 2 shown]
	v_pk_fma_f32 v[8:9], v[82:83], v[66:67], v[6:7] neg_lo:[0,0,1] neg_hi:[0,0,1]
	v_pk_fma_f32 v[6:7], v[82:83], v[66:67], v[6:7] op_sel_hi:[1,0,1]
	s_nop 0
	v_mov_b32_e32 v9, v7
	v_pk_add_f32 v[4:5], v[4:5], v[8:9]
	s_waitcnt vmcnt(0)
	v_pk_add_f32 v[2:3], v[2:3], v[4:5] neg_lo:[0,1] neg_hi:[0,1]
	scratch_store_dwordx2 off, v[2:3], off offset:272
	s_and_saveexec_b64 s[0:1], vcc
	s_cbranch_execz .LBB54_277
; %bb.276:
	scratch_load_dwordx2 v[2:3], off, off offset:264
	v_mov_b32_e32 v4, 0
	v_mov_b32_e32 v5, v4
	scratch_store_dwordx2 off, v[4:5], off offset:264
	s_waitcnt vmcnt(1)
	ds_write_b64 v1, v[2:3]
.LBB54_277:
	s_or_b64 exec, exec, s[0:1]
	s_waitcnt lgkmcnt(0)
	; wave barrier
	scratch_load_dwordx4 v[2:5], off, off offset:272
	scratch_load_dwordx4 v[6:9], off, off offset:288
	;; [unrolled: 1-line block ×10, first 2 shown]
	scratch_load_dwordx2 v[76:77], off, off offset:432
	scratch_load_dwordx2 v[78:79], off, off offset:264
	v_mov_b32_e32 v10, 0
	ds_read_b128 v[44:47], v10 offset:720
	ds_read_b128 v[48:51], v10 offset:736
	;; [unrolled: 1-line block ×8, first 2 shown]
	v_cmp_lt_u32_e32 vcc, 32, v0
	s_waitcnt vmcnt(11) lgkmcnt(7)
	v_mul_f32_e32 v11, v44, v3
	v_mul_f32_e32 v3, v45, v3
	;; [unrolled: 1-line block ×4, first 2 shown]
	v_fmac_f32_e32 v11, v45, v2
	v_fma_f32 v2, v44, v2, -v3
	s_waitcnt vmcnt(10) lgkmcnt(6)
	v_mul_f32_e32 v82, v48, v7
	v_mul_f32_e32 v7, v49, v7
	v_fma_f32 v3, v46, v4, -v5
	v_add_f32_e32 v2, 0, v2
	v_mul_f32_e32 v84, v50, v9
	v_mul_f32_e32 v9, v51, v9
	v_fmac_f32_e32 v80, v47, v4
	v_fma_f32 v4, v48, v6, -v7
	v_add_f32_e32 v11, 0, v11
	v_add_f32_e32 v2, v2, v3
	s_waitcnt vmcnt(9) lgkmcnt(5)
	v_mul_f32_e32 v85, v52, v13
	v_mul_f32_e32 v13, v53, v13
	v_fmac_f32_e32 v82, v49, v6
	v_fma_f32 v5, v50, v8, -v9
	v_add_f32_e32 v11, v11, v80
	v_add_f32_e32 v2, v2, v4
	v_mul_f32_e32 v86, v54, v15
	v_mul_f32_e32 v15, v55, v15
	v_fmac_f32_e32 v84, v51, v8
	v_fma_f32 v6, v52, v12, -v13
	v_add_f32_e32 v3, v11, v82
	v_add_f32_e32 v2, v2, v5
	s_waitcnt vmcnt(8) lgkmcnt(4)
	v_mul_f32_e32 v87, v56, v17
	v_mul_f32_e32 v17, v57, v17
	v_fmac_f32_e32 v85, v53, v12
	v_fma_f32 v7, v54, v14, -v15
	v_add_f32_e32 v3, v3, v84
	;; [unrolled: 13-line block ×4, first 2 shown]
	v_add_f32_e32 v2, v2, v12
	v_fmac_f32_e32 v90, v63, v22
	v_fma_f32 v14, v64, v24, -v25
	v_add_f32_e32 v3, v3, v89
	v_add_f32_e32 v2, v2, v13
	v_mul_f32_e32 v81, v66, v27
	v_fmac_f32_e32 v91, v65, v24
	v_add_f32_e32 v3, v3, v90
	v_add_f32_e32 v12, v2, v14
	v_mul_f32_e32 v2, v67, v27
	s_waitcnt vmcnt(5)
	v_mov_b32_e32 v16, v31
	s_waitcnt lgkmcnt(1)
	v_mul_f32_e32 v83, v68, v29
	v_fmac_f32_e32 v81, v67, v26
	v_add_f32_e32 v13, v3, v91
	v_fma_f32 v80, v66, v26, -v2
	v_mul_f32_e32 v2, v69, v29
	v_pk_mul_f32 v[16:17], v[70:71], v[16:17] op_sel:[1,0] op_sel_hi:[0,0]
	v_fmac_f32_e32 v83, v69, v28
	v_fma_f32 v82, v68, v28, -v2
	v_pk_add_f32 v[12:13], v[12:13], v[80:81]
	v_pk_fma_f32 v[18:19], v[70:71], v[30:31], v[16:17] neg_lo:[0,0,1] neg_hi:[0,0,1]
	v_pk_fma_f32 v[16:17], v[70:71], v[30:31], v[16:17] op_sel_hi:[1,0,1]
	v_pk_add_f32 v[12:13], v[12:13], v[82:83]
	v_mov_b32_e32 v19, v17
	s_waitcnt vmcnt(4) lgkmcnt(0)
	v_pk_mul_f32 v[16:17], v[72:73], v[32:33] op_sel:[1,1] op_sel_hi:[0,1]
	v_pk_add_f32 v[12:13], v[12:13], v[18:19]
	v_pk_fma_f32 v[18:19], v[72:73], v[32:33], v[16:17] neg_lo:[0,0,1] neg_hi:[0,0,1]
	v_pk_fma_f32 v[16:17], v[72:73], v[32:33], v[16:17] op_sel_hi:[1,0,1]
	ds_read_b128 v[2:5], v10 offset:848
	ds_read_b128 v[6:9], v10 offset:864
	ds_read_b64 v[14:15], v10 offset:880
	v_mov_b32_e32 v16, v35
	v_mov_b32_e32 v19, v17
	v_pk_mul_f32 v[16:17], v[74:75], v[16:17] op_sel:[1,0] op_sel_hi:[0,0]
	v_pk_add_f32 v[12:13], v[12:13], v[18:19]
	v_pk_fma_f32 v[18:19], v[74:75], v[34:35], v[16:17] neg_lo:[0,0,1] neg_hi:[0,0,1]
	v_pk_fma_f32 v[16:17], v[74:75], v[34:35], v[16:17] op_sel_hi:[1,0,1]
	s_nop 0
	v_mov_b32_e32 v19, v17
	s_waitcnt vmcnt(3) lgkmcnt(2)
	v_pk_mul_f32 v[16:17], v[2:3], v[36:37] op_sel:[1,1] op_sel_hi:[0,1]
	v_pk_add_f32 v[12:13], v[12:13], v[18:19]
	v_pk_fma_f32 v[18:19], v[2:3], v[36:37], v[16:17] neg_lo:[0,0,1] neg_hi:[0,0,1]
	v_pk_fma_f32 v[2:3], v[2:3], v[36:37], v[16:17] op_sel_hi:[1,0,1]
	s_nop 0
	v_mov_b32_e32 v19, v3
	v_pk_add_f32 v[2:3], v[12:13], v[18:19]
	v_mov_b32_e32 v12, v39
	v_pk_mul_f32 v[12:13], v[4:5], v[12:13] op_sel:[1,0] op_sel_hi:[0,0]
	v_pk_fma_f32 v[16:17], v[4:5], v[38:39], v[12:13] neg_lo:[0,0,1] neg_hi:[0,0,1]
	v_pk_fma_f32 v[4:5], v[4:5], v[38:39], v[12:13] op_sel_hi:[1,0,1]
	s_nop 0
	v_mov_b32_e32 v17, v5
	s_waitcnt vmcnt(2) lgkmcnt(1)
	v_pk_mul_f32 v[4:5], v[6:7], v[40:41] op_sel:[1,1] op_sel_hi:[0,1]
	v_pk_fma_f32 v[12:13], v[6:7], v[40:41], v[4:5] neg_lo:[0,0,1] neg_hi:[0,0,1]
	v_pk_fma_f32 v[4:5], v[6:7], v[40:41], v[4:5] op_sel_hi:[1,0,1]
	v_pk_add_f32 v[2:3], v[2:3], v[16:17]
	v_mov_b32_e32 v4, v43
	v_mov_b32_e32 v13, v5
	v_pk_mul_f32 v[4:5], v[8:9], v[4:5] op_sel:[1,0] op_sel_hi:[0,0]
	v_pk_fma_f32 v[6:7], v[8:9], v[42:43], v[4:5] neg_lo:[0,0,1] neg_hi:[0,0,1]
	v_pk_fma_f32 v[4:5], v[8:9], v[42:43], v[4:5] op_sel_hi:[1,0,1]
	v_pk_add_f32 v[2:3], v[2:3], v[12:13]
	v_mov_b32_e32 v7, v5
	s_waitcnt vmcnt(1) lgkmcnt(0)
	v_pk_mul_f32 v[4:5], v[14:15], v[76:77] op_sel:[1,1] op_sel_hi:[0,1]
	v_pk_add_f32 v[2:3], v[2:3], v[6:7]
	v_pk_fma_f32 v[6:7], v[14:15], v[76:77], v[4:5] neg_lo:[0,0,1] neg_hi:[0,0,1]
	v_pk_fma_f32 v[4:5], v[14:15], v[76:77], v[4:5] op_sel_hi:[1,0,1]
	s_nop 0
	v_mov_b32_e32 v7, v5
	v_pk_add_f32 v[2:3], v[2:3], v[6:7]
	s_waitcnt vmcnt(0)
	v_pk_add_f32 v[2:3], v[78:79], v[2:3] neg_lo:[0,1] neg_hi:[0,1]
	scratch_store_dwordx2 off, v[2:3], off offset:264
	s_and_saveexec_b64 s[0:1], vcc
	s_cbranch_execz .LBB54_279
; %bb.278:
	scratch_load_dwordx2 v[2:3], off, off offset:256
	v_mov_b32_e32 v11, v10
	scratch_store_dwordx2 off, v[10:11], off offset:256
	s_waitcnt vmcnt(1)
	ds_write_b64 v1, v[2:3]
.LBB54_279:
	s_or_b64 exec, exec, s[0:1]
	s_waitcnt lgkmcnt(0)
	; wave barrier
	scratch_load_dwordx4 v[6:9], off, off offset:264
	scratch_load_dwordx4 v[12:15], off, off offset:280
	;; [unrolled: 1-line block ×7, first 2 shown]
	ds_read2_b64 v[36:39], v10 offset0:89 offset1:90
	ds_read2_b64 v[40:43], v10 offset0:91 offset1:92
	;; [unrolled: 1-line block ×6, first 2 shown]
	scratch_load_dwordx4 v[60:63], off, off offset:376
	scratch_load_dwordx4 v[64:67], off, off offset:392
	scratch_load_dwordx4 v[68:71], off, off offset:408
	scratch_load_dwordx4 v[2:5], off, off offset:424
	ds_read2_b64 v[72:75], v10 offset0:101 offset1:102
	ds_read2_b64 v[76:79], v10 offset0:103 offset1:104
	scratch_load_dwordx2 v[80:81], off, off offset:256
	v_cmp_lt_u32_e32 vcc, 31, v0
	s_waitcnt vmcnt(11) lgkmcnt(7)
	v_mul_f32_e32 v11, v36, v7
	v_mul_f32_e32 v82, v38, v9
	v_mul_f32_e32 v7, v37, v7
	v_fmac_f32_e32 v11, v37, v6
	s_waitcnt vmcnt(10) lgkmcnt(6)
	v_mul_f32_e32 v84, v40, v13
	v_mul_f32_e32 v9, v39, v9
	v_fmac_f32_e32 v82, v39, v8
	v_fma_f32 v6, v36, v6, -v7
	v_add_f32_e32 v11, 0, v11
	v_mul_f32_e32 v86, v42, v15
	v_fmac_f32_e32 v84, v41, v12
	v_fma_f32 v7, v38, v8, -v9
	v_add_f32_e32 v6, 0, v6
	v_add_f32_e32 v11, v11, v82
	s_waitcnt vmcnt(9) lgkmcnt(5)
	v_mul_f32_e32 v87, v44, v17
	v_mul_f32_e32 v13, v41, v13
	v_fmac_f32_e32 v86, v43, v14
	v_add_f32_e32 v6, v6, v7
	v_add_f32_e32 v7, v11, v84
	v_mul_f32_e32 v88, v46, v19
	v_mul_f32_e32 v15, v43, v15
	v_fmac_f32_e32 v87, v45, v16
	v_fma_f32 v8, v40, v12, -v13
	v_add_f32_e32 v7, v7, v86
	s_waitcnt vmcnt(8) lgkmcnt(4)
	v_mul_f32_e32 v89, v48, v21
	v_mul_f32_e32 v17, v45, v17
	v_fmac_f32_e32 v88, v47, v18
	v_fma_f32 v9, v42, v14, -v15
	v_add_f32_e32 v6, v6, v8
	v_add_f32_e32 v7, v7, v87
	v_mul_f32_e32 v90, v50, v23
	v_mul_f32_e32 v19, v47, v19
	v_fmac_f32_e32 v89, v49, v20
	v_fma_f32 v12, v44, v16, -v17
	v_add_f32_e32 v6, v6, v9
	v_add_f32_e32 v7, v7, v88
	s_waitcnt vmcnt(7) lgkmcnt(3)
	v_mul_f32_e32 v91, v52, v25
	v_mul_f32_e32 v21, v49, v21
	v_fmac_f32_e32 v90, v51, v22
	v_fma_f32 v13, v46, v18, -v19
	v_add_f32_e32 v6, v6, v12
	v_add_f32_e32 v7, v7, v89
	v_mul_f32_e32 v92, v54, v27
	v_mul_f32_e32 v23, v51, v23
	v_fmac_f32_e32 v91, v53, v24
	v_fma_f32 v14, v48, v20, -v21
	v_add_f32_e32 v6, v6, v13
	v_add_f32_e32 v7, v7, v90
	s_waitcnt vmcnt(6) lgkmcnt(2)
	v_mul_f32_e32 v93, v56, v29
	v_mul_f32_e32 v25, v53, v25
	v_fmac_f32_e32 v92, v55, v26
	v_fma_f32 v15, v50, v22, -v23
	v_add_f32_e32 v6, v6, v14
	v_add_f32_e32 v7, v7, v91
	v_mul_f32_e32 v94, v58, v31
	v_mul_f32_e32 v27, v55, v27
	v_fmac_f32_e32 v93, v57, v28
	v_fma_f32 v16, v52, v24, -v25
	v_add_f32_e32 v6, v6, v15
	v_add_f32_e32 v7, v7, v92
	v_mul_f32_e32 v29, v57, v29
	v_fmac_f32_e32 v94, v59, v30
	v_fma_f32 v17, v54, v26, -v27
	v_add_f32_e32 v6, v6, v16
	v_add_f32_e32 v7, v7, v93
	v_fma_f32 v18, v56, v28, -v29
	v_add_f32_e32 v6, v6, v17
	v_add_f32_e32 v21, v7, v94
	v_mul_f32_e32 v7, v59, v31
	v_add_f32_e32 v6, v6, v18
	v_fma_f32 v7, v58, v30, -v7
	s_waitcnt vmcnt(5) lgkmcnt(1)
	v_mul_f32_e32 v83, v72, v33
	v_add_f32_e32 v20, v6, v7
	v_mul_f32_e32 v6, v73, v33
	v_fmac_f32_e32 v83, v73, v32
	v_fma_f32 v82, v72, v32, -v6
	v_mul_f32_e32 v6, v75, v35
	v_fma_f32 v84, v74, v34, -v6
	ds_read2_b64 v[6:9], v10 offset0:105 offset1:106
	ds_read2_b64 v[12:15], v10 offset0:107 offset1:108
	;; [unrolled: 1-line block ×3, first 2 shown]
	v_pk_add_f32 v[10:11], v[20:21], v[82:83]
	s_waitcnt vmcnt(4) lgkmcnt(3)
	v_pk_mul_f32 v[20:21], v[76:77], v[60:61] op_sel:[1,1] op_sel_hi:[0,1]
	v_mul_f32_e32 v85, v74, v35
	v_pk_fma_f32 v[22:23], v[76:77], v[60:61], v[20:21] neg_lo:[0,0,1] neg_hi:[0,0,1]
	v_pk_fma_f32 v[20:21], v[76:77], v[60:61], v[20:21] op_sel_hi:[1,0,1]
	v_fmac_f32_e32 v85, v75, v34
	v_mov_b32_e32 v20, v63
	v_pk_add_f32 v[10:11], v[10:11], v[84:85]
	v_mov_b32_e32 v23, v21
	v_pk_mul_f32 v[20:21], v[78:79], v[20:21] op_sel:[1,0] op_sel_hi:[0,0]
	v_pk_add_f32 v[10:11], v[10:11], v[22:23]
	v_pk_fma_f32 v[22:23], v[78:79], v[62:63], v[20:21] neg_lo:[0,0,1] neg_hi:[0,0,1]
	v_pk_fma_f32 v[20:21], v[78:79], v[62:63], v[20:21] op_sel_hi:[1,0,1]
	s_nop 0
	v_mov_b32_e32 v23, v21
	s_waitcnt vmcnt(3) lgkmcnt(2)
	v_pk_mul_f32 v[20:21], v[6:7], v[64:65] op_sel:[1,1] op_sel_hi:[0,1]
	v_pk_add_f32 v[10:11], v[10:11], v[22:23]
	v_pk_fma_f32 v[22:23], v[6:7], v[64:65], v[20:21] neg_lo:[0,0,1] neg_hi:[0,0,1]
	v_pk_fma_f32 v[6:7], v[6:7], v[64:65], v[20:21] op_sel_hi:[1,0,1]
	s_nop 0
	v_mov_b32_e32 v23, v7
	v_pk_add_f32 v[6:7], v[10:11], v[22:23]
	v_mov_b32_e32 v10, v67
	v_pk_mul_f32 v[10:11], v[8:9], v[10:11] op_sel:[1,0] op_sel_hi:[0,0]
	v_pk_fma_f32 v[20:21], v[8:9], v[66:67], v[10:11] neg_lo:[0,0,1] neg_hi:[0,0,1]
	v_pk_fma_f32 v[8:9], v[8:9], v[66:67], v[10:11] op_sel_hi:[1,0,1]
	s_nop 0
	v_mov_b32_e32 v21, v9
	s_waitcnt vmcnt(2) lgkmcnt(1)
	v_pk_mul_f32 v[8:9], v[12:13], v[68:69] op_sel:[1,1] op_sel_hi:[0,1]
	v_pk_fma_f32 v[10:11], v[12:13], v[68:69], v[8:9] neg_lo:[0,0,1] neg_hi:[0,0,1]
	v_pk_fma_f32 v[8:9], v[12:13], v[68:69], v[8:9] op_sel_hi:[1,0,1]
	v_pk_add_f32 v[6:7], v[6:7], v[20:21]
	v_mov_b32_e32 v8, v71
	v_mov_b32_e32 v11, v9
	v_pk_mul_f32 v[8:9], v[14:15], v[8:9] op_sel:[1,0] op_sel_hi:[0,0]
	v_pk_add_f32 v[6:7], v[6:7], v[10:11]
	v_pk_fma_f32 v[10:11], v[14:15], v[70:71], v[8:9] neg_lo:[0,0,1] neg_hi:[0,0,1]
	v_pk_fma_f32 v[8:9], v[14:15], v[70:71], v[8:9] op_sel_hi:[1,0,1]
	s_nop 0
	v_mov_b32_e32 v11, v9
	s_waitcnt vmcnt(1) lgkmcnt(0)
	v_pk_mul_f32 v[8:9], v[16:17], v[2:3] op_sel:[1,1] op_sel_hi:[0,1]
	v_pk_add_f32 v[6:7], v[6:7], v[10:11]
	v_pk_fma_f32 v[10:11], v[16:17], v[2:3], v[8:9] neg_lo:[0,0,1] neg_hi:[0,0,1]
	v_pk_fma_f32 v[2:3], v[16:17], v[2:3], v[8:9] op_sel_hi:[1,0,1]
	s_nop 0
	v_mov_b32_e32 v11, v3
	v_pk_add_f32 v[2:3], v[6:7], v[10:11]
	v_mov_b32_e32 v6, v5
	v_pk_mul_f32 v[6:7], v[18:19], v[6:7] op_sel:[1,0] op_sel_hi:[0,0]
	v_pk_fma_f32 v[8:9], v[18:19], v[4:5], v[6:7] neg_lo:[0,0,1] neg_hi:[0,0,1]
	v_pk_fma_f32 v[4:5], v[18:19], v[4:5], v[6:7] op_sel_hi:[1,0,1]
	s_nop 0
	v_mov_b32_e32 v9, v5
	v_pk_add_f32 v[2:3], v[2:3], v[8:9]
	s_waitcnt vmcnt(0)
	v_pk_add_f32 v[2:3], v[80:81], v[2:3] neg_lo:[0,1] neg_hi:[0,1]
	scratch_store_dwordx2 off, v[2:3], off offset:256
	s_and_saveexec_b64 s[0:1], vcc
	s_cbranch_execz .LBB54_281
; %bb.280:
	scratch_load_dwordx2 v[2:3], off, off offset:248
	v_mov_b32_e32 v4, 0
	v_mov_b32_e32 v5, v4
	scratch_store_dwordx2 off, v[4:5], off offset:248
	s_waitcnt vmcnt(1)
	ds_write_b64 v1, v[2:3]
.LBB54_281:
	s_or_b64 exec, exec, s[0:1]
	s_waitcnt lgkmcnt(0)
	; wave barrier
	scratch_load_dwordx4 v[6:9], off, off offset:256
	scratch_load_dwordx4 v[14:17], off, off offset:272
	;; [unrolled: 1-line block ×11, first 2 shown]
	scratch_load_dwordx2 v[22:23], off, off offset:432
	scratch_load_dwordx2 v[36:37], off, off offset:248
	v_mov_b32_e32 v38, 0
	ds_read_b128 v[52:55], v38 offset:704
	ds_read_b128 v[56:59], v38 offset:720
	;; [unrolled: 1-line block ×8, first 2 shown]
	v_cmp_lt_u32_e32 vcc, 30, v0
	s_waitcnt vmcnt(12) lgkmcnt(7)
	v_mul_f32_e32 v39, v52, v7
	v_mul_f32_e32 v84, v54, v9
	;; [unrolled: 1-line block ×3, first 2 shown]
	v_fmac_f32_e32 v39, v53, v6
	s_waitcnt vmcnt(8) lgkmcnt(3)
	v_mul_f32_e32 v93, v68, v19
	v_mul_f32_e32 v19, v69, v19
	;; [unrolled: 1-line block ×4, first 2 shown]
	v_fmac_f32_e32 v84, v55, v8
	v_fmac_f32_e32 v93, v69, v18
	v_fma_f32 v6, v52, v6, -v7
	v_fma_f32 v18, v68, v18, -v19
	v_add_f32_e32 v19, 0, v39
	v_mul_f32_e32 v88, v58, v17
	v_fmac_f32_e32 v86, v57, v14
	v_fma_f32 v7, v54, v8, -v9
	v_add_f32_e32 v6, 0, v6
	v_add_f32_e32 v19, v19, v84
	v_mul_f32_e32 v89, v60, v25
	v_fmac_f32_e32 v88, v59, v16
	v_add_f32_e32 v6, v6, v7
	v_add_f32_e32 v7, v19, v86
	v_mul_f32_e32 v90, v62, v27
	v_fmac_f32_e32 v89, v61, v24
	v_add_f32_e32 v7, v7, v88
	v_mul_f32_e32 v91, v64, v29
	v_mul_f32_e32 v15, v57, v15
	v_fmac_f32_e32 v90, v63, v26
	v_add_f32_e32 v7, v7, v89
	v_mul_f32_e32 v92, v66, v31
	v_mul_f32_e32 v17, v59, v17
	v_fmac_f32_e32 v91, v65, v28
	v_fma_f32 v8, v56, v14, -v15
	v_add_f32_e32 v7, v7, v90
	v_mul_f32_e32 v25, v61, v25
	v_fmac_f32_e32 v92, v67, v30
	v_fma_f32 v9, v58, v16, -v17
	v_add_f32_e32 v6, v6, v8
	v_add_f32_e32 v7, v7, v91
	v_mul_f32_e32 v94, v70, v21
	v_mul_f32_e32 v27, v63, v27
	v_fma_f32 v14, v60, v24, -v25
	v_add_f32_e32 v6, v6, v9
	v_add_f32_e32 v7, v7, v92
	s_waitcnt vmcnt(7) lgkmcnt(2)
	v_mul_f32_e32 v95, v72, v33
	v_mul_f32_e32 v29, v65, v29
	v_fmac_f32_e32 v94, v71, v20
	v_fma_f32 v15, v62, v26, -v27
	v_add_f32_e32 v6, v6, v14
	v_add_f32_e32 v7, v7, v93
	v_mul_f32_e32 v96, v74, v35
	v_mul_f32_e32 v31, v67, v31
	v_fmac_f32_e32 v95, v73, v32
	v_fma_f32 v16, v64, v28, -v29
	v_add_f32_e32 v6, v6, v15
	v_add_f32_e32 v7, v7, v94
	s_waitcnt vmcnt(6) lgkmcnt(1)
	v_mul_f32_e32 v97, v76, v41
	v_fmac_f32_e32 v96, v75, v34
	v_fma_f32 v17, v66, v30, -v31
	v_add_f32_e32 v6, v6, v16
	v_add_f32_e32 v7, v7, v95
	v_mul_f32_e32 v21, v71, v21
	v_fmac_f32_e32 v97, v77, v40
	v_add_f32_e32 v6, v6, v17
	v_add_f32_e32 v7, v7, v96
	;; [unrolled: 1-line block ×4, first 2 shown]
	v_fma_f32 v7, v70, v20, -v21
	v_add_f32_e32 v6, v6, v7
	v_mul_f32_e32 v7, v73, v33
	v_fma_f32 v7, v72, v32, -v7
	v_add_f32_e32 v6, v6, v7
	v_mul_f32_e32 v7, v75, v35
	;; [unrolled: 3-line block ×4, first 2 shown]
	v_mul_f32_e32 v85, v78, v43
	v_fma_f32 v84, v78, v42, -v6
	s_waitcnt vmcnt(5) lgkmcnt(0)
	v_mul_f32_e32 v6, v81, v45
	v_mov_b32_e32 v28, v47
	v_mul_f32_e32 v87, v80, v45
	v_fmac_f32_e32 v85, v79, v42
	v_fma_f32 v86, v80, v44, -v6
	ds_read_b128 v[6:9], v38 offset:832
	ds_read_b128 v[14:17], v38 offset:848
	;; [unrolled: 1-line block ×3, first 2 shown]
	ds_read_b64 v[26:27], v38 offset:880
	v_pk_mul_f32 v[28:29], v[82:83], v[28:29] op_sel:[1,0] op_sel_hi:[0,0]
	v_fmac_f32_e32 v87, v81, v44
	v_pk_add_f32 v[24:25], v[24:25], v[84:85]
	v_pk_fma_f32 v[30:31], v[82:83], v[46:47], v[28:29] neg_lo:[0,0,1] neg_hi:[0,0,1]
	v_pk_fma_f32 v[28:29], v[82:83], v[46:47], v[28:29] op_sel_hi:[1,0,1]
	v_pk_add_f32 v[24:25], v[24:25], v[86:87]
	v_mov_b32_e32 v31, v29
	s_waitcnt vmcnt(4) lgkmcnt(3)
	v_pk_mul_f32 v[28:29], v[6:7], v[48:49] op_sel:[1,1] op_sel_hi:[0,1]
	v_pk_add_f32 v[24:25], v[24:25], v[30:31]
	v_pk_fma_f32 v[30:31], v[6:7], v[48:49], v[28:29] neg_lo:[0,0,1] neg_hi:[0,0,1]
	v_pk_fma_f32 v[6:7], v[6:7], v[48:49], v[28:29] op_sel_hi:[1,0,1]
	s_nop 0
	v_mov_b32_e32 v31, v7
	v_pk_add_f32 v[6:7], v[24:25], v[30:31]
	v_mov_b32_e32 v24, v51
	v_pk_mul_f32 v[24:25], v[8:9], v[24:25] op_sel:[1,0] op_sel_hi:[0,0]
	v_pk_fma_f32 v[28:29], v[8:9], v[50:51], v[24:25] neg_lo:[0,0,1] neg_hi:[0,0,1]
	v_pk_fma_f32 v[8:9], v[8:9], v[50:51], v[24:25] op_sel_hi:[1,0,1]
	s_nop 0
	v_mov_b32_e32 v29, v9
	s_waitcnt vmcnt(3) lgkmcnt(2)
	v_pk_mul_f32 v[8:9], v[14:15], v[10:11] op_sel:[1,1] op_sel_hi:[0,1]
	v_pk_fma_f32 v[24:25], v[14:15], v[10:11], v[8:9] neg_lo:[0,0,1] neg_hi:[0,0,1]
	v_pk_fma_f32 v[8:9], v[14:15], v[10:11], v[8:9] op_sel_hi:[1,0,1]
	v_pk_add_f32 v[6:7], v[6:7], v[28:29]
	v_mov_b32_e32 v8, v13
	v_mov_b32_e32 v25, v9
	v_pk_mul_f32 v[8:9], v[16:17], v[8:9] op_sel:[1,0] op_sel_hi:[0,0]
	v_pk_fma_f32 v[10:11], v[16:17], v[12:13], v[8:9] neg_lo:[0,0,1] neg_hi:[0,0,1]
	v_pk_fma_f32 v[8:9], v[16:17], v[12:13], v[8:9] op_sel_hi:[1,0,1]
	v_pk_add_f32 v[6:7], v[6:7], v[24:25]
	v_mov_b32_e32 v11, v9
	s_waitcnt vmcnt(2) lgkmcnt(1)
	v_pk_mul_f32 v[8:9], v[18:19], v[2:3] op_sel:[1,1] op_sel_hi:[0,1]
	v_pk_add_f32 v[6:7], v[6:7], v[10:11]
	v_pk_fma_f32 v[10:11], v[18:19], v[2:3], v[8:9] neg_lo:[0,0,1] neg_hi:[0,0,1]
	v_pk_fma_f32 v[2:3], v[18:19], v[2:3], v[8:9] op_sel_hi:[1,0,1]
	s_nop 0
	v_mov_b32_e32 v11, v3
	v_pk_add_f32 v[2:3], v[6:7], v[10:11]
	v_mov_b32_e32 v6, v5
	v_pk_mul_f32 v[6:7], v[20:21], v[6:7] op_sel:[1,0] op_sel_hi:[0,0]
	v_pk_fma_f32 v[8:9], v[20:21], v[4:5], v[6:7] neg_lo:[0,0,1] neg_hi:[0,0,1]
	v_pk_fma_f32 v[4:5], v[20:21], v[4:5], v[6:7] op_sel_hi:[1,0,1]
	s_nop 0
	v_mov_b32_e32 v9, v5
	s_waitcnt vmcnt(1) lgkmcnt(0)
	v_pk_mul_f32 v[4:5], v[26:27], v[22:23] op_sel:[1,1] op_sel_hi:[0,1]
	v_pk_fma_f32 v[6:7], v[26:27], v[22:23], v[4:5] neg_lo:[0,0,1] neg_hi:[0,0,1]
	v_pk_fma_f32 v[4:5], v[26:27], v[22:23], v[4:5] op_sel_hi:[1,0,1]
	v_pk_add_f32 v[2:3], v[2:3], v[8:9]
	v_mov_b32_e32 v7, v5
	v_pk_add_f32 v[2:3], v[2:3], v[6:7]
	s_waitcnt vmcnt(0)
	v_pk_add_f32 v[2:3], v[36:37], v[2:3] neg_lo:[0,1] neg_hi:[0,1]
	scratch_store_dwordx2 off, v[2:3], off offset:248
	s_and_saveexec_b64 s[0:1], vcc
	s_cbranch_execz .LBB54_283
; %bb.282:
	scratch_load_dwordx2 v[2:3], off, off offset:240
	v_mov_b32_e32 v39, v38
	scratch_store_dwordx2 off, v[38:39], off offset:240
	s_waitcnt vmcnt(1)
	ds_write_b64 v1, v[2:3]
.LBB54_283:
	s_or_b64 exec, exec, s[0:1]
	s_waitcnt lgkmcnt(0)
	; wave barrier
	scratch_load_dwordx4 v[2:5], off, off offset:248
	scratch_load_dwordx4 v[14:17], off, off offset:264
	;; [unrolled: 1-line block ×8, first 2 shown]
	ds_read2_b64 v[48:51], v38 offset0:87 offset1:88
	ds_read2_b64 v[52:55], v38 offset0:89 offset1:90
	ds_read2_b64 v[56:59], v38 offset0:91 offset1:92
	ds_read2_b64 v[60:63], v38 offset0:93 offset1:94
	ds_read2_b64 v[64:67], v38 offset0:95 offset1:96
	ds_read2_b64 v[68:71], v38 offset0:97 offset1:98
	ds_read2_b64 v[72:75], v38 offset0:99 offset1:100
	ds_read2_b64 v[76:79], v38 offset0:101 offset1:102
	scratch_load_dwordx4 v[80:83], off, off offset:376
	scratch_load_dwordx4 v[26:29], off, off offset:392
	;; [unrolled: 1-line block ×4, first 2 shown]
	scratch_load_dwordx2 v[84:85], off, off offset:240
	v_cmp_lt_u32_e32 vcc, 29, v0
	s_waitcnt vmcnt(12) lgkmcnt(7)
	v_mul_f32_e32 v39, v48, v3
	v_mul_f32_e32 v86, v50, v5
	;; [unrolled: 1-line block ×3, first 2 shown]
	v_fmac_f32_e32 v39, v49, v2
	s_waitcnt vmcnt(8) lgkmcnt(3)
	v_mul_f32_e32 v95, v64, v19
	v_mul_f32_e32 v19, v65, v19
	;; [unrolled: 1-line block ×4, first 2 shown]
	v_fmac_f32_e32 v86, v51, v4
	v_fmac_f32_e32 v95, v65, v18
	v_fma_f32 v2, v48, v2, -v3
	v_fma_f32 v18, v64, v18, -v19
	v_add_f32_e32 v19, 0, v39
	v_mul_f32_e32 v90, v54, v17
	v_fmac_f32_e32 v88, v53, v14
	v_fma_f32 v3, v50, v4, -v5
	v_add_f32_e32 v2, 0, v2
	v_add_f32_e32 v19, v19, v86
	v_mul_f32_e32 v91, v56, v31
	v_fmac_f32_e32 v90, v55, v16
	v_add_f32_e32 v2, v2, v3
	v_add_f32_e32 v3, v19, v88
	v_mul_f32_e32 v92, v58, v33
	v_fmac_f32_e32 v91, v57, v30
	v_add_f32_e32 v3, v3, v90
	v_mul_f32_e32 v93, v60, v41
	v_fmac_f32_e32 v92, v59, v32
	;; [unrolled: 3-line block ×4, first 2 shown]
	v_add_f32_e32 v3, v3, v93
	v_mul_f32_e32 v96, v66, v21
	v_mul_f32_e32 v17, v55, v17
	v_fma_f32 v4, v52, v14, -v15
	v_add_f32_e32 v3, v3, v94
	s_waitcnt vmcnt(7) lgkmcnt(2)
	v_mul_f32_e32 v97, v68, v23
	v_mul_f32_e32 v31, v57, v31
	v_fmac_f32_e32 v96, v67, v20
	v_fma_f32 v5, v54, v16, -v17
	v_add_f32_e32 v2, v2, v4
	v_add_f32_e32 v3, v3, v95
	v_mul_f32_e32 v98, v70, v25
	v_mul_f32_e32 v33, v59, v33
	v_fmac_f32_e32 v97, v69, v22
	v_fma_f32 v14, v56, v30, -v31
	v_add_f32_e32 v2, v2, v5
	v_add_f32_e32 v3, v3, v96
	s_waitcnt vmcnt(6) lgkmcnt(1)
	v_mul_f32_e32 v99, v72, v35
	v_mul_f32_e32 v41, v61, v41
	v_fmac_f32_e32 v98, v71, v24
	v_fma_f32 v15, v58, v32, -v33
	v_add_f32_e32 v2, v2, v14
	v_add_f32_e32 v3, v3, v97
	v_mul_f32_e32 v100, v74, v37
	v_mul_f32_e32 v43, v63, v43
	v_fmac_f32_e32 v99, v73, v34
	v_fma_f32 v16, v60, v40, -v41
	v_add_f32_e32 v2, v2, v15
	v_add_f32_e32 v3, v3, v98
	v_fmac_f32_e32 v100, v75, v36
	v_fma_f32 v17, v62, v42, -v43
	v_add_f32_e32 v2, v2, v16
	v_add_f32_e32 v3, v3, v99
	v_add_f32_e32 v2, v2, v17
	v_add_f32_e32 v31, v3, v100
	v_mul_f32_e32 v3, v67, v21
	v_add_f32_e32 v2, v2, v18
	v_fma_f32 v3, v66, v20, -v3
	v_add_f32_e32 v2, v2, v3
	v_mul_f32_e32 v3, v69, v23
	v_fma_f32 v3, v68, v22, -v3
	v_add_f32_e32 v2, v2, v3
	v_mul_f32_e32 v3, v71, v25
	;; [unrolled: 3-line block ×4, first 2 shown]
	v_fma_f32 v3, v74, v36, -v3
	v_add_f32_e32 v30, v2, v3
	s_waitcnt vmcnt(5) lgkmcnt(0)
	v_mul_f32_e32 v2, v77, v45
	v_fma_f32 v86, v76, v44, -v2
	v_mul_f32_e32 v2, v79, v47
	v_fma_f32 v88, v78, v46, -v2
	ds_read2_b64 v[2:5], v38 offset0:103 offset1:104
	ds_read2_b64 v[14:17], v38 offset0:105 offset1:106
	;; [unrolled: 1-line block ×4, first 2 shown]
	v_mul_f32_e32 v87, v76, v45
	v_mul_f32_e32 v89, v78, v47
	v_fmac_f32_e32 v87, v77, v44
	s_waitcnt vmcnt(4) lgkmcnt(3)
	v_pk_mul_f32 v[32:33], v[2:3], v[80:81] op_sel:[1,1] op_sel_hi:[0,1]
	v_fmac_f32_e32 v89, v79, v46
	v_pk_add_f32 v[30:31], v[30:31], v[86:87]
	v_pk_fma_f32 v[34:35], v[2:3], v[80:81], v[32:33] neg_lo:[0,0,1] neg_hi:[0,0,1]
	v_pk_fma_f32 v[2:3], v[2:3], v[80:81], v[32:33] op_sel_hi:[1,0,1]
	v_pk_add_f32 v[30:31], v[30:31], v[88:89]
	v_mov_b32_e32 v35, v3
	v_pk_add_f32 v[2:3], v[30:31], v[34:35]
	v_mov_b32_e32 v30, v83
	v_pk_mul_f32 v[30:31], v[4:5], v[30:31] op_sel:[1,0] op_sel_hi:[0,0]
	v_pk_fma_f32 v[32:33], v[4:5], v[82:83], v[30:31] neg_lo:[0,0,1] neg_hi:[0,0,1]
	v_pk_fma_f32 v[4:5], v[4:5], v[82:83], v[30:31] op_sel_hi:[1,0,1]
	s_nop 0
	v_mov_b32_e32 v33, v5
	s_waitcnt vmcnt(3) lgkmcnt(2)
	v_pk_mul_f32 v[4:5], v[14:15], v[26:27] op_sel:[1,1] op_sel_hi:[0,1]
	v_pk_fma_f32 v[30:31], v[14:15], v[26:27], v[4:5] neg_lo:[0,0,1] neg_hi:[0,0,1]
	v_pk_fma_f32 v[4:5], v[14:15], v[26:27], v[4:5] op_sel_hi:[1,0,1]
	v_pk_add_f32 v[2:3], v[2:3], v[32:33]
	v_mov_b32_e32 v4, v29
	v_mov_b32_e32 v31, v5
	v_pk_mul_f32 v[4:5], v[16:17], v[4:5] op_sel:[1,0] op_sel_hi:[0,0]
	v_pk_fma_f32 v[14:15], v[16:17], v[28:29], v[4:5] neg_lo:[0,0,1] neg_hi:[0,0,1]
	v_pk_fma_f32 v[4:5], v[16:17], v[28:29], v[4:5] op_sel_hi:[1,0,1]
	v_pk_add_f32 v[2:3], v[2:3], v[30:31]
	v_mov_b32_e32 v15, v5
	s_waitcnt vmcnt(2) lgkmcnt(1)
	v_pk_mul_f32 v[4:5], v[18:19], v[10:11] op_sel:[1,1] op_sel_hi:[0,1]
	v_pk_add_f32 v[2:3], v[2:3], v[14:15]
	v_pk_fma_f32 v[14:15], v[18:19], v[10:11], v[4:5] neg_lo:[0,0,1] neg_hi:[0,0,1]
	v_pk_fma_f32 v[4:5], v[18:19], v[10:11], v[4:5] op_sel_hi:[1,0,1]
	s_nop 0
	v_mov_b32_e32 v4, v13
	v_mov_b32_e32 v15, v5
	v_pk_mul_f32 v[4:5], v[20:21], v[4:5] op_sel:[1,0] op_sel_hi:[0,0]
	v_pk_fma_f32 v[10:11], v[20:21], v[12:13], v[4:5] neg_lo:[0,0,1] neg_hi:[0,0,1]
	v_pk_fma_f32 v[4:5], v[20:21], v[12:13], v[4:5] op_sel_hi:[1,0,1]
	v_pk_add_f32 v[2:3], v[2:3], v[14:15]
	v_mov_b32_e32 v11, v5
	s_waitcnt vmcnt(1) lgkmcnt(0)
	v_pk_mul_f32 v[4:5], v[22:23], v[6:7] op_sel:[1,1] op_sel_hi:[0,1]
	v_pk_add_f32 v[2:3], v[2:3], v[10:11]
	v_pk_fma_f32 v[10:11], v[22:23], v[6:7], v[4:5] neg_lo:[0,0,1] neg_hi:[0,0,1]
	v_pk_fma_f32 v[4:5], v[22:23], v[6:7], v[4:5] op_sel_hi:[1,0,1]
	s_nop 0
	v_mov_b32_e32 v4, v9
	v_mov_b32_e32 v11, v5
	v_pk_mul_f32 v[4:5], v[24:25], v[4:5] op_sel:[1,0] op_sel_hi:[0,0]
	v_pk_fma_f32 v[6:7], v[24:25], v[8:9], v[4:5] neg_lo:[0,0,1] neg_hi:[0,0,1]
	v_pk_fma_f32 v[4:5], v[24:25], v[8:9], v[4:5] op_sel_hi:[1,0,1]
	v_pk_add_f32 v[2:3], v[2:3], v[10:11]
	v_mov_b32_e32 v7, v5
	v_pk_add_f32 v[2:3], v[2:3], v[6:7]
	s_waitcnt vmcnt(0)
	v_pk_add_f32 v[2:3], v[84:85], v[2:3] neg_lo:[0,1] neg_hi:[0,1]
	scratch_store_dwordx2 off, v[2:3], off offset:240
	s_and_saveexec_b64 s[0:1], vcc
	s_cbranch_execz .LBB54_285
; %bb.284:
	scratch_load_dwordx2 v[2:3], off, off offset:232
	v_mov_b32_e32 v4, 0
	v_mov_b32_e32 v5, v4
	scratch_store_dwordx2 off, v[4:5], off offset:232
	s_waitcnt vmcnt(1)
	ds_write_b64 v1, v[2:3]
.LBB54_285:
	s_or_b64 exec, exec, s[0:1]
	s_waitcnt lgkmcnt(0)
	; wave barrier
	scratch_load_dwordx4 v[10:13], off, off offset:240
	scratch_load_dwordx4 v[26:29], off, off offset:256
	;; [unrolled: 1-line block ×12, first 2 shown]
	scratch_load_dwordx2 v[50:51], off, off offset:432
	scratch_load_dwordx2 v[56:57], off, off offset:232
	v_mov_b32_e32 v58, 0
	ds_read_b128 v[52:55], v58 offset:688
	ds_read_b128 v[60:63], v58 offset:704
	;; [unrolled: 1-line block ×10, first 2 shown]
	v_cmp_lt_u32_e32 vcc, 28, v0
	s_waitcnt vmcnt(13) lgkmcnt(9)
	v_mul_f32_e32 v59, v52, v11
	v_mul_f32_e32 v96, v54, v13
	v_fmac_f32_e32 v59, v53, v10
	s_waitcnt vmcnt(10) lgkmcnt(6)
	v_mul_f32_e32 v103, v68, v7
	v_mul_f32_e32 v7, v69, v7
	;; [unrolled: 1-line block ×3, first 2 shown]
	v_fmac_f32_e32 v96, v55, v12
	v_fmac_f32_e32 v103, v69, v6
	v_fma_f32 v6, v68, v6, -v7
	v_add_f32_e32 v7, 0, v59
	v_mul_f32_e32 v100, v62, v29
	v_fmac_f32_e32 v98, v61, v26
	v_add_f32_e32 v7, v7, v96
	v_mul_f32_e32 v101, v64, v39
	v_fmac_f32_e32 v100, v63, v28
	;; [unrolled: 3-line block ×3, first 2 shown]
	v_add_f32_e32 v7, v7, v100
	v_fmac_f32_e32 v102, v67, v40
	v_add_f32_e32 v7, v7, v101
	v_mul_f32_e32 v104, v70, v9
	v_add_f32_e32 v7, v7, v102
	s_waitcnt vmcnt(9) lgkmcnt(5)
	v_mul_f32_e32 v105, v72, v15
	v_fmac_f32_e32 v104, v71, v8
	v_add_f32_e32 v7, v7, v103
	v_mul_f32_e32 v106, v74, v17
	v_mul_f32_e32 v11, v53, v11
	v_fmac_f32_e32 v105, v73, v14
	v_add_f32_e32 v7, v7, v104
	s_waitcnt vmcnt(8) lgkmcnt(4)
	v_mul_f32_e32 v107, v76, v23
	v_mul_f32_e32 v13, v55, v13
	v_fmac_f32_e32 v106, v75, v16
	v_fma_f32 v10, v52, v10, -v11
	v_add_f32_e32 v7, v7, v105
	v_mul_f32_e32 v108, v78, v25
	v_mul_f32_e32 v27, v61, v27
	v_fmac_f32_e32 v107, v77, v22
	v_fma_f32 v11, v54, v12, -v13
	v_add_f32_e32 v10, 0, v10
	v_add_f32_e32 v7, v7, v106
	s_waitcnt vmcnt(7) lgkmcnt(3)
	v_mul_f32_e32 v109, v80, v31
	v_mul_f32_e32 v29, v63, v29
	v_fmac_f32_e32 v108, v79, v24
	v_fma_f32 v12, v60, v26, -v27
	v_add_f32_e32 v10, v10, v11
	v_add_f32_e32 v7, v7, v107
	v_mul_f32_e32 v110, v82, v33
	v_mul_f32_e32 v39, v65, v39
	v_fmac_f32_e32 v109, v81, v30
	v_fma_f32 v13, v62, v28, -v29
	v_add_f32_e32 v10, v10, v12
	v_add_f32_e32 v7, v7, v108
	s_waitcnt vmcnt(6) lgkmcnt(2)
	v_mul_f32_e32 v111, v84, v43
	v_mul_f32_e32 v41, v67, v41
	v_fmac_f32_e32 v110, v83, v32
	v_fma_f32 v26, v64, v38, -v39
	v_add_f32_e32 v10, v10, v13
	v_add_f32_e32 v7, v7, v109
	v_fmac_f32_e32 v111, v85, v42
	v_fma_f32 v27, v66, v40, -v41
	v_add_f32_e32 v10, v10, v26
	v_add_f32_e32 v7, v7, v110
	;; [unrolled: 1-line block ×4, first 2 shown]
	v_mul_f32_e32 v7, v71, v9
	v_add_f32_e32 v6, v10, v6
	v_fma_f32 v7, v70, v8, -v7
	v_add_f32_e32 v6, v6, v7
	v_mul_f32_e32 v7, v73, v15
	v_fma_f32 v7, v72, v14, -v7
	v_add_f32_e32 v6, v6, v7
	v_mul_f32_e32 v7, v75, v17
	;; [unrolled: 3-line block ×7, first 2 shown]
	v_fma_f32 v7, v84, v42, -v7
	v_mul_f32_e32 v97, v86, v45
	v_add_f32_e32 v26, v6, v7
	v_mul_f32_e32 v6, v87, v45
	s_waitcnt vmcnt(5)
	v_mov_b32_e32 v22, v49
	s_waitcnt lgkmcnt(1)
	v_mul_f32_e32 v99, v88, v47
	v_fmac_f32_e32 v97, v87, v44
	v_fma_f32 v96, v86, v44, -v6
	v_mul_f32_e32 v6, v89, v47
	v_pk_mul_f32 v[22:23], v[90:91], v[22:23] op_sel:[1,0] op_sel_hi:[0,0]
	v_fmac_f32_e32 v99, v89, v46
	v_fma_f32 v98, v88, v46, -v6
	v_pk_add_f32 v[16:17], v[26:27], v[96:97]
	v_pk_fma_f32 v[24:25], v[90:91], v[48:49], v[22:23] neg_lo:[0,0,1] neg_hi:[0,0,1]
	v_pk_fma_f32 v[22:23], v[90:91], v[48:49], v[22:23] op_sel_hi:[1,0,1]
	v_pk_add_f32 v[16:17], v[16:17], v[98:99]
	v_mov_b32_e32 v25, v23
	s_waitcnt vmcnt(4) lgkmcnt(0)
	v_pk_mul_f32 v[22:23], v[92:93], v[34:35] op_sel:[1,1] op_sel_hi:[0,1]
	v_pk_add_f32 v[16:17], v[16:17], v[24:25]
	v_pk_fma_f32 v[24:25], v[92:93], v[34:35], v[22:23] neg_lo:[0,0,1] neg_hi:[0,0,1]
	v_pk_fma_f32 v[22:23], v[92:93], v[34:35], v[22:23] op_sel_hi:[1,0,1]
	ds_read_b128 v[6:9], v58 offset:848
	ds_read_b128 v[10:13], v58 offset:864
	ds_read_b64 v[14:15], v58 offset:880
	v_mov_b32_e32 v22, v37
	v_mov_b32_e32 v25, v23
	v_pk_mul_f32 v[22:23], v[94:95], v[22:23] op_sel:[1,0] op_sel_hi:[0,0]
	v_pk_add_f32 v[16:17], v[16:17], v[24:25]
	v_pk_fma_f32 v[24:25], v[94:95], v[36:37], v[22:23] neg_lo:[0,0,1] neg_hi:[0,0,1]
	v_pk_fma_f32 v[22:23], v[94:95], v[36:37], v[22:23] op_sel_hi:[1,0,1]
	s_nop 0
	v_mov_b32_e32 v25, v23
	s_waitcnt vmcnt(3) lgkmcnt(2)
	v_pk_mul_f32 v[22:23], v[6:7], v[18:19] op_sel:[1,1] op_sel_hi:[0,1]
	v_pk_add_f32 v[16:17], v[16:17], v[24:25]
	v_pk_fma_f32 v[24:25], v[6:7], v[18:19], v[22:23] neg_lo:[0,0,1] neg_hi:[0,0,1]
	v_pk_fma_f32 v[6:7], v[6:7], v[18:19], v[22:23] op_sel_hi:[1,0,1]
	s_nop 0
	v_mov_b32_e32 v25, v7
	v_pk_add_f32 v[6:7], v[16:17], v[24:25]
	v_mov_b32_e32 v16, v21
	v_pk_mul_f32 v[16:17], v[8:9], v[16:17] op_sel:[1,0] op_sel_hi:[0,0]
	v_pk_fma_f32 v[18:19], v[8:9], v[20:21], v[16:17] neg_lo:[0,0,1] neg_hi:[0,0,1]
	v_pk_fma_f32 v[8:9], v[8:9], v[20:21], v[16:17] op_sel_hi:[1,0,1]
	s_nop 0
	v_mov_b32_e32 v19, v9
	s_waitcnt vmcnt(2) lgkmcnt(1)
	v_pk_mul_f32 v[8:9], v[10:11], v[2:3] op_sel:[1,1] op_sel_hi:[0,1]
	v_pk_fma_f32 v[16:17], v[10:11], v[2:3], v[8:9] neg_lo:[0,0,1] neg_hi:[0,0,1]
	v_pk_fma_f32 v[2:3], v[10:11], v[2:3], v[8:9] op_sel_hi:[1,0,1]
	v_pk_add_f32 v[6:7], v[6:7], v[18:19]
	v_mov_b32_e32 v17, v3
	v_pk_add_f32 v[2:3], v[6:7], v[16:17]
	v_mov_b32_e32 v6, v5
	v_pk_mul_f32 v[6:7], v[12:13], v[6:7] op_sel:[1,0] op_sel_hi:[0,0]
	v_pk_fma_f32 v[8:9], v[12:13], v[4:5], v[6:7] neg_lo:[0,0,1] neg_hi:[0,0,1]
	v_pk_fma_f32 v[4:5], v[12:13], v[4:5], v[6:7] op_sel_hi:[1,0,1]
	s_nop 0
	v_mov_b32_e32 v9, v5
	s_waitcnt vmcnt(1) lgkmcnt(0)
	v_pk_mul_f32 v[4:5], v[14:15], v[50:51] op_sel:[1,1] op_sel_hi:[0,1]
	v_pk_fma_f32 v[6:7], v[14:15], v[50:51], v[4:5] neg_lo:[0,0,1] neg_hi:[0,0,1]
	v_pk_fma_f32 v[4:5], v[14:15], v[50:51], v[4:5] op_sel_hi:[1,0,1]
	v_pk_add_f32 v[2:3], v[2:3], v[8:9]
	v_mov_b32_e32 v7, v5
	v_pk_add_f32 v[2:3], v[2:3], v[6:7]
	s_waitcnt vmcnt(0)
	v_pk_add_f32 v[2:3], v[56:57], v[2:3] neg_lo:[0,1] neg_hi:[0,1]
	scratch_store_dwordx2 off, v[2:3], off offset:232
	s_and_saveexec_b64 s[0:1], vcc
	s_cbranch_execz .LBB54_287
; %bb.286:
	scratch_load_dwordx2 v[2:3], off, off offset:224
	v_mov_b32_e32 v59, v58
	scratch_store_dwordx2 off, v[58:59], off offset:224
	s_waitcnt vmcnt(1)
	ds_write_b64 v1, v[2:3]
.LBB54_287:
	s_or_b64 exec, exec, s[0:1]
	s_waitcnt lgkmcnt(0)
	; wave barrier
	scratch_load_dwordx4 v[2:5], off, off offset:232
	scratch_load_dwordx4 v[18:21], off, off offset:248
	;; [unrolled: 1-line block ×9, first 2 shown]
	ds_read2_b64 v[60:63], v58 offset0:85 offset1:86
	ds_read2_b64 v[64:67], v58 offset0:87 offset1:88
	ds_read2_b64 v[68:71], v58 offset0:89 offset1:90
	ds_read2_b64 v[72:75], v58 offset0:91 offset1:92
	ds_read2_b64 v[76:79], v58 offset0:93 offset1:94
	ds_read2_b64 v[80:83], v58 offset0:95 offset1:96
	ds_read2_b64 v[84:87], v58 offset0:97 offset1:98
	ds_read2_b64 v[54:57], v58 offset0:99 offset1:100
	scratch_load_dwordx4 v[50:53], off, off offset:376
	scratch_load_dwordx4 v[34:37], off, off offset:392
	;; [unrolled: 1-line block ×4, first 2 shown]
	ds_read2_b64 v[88:91], v58 offset0:101 offset1:102
	ds_read2_b64 v[92:95], v58 offset0:103 offset1:104
	scratch_load_dwordx2 v[96:97], off, off offset:224
	v_cmp_lt_u32_e32 vcc, 27, v0
	s_waitcnt vmcnt(13) lgkmcnt(9)
	v_mul_f32_e32 v59, v60, v3
	v_mul_f32_e32 v98, v62, v5
	v_mul_f32_e32 v3, v61, v3
	s_waitcnt vmcnt(10) lgkmcnt(6)
	v_mul_f32_e32 v105, v72, v7
	v_mul_f32_e32 v7, v73, v7
	v_fmac_f32_e32 v59, v61, v2
	v_mul_f32_e32 v100, v64, v19
	v_mul_f32_e32 v5, v63, v5
	v_fmac_f32_e32 v98, v63, v4
	v_fmac_f32_e32 v105, v73, v6
	v_fma_f32 v2, v60, v2, -v3
	v_fma_f32 v6, v72, v6, -v7
	v_add_f32_e32 v7, 0, v59
	v_mul_f32_e32 v102, v66, v21
	v_fmac_f32_e32 v100, v65, v18
	v_fma_f32 v3, v62, v4, -v5
	v_add_f32_e32 v2, 0, v2
	v_add_f32_e32 v7, v7, v98
	v_mul_f32_e32 v103, v68, v39
	v_fmac_f32_e32 v102, v67, v20
	v_add_f32_e32 v2, v2, v3
	v_add_f32_e32 v3, v7, v100
	v_mul_f32_e32 v104, v70, v41
	v_fmac_f32_e32 v103, v69, v38
	v_add_f32_e32 v3, v3, v102
	v_fmac_f32_e32 v104, v71, v40
	v_add_f32_e32 v3, v3, v103
	v_mul_f32_e32 v106, v74, v9
	v_add_f32_e32 v3, v3, v104
	s_waitcnt vmcnt(9) lgkmcnt(5)
	v_mul_f32_e32 v107, v76, v15
	v_fmac_f32_e32 v106, v75, v8
	v_add_f32_e32 v3, v3, v105
	v_mul_f32_e32 v108, v78, v17
	v_fmac_f32_e32 v107, v77, v14
	v_add_f32_e32 v3, v3, v106
	s_waitcnt vmcnt(8) lgkmcnt(4)
	v_mul_f32_e32 v109, v80, v23
	v_fmac_f32_e32 v108, v79, v16
	v_add_f32_e32 v3, v3, v107
	v_mul_f32_e32 v110, v82, v25
	v_fmac_f32_e32 v109, v81, v22
	v_add_f32_e32 v3, v3, v108
	s_waitcnt vmcnt(7) lgkmcnt(3)
	v_mul_f32_e32 v111, v84, v31
	v_mul_f32_e32 v19, v65, v19
	v_fmac_f32_e32 v110, v83, v24
	v_add_f32_e32 v3, v3, v109
	v_mul_f32_e32 v112, v86, v33
	v_mul_f32_e32 v21, v67, v21
	v_fmac_f32_e32 v111, v85, v30
	v_fma_f32 v4, v64, v18, -v19
	v_add_f32_e32 v3, v3, v110
	s_waitcnt vmcnt(6) lgkmcnt(2)
	v_mul_f32_e32 v113, v54, v43
	v_mul_f32_e32 v39, v69, v39
	v_fmac_f32_e32 v112, v87, v32
	v_fma_f32 v5, v66, v20, -v21
	v_add_f32_e32 v2, v2, v4
	v_add_f32_e32 v3, v3, v111
	v_mul_f32_e32 v114, v56, v45
	v_mul_f32_e32 v41, v71, v41
	v_fmac_f32_e32 v113, v55, v42
	v_fma_f32 v18, v68, v38, -v39
	v_add_f32_e32 v2, v2, v5
	v_add_f32_e32 v3, v3, v112
	v_fmac_f32_e32 v114, v57, v44
	v_fma_f32 v19, v70, v40, -v41
	v_add_f32_e32 v2, v2, v18
	v_add_f32_e32 v3, v3, v113
	;; [unrolled: 1-line block ×4, first 2 shown]
	v_mul_f32_e32 v3, v75, v9
	v_add_f32_e32 v2, v2, v6
	v_fma_f32 v3, v74, v8, -v3
	v_add_f32_e32 v2, v2, v3
	v_mul_f32_e32 v3, v77, v15
	v_fma_f32 v3, v76, v14, -v3
	v_add_f32_e32 v2, v2, v3
	v_mul_f32_e32 v3, v79, v17
	;; [unrolled: 3-line block ×8, first 2 shown]
	v_fma_f32 v3, v56, v44, -v3
	s_waitcnt vmcnt(5) lgkmcnt(1)
	v_mul_f32_e32 v99, v88, v47
	v_add_f32_e32 v18, v2, v3
	v_mul_f32_e32 v2, v89, v47
	s_waitcnt vmcnt(4) lgkmcnt(0)
	v_pk_mul_f32 v[20:21], v[92:93], v[50:51] op_sel:[1,1] op_sel_hi:[0,1]
	v_mul_f32_e32 v101, v90, v49
	v_fmac_f32_e32 v99, v89, v46
	v_fma_f32 v98, v88, v46, -v2
	v_mul_f32_e32 v2, v91, v49
	v_pk_fma_f32 v[22:23], v[92:93], v[50:51], v[20:21] neg_lo:[0,0,1] neg_hi:[0,0,1]
	v_pk_fma_f32 v[20:21], v[92:93], v[50:51], v[20:21] op_sel_hi:[1,0,1]
	v_fmac_f32_e32 v101, v91, v48
	v_fma_f32 v100, v90, v48, -v2
	ds_read2_b64 v[2:5], v58 offset0:105 offset1:106
	ds_read2_b64 v[6:9], v58 offset0:107 offset1:108
	;; [unrolled: 1-line block ×3, first 2 shown]
	v_pk_add_f32 v[18:19], v[18:19], v[98:99]
	v_mov_b32_e32 v20, v53
	v_pk_add_f32 v[18:19], v[18:19], v[100:101]
	v_mov_b32_e32 v23, v21
	v_pk_mul_f32 v[20:21], v[94:95], v[20:21] op_sel:[1,0] op_sel_hi:[0,0]
	v_pk_add_f32 v[18:19], v[18:19], v[22:23]
	v_pk_fma_f32 v[22:23], v[94:95], v[52:53], v[20:21] neg_lo:[0,0,1] neg_hi:[0,0,1]
	v_pk_fma_f32 v[20:21], v[94:95], v[52:53], v[20:21] op_sel_hi:[1,0,1]
	s_nop 0
	v_mov_b32_e32 v23, v21
	s_waitcnt vmcnt(3) lgkmcnt(2)
	v_pk_mul_f32 v[20:21], v[2:3], v[34:35] op_sel:[1,1] op_sel_hi:[0,1]
	v_pk_add_f32 v[18:19], v[18:19], v[22:23]
	v_pk_fma_f32 v[22:23], v[2:3], v[34:35], v[20:21] neg_lo:[0,0,1] neg_hi:[0,0,1]
	v_pk_fma_f32 v[2:3], v[2:3], v[34:35], v[20:21] op_sel_hi:[1,0,1]
	s_nop 0
	v_mov_b32_e32 v23, v3
	v_pk_add_f32 v[2:3], v[18:19], v[22:23]
	v_mov_b32_e32 v18, v37
	v_pk_mul_f32 v[18:19], v[4:5], v[18:19] op_sel:[1,0] op_sel_hi:[0,0]
	v_pk_fma_f32 v[20:21], v[4:5], v[36:37], v[18:19] neg_lo:[0,0,1] neg_hi:[0,0,1]
	v_pk_fma_f32 v[4:5], v[4:5], v[36:37], v[18:19] op_sel_hi:[1,0,1]
	s_nop 0
	v_mov_b32_e32 v21, v5
	s_waitcnt vmcnt(2) lgkmcnt(1)
	v_pk_mul_f32 v[4:5], v[6:7], v[26:27] op_sel:[1,1] op_sel_hi:[0,1]
	v_pk_fma_f32 v[18:19], v[6:7], v[26:27], v[4:5] neg_lo:[0,0,1] neg_hi:[0,0,1]
	v_pk_fma_f32 v[4:5], v[6:7], v[26:27], v[4:5] op_sel_hi:[1,0,1]
	v_pk_add_f32 v[2:3], v[2:3], v[20:21]
	v_mov_b32_e32 v4, v29
	v_mov_b32_e32 v19, v5
	v_pk_mul_f32 v[4:5], v[8:9], v[4:5] op_sel:[1,0] op_sel_hi:[0,0]
	v_pk_fma_f32 v[6:7], v[8:9], v[28:29], v[4:5] neg_lo:[0,0,1] neg_hi:[0,0,1]
	v_pk_fma_f32 v[4:5], v[8:9], v[28:29], v[4:5] op_sel_hi:[1,0,1]
	v_pk_add_f32 v[2:3], v[2:3], v[18:19]
	v_mov_b32_e32 v7, v5
	s_waitcnt vmcnt(1) lgkmcnt(0)
	v_pk_mul_f32 v[4:5], v[14:15], v[10:11] op_sel:[1,1] op_sel_hi:[0,1]
	v_pk_add_f32 v[2:3], v[2:3], v[6:7]
	v_pk_fma_f32 v[6:7], v[14:15], v[10:11], v[4:5] neg_lo:[0,0,1] neg_hi:[0,0,1]
	v_pk_fma_f32 v[4:5], v[14:15], v[10:11], v[4:5] op_sel_hi:[1,0,1]
	s_nop 0
	v_mov_b32_e32 v4, v13
	v_mov_b32_e32 v7, v5
	v_pk_mul_f32 v[4:5], v[16:17], v[4:5] op_sel:[1,0] op_sel_hi:[0,0]
	v_pk_add_f32 v[2:3], v[2:3], v[6:7]
	v_pk_fma_f32 v[6:7], v[16:17], v[12:13], v[4:5] neg_lo:[0,0,1] neg_hi:[0,0,1]
	v_pk_fma_f32 v[4:5], v[16:17], v[12:13], v[4:5] op_sel_hi:[1,0,1]
	s_nop 0
	v_mov_b32_e32 v7, v5
	v_pk_add_f32 v[2:3], v[2:3], v[6:7]
	s_waitcnt vmcnt(0)
	v_pk_add_f32 v[2:3], v[96:97], v[2:3] neg_lo:[0,1] neg_hi:[0,1]
	scratch_store_dwordx2 off, v[2:3], off offset:224
	s_and_saveexec_b64 s[0:1], vcc
	s_cbranch_execz .LBB54_289
; %bb.288:
	scratch_load_dwordx2 v[2:3], off, off offset:216
	v_mov_b32_e32 v4, 0
	v_mov_b32_e32 v5, v4
	scratch_store_dwordx2 off, v[4:5], off offset:216
	s_waitcnt vmcnt(1)
	ds_write_b64 v1, v[2:3]
.LBB54_289:
	s_or_b64 exec, exec, s[0:1]
	s_waitcnt lgkmcnt(0)
	; wave barrier
	scratch_load_dwordx4 v[18:21], off, off offset:224
	scratch_load_dwordx4 v[30:33], off, off offset:240
	;; [unrolled: 1-line block ×13, first 2 shown]
	scratch_load_dwordx2 v[54:55], off, off offset:432
	scratch_load_dwordx2 v[80:81], off, off offset:216
	v_mov_b32_e32 v82, 0
	ds_read_b128 v[56:59], v82 offset:672
	ds_read_b128 v[60:63], v82 offset:688
	;; [unrolled: 1-line block ×10, first 2 shown]
	v_cmp_lt_u32_e32 vcc, 26, v0
	s_waitcnt vmcnt(14) lgkmcnt(9)
	v_mul_f32_e32 v83, v56, v19
	v_mul_f32_e32 v100, v58, v21
	s_waitcnt vmcnt(12) lgkmcnt(7)
	v_mul_f32_e32 v105, v64, v3
	v_mul_f32_e32 v3, v65, v3
	v_fmac_f32_e32 v83, v57, v18
	v_mul_f32_e32 v102, v60, v31
	v_fmac_f32_e32 v100, v59, v20
	v_fmac_f32_e32 v105, v65, v2
	v_fma_f32 v2, v64, v2, -v3
	v_add_f32_e32 v3, 0, v83
	v_mul_f32_e32 v104, v62, v33
	v_fmac_f32_e32 v102, v61, v30
	v_add_f32_e32 v3, v3, v100
	v_fmac_f32_e32 v104, v63, v32
	v_add_f32_e32 v3, v3, v102
	v_mul_f32_e32 v106, v66, v5
	v_add_f32_e32 v3, v3, v104
	s_waitcnt vmcnt(11) lgkmcnt(6)
	v_mul_f32_e32 v107, v68, v7
	v_fmac_f32_e32 v106, v67, v4
	v_add_f32_e32 v3, v3, v105
	v_mul_f32_e32 v108, v70, v9
	v_fmac_f32_e32 v107, v69, v6
	v_add_f32_e32 v3, v3, v106
	s_waitcnt vmcnt(10) lgkmcnt(5)
	v_mul_f32_e32 v109, v72, v15
	v_fmac_f32_e32 v108, v71, v8
	v_add_f32_e32 v3, v3, v107
	v_mul_f32_e32 v110, v74, v17
	v_fmac_f32_e32 v109, v73, v14
	;; [unrolled: 7-line block ×3, first 2 shown]
	v_add_f32_e32 v3, v3, v110
	s_waitcnt vmcnt(8) lgkmcnt(3)
	v_mul_f32_e32 v113, v84, v35
	v_mul_f32_e32 v19, v57, v19
	v_fmac_f32_e32 v112, v79, v24
	v_add_f32_e32 v3, v3, v111
	v_mul_f32_e32 v114, v86, v37
	v_mul_f32_e32 v21, v59, v21
	v_fmac_f32_e32 v113, v85, v34
	v_fma_f32 v18, v56, v18, -v19
	v_add_f32_e32 v3, v3, v112
	s_waitcnt vmcnt(7) lgkmcnt(2)
	v_mul_f32_e32 v115, v88, v39
	v_mul_f32_e32 v31, v61, v31
	v_fmac_f32_e32 v114, v87, v36
	v_fma_f32 v19, v58, v20, -v21
	v_add_f32_e32 v18, 0, v18
	v_add_f32_e32 v3, v3, v113
	v_mul_f32_e32 v116, v90, v41
	v_mul_f32_e32 v33, v63, v33
	v_fmac_f32_e32 v115, v89, v38
	v_fma_f32 v20, v60, v30, -v31
	v_add_f32_e32 v18, v18, v19
	v_add_f32_e32 v3, v3, v114
	s_waitcnt vmcnt(6) lgkmcnt(1)
	v_mul_f32_e32 v117, v92, v51
	v_fmac_f32_e32 v116, v91, v40
	v_fma_f32 v21, v62, v32, -v33
	v_add_f32_e32 v18, v18, v20
	v_add_f32_e32 v3, v3, v115
	v_mul_f32_e32 v5, v67, v5
	v_fmac_f32_e32 v117, v93, v50
	v_add_f32_e32 v18, v18, v21
	v_add_f32_e32 v3, v3, v116
	;; [unrolled: 1-line block ×4, first 2 shown]
	v_fma_f32 v3, v66, v4, -v5
	v_add_f32_e32 v2, v2, v3
	v_mul_f32_e32 v3, v69, v7
	v_fma_f32 v3, v68, v6, -v3
	v_add_f32_e32 v2, v2, v3
	v_mul_f32_e32 v3, v71, v9
	;; [unrolled: 3-line block ×12, first 2 shown]
	v_mul_f32_e32 v101, v94, v53
	v_fma_f32 v100, v94, v52, -v2
	s_waitcnt vmcnt(5) lgkmcnt(0)
	v_mul_f32_e32 v2, v97, v47
	v_mov_b32_e32 v22, v49
	v_mul_f32_e32 v103, v96, v47
	v_fmac_f32_e32 v101, v95, v52
	v_fma_f32 v102, v96, v46, -v2
	ds_read_b128 v[2:5], v82 offset:832
	ds_read_b128 v[6:9], v82 offset:848
	;; [unrolled: 1-line block ×3, first 2 shown]
	ds_read_b64 v[20:21], v82 offset:880
	v_pk_mul_f32 v[22:23], v[98:99], v[22:23] op_sel:[1,0] op_sel_hi:[0,0]
	v_fmac_f32_e32 v103, v97, v46
	v_pk_add_f32 v[18:19], v[18:19], v[100:101]
	v_pk_fma_f32 v[24:25], v[98:99], v[48:49], v[22:23] neg_lo:[0,0,1] neg_hi:[0,0,1]
	v_pk_fma_f32 v[22:23], v[98:99], v[48:49], v[22:23] op_sel_hi:[1,0,1]
	v_pk_add_f32 v[18:19], v[18:19], v[102:103]
	v_mov_b32_e32 v25, v23
	s_waitcnt vmcnt(4) lgkmcnt(3)
	v_pk_mul_f32 v[22:23], v[2:3], v[42:43] op_sel:[1,1] op_sel_hi:[0,1]
	v_pk_add_f32 v[18:19], v[18:19], v[24:25]
	v_pk_fma_f32 v[24:25], v[2:3], v[42:43], v[22:23] neg_lo:[0,0,1] neg_hi:[0,0,1]
	v_pk_fma_f32 v[2:3], v[2:3], v[42:43], v[22:23] op_sel_hi:[1,0,1]
	s_nop 0
	v_mov_b32_e32 v25, v3
	v_pk_add_f32 v[2:3], v[18:19], v[24:25]
	v_mov_b32_e32 v18, v45
	v_pk_mul_f32 v[18:19], v[4:5], v[18:19] op_sel:[1,0] op_sel_hi:[0,0]
	v_pk_fma_f32 v[22:23], v[4:5], v[44:45], v[18:19] neg_lo:[0,0,1] neg_hi:[0,0,1]
	v_pk_fma_f32 v[4:5], v[4:5], v[44:45], v[18:19] op_sel_hi:[1,0,1]
	s_nop 0
	v_mov_b32_e32 v23, v5
	s_waitcnt vmcnt(3) lgkmcnt(2)
	v_pk_mul_f32 v[4:5], v[6:7], v[26:27] op_sel:[1,1] op_sel_hi:[0,1]
	v_pk_fma_f32 v[18:19], v[6:7], v[26:27], v[4:5] neg_lo:[0,0,1] neg_hi:[0,0,1]
	v_pk_fma_f32 v[4:5], v[6:7], v[26:27], v[4:5] op_sel_hi:[1,0,1]
	v_pk_add_f32 v[2:3], v[2:3], v[22:23]
	v_mov_b32_e32 v4, v29
	v_mov_b32_e32 v19, v5
	v_pk_mul_f32 v[4:5], v[8:9], v[4:5] op_sel:[1,0] op_sel_hi:[0,0]
	v_pk_fma_f32 v[6:7], v[8:9], v[28:29], v[4:5] neg_lo:[0,0,1] neg_hi:[0,0,1]
	v_pk_fma_f32 v[4:5], v[8:9], v[28:29], v[4:5] op_sel_hi:[1,0,1]
	v_pk_add_f32 v[2:3], v[2:3], v[18:19]
	v_mov_b32_e32 v7, v5
	s_waitcnt vmcnt(2) lgkmcnt(1)
	v_pk_mul_f32 v[4:5], v[14:15], v[10:11] op_sel:[1,1] op_sel_hi:[0,1]
	v_pk_add_f32 v[2:3], v[2:3], v[6:7]
	v_pk_fma_f32 v[6:7], v[14:15], v[10:11], v[4:5] neg_lo:[0,0,1] neg_hi:[0,0,1]
	v_pk_fma_f32 v[4:5], v[14:15], v[10:11], v[4:5] op_sel_hi:[1,0,1]
	s_nop 0
	v_mov_b32_e32 v4, v13
	v_mov_b32_e32 v7, v5
	v_pk_mul_f32 v[4:5], v[16:17], v[4:5] op_sel:[1,0] op_sel_hi:[0,0]
	v_pk_add_f32 v[2:3], v[2:3], v[6:7]
	v_pk_fma_f32 v[6:7], v[16:17], v[12:13], v[4:5] neg_lo:[0,0,1] neg_hi:[0,0,1]
	v_pk_fma_f32 v[4:5], v[16:17], v[12:13], v[4:5] op_sel_hi:[1,0,1]
	s_nop 0
	v_mov_b32_e32 v7, v5
	s_waitcnt vmcnt(1) lgkmcnt(0)
	v_pk_mul_f32 v[4:5], v[20:21], v[54:55] op_sel:[1,1] op_sel_hi:[0,1]
	v_pk_add_f32 v[2:3], v[2:3], v[6:7]
	v_pk_fma_f32 v[6:7], v[20:21], v[54:55], v[4:5] neg_lo:[0,0,1] neg_hi:[0,0,1]
	v_pk_fma_f32 v[4:5], v[20:21], v[54:55], v[4:5] op_sel_hi:[1,0,1]
	s_nop 0
	v_mov_b32_e32 v7, v5
	v_pk_add_f32 v[2:3], v[2:3], v[6:7]
	s_waitcnt vmcnt(0)
	v_pk_add_f32 v[2:3], v[80:81], v[2:3] neg_lo:[0,1] neg_hi:[0,1]
	scratch_store_dwordx2 off, v[2:3], off offset:216
	s_and_saveexec_b64 s[0:1], vcc
	s_cbranch_execz .LBB54_291
; %bb.290:
	scratch_load_dwordx2 v[2:3], off, off offset:208
	v_mov_b32_e32 v83, v82
	scratch_store_dwordx2 off, v[82:83], off offset:208
	s_waitcnt vmcnt(1)
	ds_write_b64 v1, v[2:3]
.LBB54_291:
	s_or_b64 exec, exec, s[0:1]
	s_waitcnt lgkmcnt(0)
	; wave barrier
	scratch_load_dwordx4 v[10:13], off, off offset:216
	scratch_load_dwordx4 v[26:29], off, off offset:232
	;; [unrolled: 1-line block ×10, first 2 shown]
	ds_read2_b64 v[84:87], v82 offset0:83 offset1:84
	ds_read2_b64 v[88:91], v82 offset0:85 offset1:86
	;; [unrolled: 1-line block ×10, first 2 shown]
	scratch_load_dwordx4 v[54:57], off, off offset:376
	scratch_load_dwordx4 v[46:49], off, off offset:392
	;; [unrolled: 1-line block ×4, first 2 shown]
	scratch_load_dwordx2 v[100:101], off, off offset:208
	v_cmp_lt_u32_e32 vcc, 25, v0
	s_waitcnt vmcnt(14) lgkmcnt(9)
	v_mul_f32_e32 v83, v84, v11
	v_mul_f32_e32 v102, v86, v13
	s_waitcnt vmcnt(12) lgkmcnt(7)
	v_mul_f32_e32 v107, v92, v3
	v_mul_f32_e32 v3, v93, v3
	v_fmac_f32_e32 v83, v85, v10
	v_mul_f32_e32 v104, v88, v27
	v_fmac_f32_e32 v102, v87, v12
	v_fmac_f32_e32 v107, v93, v2
	v_fma_f32 v2, v92, v2, -v3
	v_add_f32_e32 v3, 0, v83
	v_mul_f32_e32 v106, v90, v29
	v_fmac_f32_e32 v104, v89, v26
	v_add_f32_e32 v3, v3, v102
	v_fmac_f32_e32 v106, v91, v28
	v_add_f32_e32 v3, v3, v104
	v_mul_f32_e32 v108, v94, v5
	v_add_f32_e32 v3, v3, v106
	s_waitcnt vmcnt(11) lgkmcnt(6)
	v_mul_f32_e32 v109, v96, v7
	v_fmac_f32_e32 v108, v95, v4
	v_add_f32_e32 v3, v3, v107
	v_mul_f32_e32 v110, v98, v9
	v_fmac_f32_e32 v109, v97, v6
	v_add_f32_e32 v3, v3, v108
	s_waitcnt vmcnt(10) lgkmcnt(5)
	v_mul_f32_e32 v111, v78, v15
	v_fmac_f32_e32 v110, v99, v8
	v_add_f32_e32 v3, v3, v109
	v_mul_f32_e32 v112, v80, v17
	v_fmac_f32_e32 v111, v79, v14
	;; [unrolled: 7-line block ×4, first 2 shown]
	v_add_f32_e32 v3, v3, v114
	s_waitcnt vmcnt(7) lgkmcnt(2)
	v_mul_f32_e32 v117, v66, v39
	v_mul_f32_e32 v11, v85, v11
	v_fmac_f32_e32 v116, v73, v32
	v_add_f32_e32 v3, v3, v115
	v_mul_f32_e32 v118, v68, v41
	v_mul_f32_e32 v13, v87, v13
	v_fmac_f32_e32 v117, v67, v38
	v_fma_f32 v10, v84, v10, -v11
	v_add_f32_e32 v3, v3, v116
	s_waitcnt vmcnt(6) lgkmcnt(1)
	v_mul_f32_e32 v119, v62, v43
	v_mul_f32_e32 v27, v89, v27
	v_fmac_f32_e32 v118, v69, v40
	v_fma_f32 v11, v86, v12, -v13
	v_add_f32_e32 v10, 0, v10
	v_add_f32_e32 v3, v3, v117
	v_mul_f32_e32 v120, v64, v45
	v_mul_f32_e32 v29, v91, v29
	v_fmac_f32_e32 v119, v63, v42
	v_fma_f32 v12, v88, v26, -v27
	v_add_f32_e32 v10, v10, v11
	v_add_f32_e32 v3, v3, v118
	v_fmac_f32_e32 v120, v65, v44
	v_fma_f32 v13, v90, v28, -v29
	v_add_f32_e32 v10, v10, v12
	v_add_f32_e32 v3, v3, v119
	;; [unrolled: 1-line block ×4, first 2 shown]
	v_mul_f32_e32 v3, v95, v5
	v_add_f32_e32 v2, v10, v2
	v_fma_f32 v3, v94, v4, -v3
	v_add_f32_e32 v2, v2, v3
	v_mul_f32_e32 v3, v97, v7
	v_fma_f32 v3, v96, v6, -v3
	v_add_f32_e32 v2, v2, v3
	v_mul_f32_e32 v3, v99, v9
	;; [unrolled: 3-line block ×12, first 2 shown]
	v_fma_f32 v3, v64, v44, -v3
	v_add_f32_e32 v26, v2, v3
	s_waitcnt vmcnt(5) lgkmcnt(0)
	v_mul_f32_e32 v2, v59, v51
	v_fma_f32 v102, v58, v50, -v2
	v_mul_f32_e32 v2, v61, v53
	v_fma_f32 v104, v60, v52, -v2
	ds_read2_b64 v[2:5], v82 offset0:103 offset1:104
	ds_read2_b64 v[6:9], v82 offset0:105 offset1:106
	;; [unrolled: 1-line block ×4, first 2 shown]
	v_mul_f32_e32 v103, v58, v51
	v_mul_f32_e32 v105, v60, v53
	v_fmac_f32_e32 v103, v59, v50
	s_waitcnt vmcnt(4) lgkmcnt(3)
	v_pk_mul_f32 v[24:25], v[2:3], v[54:55] op_sel:[1,1] op_sel_hi:[0,1]
	v_fmac_f32_e32 v105, v61, v52
	v_pk_add_f32 v[22:23], v[26:27], v[102:103]
	v_pk_fma_f32 v[26:27], v[2:3], v[54:55], v[24:25] neg_lo:[0,0,1] neg_hi:[0,0,1]
	v_pk_fma_f32 v[2:3], v[2:3], v[54:55], v[24:25] op_sel_hi:[1,0,1]
	v_pk_add_f32 v[22:23], v[22:23], v[104:105]
	v_mov_b32_e32 v27, v3
	v_pk_add_f32 v[2:3], v[22:23], v[26:27]
	v_mov_b32_e32 v22, v57
	v_pk_mul_f32 v[22:23], v[4:5], v[22:23] op_sel:[1,0] op_sel_hi:[0,0]
	v_pk_fma_f32 v[24:25], v[4:5], v[56:57], v[22:23] neg_lo:[0,0,1] neg_hi:[0,0,1]
	v_pk_fma_f32 v[4:5], v[4:5], v[56:57], v[22:23] op_sel_hi:[1,0,1]
	s_nop 0
	v_mov_b32_e32 v25, v5
	s_waitcnt vmcnt(3) lgkmcnt(2)
	v_pk_mul_f32 v[4:5], v[6:7], v[46:47] op_sel:[1,1] op_sel_hi:[0,1]
	v_pk_fma_f32 v[22:23], v[6:7], v[46:47], v[4:5] neg_lo:[0,0,1] neg_hi:[0,0,1]
	v_pk_fma_f32 v[4:5], v[6:7], v[46:47], v[4:5] op_sel_hi:[1,0,1]
	v_pk_add_f32 v[2:3], v[2:3], v[24:25]
	v_mov_b32_e32 v4, v49
	v_mov_b32_e32 v23, v5
	v_pk_mul_f32 v[4:5], v[8:9], v[4:5] op_sel:[1,0] op_sel_hi:[0,0]
	v_pk_fma_f32 v[6:7], v[8:9], v[48:49], v[4:5] neg_lo:[0,0,1] neg_hi:[0,0,1]
	v_pk_fma_f32 v[4:5], v[8:9], v[48:49], v[4:5] op_sel_hi:[1,0,1]
	v_pk_add_f32 v[2:3], v[2:3], v[22:23]
	v_mov_b32_e32 v7, v5
	s_waitcnt vmcnt(2) lgkmcnt(1)
	v_pk_mul_f32 v[4:5], v[10:11], v[34:35] op_sel:[1,1] op_sel_hi:[0,1]
	v_pk_add_f32 v[2:3], v[2:3], v[6:7]
	v_pk_fma_f32 v[6:7], v[10:11], v[34:35], v[4:5] neg_lo:[0,0,1] neg_hi:[0,0,1]
	v_pk_fma_f32 v[4:5], v[10:11], v[34:35], v[4:5] op_sel_hi:[1,0,1]
	s_nop 0
	v_mov_b32_e32 v4, v37
	v_mov_b32_e32 v7, v5
	v_pk_mul_f32 v[4:5], v[12:13], v[4:5] op_sel:[1,0] op_sel_hi:[0,0]
	v_pk_add_f32 v[2:3], v[2:3], v[6:7]
	v_pk_fma_f32 v[6:7], v[12:13], v[36:37], v[4:5] neg_lo:[0,0,1] neg_hi:[0,0,1]
	v_pk_fma_f32 v[4:5], v[12:13], v[36:37], v[4:5] op_sel_hi:[1,0,1]
	s_nop 0
	v_mov_b32_e32 v7, v5
	s_waitcnt vmcnt(1) lgkmcnt(0)
	v_pk_mul_f32 v[4:5], v[14:15], v[18:19] op_sel:[1,1] op_sel_hi:[0,1]
	v_pk_add_f32 v[2:3], v[2:3], v[6:7]
	v_pk_fma_f32 v[6:7], v[14:15], v[18:19], v[4:5] neg_lo:[0,0,1] neg_hi:[0,0,1]
	v_pk_fma_f32 v[4:5], v[14:15], v[18:19], v[4:5] op_sel_hi:[1,0,1]
	s_nop 0
	v_mov_b32_e32 v4, v21
	v_mov_b32_e32 v7, v5
	v_pk_mul_f32 v[4:5], v[16:17], v[4:5] op_sel:[1,0] op_sel_hi:[0,0]
	v_pk_add_f32 v[2:3], v[2:3], v[6:7]
	v_pk_fma_f32 v[6:7], v[16:17], v[20:21], v[4:5] neg_lo:[0,0,1] neg_hi:[0,0,1]
	v_pk_fma_f32 v[4:5], v[16:17], v[20:21], v[4:5] op_sel_hi:[1,0,1]
	s_nop 0
	v_mov_b32_e32 v7, v5
	v_pk_add_f32 v[2:3], v[2:3], v[6:7]
	s_waitcnt vmcnt(0)
	v_pk_add_f32 v[2:3], v[100:101], v[2:3] neg_lo:[0,1] neg_hi:[0,1]
	scratch_store_dwordx2 off, v[2:3], off offset:208
	s_and_saveexec_b64 s[0:1], vcc
	s_cbranch_execz .LBB54_293
; %bb.292:
	scratch_load_dwordx2 v[2:3], off, off offset:200
	v_mov_b32_e32 v4, 0
	v_mov_b32_e32 v5, v4
	scratch_store_dwordx2 off, v[4:5], off offset:200
	s_waitcnt vmcnt(1)
	ds_write_b64 v1, v[2:3]
.LBB54_293:
	s_or_b64 exec, exec, s[0:1]
	s_waitcnt lgkmcnt(0)
	; wave barrier
	scratch_load_dwordx4 v[26:29], off, off offset:208
	scratch_load_dwordx4 v[2:5], off, off offset:224
	;; [unrolled: 1-line block ×14, first 2 shown]
	scratch_load_dwordx2 v[58:59], off, off offset:432
	scratch_load_dwordx2 v[100:101], off, off offset:200
	v_mov_b32_e32 v102, 0
	ds_read_b128 v[60:63], v102 offset:656
	ds_read_b128 v[64:67], v102 offset:672
	;; [unrolled: 1-line block ×12, first 2 shown]
	v_cmp_lt_u32_e32 vcc, 24, v0
	s_waitcnt vmcnt(15) lgkmcnt(11)
	v_mul_f32_e32 v103, v60, v27
	v_mul_f32_e32 v112, v62, v29
	s_waitcnt vmcnt(14) lgkmcnt(10)
	v_mul_f32_e32 v114, v64, v3
	v_mul_f32_e32 v3, v65, v3
	v_fmac_f32_e32 v103, v61, v26
	v_fmac_f32_e32 v112, v63, v28
	v_fmac_f32_e32 v114, v65, v2
	v_fma_f32 v2, v64, v2, -v3
	v_add_f32_e32 v3, 0, v103
	v_mul_f32_e32 v116, v66, v5
	v_add_f32_e32 v3, v3, v112
	s_waitcnt vmcnt(13) lgkmcnt(9)
	v_mul_f32_e32 v117, v68, v7
	v_fmac_f32_e32 v116, v67, v4
	v_add_f32_e32 v3, v3, v114
	v_mul_f32_e32 v118, v70, v9
	v_fmac_f32_e32 v117, v69, v6
	v_add_f32_e32 v3, v3, v116
	s_waitcnt vmcnt(12) lgkmcnt(8)
	v_mul_f32_e32 v119, v72, v11
	v_fmac_f32_e32 v118, v71, v8
	v_add_f32_e32 v3, v3, v117
	v_mul_f32_e32 v120, v74, v13
	v_fmac_f32_e32 v119, v73, v10
	;; [unrolled: 7-line block ×6, first 2 shown]
	v_add_f32_e32 v3, v3, v126
	s_waitcnt vmcnt(7) lgkmcnt(3)
	v_mul_f32_e32 v129, v92, v43
	v_fmac_f32_e32 v128, v91, v40
	v_add_f32_e32 v3, v3, v127
	v_mul_f32_e32 v130, v94, v45
	v_mul_f32_e32 v27, v61, v27
	v_fmac_f32_e32 v129, v93, v42
	v_add_f32_e32 v3, v3, v128
	s_waitcnt vmcnt(6) lgkmcnt(2)
	v_mul_f32_e32 v131, v96, v51
	v_mul_f32_e32 v29, v63, v29
	v_fmac_f32_e32 v130, v95, v44
	v_fma_f32 v26, v60, v26, -v27
	v_add_f32_e32 v3, v3, v129
	v_fmac_f32_e32 v131, v97, v50
	v_fma_f32 v27, v62, v28, -v29
	v_add_f32_e32 v26, 0, v26
	v_add_f32_e32 v3, v3, v130
	;; [unrolled: 1-line block ×4, first 2 shown]
	v_mul_f32_e32 v3, v67, v5
	v_add_f32_e32 v2, v26, v2
	v_fma_f32 v3, v66, v4, -v3
	v_add_f32_e32 v2, v2, v3
	v_mul_f32_e32 v3, v69, v7
	v_fma_f32 v3, v68, v6, -v3
	v_add_f32_e32 v2, v2, v3
	v_mul_f32_e32 v3, v71, v9
	;; [unrolled: 3-line block ×15, first 2 shown]
	v_fma_f32 v3, v96, v50, -v3
	v_mul_f32_e32 v113, v98, v53
	v_add_f32_e32 v26, v2, v3
	v_mul_f32_e32 v2, v99, v53
	s_waitcnt vmcnt(5)
	v_mov_b32_e32 v14, v57
	s_waitcnt lgkmcnt(1)
	v_mul_f32_e32 v115, v104, v55
	v_fmac_f32_e32 v113, v99, v52
	v_fma_f32 v112, v98, v52, -v2
	v_mul_f32_e32 v2, v105, v55
	v_pk_mul_f32 v[14:15], v[106:107], v[14:15] op_sel:[1,0] op_sel_hi:[0,0]
	v_fmac_f32_e32 v115, v105, v54
	v_fma_f32 v114, v104, v54, -v2
	v_pk_add_f32 v[12:13], v[26:27], v[112:113]
	v_pk_fma_f32 v[16:17], v[106:107], v[56:57], v[14:15] neg_lo:[0,0,1] neg_hi:[0,0,1]
	v_pk_fma_f32 v[14:15], v[106:107], v[56:57], v[14:15] op_sel_hi:[1,0,1]
	v_pk_add_f32 v[12:13], v[12:13], v[114:115]
	v_mov_b32_e32 v17, v15
	s_waitcnt vmcnt(4) lgkmcnt(0)
	v_pk_mul_f32 v[14:15], v[108:109], v[46:47] op_sel:[1,1] op_sel_hi:[0,1]
	v_pk_add_f32 v[12:13], v[12:13], v[16:17]
	v_pk_fma_f32 v[16:17], v[108:109], v[46:47], v[14:15] neg_lo:[0,0,1] neg_hi:[0,0,1]
	v_pk_fma_f32 v[14:15], v[108:109], v[46:47], v[14:15] op_sel_hi:[1,0,1]
	ds_read_b128 v[2:5], v102 offset:848
	ds_read_b128 v[6:9], v102 offset:864
	ds_read_b64 v[10:11], v102 offset:880
	v_mov_b32_e32 v14, v49
	v_mov_b32_e32 v17, v15
	v_pk_mul_f32 v[14:15], v[110:111], v[14:15] op_sel:[1,0] op_sel_hi:[0,0]
	v_pk_add_f32 v[12:13], v[12:13], v[16:17]
	v_pk_fma_f32 v[16:17], v[110:111], v[48:49], v[14:15] neg_lo:[0,0,1] neg_hi:[0,0,1]
	v_pk_fma_f32 v[14:15], v[110:111], v[48:49], v[14:15] op_sel_hi:[1,0,1]
	s_nop 0
	v_mov_b32_e32 v17, v15
	s_waitcnt vmcnt(3) lgkmcnt(2)
	v_pk_mul_f32 v[14:15], v[2:3], v[34:35] op_sel:[1,1] op_sel_hi:[0,1]
	v_pk_add_f32 v[12:13], v[12:13], v[16:17]
	v_pk_fma_f32 v[16:17], v[2:3], v[34:35], v[14:15] neg_lo:[0,0,1] neg_hi:[0,0,1]
	v_pk_fma_f32 v[2:3], v[2:3], v[34:35], v[14:15] op_sel_hi:[1,0,1]
	s_nop 0
	v_mov_b32_e32 v17, v3
	v_pk_add_f32 v[2:3], v[12:13], v[16:17]
	v_mov_b32_e32 v12, v37
	v_pk_mul_f32 v[12:13], v[4:5], v[12:13] op_sel:[1,0] op_sel_hi:[0,0]
	v_pk_fma_f32 v[14:15], v[4:5], v[36:37], v[12:13] neg_lo:[0,0,1] neg_hi:[0,0,1]
	v_pk_fma_f32 v[4:5], v[4:5], v[36:37], v[12:13] op_sel_hi:[1,0,1]
	s_nop 0
	v_mov_b32_e32 v15, v5
	s_waitcnt vmcnt(2) lgkmcnt(1)
	v_pk_mul_f32 v[4:5], v[6:7], v[18:19] op_sel:[1,1] op_sel_hi:[0,1]
	v_pk_fma_f32 v[12:13], v[6:7], v[18:19], v[4:5] neg_lo:[0,0,1] neg_hi:[0,0,1]
	v_pk_fma_f32 v[4:5], v[6:7], v[18:19], v[4:5] op_sel_hi:[1,0,1]
	v_pk_add_f32 v[2:3], v[2:3], v[14:15]
	v_mov_b32_e32 v4, v21
	v_mov_b32_e32 v13, v5
	v_pk_mul_f32 v[4:5], v[8:9], v[4:5] op_sel:[1,0] op_sel_hi:[0,0]
	v_pk_fma_f32 v[6:7], v[8:9], v[20:21], v[4:5] neg_lo:[0,0,1] neg_hi:[0,0,1]
	v_pk_fma_f32 v[4:5], v[8:9], v[20:21], v[4:5] op_sel_hi:[1,0,1]
	v_pk_add_f32 v[2:3], v[2:3], v[12:13]
	v_mov_b32_e32 v7, v5
	s_waitcnt vmcnt(1) lgkmcnt(0)
	v_pk_mul_f32 v[4:5], v[10:11], v[58:59] op_sel:[1,1] op_sel_hi:[0,1]
	v_pk_add_f32 v[2:3], v[2:3], v[6:7]
	v_pk_fma_f32 v[6:7], v[10:11], v[58:59], v[4:5] neg_lo:[0,0,1] neg_hi:[0,0,1]
	v_pk_fma_f32 v[4:5], v[10:11], v[58:59], v[4:5] op_sel_hi:[1,0,1]
	s_nop 0
	v_mov_b32_e32 v7, v5
	v_pk_add_f32 v[2:3], v[2:3], v[6:7]
	s_waitcnt vmcnt(0)
	v_pk_add_f32 v[2:3], v[100:101], v[2:3] neg_lo:[0,1] neg_hi:[0,1]
	scratch_store_dwordx2 off, v[2:3], off offset:200
	s_and_saveexec_b64 s[0:1], vcc
	s_cbranch_execz .LBB54_295
; %bb.294:
	scratch_load_dwordx2 v[2:3], off, off offset:192
	v_mov_b32_e32 v103, v102
	scratch_store_dwordx2 off, v[102:103], off offset:192
	s_waitcnt vmcnt(1)
	ds_write_b64 v1, v[2:3]
.LBB54_295:
	s_or_b64 exec, exec, s[0:1]
	s_waitcnt lgkmcnt(0)
	; wave barrier
	scratch_load_dwordx4 v[18:21], off, off offset:200
	scratch_load_dwordx4 v[2:5], off, off offset:216
	;; [unrolled: 1-line block ×11, first 2 shown]
	ds_read2_b64 v[104:107], v102 offset0:81 offset1:82
	ds_read2_b64 v[98:101], v102 offset0:83 offset1:84
	ds_read2_b64 v[94:97], v102 offset0:85 offset1:86
	ds_read2_b64 v[90:93], v102 offset0:87 offset1:88
	ds_read2_b64 v[86:89], v102 offset0:89 offset1:90
	ds_read2_b64 v[82:85], v102 offset0:91 offset1:92
	ds_read2_b64 v[74:77], v102 offset0:93 offset1:94
	ds_read2_b64 v[70:73], v102 offset0:95 offset1:96
	ds_read2_b64 v[66:69], v102 offset0:97 offset1:98
	ds_read2_b64 v[62:65], v102 offset0:99 offset1:100
	scratch_load_dwordx4 v[58:61], off, off offset:376
	scratch_load_dwordx4 v[50:53], off, off offset:392
	;; [unrolled: 1-line block ×4, first 2 shown]
	ds_read2_b64 v[78:81], v102 offset0:101 offset1:102
	ds_read2_b64 v[108:111], v102 offset0:103 offset1:104
	scratch_load_dwordx2 v[112:113], off, off offset:192
	v_cmp_lt_u32_e32 vcc, 23, v0
	s_waitcnt vmcnt(15) lgkmcnt(11)
	v_mul_f32_e32 v103, v104, v19
	v_mul_f32_e32 v114, v106, v21
	s_waitcnt vmcnt(14) lgkmcnt(10)
	v_mul_f32_e32 v116, v98, v3
	v_mul_f32_e32 v3, v99, v3
	v_fmac_f32_e32 v103, v105, v18
	v_fmac_f32_e32 v114, v107, v20
	v_fmac_f32_e32 v116, v99, v2
	v_fma_f32 v2, v98, v2, -v3
	v_add_f32_e32 v3, 0, v103
	v_mul_f32_e32 v118, v100, v5
	v_add_f32_e32 v3, v3, v114
	s_waitcnt vmcnt(13) lgkmcnt(9)
	v_mul_f32_e32 v119, v94, v7
	v_fmac_f32_e32 v118, v101, v4
	v_add_f32_e32 v3, v3, v116
	v_mul_f32_e32 v120, v96, v9
	v_fmac_f32_e32 v119, v95, v6
	v_add_f32_e32 v3, v3, v118
	s_waitcnt vmcnt(12) lgkmcnt(8)
	v_mul_f32_e32 v121, v90, v11
	v_fmac_f32_e32 v120, v97, v8
	v_add_f32_e32 v3, v3, v119
	v_mul_f32_e32 v122, v92, v13
	v_fmac_f32_e32 v121, v91, v10
	;; [unrolled: 7-line block ×7, first 2 shown]
	v_add_f32_e32 v3, v3, v130
	s_waitcnt vmcnt(6) lgkmcnt(2)
	v_mul_f32_e32 v133, v62, v47
	v_mul_f32_e32 v19, v105, v19
	v_fmac_f32_e32 v132, v69, v44
	v_add_f32_e32 v3, v3, v131
	v_mul_f32_e32 v134, v64, v49
	v_mul_f32_e32 v21, v107, v21
	v_fmac_f32_e32 v133, v63, v46
	v_fma_f32 v18, v104, v18, -v19
	v_add_f32_e32 v3, v3, v132
	v_fmac_f32_e32 v134, v65, v48
	v_fma_f32 v19, v106, v20, -v21
	v_add_f32_e32 v18, 0, v18
	v_add_f32_e32 v3, v3, v133
	;; [unrolled: 1-line block ×4, first 2 shown]
	v_mul_f32_e32 v3, v101, v5
	v_add_f32_e32 v2, v18, v2
	v_fma_f32 v3, v100, v4, -v3
	v_add_f32_e32 v2, v2, v3
	v_mul_f32_e32 v3, v95, v7
	v_fma_f32 v3, v94, v6, -v3
	v_add_f32_e32 v2, v2, v3
	v_mul_f32_e32 v3, v97, v9
	;; [unrolled: 3-line block ×16, first 2 shown]
	v_fma_f32 v3, v64, v48, -v3
	s_waitcnt vmcnt(5) lgkmcnt(1)
	v_mul_f32_e32 v115, v78, v55
	v_add_f32_e32 v18, v2, v3
	v_mul_f32_e32 v2, v79, v55
	v_fmac_f32_e32 v115, v79, v54
	v_fma_f32 v114, v78, v54, -v2
	s_waitcnt vmcnt(4) lgkmcnt(0)
	v_pk_mul_f32 v[16:17], v[108:109], v[58:59] op_sel:[1,1] op_sel_hi:[0,1]
	v_mul_f32_e32 v117, v80, v57
	v_mul_f32_e32 v2, v81, v57
	v_pk_add_f32 v[14:15], v[18:19], v[114:115]
	v_pk_fma_f32 v[18:19], v[108:109], v[58:59], v[16:17] neg_lo:[0,0,1] neg_hi:[0,0,1]
	v_pk_fma_f32 v[16:17], v[108:109], v[58:59], v[16:17] op_sel_hi:[1,0,1]
	v_fmac_f32_e32 v117, v81, v56
	v_fma_f32 v116, v80, v56, -v2
	ds_read2_b64 v[2:5], v102 offset0:105 offset1:106
	ds_read2_b64 v[6:9], v102 offset0:107 offset1:108
	;; [unrolled: 1-line block ×3, first 2 shown]
	v_mov_b32_e32 v16, v61
	v_pk_add_f32 v[14:15], v[14:15], v[116:117]
	v_mov_b32_e32 v19, v17
	v_pk_mul_f32 v[16:17], v[110:111], v[16:17] op_sel:[1,0] op_sel_hi:[0,0]
	v_pk_add_f32 v[14:15], v[14:15], v[18:19]
	v_pk_fma_f32 v[18:19], v[110:111], v[60:61], v[16:17] neg_lo:[0,0,1] neg_hi:[0,0,1]
	v_pk_fma_f32 v[16:17], v[110:111], v[60:61], v[16:17] op_sel_hi:[1,0,1]
	s_nop 0
	v_mov_b32_e32 v19, v17
	s_waitcnt vmcnt(3) lgkmcnt(2)
	v_pk_mul_f32 v[16:17], v[2:3], v[50:51] op_sel:[1,1] op_sel_hi:[0,1]
	v_pk_add_f32 v[14:15], v[14:15], v[18:19]
	v_pk_fma_f32 v[18:19], v[2:3], v[50:51], v[16:17] neg_lo:[0,0,1] neg_hi:[0,0,1]
	v_pk_fma_f32 v[2:3], v[2:3], v[50:51], v[16:17] op_sel_hi:[1,0,1]
	s_nop 0
	v_mov_b32_e32 v19, v3
	v_pk_add_f32 v[2:3], v[14:15], v[18:19]
	v_mov_b32_e32 v14, v53
	v_pk_mul_f32 v[14:15], v[4:5], v[14:15] op_sel:[1,0] op_sel_hi:[0,0]
	v_pk_fma_f32 v[16:17], v[4:5], v[52:53], v[14:15] neg_lo:[0,0,1] neg_hi:[0,0,1]
	v_pk_fma_f32 v[4:5], v[4:5], v[52:53], v[14:15] op_sel_hi:[1,0,1]
	s_nop 0
	v_mov_b32_e32 v17, v5
	s_waitcnt vmcnt(2) lgkmcnt(1)
	v_pk_mul_f32 v[4:5], v[6:7], v[38:39] op_sel:[1,1] op_sel_hi:[0,1]
	v_pk_fma_f32 v[14:15], v[6:7], v[38:39], v[4:5] neg_lo:[0,0,1] neg_hi:[0,0,1]
	v_pk_fma_f32 v[4:5], v[6:7], v[38:39], v[4:5] op_sel_hi:[1,0,1]
	v_pk_add_f32 v[2:3], v[2:3], v[16:17]
	v_mov_b32_e32 v4, v41
	v_mov_b32_e32 v15, v5
	v_pk_mul_f32 v[4:5], v[8:9], v[4:5] op_sel:[1,0] op_sel_hi:[0,0]
	v_pk_fma_f32 v[6:7], v[8:9], v[40:41], v[4:5] neg_lo:[0,0,1] neg_hi:[0,0,1]
	v_pk_fma_f32 v[4:5], v[8:9], v[40:41], v[4:5] op_sel_hi:[1,0,1]
	v_pk_add_f32 v[2:3], v[2:3], v[14:15]
	v_mov_b32_e32 v7, v5
	s_waitcnt vmcnt(1) lgkmcnt(0)
	v_pk_mul_f32 v[4:5], v[10:11], v[26:27] op_sel:[1,1] op_sel_hi:[0,1]
	v_pk_add_f32 v[2:3], v[2:3], v[6:7]
	v_pk_fma_f32 v[6:7], v[10:11], v[26:27], v[4:5] neg_lo:[0,0,1] neg_hi:[0,0,1]
	v_pk_fma_f32 v[4:5], v[10:11], v[26:27], v[4:5] op_sel_hi:[1,0,1]
	s_nop 0
	v_mov_b32_e32 v4, v29
	v_mov_b32_e32 v7, v5
	v_pk_mul_f32 v[4:5], v[12:13], v[4:5] op_sel:[1,0] op_sel_hi:[0,0]
	v_pk_add_f32 v[2:3], v[2:3], v[6:7]
	v_pk_fma_f32 v[6:7], v[12:13], v[28:29], v[4:5] neg_lo:[0,0,1] neg_hi:[0,0,1]
	v_pk_fma_f32 v[4:5], v[12:13], v[28:29], v[4:5] op_sel_hi:[1,0,1]
	s_nop 0
	v_mov_b32_e32 v7, v5
	v_pk_add_f32 v[2:3], v[2:3], v[6:7]
	s_waitcnt vmcnt(0)
	v_pk_add_f32 v[2:3], v[112:113], v[2:3] neg_lo:[0,1] neg_hi:[0,1]
	scratch_store_dwordx2 off, v[2:3], off offset:192
	s_and_saveexec_b64 s[0:1], vcc
	s_cbranch_execz .LBB54_297
; %bb.296:
	scratch_load_dwordx2 v[2:3], off, off offset:184
	v_mov_b32_e32 v4, 0
	v_mov_b32_e32 v5, v4
	scratch_store_dwordx2 off, v[4:5], off offset:184
	s_waitcnt vmcnt(1)
	ds_write_b64 v1, v[2:3]
.LBB54_297:
	s_or_b64 exec, exec, s[0:1]
	s_waitcnt lgkmcnt(0)
	; wave barrier
	scratch_load_dwordx4 v[2:5], off, off offset:192
	scratch_load_dwordx4 v[6:9], off, off offset:208
	;; [unrolled: 1-line block ×15, first 2 shown]
	scratch_load_dwordx2 v[62:63], off, off offset:432
	scratch_load_dwordx2 v[112:113], off, off offset:184
	v_mov_b32_e32 v114, 0
	ds_read_b128 v[64:67], v114 offset:640
	ds_read_b128 v[68:71], v114 offset:656
	;; [unrolled: 1-line block ×12, first 2 shown]
	v_cmp_lt_u32_e32 vcc, 22, v0
	s_waitcnt vmcnt(16) lgkmcnt(11)
	v_mul_f32_e32 v115, v64, v3
	v_mul_f32_e32 v116, v66, v5
	;; [unrolled: 1-line block ×3, first 2 shown]
	v_fmac_f32_e32 v115, v65, v2
	s_waitcnt vmcnt(15) lgkmcnt(10)
	v_mul_f32_e32 v118, v68, v7
	v_fmac_f32_e32 v116, v67, v4
	v_fma_f32 v2, v64, v2, -v3
	v_add_f32_e32 v3, 0, v115
	v_mul_f32_e32 v120, v70, v9
	v_fmac_f32_e32 v118, v69, v6
	v_add_f32_e32 v3, v3, v116
	s_waitcnt vmcnt(14) lgkmcnt(9)
	v_mul_f32_e32 v121, v72, v11
	v_fmac_f32_e32 v120, v71, v8
	v_add_f32_e32 v3, v3, v118
	v_mul_f32_e32 v122, v74, v13
	v_fmac_f32_e32 v121, v73, v10
	v_add_f32_e32 v3, v3, v120
	s_waitcnt vmcnt(13) lgkmcnt(8)
	v_mul_f32_e32 v123, v76, v15
	v_fmac_f32_e32 v122, v75, v12
	v_add_f32_e32 v3, v3, v121
	v_mul_f32_e32 v124, v78, v17
	v_fmac_f32_e32 v123, v77, v14
	v_add_f32_e32 v3, v3, v122
	s_waitcnt vmcnt(12) lgkmcnt(7)
	v_mul_f32_e32 v125, v80, v19
	v_fmac_f32_e32 v124, v79, v16
	v_add_f32_e32 v3, v3, v123
	v_mul_f32_e32 v126, v82, v21
	v_fmac_f32_e32 v125, v81, v18
	v_add_f32_e32 v3, v3, v124
	s_waitcnt vmcnt(11) lgkmcnt(6)
	v_mul_f32_e32 v127, v84, v23
	v_fmac_f32_e32 v126, v83, v20
	v_add_f32_e32 v3, v3, v125
	v_mul_f32_e32 v128, v86, v25
	v_fmac_f32_e32 v127, v85, v22
	v_add_f32_e32 v3, v3, v126
	s_waitcnt vmcnt(10) lgkmcnt(5)
	v_mul_f32_e32 v129, v88, v31
	v_fmac_f32_e32 v128, v87, v24
	v_add_f32_e32 v3, v3, v127
	v_mul_f32_e32 v130, v90, v33
	v_fmac_f32_e32 v129, v89, v30
	v_add_f32_e32 v3, v3, v128
	s_waitcnt vmcnt(9) lgkmcnt(4)
	v_mul_f32_e32 v131, v92, v35
	v_fmac_f32_e32 v130, v91, v32
	v_add_f32_e32 v3, v3, v129
	v_mul_f32_e32 v132, v94, v37
	v_fmac_f32_e32 v131, v93, v34
	v_add_f32_e32 v3, v3, v130
	s_waitcnt vmcnt(8) lgkmcnt(3)
	v_mul_f32_e32 v133, v96, v43
	v_fmac_f32_e32 v132, v95, v36
	v_add_f32_e32 v3, v3, v131
	v_mul_f32_e32 v134, v98, v45
	v_fmac_f32_e32 v133, v97, v42
	v_add_f32_e32 v3, v3, v132
	s_waitcnt vmcnt(7) lgkmcnt(2)
	v_mul_f32_e32 v135, v100, v47
	v_fmac_f32_e32 v134, v99, v44
	v_add_f32_e32 v3, v3, v133
	v_mul_f32_e32 v136, v102, v49
	v_fmac_f32_e32 v135, v101, v46
	v_add_f32_e32 v3, v3, v134
	s_waitcnt vmcnt(6) lgkmcnt(1)
	v_mul_f32_e32 v137, v104, v59
	v_fmac_f32_e32 v136, v103, v48
	v_add_f32_e32 v3, v3, v135
	v_mul_f32_e32 v5, v67, v5
	v_fmac_f32_e32 v137, v105, v58
	v_add_f32_e32 v3, v3, v136
	v_add_f32_e32 v2, 0, v2
	;; [unrolled: 1-line block ×3, first 2 shown]
	v_fma_f32 v3, v66, v4, -v5
	v_add_f32_e32 v2, v2, v3
	v_mul_f32_e32 v3, v69, v7
	v_fma_f32 v3, v68, v6, -v3
	v_add_f32_e32 v2, v2, v3
	v_mul_f32_e32 v3, v71, v9
	;; [unrolled: 3-line block ×20, first 2 shown]
	v_mul_f32_e32 v117, v106, v61
	v_fma_f32 v116, v106, v60, -v2
	s_waitcnt vmcnt(5) lgkmcnt(0)
	v_mul_f32_e32 v2, v109, v55
	v_mov_b32_e32 v18, v57
	v_mul_f32_e32 v119, v108, v55
	v_fmac_f32_e32 v117, v107, v60
	v_fma_f32 v118, v108, v54, -v2
	ds_read_b128 v[2:5], v114 offset:832
	ds_read_b128 v[6:9], v114 offset:848
	;; [unrolled: 1-line block ×3, first 2 shown]
	ds_read_b64 v[14:15], v114 offset:880
	v_pk_mul_f32 v[18:19], v[110:111], v[18:19] op_sel:[1,0] op_sel_hi:[0,0]
	v_fmac_f32_e32 v119, v109, v54
	v_pk_add_f32 v[16:17], v[64:65], v[116:117]
	v_pk_fma_f32 v[20:21], v[110:111], v[56:57], v[18:19] neg_lo:[0,0,1] neg_hi:[0,0,1]
	v_pk_fma_f32 v[18:19], v[110:111], v[56:57], v[18:19] op_sel_hi:[1,0,1]
	v_pk_add_f32 v[16:17], v[16:17], v[118:119]
	v_mov_b32_e32 v21, v19
	s_waitcnt vmcnt(4) lgkmcnt(3)
	v_pk_mul_f32 v[18:19], v[2:3], v[50:51] op_sel:[1,1] op_sel_hi:[0,1]
	v_pk_add_f32 v[16:17], v[16:17], v[20:21]
	v_pk_fma_f32 v[20:21], v[2:3], v[50:51], v[18:19] neg_lo:[0,0,1] neg_hi:[0,0,1]
	v_pk_fma_f32 v[2:3], v[2:3], v[50:51], v[18:19] op_sel_hi:[1,0,1]
	s_nop 0
	v_mov_b32_e32 v21, v3
	v_pk_add_f32 v[2:3], v[16:17], v[20:21]
	v_mov_b32_e32 v16, v53
	v_pk_mul_f32 v[16:17], v[4:5], v[16:17] op_sel:[1,0] op_sel_hi:[0,0]
	v_pk_fma_f32 v[18:19], v[4:5], v[52:53], v[16:17] neg_lo:[0,0,1] neg_hi:[0,0,1]
	v_pk_fma_f32 v[4:5], v[4:5], v[52:53], v[16:17] op_sel_hi:[1,0,1]
	s_nop 0
	v_mov_b32_e32 v19, v5
	s_waitcnt vmcnt(3) lgkmcnt(2)
	v_pk_mul_f32 v[4:5], v[6:7], v[38:39] op_sel:[1,1] op_sel_hi:[0,1]
	v_pk_fma_f32 v[16:17], v[6:7], v[38:39], v[4:5] neg_lo:[0,0,1] neg_hi:[0,0,1]
	v_pk_fma_f32 v[4:5], v[6:7], v[38:39], v[4:5] op_sel_hi:[1,0,1]
	v_pk_add_f32 v[2:3], v[2:3], v[18:19]
	v_mov_b32_e32 v4, v41
	v_mov_b32_e32 v17, v5
	v_pk_mul_f32 v[4:5], v[8:9], v[4:5] op_sel:[1,0] op_sel_hi:[0,0]
	v_pk_fma_f32 v[6:7], v[8:9], v[40:41], v[4:5] neg_lo:[0,0,1] neg_hi:[0,0,1]
	v_pk_fma_f32 v[4:5], v[8:9], v[40:41], v[4:5] op_sel_hi:[1,0,1]
	v_pk_add_f32 v[2:3], v[2:3], v[16:17]
	v_mov_b32_e32 v7, v5
	s_waitcnt vmcnt(2) lgkmcnt(1)
	v_pk_mul_f32 v[4:5], v[10:11], v[26:27] op_sel:[1,1] op_sel_hi:[0,1]
	v_pk_add_f32 v[2:3], v[2:3], v[6:7]
	v_pk_fma_f32 v[6:7], v[10:11], v[26:27], v[4:5] neg_lo:[0,0,1] neg_hi:[0,0,1]
	v_pk_fma_f32 v[4:5], v[10:11], v[26:27], v[4:5] op_sel_hi:[1,0,1]
	s_nop 0
	v_mov_b32_e32 v4, v29
	v_mov_b32_e32 v7, v5
	v_pk_mul_f32 v[4:5], v[12:13], v[4:5] op_sel:[1,0] op_sel_hi:[0,0]
	v_pk_add_f32 v[2:3], v[2:3], v[6:7]
	v_pk_fma_f32 v[6:7], v[12:13], v[28:29], v[4:5] neg_lo:[0,0,1] neg_hi:[0,0,1]
	v_pk_fma_f32 v[4:5], v[12:13], v[28:29], v[4:5] op_sel_hi:[1,0,1]
	s_nop 0
	v_mov_b32_e32 v7, v5
	s_waitcnt vmcnt(1) lgkmcnt(0)
	v_pk_mul_f32 v[4:5], v[14:15], v[62:63] op_sel:[1,1] op_sel_hi:[0,1]
	v_pk_add_f32 v[2:3], v[2:3], v[6:7]
	v_pk_fma_f32 v[6:7], v[14:15], v[62:63], v[4:5] neg_lo:[0,0,1] neg_hi:[0,0,1]
	v_pk_fma_f32 v[4:5], v[14:15], v[62:63], v[4:5] op_sel_hi:[1,0,1]
	s_nop 0
	v_mov_b32_e32 v7, v5
	v_pk_add_f32 v[2:3], v[2:3], v[6:7]
	s_waitcnt vmcnt(0)
	v_pk_add_f32 v[2:3], v[112:113], v[2:3] neg_lo:[0,1] neg_hi:[0,1]
	scratch_store_dwordx2 off, v[2:3], off offset:184
	s_and_saveexec_b64 s[0:1], vcc
	s_cbranch_execz .LBB54_299
; %bb.298:
	scratch_load_dwordx2 v[2:3], off, off offset:176
	v_mov_b32_e32 v115, v114
	scratch_store_dwordx2 off, v[114:115], off offset:176
	s_waitcnt vmcnt(1)
	ds_write_b64 v1, v[2:3]
.LBB54_299:
	s_or_b64 exec, exec, s[0:1]
	s_waitcnt lgkmcnt(0)
	; wave barrier
	scratch_load_dwordx4 v[2:5], off, off offset:184
	scratch_load_dwordx4 v[6:9], off, off offset:200
	;; [unrolled: 1-line block ×12, first 2 shown]
	ds_read2_b64 v[110:113], v114 offset0:79 offset1:80
	ds_read2_b64 v[106:109], v114 offset0:81 offset1:82
	;; [unrolled: 1-line block ×12, first 2 shown]
	scratch_load_dwordx4 v[62:65], off, off offset:376
	scratch_load_dwordx4 v[54:57], off, off offset:392
	;; [unrolled: 1-line block ×4, first 2 shown]
	scratch_load_dwordx2 v[116:117], off, off offset:176
	v_cmp_lt_u32_e32 vcc, 21, v0
	s_waitcnt vmcnt(16) lgkmcnt(11)
	v_mul_f32_e32 v115, v110, v3
	v_mul_f32_e32 v118, v112, v5
	;; [unrolled: 1-line block ×3, first 2 shown]
	v_fmac_f32_e32 v115, v111, v2
	s_waitcnt vmcnt(15) lgkmcnt(10)
	v_mul_f32_e32 v120, v106, v7
	v_fmac_f32_e32 v118, v113, v4
	v_fma_f32 v2, v110, v2, -v3
	v_add_f32_e32 v3, 0, v115
	v_mul_f32_e32 v122, v108, v9
	v_fmac_f32_e32 v120, v107, v6
	v_add_f32_e32 v3, v3, v118
	s_waitcnt vmcnt(14) lgkmcnt(9)
	v_mul_f32_e32 v123, v102, v11
	v_fmac_f32_e32 v122, v109, v8
	v_add_f32_e32 v3, v3, v120
	v_mul_f32_e32 v124, v104, v13
	v_fmac_f32_e32 v123, v103, v10
	v_add_f32_e32 v3, v3, v122
	s_waitcnt vmcnt(13) lgkmcnt(8)
	v_mul_f32_e32 v125, v98, v15
	v_fmac_f32_e32 v124, v105, v12
	;; [unrolled: 7-line block ×9, first 2 shown]
	v_add_f32_e32 v3, v3, v137
	v_mul_f32_e32 v140, v72, v53
	v_fmac_f32_e32 v139, v71, v50
	v_add_f32_e32 v3, v3, v138
	v_fmac_f32_e32 v140, v73, v52
	v_add_f32_e32 v3, v3, v139
	v_add_f32_e32 v111, v3, v140
	v_mul_f32_e32 v3, v113, v5
	v_add_f32_e32 v2, 0, v2
	v_fma_f32 v3, v112, v4, -v3
	v_add_f32_e32 v2, v2, v3
	v_mul_f32_e32 v3, v107, v7
	v_fma_f32 v3, v106, v6, -v3
	v_add_f32_e32 v2, v2, v3
	v_mul_f32_e32 v3, v109, v9
	;; [unrolled: 3-line block ×20, first 2 shown]
	v_fma_f32 v3, v72, v52, -v3
	v_add_f32_e32 v110, v2, v3
	s_waitcnt vmcnt(5) lgkmcnt(0)
	v_mul_f32_e32 v2, v67, v59
	v_fma_f32 v118, v66, v58, -v2
	v_mul_f32_e32 v2, v69, v61
	v_fma_f32 v120, v68, v60, -v2
	ds_read2_b64 v[2:5], v114 offset0:103 offset1:104
	ds_read2_b64 v[6:9], v114 offset0:105 offset1:106
	;; [unrolled: 1-line block ×4, first 2 shown]
	v_mul_f32_e32 v119, v66, v59
	v_mul_f32_e32 v121, v68, v61
	v_fmac_f32_e32 v119, v67, v58
	s_waitcnt vmcnt(4) lgkmcnt(3)
	v_pk_mul_f32 v[20:21], v[2:3], v[62:63] op_sel:[1,1] op_sel_hi:[0,1]
	v_fmac_f32_e32 v121, v69, v60
	v_pk_add_f32 v[18:19], v[110:111], v[118:119]
	v_pk_fma_f32 v[22:23], v[2:3], v[62:63], v[20:21] neg_lo:[0,0,1] neg_hi:[0,0,1]
	v_pk_fma_f32 v[2:3], v[2:3], v[62:63], v[20:21] op_sel_hi:[1,0,1]
	v_pk_add_f32 v[18:19], v[18:19], v[120:121]
	v_mov_b32_e32 v23, v3
	v_pk_add_f32 v[2:3], v[18:19], v[22:23]
	v_mov_b32_e32 v18, v65
	v_pk_mul_f32 v[18:19], v[4:5], v[18:19] op_sel:[1,0] op_sel_hi:[0,0]
	v_pk_fma_f32 v[20:21], v[4:5], v[64:65], v[18:19] neg_lo:[0,0,1] neg_hi:[0,0,1]
	v_pk_fma_f32 v[4:5], v[4:5], v[64:65], v[18:19] op_sel_hi:[1,0,1]
	s_nop 0
	v_mov_b32_e32 v21, v5
	s_waitcnt vmcnt(3) lgkmcnt(2)
	v_pk_mul_f32 v[4:5], v[6:7], v[54:55] op_sel:[1,1] op_sel_hi:[0,1]
	v_pk_fma_f32 v[18:19], v[6:7], v[54:55], v[4:5] neg_lo:[0,0,1] neg_hi:[0,0,1]
	v_pk_fma_f32 v[4:5], v[6:7], v[54:55], v[4:5] op_sel_hi:[1,0,1]
	v_pk_add_f32 v[2:3], v[2:3], v[20:21]
	v_mov_b32_e32 v4, v57
	v_mov_b32_e32 v19, v5
	v_pk_mul_f32 v[4:5], v[8:9], v[4:5] op_sel:[1,0] op_sel_hi:[0,0]
	v_pk_fma_f32 v[6:7], v[8:9], v[56:57], v[4:5] neg_lo:[0,0,1] neg_hi:[0,0,1]
	v_pk_fma_f32 v[4:5], v[8:9], v[56:57], v[4:5] op_sel_hi:[1,0,1]
	v_pk_add_f32 v[2:3], v[2:3], v[18:19]
	v_mov_b32_e32 v7, v5
	s_waitcnt vmcnt(2) lgkmcnt(1)
	v_pk_mul_f32 v[4:5], v[10:11], v[42:43] op_sel:[1,1] op_sel_hi:[0,1]
	v_pk_add_f32 v[2:3], v[2:3], v[6:7]
	v_pk_fma_f32 v[6:7], v[10:11], v[42:43], v[4:5] neg_lo:[0,0,1] neg_hi:[0,0,1]
	v_pk_fma_f32 v[4:5], v[10:11], v[42:43], v[4:5] op_sel_hi:[1,0,1]
	s_nop 0
	v_mov_b32_e32 v4, v45
	v_mov_b32_e32 v7, v5
	v_pk_mul_f32 v[4:5], v[12:13], v[4:5] op_sel:[1,0] op_sel_hi:[0,0]
	v_pk_add_f32 v[2:3], v[2:3], v[6:7]
	v_pk_fma_f32 v[6:7], v[12:13], v[44:45], v[4:5] neg_lo:[0,0,1] neg_hi:[0,0,1]
	v_pk_fma_f32 v[4:5], v[12:13], v[44:45], v[4:5] op_sel_hi:[1,0,1]
	s_nop 0
	v_mov_b32_e32 v7, v5
	s_waitcnt vmcnt(1) lgkmcnt(0)
	v_pk_mul_f32 v[4:5], v[14:15], v[34:35] op_sel:[1,1] op_sel_hi:[0,1]
	v_pk_add_f32 v[2:3], v[2:3], v[6:7]
	v_pk_fma_f32 v[6:7], v[14:15], v[34:35], v[4:5] neg_lo:[0,0,1] neg_hi:[0,0,1]
	v_pk_fma_f32 v[4:5], v[14:15], v[34:35], v[4:5] op_sel_hi:[1,0,1]
	s_nop 0
	v_mov_b32_e32 v4, v37
	v_mov_b32_e32 v7, v5
	v_pk_mul_f32 v[4:5], v[16:17], v[4:5] op_sel:[1,0] op_sel_hi:[0,0]
	v_pk_add_f32 v[2:3], v[2:3], v[6:7]
	v_pk_fma_f32 v[6:7], v[16:17], v[36:37], v[4:5] neg_lo:[0,0,1] neg_hi:[0,0,1]
	v_pk_fma_f32 v[4:5], v[16:17], v[36:37], v[4:5] op_sel_hi:[1,0,1]
	s_nop 0
	v_mov_b32_e32 v7, v5
	v_pk_add_f32 v[2:3], v[2:3], v[6:7]
	s_waitcnt vmcnt(0)
	v_pk_add_f32 v[2:3], v[116:117], v[2:3] neg_lo:[0,1] neg_hi:[0,1]
	scratch_store_dwordx2 off, v[2:3], off offset:176
	s_and_saveexec_b64 s[0:1], vcc
	s_cbranch_execz .LBB54_301
; %bb.300:
	scratch_load_dwordx2 v[2:3], off, off offset:168
	v_mov_b32_e32 v4, 0
	v_mov_b32_e32 v5, v4
	scratch_store_dwordx2 off, v[4:5], off offset:168
	s_waitcnt vmcnt(1)
	ds_write_b64 v1, v[2:3]
.LBB54_301:
	s_or_b64 exec, exec, s[0:1]
	s_waitcnt lgkmcnt(0)
	; wave barrier
	scratch_load_dwordx4 v[2:5], off, off offset:176
	scratch_load_dwordx4 v[6:9], off, off offset:192
	;; [unrolled: 1-line block ×13, first 2 shown]
	v_mov_b32_e32 v106, 0
	scratch_load_dwordx2 v[124:125], off, off offset:168
	ds_read_b128 v[54:57], v106 offset:624
	ds_read_b128 v[58:61], v106 offset:640
	;; [unrolled: 1-line block ×14, first 2 shown]
	v_cmp_lt_u32_e32 vcc, 20, v0
	s_waitcnt vmcnt(13) lgkmcnt(13)
	v_mul_f32_e32 v107, v54, v3
	v_mul_f32_e32 v112, v56, v5
	v_fmac_f32_e32 v107, v55, v2
	s_waitcnt vmcnt(12) lgkmcnt(12)
	v_mul_f32_e32 v113, v58, v7
	v_fmac_f32_e32 v112, v57, v4
	v_add_f32_e32 v107, 0, v107
	v_mul_f32_e32 v114, v60, v9
	v_fmac_f32_e32 v113, v59, v6
	v_add_f32_e32 v107, v107, v112
	s_waitcnt vmcnt(11) lgkmcnt(11)
	v_mul_f32_e32 v115, v62, v11
	v_fmac_f32_e32 v114, v61, v8
	v_add_f32_e32 v107, v107, v113
	v_mul_f32_e32 v116, v64, v13
	v_fmac_f32_e32 v115, v63, v10
	v_add_f32_e32 v107, v107, v114
	;; [unrolled: 7-line block ×8, first 2 shown]
	s_waitcnt vmcnt(4) lgkmcnt(4)
	v_mul_f32_e32 v133, v90, v39
	v_fmac_f32_e32 v132, v89, v36
	v_add_f32_e32 v107, v107, v131
	v_fmac_f32_e32 v133, v91, v38
	v_add_f32_e32 v107, v107, v132
	v_add_f32_e32 v107, v107, v133
	scratch_load_dwordx4 v[112:115], off, off offset:384
	scratch_load_dwordx4 v[116:119], off, off offset:400
	;; [unrolled: 1-line block ×3, first 2 shown]
	scratch_load_dwordx2 v[132:133], off, off offset:432
	v_mul_f32_e32 v3, v55, v3
	v_fma_f32 v2, v54, v2, -v3
	v_mul_f32_e32 v3, v57, v5
	v_add_f32_e32 v2, 0, v2
	v_fma_f32 v3, v56, v4, -v3
	v_add_f32_e32 v2, v2, v3
	v_mul_f32_e32 v3, v59, v7
	v_fma_f32 v3, v58, v6, -v3
	v_add_f32_e32 v2, v2, v3
	v_mul_f32_e32 v3, v61, v9
	v_fma_f32 v3, v60, v8, -v3
	v_add_f32_e32 v2, v2, v3
	v_mul_f32_e32 v3, v63, v11
	v_fma_f32 v3, v62, v10, -v3
	v_add_f32_e32 v2, v2, v3
	v_mul_f32_e32 v3, v65, v13
	v_fma_f32 v3, v64, v12, -v3
	v_add_f32_e32 v2, v2, v3
	v_mul_f32_e32 v3, v67, v15
	v_fma_f32 v3, v66, v14, -v3
	v_add_f32_e32 v2, v2, v3
	v_mul_f32_e32 v3, v69, v17
	v_fma_f32 v3, v68, v16, -v3
	v_add_f32_e32 v2, v2, v3
	v_mul_f32_e32 v3, v71, v19
	v_fma_f32 v3, v70, v18, -v3
	v_add_f32_e32 v2, v2, v3
	v_mul_f32_e32 v3, v73, v21
	v_fma_f32 v3, v72, v20, -v3
	v_add_f32_e32 v2, v2, v3
	v_mul_f32_e32 v3, v75, v23
	v_fma_f32 v3, v74, v22, -v3
	v_add_f32_e32 v2, v2, v3
	v_mul_f32_e32 v3, v77, v25
	v_fma_f32 v3, v76, v24, -v3
	v_add_f32_e32 v2, v2, v3
	v_mul_f32_e32 v3, v79, v27
	v_fma_f32 v3, v78, v26, -v3
	v_add_f32_e32 v2, v2, v3
	v_mul_f32_e32 v3, v81, v29
	v_fma_f32 v3, v80, v28, -v3
	v_add_f32_e32 v2, v2, v3
	v_mul_f32_e32 v3, v83, v31
	v_fma_f32 v3, v82, v30, -v3
	v_add_f32_e32 v2, v2, v3
	v_mul_f32_e32 v3, v85, v33
	v_fma_f32 v3, v84, v32, -v3
	v_add_f32_e32 v2, v2, v3
	v_mul_f32_e32 v3, v87, v35
	v_fma_f32 v3, v86, v34, -v3
	v_add_f32_e32 v2, v2, v3
	v_mul_f32_e32 v3, v89, v37
	v_fma_f32 v3, v88, v36, -v3
	v_add_f32_e32 v2, v2, v3
	v_mul_f32_e32 v3, v91, v39
	v_fma_f32 v3, v90, v38, -v3
	v_add_f32_e32 v2, v2, v3
	v_mul_f32_e32 v3, v93, v41
	v_fma_f32 v3, v92, v40, -v3
	v_add_f32_e32 v2, v2, v3
	s_waitcnt vmcnt(7) lgkmcnt(3)
	v_mul_f32_e32 v3, v95, v43
	v_fma_f32 v3, v94, v42, -v3
	v_mul_f32_e32 v134, v92, v41
	v_add_f32_e32 v2, v2, v3
	v_mul_f32_e32 v3, v97, v45
	v_mul_f32_e32 v135, v94, v43
	v_fmac_f32_e32 v134, v93, v40
	v_fma_f32 v3, v96, v44, -v3
	v_mul_f32_e32 v136, v96, v45
	v_fmac_f32_e32 v135, v95, v42
	v_add_f32_e32 v107, v107, v134
	v_add_f32_e32 v2, v2, v3
	s_waitcnt vmcnt(6) lgkmcnt(2)
	v_mul_f32_e32 v3, v99, v47
	v_mul_f32_e32 v137, v98, v47
	v_fmac_f32_e32 v136, v97, v44
	v_add_f32_e32 v107, v107, v135
	v_fma_f32 v3, v98, v46, -v3
	v_mul_f32_e32 v127, v100, v49
	v_fmac_f32_e32 v137, v99, v46
	v_add_f32_e32 v107, v107, v136
	v_add_f32_e32 v130, v2, v3
	v_mul_f32_e32 v2, v101, v49
	s_waitcnt vmcnt(5)
	v_mov_b32_e32 v14, v53
	s_waitcnt lgkmcnt(1)
	v_mul_f32_e32 v129, v102, v51
	v_fmac_f32_e32 v127, v101, v48
	v_add_f32_e32 v131, v107, v137
	v_fma_f32 v126, v100, v48, -v2
	v_mul_f32_e32 v2, v103, v51
	v_pk_mul_f32 v[14:15], v[104:105], v[14:15] op_sel:[1,0] op_sel_hi:[0,0]
	v_fmac_f32_e32 v129, v103, v50
	v_fma_f32 v128, v102, v50, -v2
	v_pk_add_f32 v[12:13], v[130:131], v[126:127]
	v_pk_fma_f32 v[16:17], v[104:105], v[52:53], v[14:15] neg_lo:[0,0,1] neg_hi:[0,0,1]
	v_pk_fma_f32 v[14:15], v[104:105], v[52:53], v[14:15] op_sel_hi:[1,0,1]
	v_pk_add_f32 v[12:13], v[12:13], v[128:129]
	v_mov_b32_e32 v17, v15
	s_waitcnt vmcnt(3) lgkmcnt(0)
	v_pk_mul_f32 v[14:15], v[108:109], v[112:113] op_sel:[1,1] op_sel_hi:[0,1]
	v_pk_add_f32 v[12:13], v[12:13], v[16:17]
	v_pk_fma_f32 v[16:17], v[108:109], v[112:113], v[14:15] neg_lo:[0,0,1] neg_hi:[0,0,1]
	v_pk_fma_f32 v[14:15], v[108:109], v[112:113], v[14:15] op_sel_hi:[1,0,1]
	ds_read_b128 v[2:5], v106 offset:848
	ds_read_b128 v[6:9], v106 offset:864
	ds_read_b64 v[10:11], v106 offset:880
	v_mov_b32_e32 v14, v115
	v_mov_b32_e32 v17, v15
	v_pk_mul_f32 v[14:15], v[110:111], v[14:15] op_sel:[1,0] op_sel_hi:[0,0]
	v_pk_add_f32 v[12:13], v[12:13], v[16:17]
	v_pk_fma_f32 v[16:17], v[110:111], v[114:115], v[14:15] neg_lo:[0,0,1] neg_hi:[0,0,1]
	v_pk_fma_f32 v[14:15], v[110:111], v[114:115], v[14:15] op_sel_hi:[1,0,1]
	s_nop 0
	v_mov_b32_e32 v17, v15
	s_waitcnt vmcnt(2) lgkmcnt(2)
	v_pk_mul_f32 v[14:15], v[2:3], v[116:117] op_sel:[1,1] op_sel_hi:[0,1]
	v_pk_add_f32 v[12:13], v[12:13], v[16:17]
	v_pk_fma_f32 v[16:17], v[2:3], v[116:117], v[14:15] neg_lo:[0,0,1] neg_hi:[0,0,1]
	v_pk_fma_f32 v[2:3], v[2:3], v[116:117], v[14:15] op_sel_hi:[1,0,1]
	s_nop 0
	v_mov_b32_e32 v17, v3
	v_pk_add_f32 v[2:3], v[12:13], v[16:17]
	v_mov_b32_e32 v12, v119
	v_pk_mul_f32 v[12:13], v[4:5], v[12:13] op_sel:[1,0] op_sel_hi:[0,0]
	v_pk_fma_f32 v[14:15], v[4:5], v[118:119], v[12:13] neg_lo:[0,0,1] neg_hi:[0,0,1]
	v_pk_fma_f32 v[4:5], v[4:5], v[118:119], v[12:13] op_sel_hi:[1,0,1]
	s_nop 0
	v_mov_b32_e32 v15, v5
	s_waitcnt vmcnt(1) lgkmcnt(1)
	v_pk_mul_f32 v[4:5], v[6:7], v[120:121] op_sel:[1,1] op_sel_hi:[0,1]
	v_pk_fma_f32 v[12:13], v[6:7], v[120:121], v[4:5] neg_lo:[0,0,1] neg_hi:[0,0,1]
	v_pk_fma_f32 v[4:5], v[6:7], v[120:121], v[4:5] op_sel_hi:[1,0,1]
	v_pk_add_f32 v[2:3], v[2:3], v[14:15]
	v_mov_b32_e32 v4, v123
	v_mov_b32_e32 v13, v5
	v_pk_mul_f32 v[4:5], v[8:9], v[4:5] op_sel:[1,0] op_sel_hi:[0,0]
	v_pk_fma_f32 v[6:7], v[8:9], v[122:123], v[4:5] neg_lo:[0,0,1] neg_hi:[0,0,1]
	v_pk_fma_f32 v[4:5], v[8:9], v[122:123], v[4:5] op_sel_hi:[1,0,1]
	v_pk_add_f32 v[2:3], v[2:3], v[12:13]
	v_mov_b32_e32 v7, v5
	s_waitcnt vmcnt(0) lgkmcnt(0)
	v_pk_mul_f32 v[4:5], v[10:11], v[132:133] op_sel:[1,1] op_sel_hi:[0,1]
	v_pk_add_f32 v[2:3], v[2:3], v[6:7]
	v_pk_fma_f32 v[6:7], v[10:11], v[132:133], v[4:5] neg_lo:[0,0,1] neg_hi:[0,0,1]
	v_pk_fma_f32 v[4:5], v[10:11], v[132:133], v[4:5] op_sel_hi:[1,0,1]
	s_nop 0
	v_mov_b32_e32 v7, v5
	v_pk_add_f32 v[2:3], v[2:3], v[6:7]
	s_nop 0
	v_pk_add_f32 v[2:3], v[124:125], v[2:3] neg_lo:[0,1] neg_hi:[0,1]
	scratch_store_dwordx2 off, v[2:3], off offset:168
	s_and_saveexec_b64 s[0:1], vcc
	s_cbranch_execz .LBB54_303
; %bb.302:
	scratch_load_dwordx2 v[2:3], off, off offset:160
	v_mov_b32_e32 v107, v106
	scratch_store_dwordx2 off, v[106:107], off offset:160
	s_waitcnt vmcnt(1)
	ds_write_b64 v1, v[2:3]
.LBB54_303:
	s_or_b64 exec, exec, s[0:1]
	s_waitcnt lgkmcnt(0)
	; wave barrier
	scratch_load_dwordx4 v[2:5], off, off offset:168
	scratch_load_dwordx4 v[6:9], off, off offset:184
	scratch_load_dwordx4 v[10:13], off, off offset:200
	scratch_load_dwordx4 v[14:17], off, off offset:216
	scratch_load_dwordx4 v[18:21], off, off offset:232
	scratch_load_dwordx4 v[22:25], off, off offset:248
	scratch_load_dwordx4 v[26:29], off, off offset:264
	scratch_load_dwordx4 v[30:33], off, off offset:280
	scratch_load_dwordx4 v[34:37], off, off offset:296
	scratch_load_dwordx4 v[38:41], off, off offset:312
	scratch_load_dwordx4 v[42:45], off, off offset:328
	scratch_load_dwordx4 v[46:49], off, off offset:344
	scratch_load_dwordx4 v[50:53], off, off offset:360
	ds_read2_b64 v[102:105], v106 offset0:77 offset1:78
	ds_read2_b64 v[98:101], v106 offset0:79 offset1:80
	;; [unrolled: 1-line block ×14, first 2 shown]
	scratch_load_dwordx2 v[128:129], off, off offset:160
	v_cmp_lt_u32_e32 vcc, 19, v0
	s_waitcnt vmcnt(13) lgkmcnt(13)
	v_mul_f32_e32 v107, v102, v3
	v_mul_f32_e32 v112, v104, v5
	v_fmac_f32_e32 v107, v103, v2
	s_waitcnt vmcnt(12) lgkmcnt(12)
	v_mul_f32_e32 v113, v98, v7
	v_fmac_f32_e32 v112, v105, v4
	v_add_f32_e32 v107, 0, v107
	v_mul_f32_e32 v114, v100, v9
	v_fmac_f32_e32 v113, v99, v6
	v_add_f32_e32 v107, v107, v112
	s_waitcnt vmcnt(11) lgkmcnt(11)
	v_mul_f32_e32 v115, v94, v11
	v_fmac_f32_e32 v114, v101, v8
	v_add_f32_e32 v107, v107, v113
	v_mul_f32_e32 v116, v96, v13
	v_fmac_f32_e32 v115, v95, v10
	v_add_f32_e32 v107, v107, v114
	;; [unrolled: 7-line block ×7, first 2 shown]
	s_waitcnt vmcnt(5) lgkmcnt(5)
	v_mul_f32_e32 v127, v70, v35
	v_fmac_f32_e32 v126, v77, v32
	v_add_f32_e32 v107, v107, v125
	v_fmac_f32_e32 v127, v71, v34
	v_add_f32_e32 v107, v107, v126
	v_add_f32_e32 v107, v107, v127
	scratch_load_dwordx4 v[112:115], off, off offset:376
	scratch_load_dwordx4 v[116:119], off, off offset:392
	;; [unrolled: 1-line block ×4, first 2 shown]
	v_mul_f32_e32 v3, v103, v3
	v_fma_f32 v2, v102, v2, -v3
	v_mul_f32_e32 v3, v105, v5
	v_add_f32_e32 v2, 0, v2
	v_fma_f32 v3, v104, v4, -v3
	v_add_f32_e32 v2, v2, v3
	v_mul_f32_e32 v3, v99, v7
	v_fma_f32 v3, v98, v6, -v3
	v_add_f32_e32 v2, v2, v3
	v_mul_f32_e32 v3, v101, v9
	;; [unrolled: 3-line block ×16, first 2 shown]
	v_fma_f32 v3, v72, v36, -v3
	v_add_f32_e32 v2, v2, v3
	s_waitcnt vmcnt(8) lgkmcnt(4)
	v_mul_f32_e32 v3, v67, v39
	v_fma_f32 v3, v66, v38, -v3
	v_add_f32_e32 v2, v2, v3
	v_mul_f32_e32 v3, v69, v41
	v_fma_f32 v3, v68, v40, -v3
	v_add_f32_e32 v2, v2, v3
	s_waitcnt vmcnt(7) lgkmcnt(3)
	v_mul_f32_e32 v3, v63, v43
	v_mul_f32_e32 v130, v72, v37
	v_fma_f32 v3, v62, v42, -v3
	v_mul_f32_e32 v132, v66, v39
	v_fmac_f32_e32 v130, v73, v36
	v_add_f32_e32 v2, v2, v3
	v_mul_f32_e32 v3, v65, v45
	v_mul_f32_e32 v134, v68, v41
	v_fmac_f32_e32 v132, v67, v38
	v_add_f32_e32 v107, v107, v130
	v_fma_f32 v3, v64, v44, -v3
	v_mul_f32_e32 v135, v62, v43
	v_fmac_f32_e32 v134, v69, v40
	v_add_f32_e32 v107, v107, v132
	v_add_f32_e32 v2, v2, v3
	s_waitcnt vmcnt(6) lgkmcnt(2)
	v_mul_f32_e32 v3, v59, v47
	v_mul_f32_e32 v136, v64, v45
	v_fmac_f32_e32 v135, v63, v42
	v_add_f32_e32 v107, v107, v134
	v_fma_f32 v3, v58, v46, -v3
	v_mul_f32_e32 v137, v58, v47
	v_fmac_f32_e32 v136, v65, v44
	v_add_f32_e32 v107, v107, v135
	v_add_f32_e32 v2, v2, v3
	v_mul_f32_e32 v3, v61, v49
	v_mul_f32_e32 v138, v60, v49
	v_fmac_f32_e32 v137, v59, v46
	v_add_f32_e32 v107, v107, v136
	v_fma_f32 v3, v60, v48, -v3
	s_waitcnt vmcnt(5) lgkmcnt(1)
	v_mul_f32_e32 v131, v54, v51
	v_fmac_f32_e32 v138, v61, v48
	v_add_f32_e32 v107, v107, v137
	v_add_f32_e32 v134, v2, v3
	v_mul_f32_e32 v2, v55, v51
	s_waitcnt vmcnt(3) lgkmcnt(0)
	v_pk_mul_f32 v[16:17], v[108:109], v[112:113] op_sel:[1,1] op_sel_hi:[0,1]
	v_mul_f32_e32 v133, v56, v53
	v_fmac_f32_e32 v131, v55, v50
	v_add_f32_e32 v135, v107, v138
	v_fma_f32 v130, v54, v50, -v2
	v_mul_f32_e32 v2, v57, v53
	v_pk_fma_f32 v[18:19], v[108:109], v[112:113], v[16:17] neg_lo:[0,0,1] neg_hi:[0,0,1]
	v_pk_fma_f32 v[16:17], v[108:109], v[112:113], v[16:17] op_sel_hi:[1,0,1]
	v_fmac_f32_e32 v133, v57, v52
	v_fma_f32 v132, v56, v52, -v2
	ds_read2_b64 v[2:5], v106 offset0:105 offset1:106
	ds_read2_b64 v[6:9], v106 offset0:107 offset1:108
	;; [unrolled: 1-line block ×3, first 2 shown]
	v_pk_add_f32 v[14:15], v[134:135], v[130:131]
	v_mov_b32_e32 v16, v115
	v_pk_add_f32 v[14:15], v[14:15], v[132:133]
	v_mov_b32_e32 v19, v17
	v_pk_mul_f32 v[16:17], v[110:111], v[16:17] op_sel:[1,0] op_sel_hi:[0,0]
	v_pk_add_f32 v[14:15], v[14:15], v[18:19]
	v_pk_fma_f32 v[18:19], v[110:111], v[114:115], v[16:17] neg_lo:[0,0,1] neg_hi:[0,0,1]
	v_pk_fma_f32 v[16:17], v[110:111], v[114:115], v[16:17] op_sel_hi:[1,0,1]
	s_nop 0
	v_mov_b32_e32 v19, v17
	s_waitcnt vmcnt(2) lgkmcnt(2)
	v_pk_mul_f32 v[16:17], v[2:3], v[116:117] op_sel:[1,1] op_sel_hi:[0,1]
	v_pk_add_f32 v[14:15], v[14:15], v[18:19]
	v_pk_fma_f32 v[18:19], v[2:3], v[116:117], v[16:17] neg_lo:[0,0,1] neg_hi:[0,0,1]
	v_pk_fma_f32 v[2:3], v[2:3], v[116:117], v[16:17] op_sel_hi:[1,0,1]
	s_nop 0
	v_mov_b32_e32 v19, v3
	v_pk_add_f32 v[2:3], v[14:15], v[18:19]
	v_mov_b32_e32 v14, v119
	v_pk_mul_f32 v[14:15], v[4:5], v[14:15] op_sel:[1,0] op_sel_hi:[0,0]
	v_pk_fma_f32 v[16:17], v[4:5], v[118:119], v[14:15] neg_lo:[0,0,1] neg_hi:[0,0,1]
	v_pk_fma_f32 v[4:5], v[4:5], v[118:119], v[14:15] op_sel_hi:[1,0,1]
	s_nop 0
	v_mov_b32_e32 v17, v5
	s_waitcnt vmcnt(1) lgkmcnt(1)
	v_pk_mul_f32 v[4:5], v[6:7], v[120:121] op_sel:[1,1] op_sel_hi:[0,1]
	v_pk_fma_f32 v[14:15], v[6:7], v[120:121], v[4:5] neg_lo:[0,0,1] neg_hi:[0,0,1]
	v_pk_fma_f32 v[4:5], v[6:7], v[120:121], v[4:5] op_sel_hi:[1,0,1]
	v_pk_add_f32 v[2:3], v[2:3], v[16:17]
	v_mov_b32_e32 v4, v123
	v_mov_b32_e32 v15, v5
	v_pk_mul_f32 v[4:5], v[8:9], v[4:5] op_sel:[1,0] op_sel_hi:[0,0]
	v_pk_fma_f32 v[6:7], v[8:9], v[122:123], v[4:5] neg_lo:[0,0,1] neg_hi:[0,0,1]
	v_pk_fma_f32 v[4:5], v[8:9], v[122:123], v[4:5] op_sel_hi:[1,0,1]
	v_pk_add_f32 v[2:3], v[2:3], v[14:15]
	v_mov_b32_e32 v7, v5
	s_waitcnt vmcnt(0) lgkmcnt(0)
	v_pk_mul_f32 v[4:5], v[10:11], v[124:125] op_sel:[1,1] op_sel_hi:[0,1]
	v_pk_add_f32 v[2:3], v[2:3], v[6:7]
	v_pk_fma_f32 v[6:7], v[10:11], v[124:125], v[4:5] neg_lo:[0,0,1] neg_hi:[0,0,1]
	v_pk_fma_f32 v[4:5], v[10:11], v[124:125], v[4:5] op_sel_hi:[1,0,1]
	s_nop 0
	v_mov_b32_e32 v4, v127
	v_mov_b32_e32 v7, v5
	v_pk_mul_f32 v[4:5], v[12:13], v[4:5] op_sel:[1,0] op_sel_hi:[0,0]
	v_pk_add_f32 v[2:3], v[2:3], v[6:7]
	v_pk_fma_f32 v[6:7], v[12:13], v[126:127], v[4:5] neg_lo:[0,0,1] neg_hi:[0,0,1]
	v_pk_fma_f32 v[4:5], v[12:13], v[126:127], v[4:5] op_sel_hi:[1,0,1]
	s_nop 0
	v_mov_b32_e32 v7, v5
	v_pk_add_f32 v[2:3], v[2:3], v[6:7]
	s_nop 0
	v_pk_add_f32 v[2:3], v[128:129], v[2:3] neg_lo:[0,1] neg_hi:[0,1]
	scratch_store_dwordx2 off, v[2:3], off offset:160
	s_and_saveexec_b64 s[0:1], vcc
	s_cbranch_execz .LBB54_305
; %bb.304:
	scratch_load_dwordx2 v[2:3], off, off offset:152
	v_mov_b32_e32 v4, 0
	v_mov_b32_e32 v5, v4
	scratch_store_dwordx2 off, v[4:5], off offset:152
	s_waitcnt vmcnt(1)
	ds_write_b64 v1, v[2:3]
.LBB54_305:
	s_or_b64 exec, exec, s[0:1]
	s_waitcnt lgkmcnt(0)
	; wave barrier
	scratch_load_dwordx4 v[2:5], off, off offset:160
	scratch_load_dwordx4 v[6:9], off, off offset:176
	;; [unrolled: 1-line block ×13, first 2 shown]
	v_mov_b32_e32 v114, 0
	scratch_load_dwordx4 v[54:57], off, off offset:368
	scratch_load_dwordx2 v[128:129], off, off offset:152
	ds_read_b128 v[58:61], v114 offset:608
	ds_read_b128 v[62:65], v114 offset:624
	ds_read_b128 v[66:69], v114 offset:640
	ds_read_b128 v[70:73], v114 offset:656
	ds_read_b128 v[74:77], v114 offset:672
	ds_read_b128 v[78:81], v114 offset:688
	ds_read_b128 v[82:85], v114 offset:704
	ds_read_b128 v[86:89], v114 offset:720
	ds_read_b128 v[90:93], v114 offset:736
	ds_read_b128 v[94:97], v114 offset:752
	ds_read_b128 v[98:101], v114 offset:768
	ds_read_b128 v[102:105], v114 offset:784
	ds_read_b128 v[106:109], v114 offset:800
	ds_read_b128 v[110:113], v114 offset:816
	v_cmp_lt_u32_e32 vcc, 18, v0
	s_waitcnt vmcnt(14) lgkmcnt(13)
	v_mul_f32_e32 v115, v58, v3
	v_mul_f32_e32 v116, v60, v5
	v_fmac_f32_e32 v115, v59, v2
	s_waitcnt vmcnt(13) lgkmcnt(12)
	v_mul_f32_e32 v117, v62, v7
	v_fmac_f32_e32 v116, v61, v4
	v_add_f32_e32 v115, 0, v115
	v_mul_f32_e32 v118, v64, v9
	v_fmac_f32_e32 v117, v63, v6
	v_add_f32_e32 v115, v115, v116
	s_waitcnt vmcnt(12) lgkmcnt(11)
	v_mul_f32_e32 v119, v66, v11
	v_fmac_f32_e32 v118, v65, v8
	v_add_f32_e32 v115, v115, v117
	v_mul_f32_e32 v120, v68, v13
	v_fmac_f32_e32 v119, v67, v10
	v_add_f32_e32 v115, v115, v118
	;; [unrolled: 7-line block ×6, first 2 shown]
	s_waitcnt vmcnt(7) lgkmcnt(6)
	v_mul_f32_e32 v131, v86, v31
	v_fmac_f32_e32 v130, v85, v28
	v_add_f32_e32 v115, v115, v127
	scratch_load_dwordx4 v[116:119], off, off offset:384
	v_mul_f32_e32 v132, v88, v33
	v_fmac_f32_e32 v131, v87, v30
	v_add_f32_e32 v115, v115, v130
	s_waitcnt vmcnt(7) lgkmcnt(5)
	v_mul_f32_e32 v133, v90, v35
	v_fmac_f32_e32 v132, v89, v32
	v_add_f32_e32 v115, v115, v131
	v_mul_f32_e32 v134, v92, v37
	v_fmac_f32_e32 v133, v91, v34
	v_add_f32_e32 v115, v115, v132
	s_waitcnt vmcnt(6) lgkmcnt(4)
	v_mul_f32_e32 v135, v94, v39
	v_fmac_f32_e32 v134, v93, v36
	v_add_f32_e32 v115, v115, v133
	;; [unrolled: 7-line block ×3, first 2 shown]
	v_fmac_f32_e32 v137, v99, v42
	v_add_f32_e32 v115, v115, v136
	v_add_f32_e32 v115, v115, v137
	scratch_load_dwordx4 v[120:123], off, off offset:400
	scratch_load_dwordx4 v[124:127], off, off offset:416
	scratch_load_dwordx2 v[136:137], off, off offset:432
	v_mul_f32_e32 v3, v59, v3
	v_fma_f32 v2, v58, v2, -v3
	v_mul_f32_e32 v3, v61, v5
	v_add_f32_e32 v2, 0, v2
	v_fma_f32 v3, v60, v4, -v3
	v_add_f32_e32 v2, v2, v3
	v_mul_f32_e32 v3, v63, v7
	v_fma_f32 v3, v62, v6, -v3
	v_add_f32_e32 v2, v2, v3
	v_mul_f32_e32 v3, v65, v9
	;; [unrolled: 3-line block ×20, first 2 shown]
	v_fma_f32 v3, v100, v44, -v3
	v_add_f32_e32 v2, v2, v3
	s_waitcnt vmcnt(7) lgkmcnt(2)
	v_mul_f32_e32 v3, v103, v47
	v_fma_f32 v3, v102, v46, -v3
	v_add_f32_e32 v2, v2, v3
	v_mul_f32_e32 v3, v105, v49
	v_mul_f32_e32 v138, v100, v45
	v_fma_f32 v3, v104, v48, -v3
	v_mul_f32_e32 v139, v102, v47
	v_fmac_f32_e32 v138, v101, v44
	v_add_f32_e32 v2, v2, v3
	s_waitcnt vmcnt(6) lgkmcnt(1)
	v_mul_f32_e32 v3, v107, v51
	v_mul_f32_e32 v140, v104, v49
	v_fmac_f32_e32 v139, v103, v46
	v_add_f32_e32 v115, v115, v138
	v_fma_f32 v3, v106, v50, -v3
	v_mul_f32_e32 v141, v106, v51
	v_fmac_f32_e32 v140, v105, v48
	v_add_f32_e32 v115, v115, v139
	v_add_f32_e32 v130, v2, v3
	v_mul_f32_e32 v2, v109, v53
	v_fmac_f32_e32 v141, v107, v50
	v_add_f32_e32 v115, v115, v140
	v_mul_f32_e32 v133, v108, v53
	v_fma_f32 v132, v108, v52, -v2
	s_waitcnt vmcnt(5) lgkmcnt(0)
	v_mul_f32_e32 v2, v111, v55
	v_mov_b32_e32 v18, v57
	v_add_f32_e32 v131, v115, v141
	v_fmac_f32_e32 v133, v109, v52
	v_mul_f32_e32 v135, v110, v55
	v_fma_f32 v134, v110, v54, -v2
	ds_read_b128 v[2:5], v114 offset:832
	ds_read_b128 v[6:9], v114 offset:848
	;; [unrolled: 1-line block ×3, first 2 shown]
	ds_read_b64 v[14:15], v114 offset:880
	v_pk_mul_f32 v[18:19], v[112:113], v[18:19] op_sel:[1,0] op_sel_hi:[0,0]
	v_fmac_f32_e32 v135, v111, v54
	v_pk_add_f32 v[16:17], v[130:131], v[132:133]
	v_pk_fma_f32 v[20:21], v[112:113], v[56:57], v[18:19] neg_lo:[0,0,1] neg_hi:[0,0,1]
	v_pk_fma_f32 v[18:19], v[112:113], v[56:57], v[18:19] op_sel_hi:[1,0,1]
	v_pk_add_f32 v[16:17], v[16:17], v[134:135]
	v_mov_b32_e32 v21, v19
	s_waitcnt vmcnt(3) lgkmcnt(3)
	v_pk_mul_f32 v[18:19], v[2:3], v[116:117] op_sel:[1,1] op_sel_hi:[0,1]
	v_pk_add_f32 v[16:17], v[16:17], v[20:21]
	v_pk_fma_f32 v[20:21], v[2:3], v[116:117], v[18:19] neg_lo:[0,0,1] neg_hi:[0,0,1]
	v_pk_fma_f32 v[2:3], v[2:3], v[116:117], v[18:19] op_sel_hi:[1,0,1]
	s_nop 0
	v_mov_b32_e32 v21, v3
	v_pk_add_f32 v[2:3], v[16:17], v[20:21]
	v_mov_b32_e32 v16, v119
	v_pk_mul_f32 v[16:17], v[4:5], v[16:17] op_sel:[1,0] op_sel_hi:[0,0]
	v_pk_fma_f32 v[18:19], v[4:5], v[118:119], v[16:17] neg_lo:[0,0,1] neg_hi:[0,0,1]
	v_pk_fma_f32 v[4:5], v[4:5], v[118:119], v[16:17] op_sel_hi:[1,0,1]
	s_nop 0
	v_mov_b32_e32 v19, v5
	s_waitcnt vmcnt(2) lgkmcnt(2)
	v_pk_mul_f32 v[4:5], v[6:7], v[120:121] op_sel:[1,1] op_sel_hi:[0,1]
	v_pk_fma_f32 v[16:17], v[6:7], v[120:121], v[4:5] neg_lo:[0,0,1] neg_hi:[0,0,1]
	v_pk_fma_f32 v[4:5], v[6:7], v[120:121], v[4:5] op_sel_hi:[1,0,1]
	v_pk_add_f32 v[2:3], v[2:3], v[18:19]
	v_mov_b32_e32 v4, v123
	v_mov_b32_e32 v17, v5
	v_pk_mul_f32 v[4:5], v[8:9], v[4:5] op_sel:[1,0] op_sel_hi:[0,0]
	v_pk_fma_f32 v[6:7], v[8:9], v[122:123], v[4:5] neg_lo:[0,0,1] neg_hi:[0,0,1]
	v_pk_fma_f32 v[4:5], v[8:9], v[122:123], v[4:5] op_sel_hi:[1,0,1]
	v_pk_add_f32 v[2:3], v[2:3], v[16:17]
	v_mov_b32_e32 v7, v5
	s_waitcnt vmcnt(1) lgkmcnt(1)
	v_pk_mul_f32 v[4:5], v[10:11], v[124:125] op_sel:[1,1] op_sel_hi:[0,1]
	v_pk_add_f32 v[2:3], v[2:3], v[6:7]
	v_pk_fma_f32 v[6:7], v[10:11], v[124:125], v[4:5] neg_lo:[0,0,1] neg_hi:[0,0,1]
	v_pk_fma_f32 v[4:5], v[10:11], v[124:125], v[4:5] op_sel_hi:[1,0,1]
	s_nop 0
	v_mov_b32_e32 v4, v127
	v_mov_b32_e32 v7, v5
	v_pk_mul_f32 v[4:5], v[12:13], v[4:5] op_sel:[1,0] op_sel_hi:[0,0]
	v_pk_add_f32 v[2:3], v[2:3], v[6:7]
	v_pk_fma_f32 v[6:7], v[12:13], v[126:127], v[4:5] neg_lo:[0,0,1] neg_hi:[0,0,1]
	v_pk_fma_f32 v[4:5], v[12:13], v[126:127], v[4:5] op_sel_hi:[1,0,1]
	s_nop 0
	v_mov_b32_e32 v7, v5
	s_waitcnt vmcnt(0) lgkmcnt(0)
	v_pk_mul_f32 v[4:5], v[14:15], v[136:137] op_sel:[1,1] op_sel_hi:[0,1]
	v_pk_add_f32 v[2:3], v[2:3], v[6:7]
	v_pk_fma_f32 v[6:7], v[14:15], v[136:137], v[4:5] neg_lo:[0,0,1] neg_hi:[0,0,1]
	v_pk_fma_f32 v[4:5], v[14:15], v[136:137], v[4:5] op_sel_hi:[1,0,1]
	s_nop 0
	v_mov_b32_e32 v7, v5
	v_pk_add_f32 v[2:3], v[2:3], v[6:7]
	s_nop 0
	v_pk_add_f32 v[2:3], v[128:129], v[2:3] neg_lo:[0,1] neg_hi:[0,1]
	scratch_store_dwordx2 off, v[2:3], off offset:152
	s_and_saveexec_b64 s[0:1], vcc
	s_cbranch_execz .LBB54_307
; %bb.306:
	scratch_load_dwordx2 v[2:3], off, off offset:144
	v_mov_b32_e32 v115, v114
	scratch_store_dwordx2 off, v[114:115], off offset:144
	s_waitcnt vmcnt(1)
	ds_write_b64 v1, v[2:3]
.LBB54_307:
	s_or_b64 exec, exec, s[0:1]
	s_waitcnt lgkmcnt(0)
	; wave barrier
	scratch_load_dwordx4 v[2:5], off, off offset:152
	scratch_load_dwordx4 v[6:9], off, off offset:168
	;; [unrolled: 1-line block ×13, first 2 shown]
	ds_read2_b64 v[110:113], v114 offset0:75 offset1:76
	ds_read2_b64 v[106:109], v114 offset0:77 offset1:78
	ds_read2_b64 v[102:105], v114 offset0:79 offset1:80
	ds_read2_b64 v[98:101], v114 offset0:81 offset1:82
	ds_read2_b64 v[94:97], v114 offset0:83 offset1:84
	ds_read2_b64 v[90:93], v114 offset0:85 offset1:86
	ds_read2_b64 v[86:89], v114 offset0:87 offset1:88
	ds_read2_b64 v[82:85], v114 offset0:89 offset1:90
	ds_read2_b64 v[78:81], v114 offset0:91 offset1:92
	ds_read2_b64 v[74:77], v114 offset0:93 offset1:94
	ds_read2_b64 v[70:73], v114 offset0:95 offset1:96
	ds_read2_b64 v[62:65], v114 offset0:97 offset1:98
	ds_read2_b64 v[54:57], v114 offset0:99 offset1:100
	ds_read2_b64 v[58:61], v114 offset0:101 offset1:102
	scratch_load_dwordx4 v[66:69], off, off offset:360
	scratch_load_dwordx2 v[132:133], off, off offset:144
	v_cmp_lt_u32_e32 vcc, 17, v0
	s_waitcnt vmcnt(14) lgkmcnt(13)
	v_mul_f32_e32 v115, v110, v3
	v_mul_f32_e32 v116, v112, v5
	v_fmac_f32_e32 v115, v111, v2
	s_waitcnt vmcnt(13) lgkmcnt(12)
	v_mul_f32_e32 v117, v106, v7
	v_fmac_f32_e32 v116, v113, v4
	v_add_f32_e32 v115, 0, v115
	v_mul_f32_e32 v118, v108, v9
	v_fmac_f32_e32 v117, v107, v6
	v_add_f32_e32 v115, v115, v116
	s_waitcnt vmcnt(12) lgkmcnt(11)
	v_mul_f32_e32 v119, v102, v11
	v_fmac_f32_e32 v118, v109, v8
	v_add_f32_e32 v115, v115, v117
	v_mul_f32_e32 v120, v104, v13
	v_fmac_f32_e32 v119, v103, v10
	v_add_f32_e32 v115, v115, v118
	;; [unrolled: 7-line block ×4, first 2 shown]
	s_waitcnt vmcnt(9) lgkmcnt(8)
	v_mul_f32_e32 v125, v90, v23
	v_fmac_f32_e32 v124, v97, v20
	v_add_f32_e32 v115, v115, v123
	scratch_load_dwordx4 v[116:119], off, off offset:376
	v_mul_f32_e32 v126, v92, v25
	v_fmac_f32_e32 v125, v91, v22
	v_add_f32_e32 v115, v115, v124
	s_waitcnt vmcnt(9) lgkmcnt(7)
	v_mul_f32_e32 v127, v86, v27
	v_fmac_f32_e32 v126, v93, v24
	v_add_f32_e32 v115, v115, v125
	v_mul_f32_e32 v128, v88, v29
	v_fmac_f32_e32 v127, v87, v26
	v_add_f32_e32 v115, v115, v126
	s_waitcnt vmcnt(8) lgkmcnt(6)
	v_mul_f32_e32 v129, v82, v31
	v_fmac_f32_e32 v128, v89, v28
	v_add_f32_e32 v115, v115, v127
	;; [unrolled: 7-line block ×3, first 2 shown]
	v_fmac_f32_e32 v131, v79, v34
	v_add_f32_e32 v115, v115, v130
	v_add_f32_e32 v115, v115, v131
	scratch_load_dwordx4 v[120:123], off, off offset:392
	scratch_load_dwordx4 v[124:127], off, off offset:408
	;; [unrolled: 1-line block ×3, first 2 shown]
	v_mul_f32_e32 v3, v111, v3
	v_fma_f32 v2, v110, v2, -v3
	v_mul_f32_e32 v3, v113, v5
	v_add_f32_e32 v2, 0, v2
	v_fma_f32 v3, v112, v4, -v3
	v_add_f32_e32 v2, v2, v3
	v_mul_f32_e32 v3, v107, v7
	v_fma_f32 v3, v106, v6, -v3
	v_add_f32_e32 v2, v2, v3
	v_mul_f32_e32 v3, v109, v9
	v_fma_f32 v3, v108, v8, -v3
	v_add_f32_e32 v2, v2, v3
	v_mul_f32_e32 v3, v103, v11
	v_fma_f32 v3, v102, v10, -v3
	v_add_f32_e32 v2, v2, v3
	v_mul_f32_e32 v3, v105, v13
	v_fma_f32 v3, v104, v12, -v3
	v_add_f32_e32 v2, v2, v3
	v_mul_f32_e32 v3, v99, v15
	v_fma_f32 v3, v98, v14, -v3
	v_add_f32_e32 v2, v2, v3
	v_mul_f32_e32 v3, v101, v17
	v_fma_f32 v3, v100, v16, -v3
	v_add_f32_e32 v2, v2, v3
	v_mul_f32_e32 v3, v95, v19
	v_fma_f32 v3, v94, v18, -v3
	v_add_f32_e32 v2, v2, v3
	v_mul_f32_e32 v3, v97, v21
	v_fma_f32 v3, v96, v20, -v3
	v_add_f32_e32 v2, v2, v3
	v_mul_f32_e32 v3, v91, v23
	v_fma_f32 v3, v90, v22, -v3
	v_add_f32_e32 v2, v2, v3
	v_mul_f32_e32 v3, v93, v25
	v_fma_f32 v3, v92, v24, -v3
	v_add_f32_e32 v2, v2, v3
	v_mul_f32_e32 v3, v87, v27
	v_fma_f32 v3, v86, v26, -v3
	v_add_f32_e32 v2, v2, v3
	v_mul_f32_e32 v3, v89, v29
	v_fma_f32 v3, v88, v28, -v3
	v_add_f32_e32 v2, v2, v3
	v_mul_f32_e32 v3, v83, v31
	v_fma_f32 v3, v82, v30, -v3
	v_add_f32_e32 v2, v2, v3
	v_mul_f32_e32 v3, v85, v33
	v_fma_f32 v3, v84, v32, -v3
	v_add_f32_e32 v2, v2, v3
	v_mul_f32_e32 v3, v79, v35
	v_fma_f32 v3, v78, v34, -v3
	v_add_f32_e32 v2, v2, v3
	v_mul_f32_e32 v3, v81, v37
	v_fma_f32 v3, v80, v36, -v3
	v_add_f32_e32 v2, v2, v3
	s_waitcnt vmcnt(9) lgkmcnt(4)
	v_mul_f32_e32 v3, v75, v39
	v_fma_f32 v3, v74, v38, -v3
	v_add_f32_e32 v2, v2, v3
	v_mul_f32_e32 v3, v77, v41
	v_fma_f32 v3, v76, v40, -v3
	v_add_f32_e32 v2, v2, v3
	s_waitcnt vmcnt(8) lgkmcnt(3)
	v_mul_f32_e32 v3, v71, v43
	v_fma_f32 v3, v70, v42, -v3
	v_add_f32_e32 v2, v2, v3
	v_mul_f32_e32 v3, v73, v45
	v_fma_f32 v3, v72, v44, -v3
	v_add_f32_e32 v2, v2, v3
	s_waitcnt vmcnt(7) lgkmcnt(2)
	v_mul_f32_e32 v3, v63, v47
	v_fma_f32 v3, v62, v46, -v3
	v_mul_f32_e32 v134, v80, v37
	v_add_f32_e32 v2, v2, v3
	v_mul_f32_e32 v3, v65, v49
	v_mul_f32_e32 v135, v74, v39
	v_fmac_f32_e32 v134, v81, v36
	v_fma_f32 v3, v64, v48, -v3
	v_mul_f32_e32 v136, v76, v41
	v_fmac_f32_e32 v135, v75, v38
	v_add_f32_e32 v115, v115, v134
	v_add_f32_e32 v2, v2, v3
	s_waitcnt vmcnt(6) lgkmcnt(1)
	v_mul_f32_e32 v3, v55, v51
	v_mul_f32_e32 v137, v70, v43
	v_fmac_f32_e32 v136, v77, v40
	v_add_f32_e32 v115, v115, v135
	v_fma_f32 v3, v54, v50, -v3
	v_mul_f32_e32 v138, v72, v45
	v_fmac_f32_e32 v137, v71, v42
	v_add_f32_e32 v115, v115, v136
	v_add_f32_e32 v2, v2, v3
	v_mul_f32_e32 v3, v57, v53
	v_mul_f32_e32 v139, v62, v47
	v_fmac_f32_e32 v138, v73, v44
	v_add_f32_e32 v115, v115, v137
	v_fma_f32 v3, v56, v52, -v3
	v_mul_f32_e32 v140, v64, v49
	v_fmac_f32_e32 v139, v63, v46
	v_add_f32_e32 v115, v115, v138
	v_add_f32_e32 v134, v2, v3
	s_waitcnt vmcnt(5) lgkmcnt(0)
	v_mul_f32_e32 v2, v59, v67
	v_mul_f32_e32 v141, v54, v51
	v_fmac_f32_e32 v140, v65, v48
	v_add_f32_e32 v115, v115, v139
	v_fma_f32 v136, v58, v66, -v2
	v_mul_f32_e32 v2, v61, v69
	v_mul_f32_e32 v142, v56, v53
	v_fmac_f32_e32 v141, v55, v50
	v_add_f32_e32 v115, v115, v140
	v_fma_f32 v138, v60, v68, -v2
	ds_read2_b64 v[2:5], v114 offset0:103 offset1:104
	ds_read2_b64 v[6:9], v114 offset0:105 offset1:106
	;; [unrolled: 1-line block ×4, first 2 shown]
	v_add_f32_e32 v115, v115, v141
	v_fmac_f32_e32 v142, v57, v52
	v_mul_f32_e32 v137, v58, v67
	v_add_f32_e32 v135, v115, v142
	v_fmac_f32_e32 v137, v59, v66
	v_mul_f32_e32 v139, v60, v69
	s_waitcnt vmcnt(3) lgkmcnt(3)
	v_pk_mul_f32 v[20:21], v[2:3], v[116:117] op_sel:[1,1] op_sel_hi:[0,1]
	v_fmac_f32_e32 v139, v61, v68
	v_pk_add_f32 v[18:19], v[134:135], v[136:137]
	v_pk_fma_f32 v[22:23], v[2:3], v[116:117], v[20:21] neg_lo:[0,0,1] neg_hi:[0,0,1]
	v_pk_fma_f32 v[2:3], v[2:3], v[116:117], v[20:21] op_sel_hi:[1,0,1]
	v_pk_add_f32 v[18:19], v[18:19], v[138:139]
	v_mov_b32_e32 v23, v3
	v_pk_add_f32 v[2:3], v[18:19], v[22:23]
	v_mov_b32_e32 v18, v119
	v_pk_mul_f32 v[18:19], v[4:5], v[18:19] op_sel:[1,0] op_sel_hi:[0,0]
	v_pk_fma_f32 v[20:21], v[4:5], v[118:119], v[18:19] neg_lo:[0,0,1] neg_hi:[0,0,1]
	v_pk_fma_f32 v[4:5], v[4:5], v[118:119], v[18:19] op_sel_hi:[1,0,1]
	s_nop 0
	v_mov_b32_e32 v21, v5
	s_waitcnt vmcnt(2) lgkmcnt(2)
	v_pk_mul_f32 v[4:5], v[6:7], v[120:121] op_sel:[1,1] op_sel_hi:[0,1]
	v_pk_fma_f32 v[18:19], v[6:7], v[120:121], v[4:5] neg_lo:[0,0,1] neg_hi:[0,0,1]
	v_pk_fma_f32 v[4:5], v[6:7], v[120:121], v[4:5] op_sel_hi:[1,0,1]
	v_pk_add_f32 v[2:3], v[2:3], v[20:21]
	v_mov_b32_e32 v4, v123
	v_mov_b32_e32 v19, v5
	v_pk_mul_f32 v[4:5], v[8:9], v[4:5] op_sel:[1,0] op_sel_hi:[0,0]
	v_pk_fma_f32 v[6:7], v[8:9], v[122:123], v[4:5] neg_lo:[0,0,1] neg_hi:[0,0,1]
	v_pk_fma_f32 v[4:5], v[8:9], v[122:123], v[4:5] op_sel_hi:[1,0,1]
	v_pk_add_f32 v[2:3], v[2:3], v[18:19]
	v_mov_b32_e32 v7, v5
	s_waitcnt vmcnt(1) lgkmcnt(1)
	v_pk_mul_f32 v[4:5], v[10:11], v[124:125] op_sel:[1,1] op_sel_hi:[0,1]
	v_pk_add_f32 v[2:3], v[2:3], v[6:7]
	v_pk_fma_f32 v[6:7], v[10:11], v[124:125], v[4:5] neg_lo:[0,0,1] neg_hi:[0,0,1]
	v_pk_fma_f32 v[4:5], v[10:11], v[124:125], v[4:5] op_sel_hi:[1,0,1]
	s_nop 0
	v_mov_b32_e32 v4, v127
	v_mov_b32_e32 v7, v5
	v_pk_mul_f32 v[4:5], v[12:13], v[4:5] op_sel:[1,0] op_sel_hi:[0,0]
	v_pk_add_f32 v[2:3], v[2:3], v[6:7]
	v_pk_fma_f32 v[6:7], v[12:13], v[126:127], v[4:5] neg_lo:[0,0,1] neg_hi:[0,0,1]
	v_pk_fma_f32 v[4:5], v[12:13], v[126:127], v[4:5] op_sel_hi:[1,0,1]
	s_nop 0
	v_mov_b32_e32 v7, v5
	s_waitcnt vmcnt(0) lgkmcnt(0)
	v_pk_mul_f32 v[4:5], v[14:15], v[128:129] op_sel:[1,1] op_sel_hi:[0,1]
	v_pk_add_f32 v[2:3], v[2:3], v[6:7]
	v_pk_fma_f32 v[6:7], v[14:15], v[128:129], v[4:5] neg_lo:[0,0,1] neg_hi:[0,0,1]
	v_pk_fma_f32 v[4:5], v[14:15], v[128:129], v[4:5] op_sel_hi:[1,0,1]
	s_nop 0
	v_mov_b32_e32 v4, v131
	v_mov_b32_e32 v7, v5
	v_pk_mul_f32 v[4:5], v[16:17], v[4:5] op_sel:[1,0] op_sel_hi:[0,0]
	v_pk_add_f32 v[2:3], v[2:3], v[6:7]
	v_pk_fma_f32 v[6:7], v[16:17], v[130:131], v[4:5] neg_lo:[0,0,1] neg_hi:[0,0,1]
	v_pk_fma_f32 v[4:5], v[16:17], v[130:131], v[4:5] op_sel_hi:[1,0,1]
	s_nop 0
	v_mov_b32_e32 v7, v5
	v_pk_add_f32 v[2:3], v[2:3], v[6:7]
	s_nop 0
	v_pk_add_f32 v[2:3], v[132:133], v[2:3] neg_lo:[0,1] neg_hi:[0,1]
	scratch_store_dwordx2 off, v[2:3], off offset:144
	s_and_saveexec_b64 s[0:1], vcc
	s_cbranch_execz .LBB54_309
; %bb.308:
	scratch_load_dwordx2 v[2:3], off, off offset:136
	v_mov_b32_e32 v4, 0
	v_mov_b32_e32 v5, v4
	scratch_store_dwordx2 off, v[4:5], off offset:136
	s_waitcnt vmcnt(1)
	ds_write_b64 v1, v[2:3]
.LBB54_309:
	s_or_b64 exec, exec, s[0:1]
	s_waitcnt lgkmcnt(0)
	; wave barrier
	scratch_load_dwordx4 v[62:65], off, off offset:144
	scratch_load_dwordx4 v[66:69], off, off offset:160
	;; [unrolled: 1-line block ×15, first 2 shown]
	v_mov_b32_e32 v98, 0
	ds_read_b128 v[108:111], v98 offset:592
	ds_read_b128 v[112:115], v98 offset:608
	;; [unrolled: 1-line block ×14, first 2 shown]
	v_cmp_lt_u32_e32 vcc, 16, v0
	s_waitcnt vmcnt(14) lgkmcnt(13)
	v_mul_f32_e32 v6, v108, v63
	v_mul_f32_e32 v7, v110, v65
	v_fmac_f32_e32 v6, v109, v62
	s_waitcnt vmcnt(13) lgkmcnt(12)
	v_mul_f32_e32 v8, v112, v67
	v_fmac_f32_e32 v7, v111, v64
	v_add_f32_e32 v6, 0, v6
	v_mul_f32_e32 v9, v114, v69
	v_fmac_f32_e32 v8, v113, v66
	v_add_f32_e32 v6, v6, v7
	s_waitcnt vmcnt(12) lgkmcnt(11)
	v_mul_f32_e32 v10, v116, v71
	v_fmac_f32_e32 v9, v115, v68
	v_add_f32_e32 v6, v6, v8
	v_mul_f32_e32 v11, v118, v73
	v_fmac_f32_e32 v10, v117, v70
	v_add_f32_e32 v6, v6, v9
	;; [unrolled: 7-line block ×11, first 2 shown]
	s_waitcnt vmcnt(2) lgkmcnt(1)
	v_mul_f32_e32 v107, v46, v35
	v_fmac_f32_e32 v106, v53, v32
	v_add_f32_e32 v6, v6, v105
	v_fmac_f32_e32 v107, v47, v34
	v_add_f32_e32 v6, v6, v106
	v_mul_f32_e32 v7, v48, v37
	v_add_f32_e32 v6, v6, v107
	v_fmac_f32_e32 v7, v49, v36
	v_add_f32_e32 v6, v6, v7
	s_waitcnt vmcnt(1) lgkmcnt(0)
	v_mul_f32_e32 v7, v42, v39
	v_fmac_f32_e32 v7, v43, v38
	ds_read_b128 v[18:21], v98 offset:816
	v_add_f32_e32 v103, v6, v7
	scratch_load_dwordx4 v[14:17], off, off offset:384
	scratch_load_dwordx4 v[10:13], off, off offset:400
	;; [unrolled: 1-line block ×3, first 2 shown]
	scratch_load_dwordx2 v[100:101], off, off offset:432
	v_mul_f32_e32 v23, v59, v23
	v_fma_f32 v58, v58, v22, -v23
	scratch_load_dwordx2 v[22:23], off, off offset:136
	v_mul_f32_e32 v63, v109, v63
	v_fma_f32 v62, v108, v62, -v63
	v_mul_f32_e32 v63, v111, v65
	v_add_f32_e32 v62, 0, v62
	v_fma_f32 v63, v110, v64, -v63
	v_add_f32_e32 v62, v62, v63
	v_mul_f32_e32 v63, v113, v67
	v_fma_f32 v63, v112, v66, -v63
	v_add_f32_e32 v62, v62, v63
	v_mul_f32_e32 v63, v115, v69
	;; [unrolled: 3-line block ×17, first 2 shown]
	v_add_f32_e32 v58, v62, v58
	v_fma_f32 v24, v60, v24, -v25
	v_mul_f32_e32 v25, v55, v27
	v_add_f32_e32 v24, v58, v24
	v_fma_f32 v25, v54, v26, -v25
	v_add_f32_e32 v24, v24, v25
	v_mul_f32_e32 v25, v57, v29
	v_fma_f32 v25, v56, v28, -v25
	v_add_f32_e32 v24, v24, v25
	v_mul_f32_e32 v25, v51, v31
	;; [unrolled: 3-line block ×6, first 2 shown]
	v_fma_f32 v25, v42, v38, -v25
	v_mul_f32_e32 v105, v44, v41
	v_add_f32_e32 v102, v24, v25
	v_mul_f32_e32 v24, v45, v41
	s_waitcnt vmcnt(5)
	v_mov_b32_e32 v36, v5
	v_fmac_f32_e32 v105, v45, v40
	s_waitcnt lgkmcnt(0)
	v_mul_f32_e32 v107, v18, v3
	v_fma_f32 v104, v44, v40, -v24
	v_mul_f32_e32 v3, v19, v3
	v_pk_mul_f32 v[36:37], v[20:21], v[36:37] op_sel:[1,0] op_sel_hi:[0,0]
	v_fmac_f32_e32 v107, v19, v2
	v_fma_f32 v106, v18, v2, -v3
	ds_read_b128 v[24:27], v98 offset:832
	ds_read_b128 v[28:31], v98 offset:848
	;; [unrolled: 1-line block ×3, first 2 shown]
	ds_read_b64 v[2:3], v98 offset:880
	v_pk_add_f32 v[18:19], v[102:103], v[104:105]
	v_pk_fma_f32 v[38:39], v[20:21], v[4:5], v[36:37] neg_lo:[0,0,1] neg_hi:[0,0,1]
	v_pk_fma_f32 v[4:5], v[20:21], v[4:5], v[36:37] op_sel_hi:[1,0,1]
	v_pk_add_f32 v[18:19], v[18:19], v[106:107]
	v_mov_b32_e32 v39, v5
	v_pk_add_f32 v[4:5], v[18:19], v[38:39]
	s_waitcnt vmcnt(4) lgkmcnt(3)
	v_pk_mul_f32 v[18:19], v[24:25], v[14:15] op_sel:[1,1] op_sel_hi:[0,1]
	v_pk_fma_f32 v[20:21], v[24:25], v[14:15], v[18:19] neg_lo:[0,0,1] neg_hi:[0,0,1]
	v_pk_fma_f32 v[14:15], v[24:25], v[14:15], v[18:19] op_sel_hi:[1,0,1]
	s_nop 0
	v_mov_b32_e32 v14, v17
	v_mov_b32_e32 v21, v15
	v_pk_mul_f32 v[14:15], v[26:27], v[14:15] op_sel:[1,0] op_sel_hi:[0,0]
	v_pk_fma_f32 v[18:19], v[26:27], v[16:17], v[14:15] neg_lo:[0,0,1] neg_hi:[0,0,1]
	v_pk_fma_f32 v[14:15], v[26:27], v[16:17], v[14:15] op_sel_hi:[1,0,1]
	v_pk_add_f32 v[4:5], v[4:5], v[20:21]
	v_mov_b32_e32 v19, v15
	s_waitcnt vmcnt(3) lgkmcnt(2)
	v_pk_mul_f32 v[14:15], v[28:29], v[10:11] op_sel:[1,1] op_sel_hi:[0,1]
	v_pk_fma_f32 v[16:17], v[28:29], v[10:11], v[14:15] neg_lo:[0,0,1] neg_hi:[0,0,1]
	v_pk_fma_f32 v[10:11], v[28:29], v[10:11], v[14:15] op_sel_hi:[1,0,1]
	v_pk_add_f32 v[4:5], v[4:5], v[18:19]
	v_mov_b32_e32 v10, v13
	v_mov_b32_e32 v17, v11
	v_pk_mul_f32 v[10:11], v[30:31], v[10:11] op_sel:[1,0] op_sel_hi:[0,0]
	v_pk_fma_f32 v[14:15], v[30:31], v[12:13], v[10:11] neg_lo:[0,0,1] neg_hi:[0,0,1]
	v_pk_fma_f32 v[10:11], v[30:31], v[12:13], v[10:11] op_sel_hi:[1,0,1]
	v_pk_add_f32 v[4:5], v[4:5], v[16:17]
	v_mov_b32_e32 v15, v11
	s_waitcnt vmcnt(2) lgkmcnt(1)
	v_pk_mul_f32 v[10:11], v[32:33], v[6:7] op_sel:[1,1] op_sel_hi:[0,1]
	v_pk_fma_f32 v[12:13], v[32:33], v[6:7], v[10:11] neg_lo:[0,0,1] neg_hi:[0,0,1]
	v_pk_fma_f32 v[6:7], v[32:33], v[6:7], v[10:11] op_sel_hi:[1,0,1]
	v_pk_add_f32 v[4:5], v[4:5], v[14:15]
	;; [unrolled: 12-line block ×3, first 2 shown]
	v_mov_b32_e32 v9, v3
	v_pk_add_f32 v[2:3], v[4:5], v[8:9]
	s_waitcnt vmcnt(0)
	v_pk_add_f32 v[2:3], v[22:23], v[2:3] neg_lo:[0,1] neg_hi:[0,1]
	scratch_store_dwordx2 off, v[2:3], off offset:136
	s_and_saveexec_b64 s[0:1], vcc
	s_cbranch_execz .LBB54_311
; %bb.310:
	scratch_load_dwordx2 v[2:3], off, off offset:128
	v_mov_b32_e32 v99, v98
	scratch_store_dwordx2 off, v[98:99], off offset:128
	s_waitcnt vmcnt(1)
	ds_write_b64 v1, v[2:3]
.LBB54_311:
	s_or_b64 exec, exec, s[0:1]
	s_waitcnt lgkmcnt(0)
	; wave barrier
	scratch_load_dwordx4 v[58:61], off, off offset:136
	scratch_load_dwordx4 v[62:65], off, off offset:152
	;; [unrolled: 1-line block ×13, first 2 shown]
	ds_read2_b64 v[106:109], v98 offset0:73 offset1:74
	ds_read2_b64 v[110:113], v98 offset0:75 offset1:76
	;; [unrolled: 1-line block ×14, first 2 shown]
	scratch_load_dwordx4 v[46:49], off, off offset:344
	scratch_load_dwordx4 v[50:53], off, off offset:360
	v_cmp_lt_u32_e32 vcc, 15, v0
	s_waitcnt vmcnt(14) lgkmcnt(13)
	v_mul_f32_e32 v2, v106, v59
	v_mul_f32_e32 v3, v108, v61
	v_fmac_f32_e32 v2, v107, v58
	s_waitcnt vmcnt(13) lgkmcnt(12)
	v_mul_f32_e32 v4, v110, v63
	v_fmac_f32_e32 v3, v109, v60
	v_add_f32_e32 v2, 0, v2
	v_mul_f32_e32 v5, v112, v65
	v_fmac_f32_e32 v4, v111, v62
	v_add_f32_e32 v2, v2, v3
	s_waitcnt vmcnt(12) lgkmcnt(11)
	v_mul_f32_e32 v6, v114, v67
	v_fmac_f32_e32 v5, v113, v64
	v_add_f32_e32 v2, v2, v4
	v_mul_f32_e32 v7, v116, v69
	v_fmac_f32_e32 v6, v115, v66
	v_add_f32_e32 v2, v2, v5
	;; [unrolled: 7-line block ×6, first 2 shown]
	v_mul_f32_e32 v59, v107, v59
	s_waitcnt vmcnt(7) lgkmcnt(6)
	v_mul_f32_e32 v16, v134, v87
	v_fmac_f32_e32 v15, v133, v84
	v_add_f32_e32 v2, v2, v14
	v_fma_f32 v58, v106, v58, -v59
	v_mul_f32_e32 v59, v109, v61
	v_mul_f32_e32 v17, v136, v89
	v_fmac_f32_e32 v16, v135, v86
	v_add_f32_e32 v2, v2, v15
	v_add_f32_e32 v58, 0, v58
	v_fma_f32 v59, v108, v60, -v59
	s_waitcnt vmcnt(6) lgkmcnt(5)
	v_mul_f32_e32 v54, v138, v91
	v_fmac_f32_e32 v17, v137, v88
	v_add_f32_e32 v2, v2, v16
	v_add_f32_e32 v58, v58, v59
	v_mul_f32_e32 v59, v111, v63
	v_mul_f32_e32 v55, v140, v93
	v_fmac_f32_e32 v54, v139, v90
	v_add_f32_e32 v2, v2, v17
	v_fma_f32 v59, v110, v62, -v59
	s_waitcnt vmcnt(5) lgkmcnt(4)
	v_mul_f32_e32 v56, v142, v95
	v_fmac_f32_e32 v55, v141, v92
	v_add_f32_e32 v2, v2, v54
	v_add_f32_e32 v58, v58, v59
	v_mul_f32_e32 v59, v113, v65
	v_mul_f32_e32 v57, v144, v97
	v_fmac_f32_e32 v56, v143, v94
	;; [unrolled: 10-line block ×5, first 2 shown]
	v_add_f32_e32 v2, v2, v102
	v_fma_f32 v59, v118, v70, -v59
	v_add_f32_e32 v2, v2, v103
	v_fmac_f32_e32 v104, v33, v28
	s_waitcnt vmcnt(1) lgkmcnt(0)
	v_mul_f32_e32 v3, v42, v47
	v_add_f32_e32 v58, v58, v59
	v_mul_f32_e32 v59, v121, v73
	v_add_f32_e32 v2, v2, v104
	v_fmac_f32_e32 v3, v43, v46
	v_fma_f32 v59, v120, v72, -v59
	v_add_f32_e32 v2, v2, v3
	v_mul_f32_e32 v3, v44, v49
	v_add_f32_e32 v58, v58, v59
	v_mul_f32_e32 v59, v123, v75
	v_fmac_f32_e32 v3, v45, v48
	v_fma_f32 v59, v122, v74, -v59
	ds_read2_b64 v[54:57], v98 offset0:101 offset1:102
	v_add_f32_e32 v101, v2, v3
	scratch_load_dwordx4 v[14:17], off, off offset:376
	scratch_load_dwordx4 v[10:13], off, off offset:392
	;; [unrolled: 1-line block ×4, first 2 shown]
	v_add_f32_e32 v58, v58, v59
	v_mul_f32_e32 v59, v125, v77
	v_fma_f32 v59, v124, v76, -v59
	v_add_f32_e32 v58, v58, v59
	v_mul_f32_e32 v59, v127, v79
	v_fma_f32 v59, v126, v78, -v59
	;; [unrolled: 3-line block ×11, first 2 shown]
	scratch_load_dwordx2 v[58:59], off, off offset:128
	v_mul_f32_e32 v19, v39, v19
	v_add_f32_e32 v60, v60, v61
	v_fma_f32 v18, v38, v18, -v19
	v_mul_f32_e32 v19, v41, v21
	v_add_f32_e32 v18, v60, v18
	v_fma_f32 v19, v40, v20, -v19
	v_add_f32_e32 v18, v18, v19
	v_mul_f32_e32 v19, v35, v23
	v_fma_f32 v19, v34, v22, -v19
	v_add_f32_e32 v18, v18, v19
	v_mul_f32_e32 v19, v37, v25
	;; [unrolled: 3-line block ×6, first 2 shown]
	v_fma_f32 v19, v44, v48, -v19
	v_add_f32_e32 v100, v18, v19
	s_waitcnt vmcnt(5) lgkmcnt(0)
	v_mul_f32_e32 v18, v55, v51
	v_fma_f32 v102, v54, v50, -v18
	v_mul_f32_e32 v18, v57, v53
	v_fma_f32 v104, v56, v52, -v18
	ds_read2_b64 v[18:21], v98 offset0:103 offset1:104
	ds_read2_b64 v[22:25], v98 offset0:105 offset1:106
	ds_read2_b64 v[26:29], v98 offset0:107 offset1:108
	ds_read2_b64 v[30:33], v98 offset0:109 offset1:110
	v_mul_f32_e32 v103, v54, v51
	v_fmac_f32_e32 v103, v55, v50
	v_mul_f32_e32 v105, v56, v53
	v_fmac_f32_e32 v105, v57, v52
	v_pk_add_f32 v[34:35], v[100:101], v[102:103]
	s_waitcnt vmcnt(4) lgkmcnt(3)
	v_pk_mul_f32 v[36:37], v[18:19], v[14:15] op_sel:[1,1] op_sel_hi:[0,1]
	v_pk_fma_f32 v[38:39], v[18:19], v[14:15], v[36:37] neg_lo:[0,0,1] neg_hi:[0,0,1]
	v_pk_fma_f32 v[14:15], v[18:19], v[14:15], v[36:37] op_sel_hi:[1,0,1]
	v_mov_b32_e32 v18, v17
	v_pk_add_f32 v[34:35], v[34:35], v[104:105]
	v_mov_b32_e32 v39, v15
	v_pk_mul_f32 v[18:19], v[20:21], v[18:19] op_sel:[1,0] op_sel_hi:[0,0]
	v_pk_add_f32 v[14:15], v[34:35], v[38:39]
	v_pk_fma_f32 v[34:35], v[20:21], v[16:17], v[18:19] neg_lo:[0,0,1] neg_hi:[0,0,1]
	v_pk_fma_f32 v[16:17], v[20:21], v[16:17], v[18:19] op_sel_hi:[1,0,1]
	s_nop 0
	v_mov_b32_e32 v35, v17
	s_waitcnt vmcnt(3) lgkmcnt(2)
	v_pk_mul_f32 v[16:17], v[22:23], v[10:11] op_sel:[1,1] op_sel_hi:[0,1]
	v_pk_fma_f32 v[18:19], v[22:23], v[10:11], v[16:17] neg_lo:[0,0,1] neg_hi:[0,0,1]
	v_pk_fma_f32 v[10:11], v[22:23], v[10:11], v[16:17] op_sel_hi:[1,0,1]
	v_pk_add_f32 v[14:15], v[14:15], v[34:35]
	v_mov_b32_e32 v19, v11
	v_pk_add_f32 v[10:11], v[14:15], v[18:19]
	v_mov_b32_e32 v14, v13
	v_pk_mul_f32 v[14:15], v[24:25], v[14:15] op_sel:[1,0] op_sel_hi:[0,0]
	v_pk_fma_f32 v[16:17], v[24:25], v[12:13], v[14:15] neg_lo:[0,0,1] neg_hi:[0,0,1]
	v_pk_fma_f32 v[12:13], v[24:25], v[12:13], v[14:15] op_sel_hi:[1,0,1]
	s_nop 0
	v_mov_b32_e32 v17, v13
	s_waitcnt vmcnt(2) lgkmcnt(1)
	v_pk_mul_f32 v[12:13], v[26:27], v[6:7] op_sel:[1,1] op_sel_hi:[0,1]
	v_pk_fma_f32 v[14:15], v[26:27], v[6:7], v[12:13] neg_lo:[0,0,1] neg_hi:[0,0,1]
	v_pk_fma_f32 v[6:7], v[26:27], v[6:7], v[12:13] op_sel_hi:[1,0,1]
	v_pk_add_f32 v[10:11], v[10:11], v[16:17]
	v_mov_b32_e32 v15, v7
	v_pk_add_f32 v[6:7], v[10:11], v[14:15]
	v_mov_b32_e32 v10, v9
	v_pk_mul_f32 v[10:11], v[28:29], v[10:11] op_sel:[1,0] op_sel_hi:[0,0]
	;; [unrolled: 13-line block ×3, first 2 shown]
	v_pk_fma_f32 v[8:9], v[32:33], v[4:5], v[6:7] neg_lo:[0,0,1] neg_hi:[0,0,1]
	v_pk_fma_f32 v[4:5], v[32:33], v[4:5], v[6:7] op_sel_hi:[1,0,1]
	s_nop 0
	v_mov_b32_e32 v9, v5
	v_pk_add_f32 v[2:3], v[2:3], v[8:9]
	s_waitcnt vmcnt(0)
	v_pk_add_f32 v[2:3], v[58:59], v[2:3] neg_lo:[0,1] neg_hi:[0,1]
	scratch_store_dwordx2 off, v[2:3], off offset:128
	s_and_saveexec_b64 s[0:1], vcc
	s_cbranch_execz .LBB54_313
; %bb.312:
	scratch_load_dwordx2 v[2:3], off, off offset:120
	v_mov_b32_e32 v4, 0
	v_mov_b32_e32 v5, v4
	scratch_store_dwordx2 off, v[4:5], off offset:120
	s_waitcnt vmcnt(1)
	ds_write_b64 v1, v[2:3]
.LBB54_313:
	s_or_b64 exec, exec, s[0:1]
	v_mov_b32_e32 v94, 0
	s_waitcnt lgkmcnt(0)
	; wave barrier
	ds_read_b128 v[14:17], v94 offset:576
	ds_read_b128 v[10:13], v94 offset:592
	;; [unrolled: 1-line block ×4, first 2 shown]
	scratch_load_dwordx4 v[18:21], off, off offset:128
	scratch_load_dwordx4 v[38:41], off, off offset:192
	;; [unrolled: 1-line block ×10, first 2 shown]
	v_cmp_lt_u32_e32 vcc, 14, v0
	scratch_load_dwordx4 v[46:49], off, off offset:208
	scratch_load_dwordx4 v[54:57], off, off offset:224
	;; [unrolled: 1-line block ×3, first 2 shown]
	s_waitcnt vmcnt(12) lgkmcnt(3)
	v_mul_f32_e32 v22, v14, v19
	v_fmac_f32_e32 v22, v15, v18
	v_mul_f32_e32 v23, v16, v21
	v_add_f32_e32 v22, 0, v22
	v_fmac_f32_e32 v23, v17, v20
	v_add_f32_e32 v26, v22, v23
	scratch_load_dwordx4 v[22:25], off, off offset:144
	v_mul_f32_e32 v15, v15, v19
	v_fma_f32 v14, v14, v18, -v15
	v_mul_f32_e32 v15, v17, v21
	v_add_f32_e32 v14, 0, v14
	v_fma_f32 v15, v16, v20, -v15
	v_add_f32_e32 v14, v14, v15
	s_waitcnt vmcnt(4)
	v_mov_b32_e32 v18, v131
	s_waitcnt vmcnt(0) lgkmcnt(2)
	v_mul_f32_e32 v27, v10, v23
	v_fmac_f32_e32 v27, v11, v22
	v_add_f32_e32 v26, v26, v27
	v_mul_f32_e32 v27, v12, v25
	v_fmac_f32_e32 v27, v13, v24
	v_add_f32_e32 v30, v26, v27
	scratch_load_dwordx4 v[26:29], off, off offset:160
	v_mul_f32_e32 v11, v11, v23
	v_fma_f32 v10, v10, v22, -v11
	v_mul_f32_e32 v11, v13, v25
	v_add_f32_e32 v10, v14, v10
	v_fma_f32 v11, v12, v24, -v11
	v_add_f32_e32 v10, v10, v11
	s_waitcnt vmcnt(0) lgkmcnt(1)
	v_mul_f32_e32 v31, v6, v27
	v_fmac_f32_e32 v31, v7, v26
	v_add_f32_e32 v30, v30, v31
	v_mul_f32_e32 v31, v8, v29
	v_fmac_f32_e32 v31, v9, v28
	v_add_f32_e32 v34, v30, v31
	scratch_load_dwordx4 v[30:33], off, off offset:176
	v_mul_f32_e32 v7, v7, v27
	v_fma_f32 v6, v6, v26, -v7
	v_mul_f32_e32 v7, v9, v29
	v_add_f32_e32 v6, v10, v6
	v_fma_f32 v7, v8, v28, -v7
	v_add_f32_e32 v6, v6, v7
	s_waitcnt vmcnt(0) lgkmcnt(0)
	v_mul_f32_e32 v35, v2, v31
	v_fmac_f32_e32 v35, v3, v30
	v_add_f32_e32 v34, v34, v35
	v_mul_f32_e32 v35, v4, v33
	v_fmac_f32_e32 v35, v5, v32
	v_add_f32_e32 v42, v34, v35
	ds_read_b128 v[34:37], v94 offset:640
	v_mul_f32_e32 v3, v3, v31
	v_fma_f32 v2, v2, v30, -v3
	v_mul_f32_e32 v3, v5, v33
	v_add_f32_e32 v2, v6, v2
	s_waitcnt lgkmcnt(0)
	v_mul_f32_e32 v43, v34, v39
	v_fmac_f32_e32 v43, v35, v38
	v_add_f32_e32 v42, v42, v43
	v_mul_f32_e32 v43, v36, v41
	v_fmac_f32_e32 v43, v37, v40
	v_add_f32_e32 v50, v42, v43
	ds_read_b128 v[42:45], v94 offset:656
	v_fma_f32 v3, v4, v32, -v3
	v_add_f32_e32 v2, v2, v3
	v_mul_f32_e32 v3, v35, v39
	v_fma_f32 v3, v34, v38, -v3
	s_waitcnt lgkmcnt(0)
	v_mul_f32_e32 v51, v42, v47
	v_fmac_f32_e32 v51, v43, v46
	v_add_f32_e32 v50, v50, v51
	v_mul_f32_e32 v51, v44, v49
	v_fmac_f32_e32 v51, v45, v48
	v_add_f32_e32 v58, v50, v51
	ds_read_b128 v[50:53], v94 offset:672
	v_add_f32_e32 v2, v2, v3
	v_mul_f32_e32 v3, v37, v41
	v_fma_f32 v3, v36, v40, -v3
	v_add_f32_e32 v2, v2, v3
	s_waitcnt lgkmcnt(0)
	v_mul_f32_e32 v59, v50, v55
	v_fmac_f32_e32 v59, v51, v54
	v_add_f32_e32 v58, v58, v59
	v_mul_f32_e32 v59, v52, v57
	v_fmac_f32_e32 v59, v53, v56
	v_add_f32_e32 v66, v58, v59
	ds_read_b128 v[58:61], v94 offset:688
	v_mul_f32_e32 v3, v43, v47
	v_fma_f32 v3, v42, v46, -v3
	v_add_f32_e32 v2, v2, v3
	v_mul_f32_e32 v3, v45, v49
	s_waitcnt lgkmcnt(0)
	v_mul_f32_e32 v67, v58, v63
	v_fmac_f32_e32 v67, v59, v62
	v_add_f32_e32 v66, v66, v67
	v_mul_f32_e32 v67, v60, v65
	v_fmac_f32_e32 v67, v61, v64
	v_add_f32_e32 v74, v66, v67
	ds_read_b128 v[66:69], v94 offset:704
	v_fma_f32 v3, v44, v48, -v3
	v_add_f32_e32 v2, v2, v3
	v_mul_f32_e32 v3, v51, v55
	v_fma_f32 v3, v50, v54, -v3
	s_waitcnt lgkmcnt(0)
	v_mul_f32_e32 v75, v66, v71
	v_fmac_f32_e32 v75, v67, v70
	v_add_f32_e32 v74, v74, v75
	v_mul_f32_e32 v75, v68, v73
	v_fmac_f32_e32 v75, v69, v72
	v_add_f32_e32 v82, v74, v75
	ds_read_b128 v[74:77], v94 offset:720
	v_add_f32_e32 v2, v2, v3
	v_mul_f32_e32 v3, v53, v57
	v_fma_f32 v3, v52, v56, -v3
	v_add_f32_e32 v2, v2, v3
	s_waitcnt lgkmcnt(0)
	v_mul_f32_e32 v83, v74, v79
	v_fmac_f32_e32 v83, v75, v78
	v_add_f32_e32 v82, v82, v83
	v_mul_f32_e32 v83, v76, v81
	v_fmac_f32_e32 v83, v77, v80
	v_add_f32_e32 v90, v82, v83
	ds_read_b128 v[82:85], v94 offset:736
	v_mul_f32_e32 v3, v59, v63
	v_fma_f32 v3, v58, v62, -v3
	v_add_f32_e32 v2, v2, v3
	v_mul_f32_e32 v3, v61, v65
	;; [unrolled: 36-line block ×3, first 2 shown]
	s_waitcnt lgkmcnt(0)
	v_mul_f32_e32 v116, v108, v113
	v_fmac_f32_e32 v116, v109, v112
	v_add_f32_e32 v95, v95, v116
	v_mul_f32_e32 v116, v110, v115
	v_fmac_f32_e32 v116, v111, v114
	v_add_f32_e32 v95, v95, v116
	ds_read_b128 v[116:119], v94 offset:800
	v_fma_f32 v3, v76, v80, -v3
	v_add_f32_e32 v2, v2, v3
	v_mul_f32_e32 v3, v83, v87
	v_fma_f32 v3, v82, v86, -v3
	s_waitcnt lgkmcnt(0)
	v_mul_f32_e32 v124, v116, v121
	v_fmac_f32_e32 v124, v117, v120
	v_add_f32_e32 v145, v95, v124
	ds_read_b128 v[124:127], v94 offset:816
	scratch_load_dwordx4 v[132:135], off, off offset:384
	scratch_load_dwordx4 v[136:139], off, off offset:400
	;; [unrolled: 1-line block ×3, first 2 shown]
	scratch_load_dwordx2 v[154:155], off, off offset:432
	v_add_f32_e32 v2, v2, v3
	v_mul_f32_e32 v3, v85, v89
	v_fma_f32 v3, v84, v88, -v3
	v_add_f32_e32 v2, v2, v3
	v_mul_f32_e32 v3, v91, v97
	v_fma_f32 v3, v90, v96, -v3
	;; [unrolled: 3-line block ×8, first 2 shown]
	v_add_f32_e32 v144, v2, v3
	v_mul_f32_e32 v2, v119, v123
	v_mul_f32_e32 v147, v118, v123
	v_fma_f32 v146, v118, v122, -v2
	s_waitcnt lgkmcnt(0)
	v_mul_f32_e32 v2, v125, v129
	v_fmac_f32_e32 v147, v119, v122
	v_mul_f32_e32 v149, v124, v129
	v_fma_f32 v148, v124, v128, -v2
	ds_read_b128 v[2:5], v94 offset:832
	ds_read_b128 v[6:9], v94 offset:848
	;; [unrolled: 1-line block ×3, first 2 shown]
	ds_read_b64 v[14:15], v94 offset:880
	v_pk_mul_f32 v[18:19], v[126:127], v[18:19] op_sel:[1,0] op_sel_hi:[0,0]
	v_fmac_f32_e32 v149, v125, v128
	v_pk_add_f32 v[16:17], v[144:145], v[146:147]
	v_pk_fma_f32 v[20:21], v[126:127], v[130:131], v[18:19] neg_lo:[0,0,1] neg_hi:[0,0,1]
	v_pk_fma_f32 v[18:19], v[126:127], v[130:131], v[18:19] op_sel_hi:[1,0,1]
	v_pk_add_f32 v[16:17], v[16:17], v[148:149]
	v_mov_b32_e32 v21, v19
	v_pk_add_f32 v[16:17], v[16:17], v[20:21]
	s_waitcnt vmcnt(3) lgkmcnt(3)
	v_pk_mul_f32 v[18:19], v[2:3], v[132:133] op_sel:[1,1] op_sel_hi:[0,1]
	v_pk_fma_f32 v[20:21], v[2:3], v[132:133], v[18:19] neg_lo:[0,0,1] neg_hi:[0,0,1]
	v_pk_fma_f32 v[2:3], v[2:3], v[132:133], v[18:19] op_sel_hi:[1,0,1]
	s_nop 0
	v_mov_b32_e32 v21, v3
	v_pk_add_f32 v[2:3], v[16:17], v[20:21]
	v_mov_b32_e32 v16, v135
	v_pk_mul_f32 v[16:17], v[4:5], v[16:17] op_sel:[1,0] op_sel_hi:[0,0]
	v_pk_fma_f32 v[18:19], v[4:5], v[134:135], v[16:17] neg_lo:[0,0,1] neg_hi:[0,0,1]
	v_pk_fma_f32 v[4:5], v[4:5], v[134:135], v[16:17] op_sel_hi:[1,0,1]
	s_nop 0
	v_mov_b32_e32 v19, v5
	s_waitcnt vmcnt(2) lgkmcnt(2)
	v_pk_mul_f32 v[4:5], v[6:7], v[136:137] op_sel:[1,1] op_sel_hi:[0,1]
	v_pk_fma_f32 v[16:17], v[6:7], v[136:137], v[4:5] neg_lo:[0,0,1] neg_hi:[0,0,1]
	v_pk_fma_f32 v[4:5], v[6:7], v[136:137], v[4:5] op_sel_hi:[1,0,1]
	v_pk_add_f32 v[2:3], v[2:3], v[18:19]
	v_mov_b32_e32 v4, v139
	v_mov_b32_e32 v17, v5
	v_pk_mul_f32 v[4:5], v[8:9], v[4:5] op_sel:[1,0] op_sel_hi:[0,0]
	v_pk_fma_f32 v[6:7], v[8:9], v[138:139], v[4:5] neg_lo:[0,0,1] neg_hi:[0,0,1]
	v_pk_fma_f32 v[4:5], v[8:9], v[138:139], v[4:5] op_sel_hi:[1,0,1]
	v_pk_add_f32 v[2:3], v[2:3], v[16:17]
	v_mov_b32_e32 v7, v5
	s_waitcnt vmcnt(1) lgkmcnt(1)
	v_pk_mul_f32 v[4:5], v[10:11], v[140:141] op_sel:[1,1] op_sel_hi:[0,1]
	v_pk_add_f32 v[2:3], v[2:3], v[6:7]
	v_pk_fma_f32 v[6:7], v[10:11], v[140:141], v[4:5] neg_lo:[0,0,1] neg_hi:[0,0,1]
	v_pk_fma_f32 v[4:5], v[10:11], v[140:141], v[4:5] op_sel_hi:[1,0,1]
	s_nop 0
	v_mov_b32_e32 v4, v143
	v_mov_b32_e32 v7, v5
	v_pk_mul_f32 v[4:5], v[12:13], v[4:5] op_sel:[1,0] op_sel_hi:[0,0]
	v_pk_add_f32 v[2:3], v[2:3], v[6:7]
	v_pk_fma_f32 v[6:7], v[12:13], v[142:143], v[4:5] neg_lo:[0,0,1] neg_hi:[0,0,1]
	v_pk_fma_f32 v[4:5], v[12:13], v[142:143], v[4:5] op_sel_hi:[1,0,1]
	s_nop 0
	v_mov_b32_e32 v7, v5
	s_waitcnt vmcnt(0) lgkmcnt(0)
	v_pk_mul_f32 v[4:5], v[14:15], v[154:155] op_sel:[1,1] op_sel_hi:[0,1]
	v_pk_add_f32 v[2:3], v[2:3], v[6:7]
	v_pk_fma_f32 v[6:7], v[14:15], v[154:155], v[4:5] neg_lo:[0,0,1] neg_hi:[0,0,1]
	v_pk_fma_f32 v[4:5], v[14:15], v[154:155], v[4:5] op_sel_hi:[1,0,1]
	s_nop 0
	v_mov_b32_e32 v7, v5
	scratch_load_dwordx2 v[4:5], off, off offset:120
	v_pk_add_f32 v[2:3], v[2:3], v[6:7]
	s_waitcnt vmcnt(0)
	v_pk_add_f32 v[2:3], v[4:5], v[2:3] neg_lo:[0,1] neg_hi:[0,1]
	scratch_store_dwordx2 off, v[2:3], off offset:120
	s_and_saveexec_b64 s[0:1], vcc
	s_cbranch_execz .LBB54_315
; %bb.314:
	scratch_load_dwordx2 v[2:3], off, off offset:112
	v_mov_b32_e32 v95, v94
	scratch_store_dwordx2 off, v[94:95], off offset:112
	s_waitcnt vmcnt(1)
	ds_write_b64 v1, v[2:3]
.LBB54_315:
	s_or_b64 exec, exec, s[0:1]
	s_waitcnt lgkmcnt(0)
	; wave barrier
	scratch_load_dwordx4 v[6:9], off, off offset:120
	scratch_load_dwordx4 v[14:17], off, off offset:136
	;; [unrolled: 1-line block ×10, first 2 shown]
	ds_read2_b64 v[2:5], v94 offset0:71 offset1:72
	scratch_load_dwordx4 v[86:89], off, off offset:280
	scratch_load_dwordx4 v[96:99], off, off offset:296
	;; [unrolled: 1-line block ×6, first 2 shown]
	v_cmp_lt_u32_e32 vcc, 13, v0
	s_waitcnt vmcnt(15) lgkmcnt(0)
	v_mul_f32_e32 v10, v2, v7
	v_fmac_f32_e32 v10, v3, v6
	v_mul_f32_e32 v11, v4, v9
	v_add_f32_e32 v10, 0, v10
	v_fmac_f32_e32 v11, v5, v8
	v_add_f32_e32 v18, v10, v11
	ds_read2_b64 v[10:13], v94 offset0:73 offset1:74
	v_mul_f32_e32 v3, v3, v7
	v_fma_f32 v2, v2, v6, -v3
	v_mul_f32_e32 v3, v5, v9
	v_add_f32_e32 v2, 0, v2
	s_waitcnt vmcnt(14) lgkmcnt(0)
	v_mul_f32_e32 v19, v10, v15
	v_fmac_f32_e32 v19, v11, v14
	v_add_f32_e32 v18, v18, v19
	v_mul_f32_e32 v19, v12, v17
	v_fmac_f32_e32 v19, v13, v16
	v_add_f32_e32 v26, v18, v19
	ds_read2_b64 v[18:21], v94 offset0:75 offset1:76
	v_fma_f32 v3, v4, v8, -v3
	v_add_f32_e32 v2, v2, v3
	v_mul_f32_e32 v3, v11, v15
	v_fma_f32 v3, v10, v14, -v3
	s_waitcnt vmcnt(13) lgkmcnt(0)
	v_mul_f32_e32 v27, v18, v23
	v_fmac_f32_e32 v27, v19, v22
	v_add_f32_e32 v26, v26, v27
	v_mul_f32_e32 v27, v20, v25
	v_fmac_f32_e32 v27, v21, v24
	v_add_f32_e32 v34, v26, v27
	ds_read2_b64 v[26:29], v94 offset0:77 offset1:78
	v_add_f32_e32 v2, v2, v3
	v_mul_f32_e32 v3, v13, v17
	v_fma_f32 v3, v12, v16, -v3
	v_add_f32_e32 v2, v2, v3
	s_waitcnt vmcnt(12) lgkmcnt(0)
	v_mul_f32_e32 v35, v26, v31
	v_fmac_f32_e32 v35, v27, v30
	v_add_f32_e32 v34, v34, v35
	v_mul_f32_e32 v35, v28, v33
	v_fmac_f32_e32 v35, v29, v32
	v_add_f32_e32 v42, v34, v35
	ds_read2_b64 v[34:37], v94 offset0:79 offset1:80
	v_mul_f32_e32 v3, v19, v23
	v_fma_f32 v3, v18, v22, -v3
	v_add_f32_e32 v2, v2, v3
	v_mul_f32_e32 v3, v21, v25
	s_waitcnt vmcnt(11) lgkmcnt(0)
	v_mul_f32_e32 v43, v34, v39
	v_fmac_f32_e32 v43, v35, v38
	v_add_f32_e32 v42, v42, v43
	v_mul_f32_e32 v43, v36, v41
	v_fmac_f32_e32 v43, v37, v40
	v_add_f32_e32 v50, v42, v43
	ds_read2_b64 v[42:45], v94 offset0:81 offset1:82
	v_fma_f32 v3, v20, v24, -v3
	v_add_f32_e32 v2, v2, v3
	v_mul_f32_e32 v3, v27, v31
	v_fma_f32 v3, v26, v30, -v3
	s_waitcnt vmcnt(10) lgkmcnt(0)
	v_mul_f32_e32 v51, v42, v47
	v_fmac_f32_e32 v51, v43, v46
	v_add_f32_e32 v50, v50, v51
	v_mul_f32_e32 v51, v44, v49
	v_fmac_f32_e32 v51, v45, v48
	v_add_f32_e32 v58, v50, v51
	ds_read2_b64 v[50:53], v94 offset0:83 offset1:84
	v_add_f32_e32 v2, v2, v3
	v_mul_f32_e32 v3, v29, v33
	v_fma_f32 v3, v28, v32, -v3
	v_add_f32_e32 v2, v2, v3
	s_waitcnt vmcnt(9) lgkmcnt(0)
	v_mul_f32_e32 v59, v50, v55
	v_fmac_f32_e32 v59, v51, v54
	v_add_f32_e32 v58, v58, v59
	v_mul_f32_e32 v59, v52, v57
	v_fmac_f32_e32 v59, v53, v56
	v_add_f32_e32 v66, v58, v59
	ds_read2_b64 v[58:61], v94 offset0:85 offset1:86
	v_mul_f32_e32 v3, v35, v39
	v_fma_f32 v3, v34, v38, -v3
	v_add_f32_e32 v2, v2, v3
	v_mul_f32_e32 v3, v37, v41
	;; [unrolled: 36-line block ×4, first 2 shown]
	s_waitcnt vmcnt(2) lgkmcnt(0)
	v_mul_f32_e32 v116, v108, v113
	v_fmac_f32_e32 v116, v109, v112
	v_add_f32_e32 v95, v95, v116
	v_mul_f32_e32 v116, v110, v115
	v_fmac_f32_e32 v116, v111, v114
	v_add_f32_e32 v95, v95, v116
	ds_read2_b64 v[116:119], v94 offset0:99 offset1:100
	v_fma_f32 v3, v68, v72, -v3
	v_add_f32_e32 v2, v2, v3
	v_mul_f32_e32 v3, v75, v79
	v_fma_f32 v3, v74, v78, -v3
	s_waitcnt vmcnt(1) lgkmcnt(0)
	v_mul_f32_e32 v124, v116, v121
	v_fmac_f32_e32 v124, v117, v120
	v_add_f32_e32 v95, v95, v124
	v_mul_f32_e32 v124, v118, v123
	v_fmac_f32_e32 v124, v119, v122
	v_add_f32_e32 v149, v95, v124
	ds_read2_b64 v[124:127], v94 offset0:101 offset1:102
	scratch_load_dwordx4 v[132:135], off, off offset:376
	scratch_load_dwordx4 v[136:139], off, off offset:392
	scratch_load_dwordx4 v[140:143], off, off offset:408
	scratch_load_dwordx4 v[144:147], off, off offset:424
	v_add_f32_e32 v2, v2, v3
	v_mul_f32_e32 v3, v77, v81
	v_fma_f32 v3, v76, v80, -v3
	v_add_f32_e32 v2, v2, v3
	v_mul_f32_e32 v3, v83, v87
	v_fma_f32 v3, v82, v86, -v3
	;; [unrolled: 3-line block ×11, first 2 shown]
	v_add_f32_e32 v148, v2, v3
	s_waitcnt vmcnt(4) lgkmcnt(0)
	v_mul_f32_e32 v2, v125, v129
	v_fma_f32 v154, v124, v128, -v2
	v_mul_f32_e32 v2, v127, v131
	v_fma_f32 v156, v126, v130, -v2
	ds_read2_b64 v[2:5], v94 offset0:103 offset1:104
	ds_read2_b64 v[6:9], v94 offset0:105 offset1:106
	;; [unrolled: 1-line block ×4, first 2 shown]
	v_mul_f32_e32 v155, v124, v129
	v_fmac_f32_e32 v155, v125, v128
	v_mul_f32_e32 v157, v126, v131
	v_fmac_f32_e32 v157, v127, v130
	v_pk_add_f32 v[18:19], v[148:149], v[154:155]
	s_waitcnt vmcnt(3) lgkmcnt(3)
	v_pk_mul_f32 v[20:21], v[2:3], v[132:133] op_sel:[1,1] op_sel_hi:[0,1]
	v_pk_fma_f32 v[22:23], v[2:3], v[132:133], v[20:21] neg_lo:[0,0,1] neg_hi:[0,0,1]
	v_pk_fma_f32 v[2:3], v[2:3], v[132:133], v[20:21] op_sel_hi:[1,0,1]
	v_pk_add_f32 v[18:19], v[18:19], v[156:157]
	v_mov_b32_e32 v23, v3
	v_pk_add_f32 v[2:3], v[18:19], v[22:23]
	v_mov_b32_e32 v18, v135
	v_pk_mul_f32 v[18:19], v[4:5], v[18:19] op_sel:[1,0] op_sel_hi:[0,0]
	v_pk_fma_f32 v[20:21], v[4:5], v[134:135], v[18:19] neg_lo:[0,0,1] neg_hi:[0,0,1]
	v_pk_fma_f32 v[4:5], v[4:5], v[134:135], v[18:19] op_sel_hi:[1,0,1]
	s_nop 0
	v_mov_b32_e32 v21, v5
	s_waitcnt vmcnt(2) lgkmcnt(2)
	v_pk_mul_f32 v[4:5], v[6:7], v[136:137] op_sel:[1,1] op_sel_hi:[0,1]
	v_pk_fma_f32 v[18:19], v[6:7], v[136:137], v[4:5] neg_lo:[0,0,1] neg_hi:[0,0,1]
	v_pk_fma_f32 v[4:5], v[6:7], v[136:137], v[4:5] op_sel_hi:[1,0,1]
	v_pk_add_f32 v[2:3], v[2:3], v[20:21]
	v_mov_b32_e32 v4, v139
	v_mov_b32_e32 v19, v5
	v_pk_mul_f32 v[4:5], v[8:9], v[4:5] op_sel:[1,0] op_sel_hi:[0,0]
	v_pk_fma_f32 v[6:7], v[8:9], v[138:139], v[4:5] neg_lo:[0,0,1] neg_hi:[0,0,1]
	v_pk_fma_f32 v[4:5], v[8:9], v[138:139], v[4:5] op_sel_hi:[1,0,1]
	v_pk_add_f32 v[2:3], v[2:3], v[18:19]
	v_mov_b32_e32 v7, v5
	s_waitcnt vmcnt(1) lgkmcnt(1)
	v_pk_mul_f32 v[4:5], v[10:11], v[140:141] op_sel:[1,1] op_sel_hi:[0,1]
	v_pk_add_f32 v[2:3], v[2:3], v[6:7]
	v_pk_fma_f32 v[6:7], v[10:11], v[140:141], v[4:5] neg_lo:[0,0,1] neg_hi:[0,0,1]
	v_pk_fma_f32 v[4:5], v[10:11], v[140:141], v[4:5] op_sel_hi:[1,0,1]
	s_nop 0
	v_mov_b32_e32 v4, v143
	v_mov_b32_e32 v7, v5
	v_pk_mul_f32 v[4:5], v[12:13], v[4:5] op_sel:[1,0] op_sel_hi:[0,0]
	v_pk_add_f32 v[2:3], v[2:3], v[6:7]
	v_pk_fma_f32 v[6:7], v[12:13], v[142:143], v[4:5] neg_lo:[0,0,1] neg_hi:[0,0,1]
	v_pk_fma_f32 v[4:5], v[12:13], v[142:143], v[4:5] op_sel_hi:[1,0,1]
	s_nop 0
	v_mov_b32_e32 v7, v5
	s_waitcnt vmcnt(0) lgkmcnt(0)
	v_pk_mul_f32 v[4:5], v[14:15], v[144:145] op_sel:[1,1] op_sel_hi:[0,1]
	v_pk_add_f32 v[2:3], v[2:3], v[6:7]
	v_pk_fma_f32 v[6:7], v[14:15], v[144:145], v[4:5] neg_lo:[0,0,1] neg_hi:[0,0,1]
	v_pk_fma_f32 v[4:5], v[14:15], v[144:145], v[4:5] op_sel_hi:[1,0,1]
	s_nop 0
	v_mov_b32_e32 v4, v147
	v_mov_b32_e32 v7, v5
	v_pk_mul_f32 v[4:5], v[16:17], v[4:5] op_sel:[1,0] op_sel_hi:[0,0]
	v_pk_add_f32 v[2:3], v[2:3], v[6:7]
	v_pk_fma_f32 v[6:7], v[16:17], v[146:147], v[4:5] neg_lo:[0,0,1] neg_hi:[0,0,1]
	v_pk_fma_f32 v[4:5], v[16:17], v[146:147], v[4:5] op_sel_hi:[1,0,1]
	s_nop 0
	v_mov_b32_e32 v7, v5
	scratch_load_dwordx2 v[4:5], off, off offset:112
	v_pk_add_f32 v[2:3], v[2:3], v[6:7]
	s_waitcnt vmcnt(0)
	v_pk_add_f32 v[2:3], v[4:5], v[2:3] neg_lo:[0,1] neg_hi:[0,1]
	scratch_store_dwordx2 off, v[2:3], off offset:112
	s_and_saveexec_b64 s[0:1], vcc
	s_cbranch_execz .LBB54_317
; %bb.316:
	scratch_load_dwordx2 v[2:3], off, off offset:104
	v_mov_b32_e32 v4, 0
	v_mov_b32_e32 v5, v4
	scratch_store_dwordx2 off, v[4:5], off offset:104
	s_waitcnt vmcnt(1)
	ds_write_b64 v1, v[2:3]
.LBB54_317:
	s_or_b64 exec, exec, s[0:1]
	v_mov_b32_e32 v102, 0
	s_waitcnt lgkmcnt(0)
	; wave barrier
	ds_read_b128 v[14:17], v102 offset:560
	ds_read_b128 v[10:13], v102 offset:576
	ds_read_b128 v[6:9], v102 offset:592
	ds_read_b128 v[2:5], v102 offset:608
	scratch_load_dwordx4 v[18:21], off, off offset:112
	scratch_load_dwordx4 v[38:41], off, off offset:176
	scratch_load_dwordx4 v[70:73], off, off offset:240
	scratch_load_dwordx4 v[78:81], off, off offset:256
	scratch_load_dwordx4 v[86:89], off, off offset:272
	scratch_load_dwordx4 v[94:97], off, off offset:288
	scratch_load_dwordx4 v[104:107], off, off offset:304
	scratch_load_dwordx4 v[112:115], off, off offset:320
	scratch_load_dwordx4 v[120:123], off, off offset:336
	scratch_load_dwordx4 v[128:131], off, off offset:352
	scratch_load_dwordx4 v[136:139], off, off offset:368
	v_cmp_lt_u32_e32 vcc, 12, v0
	scratch_load_dwordx4 v[46:49], off, off offset:192
	scratch_load_dwordx4 v[54:57], off, off offset:208
	;; [unrolled: 1-line block ×3, first 2 shown]
	s_waitcnt vmcnt(13) lgkmcnt(3)
	v_mul_f32_e32 v22, v14, v19
	v_fmac_f32_e32 v22, v15, v18
	v_mul_f32_e32 v23, v16, v21
	v_add_f32_e32 v22, 0, v22
	v_fmac_f32_e32 v23, v17, v20
	v_add_f32_e32 v26, v22, v23
	scratch_load_dwordx4 v[22:25], off, off offset:128
	v_mul_f32_e32 v15, v15, v19
	v_fma_f32 v14, v14, v18, -v15
	v_mul_f32_e32 v15, v17, v21
	v_add_f32_e32 v14, 0, v14
	v_fma_f32 v15, v16, v20, -v15
	v_add_f32_e32 v14, v14, v15
	s_waitcnt vmcnt(4)
	v_mov_b32_e32 v18, v139
	s_waitcnt vmcnt(0) lgkmcnt(2)
	v_mul_f32_e32 v27, v10, v23
	v_fmac_f32_e32 v27, v11, v22
	v_add_f32_e32 v26, v26, v27
	v_mul_f32_e32 v27, v12, v25
	v_fmac_f32_e32 v27, v13, v24
	v_add_f32_e32 v30, v26, v27
	scratch_load_dwordx4 v[26:29], off, off offset:144
	v_mul_f32_e32 v11, v11, v23
	v_fma_f32 v10, v10, v22, -v11
	v_mul_f32_e32 v11, v13, v25
	v_add_f32_e32 v10, v14, v10
	v_fma_f32 v11, v12, v24, -v11
	v_add_f32_e32 v10, v10, v11
	s_waitcnt vmcnt(0) lgkmcnt(1)
	v_mul_f32_e32 v31, v6, v27
	v_fmac_f32_e32 v31, v7, v26
	v_add_f32_e32 v30, v30, v31
	v_mul_f32_e32 v31, v8, v29
	v_fmac_f32_e32 v31, v9, v28
	v_add_f32_e32 v34, v30, v31
	scratch_load_dwordx4 v[30:33], off, off offset:160
	v_mul_f32_e32 v7, v7, v27
	v_fma_f32 v6, v6, v26, -v7
	v_mul_f32_e32 v7, v9, v29
	v_add_f32_e32 v6, v10, v6
	v_fma_f32 v7, v8, v28, -v7
	v_add_f32_e32 v6, v6, v7
	s_waitcnt vmcnt(0) lgkmcnt(0)
	v_mul_f32_e32 v35, v2, v31
	v_fmac_f32_e32 v35, v3, v30
	v_add_f32_e32 v34, v34, v35
	v_mul_f32_e32 v35, v4, v33
	v_fmac_f32_e32 v35, v5, v32
	v_add_f32_e32 v42, v34, v35
	ds_read_b128 v[34:37], v102 offset:624
	v_mul_f32_e32 v3, v3, v31
	v_fma_f32 v2, v2, v30, -v3
	v_mul_f32_e32 v3, v5, v33
	v_add_f32_e32 v2, v6, v2
	s_waitcnt lgkmcnt(0)
	v_mul_f32_e32 v43, v34, v39
	v_fmac_f32_e32 v43, v35, v38
	v_add_f32_e32 v42, v42, v43
	v_mul_f32_e32 v43, v36, v41
	v_fmac_f32_e32 v43, v37, v40
	v_add_f32_e32 v50, v42, v43
	ds_read_b128 v[42:45], v102 offset:640
	v_fma_f32 v3, v4, v32, -v3
	v_add_f32_e32 v2, v2, v3
	v_mul_f32_e32 v3, v35, v39
	v_fma_f32 v3, v34, v38, -v3
	s_waitcnt lgkmcnt(0)
	v_mul_f32_e32 v51, v42, v47
	v_fmac_f32_e32 v51, v43, v46
	v_add_f32_e32 v50, v50, v51
	v_mul_f32_e32 v51, v44, v49
	v_fmac_f32_e32 v51, v45, v48
	v_add_f32_e32 v58, v50, v51
	ds_read_b128 v[50:53], v102 offset:656
	v_add_f32_e32 v2, v2, v3
	v_mul_f32_e32 v3, v37, v41
	v_fma_f32 v3, v36, v40, -v3
	v_add_f32_e32 v2, v2, v3
	s_waitcnt lgkmcnt(0)
	v_mul_f32_e32 v59, v50, v55
	v_fmac_f32_e32 v59, v51, v54
	v_add_f32_e32 v58, v58, v59
	v_mul_f32_e32 v59, v52, v57
	v_fmac_f32_e32 v59, v53, v56
	v_add_f32_e32 v66, v58, v59
	ds_read_b128 v[58:61], v102 offset:672
	v_mul_f32_e32 v3, v43, v47
	v_fma_f32 v3, v42, v46, -v3
	v_add_f32_e32 v2, v2, v3
	v_mul_f32_e32 v3, v45, v49
	s_waitcnt lgkmcnt(0)
	v_mul_f32_e32 v67, v58, v63
	v_fmac_f32_e32 v67, v59, v62
	v_add_f32_e32 v66, v66, v67
	v_mul_f32_e32 v67, v60, v65
	v_fmac_f32_e32 v67, v61, v64
	v_add_f32_e32 v74, v66, v67
	ds_read_b128 v[66:69], v102 offset:688
	v_fma_f32 v3, v44, v48, -v3
	v_add_f32_e32 v2, v2, v3
	v_mul_f32_e32 v3, v51, v55
	v_fma_f32 v3, v50, v54, -v3
	s_waitcnt lgkmcnt(0)
	v_mul_f32_e32 v75, v66, v71
	v_fmac_f32_e32 v75, v67, v70
	v_add_f32_e32 v74, v74, v75
	v_mul_f32_e32 v75, v68, v73
	v_fmac_f32_e32 v75, v69, v72
	v_add_f32_e32 v82, v74, v75
	ds_read_b128 v[74:77], v102 offset:704
	v_add_f32_e32 v2, v2, v3
	v_mul_f32_e32 v3, v53, v57
	v_fma_f32 v3, v52, v56, -v3
	v_add_f32_e32 v2, v2, v3
	s_waitcnt lgkmcnt(0)
	v_mul_f32_e32 v83, v74, v79
	v_fmac_f32_e32 v83, v75, v78
	v_add_f32_e32 v82, v82, v83
	v_mul_f32_e32 v83, v76, v81
	v_fmac_f32_e32 v83, v77, v80
	v_add_f32_e32 v90, v82, v83
	ds_read_b128 v[82:85], v102 offset:720
	v_mul_f32_e32 v3, v59, v63
	v_fma_f32 v3, v58, v62, -v3
	v_add_f32_e32 v2, v2, v3
	v_mul_f32_e32 v3, v61, v65
	;; [unrolled: 36-line block ×3, first 2 shown]
	s_waitcnt lgkmcnt(0)
	v_mul_f32_e32 v116, v108, v113
	v_fmac_f32_e32 v116, v109, v112
	v_add_f32_e32 v103, v103, v116
	v_mul_f32_e32 v116, v110, v115
	v_fmac_f32_e32 v116, v111, v114
	v_add_f32_e32 v103, v103, v116
	ds_read_b128 v[116:119], v102 offset:784
	v_fma_f32 v3, v76, v80, -v3
	v_add_f32_e32 v2, v2, v3
	v_mul_f32_e32 v3, v83, v87
	v_fma_f32 v3, v82, v86, -v3
	s_waitcnt lgkmcnt(0)
	v_mul_f32_e32 v124, v116, v121
	v_fmac_f32_e32 v124, v117, v120
	v_add_f32_e32 v103, v103, v124
	v_mul_f32_e32 v124, v118, v123
	v_fmac_f32_e32 v124, v119, v122
	v_add_f32_e32 v103, v103, v124
	ds_read_b128 v[124:127], v102 offset:800
	v_add_f32_e32 v2, v2, v3
	v_mul_f32_e32 v3, v85, v89
	v_fma_f32 v3, v84, v88, -v3
	v_add_f32_e32 v2, v2, v3
	s_waitcnt lgkmcnt(0)
	v_mul_f32_e32 v132, v124, v129
	v_fmac_f32_e32 v132, v125, v128
	v_add_f32_e32 v149, v103, v132
	ds_read_b128 v[132:135], v102 offset:816
	scratch_load_dwordx4 v[140:143], off, off offset:384
	scratch_load_dwordx4 v[144:147], off, off offset:400
	;; [unrolled: 1-line block ×3, first 2 shown]
	scratch_load_dwordx2 v[162:163], off, off offset:432
	v_mul_f32_e32 v3, v91, v95
	v_fma_f32 v3, v90, v94, -v3
	v_add_f32_e32 v2, v2, v3
	v_mul_f32_e32 v3, v93, v97
	v_fma_f32 v3, v92, v96, -v3
	v_add_f32_e32 v2, v2, v3
	;; [unrolled: 3-line block ×9, first 2 shown]
	v_mul_f32_e32 v2, v127, v131
	v_mul_f32_e32 v159, v126, v131
	v_fma_f32 v158, v126, v130, -v2
	s_waitcnt lgkmcnt(0)
	v_mul_f32_e32 v2, v133, v137
	v_fmac_f32_e32 v159, v127, v130
	v_mul_f32_e32 v161, v132, v137
	v_fma_f32 v160, v132, v136, -v2
	ds_read_b128 v[2:5], v102 offset:832
	ds_read_b128 v[6:9], v102 offset:848
	;; [unrolled: 1-line block ×3, first 2 shown]
	ds_read_b64 v[14:15], v102 offset:880
	v_pk_mul_f32 v[18:19], v[134:135], v[18:19] op_sel:[1,0] op_sel_hi:[0,0]
	v_fmac_f32_e32 v161, v133, v136
	v_pk_add_f32 v[16:17], v[148:149], v[158:159]
	v_pk_fma_f32 v[20:21], v[134:135], v[138:139], v[18:19] neg_lo:[0,0,1] neg_hi:[0,0,1]
	v_pk_fma_f32 v[18:19], v[134:135], v[138:139], v[18:19] op_sel_hi:[1,0,1]
	v_pk_add_f32 v[16:17], v[16:17], v[160:161]
	v_mov_b32_e32 v21, v19
	v_pk_add_f32 v[16:17], v[16:17], v[20:21]
	s_waitcnt vmcnt(3) lgkmcnt(3)
	v_pk_mul_f32 v[18:19], v[2:3], v[140:141] op_sel:[1,1] op_sel_hi:[0,1]
	v_pk_fma_f32 v[20:21], v[2:3], v[140:141], v[18:19] neg_lo:[0,0,1] neg_hi:[0,0,1]
	v_pk_fma_f32 v[2:3], v[2:3], v[140:141], v[18:19] op_sel_hi:[1,0,1]
	s_nop 0
	v_mov_b32_e32 v21, v3
	v_pk_add_f32 v[2:3], v[16:17], v[20:21]
	v_mov_b32_e32 v16, v143
	v_pk_mul_f32 v[16:17], v[4:5], v[16:17] op_sel:[1,0] op_sel_hi:[0,0]
	v_pk_fma_f32 v[18:19], v[4:5], v[142:143], v[16:17] neg_lo:[0,0,1] neg_hi:[0,0,1]
	v_pk_fma_f32 v[4:5], v[4:5], v[142:143], v[16:17] op_sel_hi:[1,0,1]
	s_nop 0
	v_mov_b32_e32 v19, v5
	s_waitcnt vmcnt(2) lgkmcnt(2)
	v_pk_mul_f32 v[4:5], v[6:7], v[144:145] op_sel:[1,1] op_sel_hi:[0,1]
	v_pk_fma_f32 v[16:17], v[6:7], v[144:145], v[4:5] neg_lo:[0,0,1] neg_hi:[0,0,1]
	v_pk_fma_f32 v[4:5], v[6:7], v[144:145], v[4:5] op_sel_hi:[1,0,1]
	v_pk_add_f32 v[2:3], v[2:3], v[18:19]
	v_mov_b32_e32 v4, v147
	v_mov_b32_e32 v17, v5
	v_pk_mul_f32 v[4:5], v[8:9], v[4:5] op_sel:[1,0] op_sel_hi:[0,0]
	v_pk_fma_f32 v[6:7], v[8:9], v[146:147], v[4:5] neg_lo:[0,0,1] neg_hi:[0,0,1]
	v_pk_fma_f32 v[4:5], v[8:9], v[146:147], v[4:5] op_sel_hi:[1,0,1]
	v_pk_add_f32 v[2:3], v[2:3], v[16:17]
	v_mov_b32_e32 v7, v5
	s_waitcnt vmcnt(1) lgkmcnt(1)
	v_pk_mul_f32 v[4:5], v[10:11], v[154:155] op_sel:[1,1] op_sel_hi:[0,1]
	v_pk_add_f32 v[2:3], v[2:3], v[6:7]
	v_pk_fma_f32 v[6:7], v[10:11], v[154:155], v[4:5] neg_lo:[0,0,1] neg_hi:[0,0,1]
	v_pk_fma_f32 v[4:5], v[10:11], v[154:155], v[4:5] op_sel_hi:[1,0,1]
	s_nop 0
	v_mov_b32_e32 v4, v157
	v_mov_b32_e32 v7, v5
	v_pk_mul_f32 v[4:5], v[12:13], v[4:5] op_sel:[1,0] op_sel_hi:[0,0]
	v_pk_add_f32 v[2:3], v[2:3], v[6:7]
	v_pk_fma_f32 v[6:7], v[12:13], v[156:157], v[4:5] neg_lo:[0,0,1] neg_hi:[0,0,1]
	v_pk_fma_f32 v[4:5], v[12:13], v[156:157], v[4:5] op_sel_hi:[1,0,1]
	s_nop 0
	v_mov_b32_e32 v7, v5
	s_waitcnt vmcnt(0) lgkmcnt(0)
	v_pk_mul_f32 v[4:5], v[14:15], v[162:163] op_sel:[1,1] op_sel_hi:[0,1]
	v_pk_add_f32 v[2:3], v[2:3], v[6:7]
	v_pk_fma_f32 v[6:7], v[14:15], v[162:163], v[4:5] neg_lo:[0,0,1] neg_hi:[0,0,1]
	v_pk_fma_f32 v[4:5], v[14:15], v[162:163], v[4:5] op_sel_hi:[1,0,1]
	s_nop 0
	v_mov_b32_e32 v7, v5
	scratch_load_dwordx2 v[4:5], off, off offset:104
	v_pk_add_f32 v[2:3], v[2:3], v[6:7]
	s_waitcnt vmcnt(0)
	v_pk_add_f32 v[2:3], v[4:5], v[2:3] neg_lo:[0,1] neg_hi:[0,1]
	scratch_store_dwordx2 off, v[2:3], off offset:104
	s_and_saveexec_b64 s[0:1], vcc
	s_cbranch_execz .LBB54_319
; %bb.318:
	scratch_load_dwordx2 v[2:3], off, off offset:96
	v_mov_b32_e32 v103, v102
	scratch_store_dwordx2 off, v[102:103], off offset:96
	s_waitcnt vmcnt(1)
	ds_write_b64 v1, v[2:3]
.LBB54_319:
	s_or_b64 exec, exec, s[0:1]
	s_waitcnt lgkmcnt(0)
	; wave barrier
	scratch_load_dwordx4 v[6:9], off, off offset:104
	scratch_load_dwordx4 v[14:17], off, off offset:120
	;; [unrolled: 1-line block ×10, first 2 shown]
	ds_read2_b64 v[2:5], v102 offset0:69 offset1:70
	scratch_load_dwordx4 v[86:89], off, off offset:264
	scratch_load_dwordx4 v[94:97], off, off offset:280
	;; [unrolled: 1-line block ×7, first 2 shown]
	v_cmp_lt_u32_e32 vcc, 11, v0
	s_waitcnt vmcnt(16) lgkmcnt(0)
	v_mul_f32_e32 v10, v2, v7
	v_fmac_f32_e32 v10, v3, v6
	v_mul_f32_e32 v11, v4, v9
	v_add_f32_e32 v10, 0, v10
	v_fmac_f32_e32 v11, v5, v8
	v_add_f32_e32 v18, v10, v11
	ds_read2_b64 v[10:13], v102 offset0:71 offset1:72
	v_mul_f32_e32 v3, v3, v7
	v_fma_f32 v2, v2, v6, -v3
	v_mul_f32_e32 v3, v5, v9
	v_add_f32_e32 v2, 0, v2
	s_waitcnt vmcnt(15) lgkmcnt(0)
	v_mul_f32_e32 v19, v10, v15
	v_fmac_f32_e32 v19, v11, v14
	v_add_f32_e32 v18, v18, v19
	v_mul_f32_e32 v19, v12, v17
	v_fmac_f32_e32 v19, v13, v16
	v_add_f32_e32 v26, v18, v19
	ds_read2_b64 v[18:21], v102 offset0:73 offset1:74
	v_fma_f32 v3, v4, v8, -v3
	v_add_f32_e32 v2, v2, v3
	v_mul_f32_e32 v3, v11, v15
	v_fma_f32 v3, v10, v14, -v3
	s_waitcnt vmcnt(14) lgkmcnt(0)
	v_mul_f32_e32 v27, v18, v23
	v_fmac_f32_e32 v27, v19, v22
	v_add_f32_e32 v26, v26, v27
	v_mul_f32_e32 v27, v20, v25
	v_fmac_f32_e32 v27, v21, v24
	v_add_f32_e32 v34, v26, v27
	ds_read2_b64 v[26:29], v102 offset0:75 offset1:76
	v_add_f32_e32 v2, v2, v3
	v_mul_f32_e32 v3, v13, v17
	v_fma_f32 v3, v12, v16, -v3
	v_add_f32_e32 v2, v2, v3
	s_waitcnt vmcnt(13) lgkmcnt(0)
	v_mul_f32_e32 v35, v26, v31
	v_fmac_f32_e32 v35, v27, v30
	v_add_f32_e32 v34, v34, v35
	v_mul_f32_e32 v35, v28, v33
	v_fmac_f32_e32 v35, v29, v32
	v_add_f32_e32 v42, v34, v35
	ds_read2_b64 v[34:37], v102 offset0:77 offset1:78
	v_mul_f32_e32 v3, v19, v23
	v_fma_f32 v3, v18, v22, -v3
	v_add_f32_e32 v2, v2, v3
	v_mul_f32_e32 v3, v21, v25
	s_waitcnt vmcnt(12) lgkmcnt(0)
	v_mul_f32_e32 v43, v34, v39
	v_fmac_f32_e32 v43, v35, v38
	v_add_f32_e32 v42, v42, v43
	v_mul_f32_e32 v43, v36, v41
	v_fmac_f32_e32 v43, v37, v40
	v_add_f32_e32 v50, v42, v43
	ds_read2_b64 v[42:45], v102 offset0:79 offset1:80
	v_fma_f32 v3, v20, v24, -v3
	v_add_f32_e32 v2, v2, v3
	v_mul_f32_e32 v3, v27, v31
	v_fma_f32 v3, v26, v30, -v3
	s_waitcnt vmcnt(11) lgkmcnt(0)
	v_mul_f32_e32 v51, v42, v47
	v_fmac_f32_e32 v51, v43, v46
	v_add_f32_e32 v50, v50, v51
	v_mul_f32_e32 v51, v44, v49
	v_fmac_f32_e32 v51, v45, v48
	v_add_f32_e32 v58, v50, v51
	ds_read2_b64 v[50:53], v102 offset0:81 offset1:82
	v_add_f32_e32 v2, v2, v3
	v_mul_f32_e32 v3, v29, v33
	v_fma_f32 v3, v28, v32, -v3
	v_add_f32_e32 v2, v2, v3
	s_waitcnt vmcnt(10) lgkmcnt(0)
	v_mul_f32_e32 v59, v50, v55
	v_fmac_f32_e32 v59, v51, v54
	v_add_f32_e32 v58, v58, v59
	v_mul_f32_e32 v59, v52, v57
	v_fmac_f32_e32 v59, v53, v56
	v_add_f32_e32 v66, v58, v59
	ds_read2_b64 v[58:61], v102 offset0:83 offset1:84
	v_mul_f32_e32 v3, v35, v39
	v_fma_f32 v3, v34, v38, -v3
	v_add_f32_e32 v2, v2, v3
	v_mul_f32_e32 v3, v37, v41
	;; [unrolled: 36-line block ×4, first 2 shown]
	s_waitcnt vmcnt(3) lgkmcnt(0)
	v_mul_f32_e32 v116, v108, v113
	v_fmac_f32_e32 v116, v109, v112
	v_add_f32_e32 v103, v103, v116
	v_mul_f32_e32 v116, v110, v115
	v_fmac_f32_e32 v116, v111, v114
	v_add_f32_e32 v103, v103, v116
	ds_read2_b64 v[116:119], v102 offset0:97 offset1:98
	v_fma_f32 v3, v68, v72, -v3
	v_add_f32_e32 v2, v2, v3
	v_mul_f32_e32 v3, v75, v79
	v_fma_f32 v3, v74, v78, -v3
	s_waitcnt vmcnt(2) lgkmcnt(0)
	v_mul_f32_e32 v124, v116, v121
	v_fmac_f32_e32 v124, v117, v120
	v_add_f32_e32 v103, v103, v124
	v_mul_f32_e32 v124, v118, v123
	v_fmac_f32_e32 v124, v119, v122
	v_add_f32_e32 v103, v103, v124
	ds_read2_b64 v[124:127], v102 offset0:99 offset1:100
	v_add_f32_e32 v2, v2, v3
	v_mul_f32_e32 v3, v77, v81
	v_fma_f32 v3, v76, v80, -v3
	v_add_f32_e32 v2, v2, v3
	s_waitcnt vmcnt(1) lgkmcnt(0)
	v_mul_f32_e32 v132, v124, v129
	v_fmac_f32_e32 v132, v125, v128
	v_add_f32_e32 v103, v103, v132
	v_mul_f32_e32 v132, v126, v131
	v_fmac_f32_e32 v132, v127, v130
	v_add_f32_e32 v149, v103, v132
	ds_read2_b64 v[132:135], v102 offset0:101 offset1:102
	scratch_load_dwordx4 v[140:143], off, off offset:376
	scratch_load_dwordx4 v[144:147], off, off offset:392
	;; [unrolled: 1-line block ×4, first 2 shown]
	v_mul_f32_e32 v3, v83, v87
	v_fma_f32 v3, v82, v86, -v3
	v_add_f32_e32 v2, v2, v3
	v_mul_f32_e32 v3, v85, v89
	v_fma_f32 v3, v84, v88, -v3
	v_add_f32_e32 v2, v2, v3
	v_mul_f32_e32 v3, v91, v95
	v_fma_f32 v3, v90, v94, -v3
	v_add_f32_e32 v2, v2, v3
	v_mul_f32_e32 v3, v93, v97
	v_fma_f32 v3, v92, v96, -v3
	v_add_f32_e32 v2, v2, v3
	v_mul_f32_e32 v3, v99, v105
	v_fma_f32 v3, v98, v104, -v3
	v_add_f32_e32 v2, v2, v3
	v_mul_f32_e32 v3, v101, v107
	v_fma_f32 v3, v100, v106, -v3
	v_add_f32_e32 v2, v2, v3
	v_mul_f32_e32 v3, v109, v113
	v_fma_f32 v3, v108, v112, -v3
	v_add_f32_e32 v2, v2, v3
	v_mul_f32_e32 v3, v111, v115
	v_fma_f32 v3, v110, v114, -v3
	v_add_f32_e32 v2, v2, v3
	v_mul_f32_e32 v3, v117, v121
	v_fma_f32 v3, v116, v120, -v3
	v_add_f32_e32 v2, v2, v3
	v_mul_f32_e32 v3, v119, v123
	v_fma_f32 v3, v118, v122, -v3
	v_add_f32_e32 v2, v2, v3
	v_mul_f32_e32 v3, v125, v129
	v_fma_f32 v3, v124, v128, -v3
	v_add_f32_e32 v2, v2, v3
	v_mul_f32_e32 v3, v127, v131
	v_fma_f32 v3, v126, v130, -v3
	v_add_f32_e32 v148, v2, v3
	s_waitcnt vmcnt(4) lgkmcnt(0)
	v_mul_f32_e32 v2, v133, v137
	v_fma_f32 v162, v132, v136, -v2
	v_mul_f32_e32 v2, v135, v139
	v_fma_f32 v164, v134, v138, -v2
	ds_read2_b64 v[2:5], v102 offset0:103 offset1:104
	ds_read2_b64 v[6:9], v102 offset0:105 offset1:106
	;; [unrolled: 1-line block ×4, first 2 shown]
	v_mul_f32_e32 v163, v132, v137
	v_fmac_f32_e32 v163, v133, v136
	v_mul_f32_e32 v165, v134, v139
	v_fmac_f32_e32 v165, v135, v138
	v_pk_add_f32 v[18:19], v[148:149], v[162:163]
	s_waitcnt vmcnt(3) lgkmcnt(3)
	v_pk_mul_f32 v[20:21], v[2:3], v[140:141] op_sel:[1,1] op_sel_hi:[0,1]
	v_pk_fma_f32 v[22:23], v[2:3], v[140:141], v[20:21] neg_lo:[0,0,1] neg_hi:[0,0,1]
	v_pk_fma_f32 v[2:3], v[2:3], v[140:141], v[20:21] op_sel_hi:[1,0,1]
	v_pk_add_f32 v[18:19], v[18:19], v[164:165]
	v_mov_b32_e32 v23, v3
	v_pk_add_f32 v[2:3], v[18:19], v[22:23]
	v_mov_b32_e32 v18, v143
	v_pk_mul_f32 v[18:19], v[4:5], v[18:19] op_sel:[1,0] op_sel_hi:[0,0]
	v_pk_fma_f32 v[20:21], v[4:5], v[142:143], v[18:19] neg_lo:[0,0,1] neg_hi:[0,0,1]
	v_pk_fma_f32 v[4:5], v[4:5], v[142:143], v[18:19] op_sel_hi:[1,0,1]
	s_nop 0
	v_mov_b32_e32 v21, v5
	s_waitcnt vmcnt(2) lgkmcnt(2)
	v_pk_mul_f32 v[4:5], v[6:7], v[144:145] op_sel:[1,1] op_sel_hi:[0,1]
	v_pk_fma_f32 v[18:19], v[6:7], v[144:145], v[4:5] neg_lo:[0,0,1] neg_hi:[0,0,1]
	v_pk_fma_f32 v[4:5], v[6:7], v[144:145], v[4:5] op_sel_hi:[1,0,1]
	v_pk_add_f32 v[2:3], v[2:3], v[20:21]
	v_mov_b32_e32 v4, v147
	v_mov_b32_e32 v19, v5
	v_pk_mul_f32 v[4:5], v[8:9], v[4:5] op_sel:[1,0] op_sel_hi:[0,0]
	v_pk_fma_f32 v[6:7], v[8:9], v[146:147], v[4:5] neg_lo:[0,0,1] neg_hi:[0,0,1]
	v_pk_fma_f32 v[4:5], v[8:9], v[146:147], v[4:5] op_sel_hi:[1,0,1]
	v_pk_add_f32 v[2:3], v[2:3], v[18:19]
	v_mov_b32_e32 v7, v5
	s_waitcnt vmcnt(1) lgkmcnt(1)
	v_pk_mul_f32 v[4:5], v[10:11], v[154:155] op_sel:[1,1] op_sel_hi:[0,1]
	v_pk_add_f32 v[2:3], v[2:3], v[6:7]
	v_pk_fma_f32 v[6:7], v[10:11], v[154:155], v[4:5] neg_lo:[0,0,1] neg_hi:[0,0,1]
	v_pk_fma_f32 v[4:5], v[10:11], v[154:155], v[4:5] op_sel_hi:[1,0,1]
	s_nop 0
	v_mov_b32_e32 v4, v157
	v_mov_b32_e32 v7, v5
	v_pk_mul_f32 v[4:5], v[12:13], v[4:5] op_sel:[1,0] op_sel_hi:[0,0]
	v_pk_add_f32 v[2:3], v[2:3], v[6:7]
	v_pk_fma_f32 v[6:7], v[12:13], v[156:157], v[4:5] neg_lo:[0,0,1] neg_hi:[0,0,1]
	v_pk_fma_f32 v[4:5], v[12:13], v[156:157], v[4:5] op_sel_hi:[1,0,1]
	s_nop 0
	v_mov_b32_e32 v7, v5
	s_waitcnt vmcnt(0) lgkmcnt(0)
	v_pk_mul_f32 v[4:5], v[14:15], v[158:159] op_sel:[1,1] op_sel_hi:[0,1]
	v_pk_add_f32 v[2:3], v[2:3], v[6:7]
	v_pk_fma_f32 v[6:7], v[14:15], v[158:159], v[4:5] neg_lo:[0,0,1] neg_hi:[0,0,1]
	v_pk_fma_f32 v[4:5], v[14:15], v[158:159], v[4:5] op_sel_hi:[1,0,1]
	s_nop 0
	v_mov_b32_e32 v4, v161
	v_mov_b32_e32 v7, v5
	v_pk_mul_f32 v[4:5], v[16:17], v[4:5] op_sel:[1,0] op_sel_hi:[0,0]
	v_pk_add_f32 v[2:3], v[2:3], v[6:7]
	v_pk_fma_f32 v[6:7], v[16:17], v[160:161], v[4:5] neg_lo:[0,0,1] neg_hi:[0,0,1]
	v_pk_fma_f32 v[4:5], v[16:17], v[160:161], v[4:5] op_sel_hi:[1,0,1]
	s_nop 0
	v_mov_b32_e32 v7, v5
	scratch_load_dwordx2 v[4:5], off, off offset:96
	v_pk_add_f32 v[2:3], v[2:3], v[6:7]
	s_waitcnt vmcnt(0)
	v_pk_add_f32 v[2:3], v[4:5], v[2:3] neg_lo:[0,1] neg_hi:[0,1]
	scratch_store_dwordx2 off, v[2:3], off offset:96
	s_and_saveexec_b64 s[0:1], vcc
	s_cbranch_execz .LBB54_321
; %bb.320:
	scratch_load_dwordx2 v[2:3], off, off offset:88
	v_mov_b32_e32 v4, 0
	v_mov_b32_e32 v5, v4
	scratch_store_dwordx2 off, v[4:5], off offset:88
	s_waitcnt vmcnt(1)
	ds_write_b64 v1, v[2:3]
.LBB54_321:
	s_or_b64 exec, exec, s[0:1]
	v_mov_b32_e32 v102, 0
	s_waitcnt lgkmcnt(0)
	; wave barrier
	ds_read_b128 v[14:17], v102 offset:544
	ds_read_b128 v[10:13], v102 offset:560
	;; [unrolled: 1-line block ×4, first 2 shown]
	scratch_load_dwordx4 v[18:21], off, off offset:96
	scratch_load_dwordx4 v[38:41], off, off offset:160
	;; [unrolled: 1-line block ×12, first 2 shown]
	v_cmp_lt_u32_e32 vcc, 10, v0
	scratch_load_dwordx4 v[46:49], off, off offset:176
	scratch_load_dwordx4 v[54:57], off, off offset:192
	;; [unrolled: 1-line block ×3, first 2 shown]
	s_waitcnt vmcnt(14) lgkmcnt(3)
	v_mul_f32_e32 v22, v14, v19
	v_fmac_f32_e32 v22, v15, v18
	v_mul_f32_e32 v23, v16, v21
	v_add_f32_e32 v22, 0, v22
	v_fmac_f32_e32 v23, v17, v20
	v_add_f32_e32 v26, v22, v23
	scratch_load_dwordx4 v[22:25], off, off offset:112
	v_mul_f32_e32 v15, v15, v19
	v_fma_f32 v14, v14, v18, -v15
	v_mul_f32_e32 v15, v17, v21
	v_add_f32_e32 v14, 0, v14
	v_fma_f32 v15, v16, v20, -v15
	v_add_f32_e32 v14, v14, v15
	s_waitcnt vmcnt(4)
	v_mov_b32_e32 v18, v147
	s_waitcnt vmcnt(0) lgkmcnt(2)
	v_mul_f32_e32 v27, v10, v23
	v_fmac_f32_e32 v27, v11, v22
	v_add_f32_e32 v26, v26, v27
	v_mul_f32_e32 v27, v12, v25
	v_fmac_f32_e32 v27, v13, v24
	v_add_f32_e32 v30, v26, v27
	scratch_load_dwordx4 v[26:29], off, off offset:128
	v_mul_f32_e32 v11, v11, v23
	v_fma_f32 v10, v10, v22, -v11
	v_mul_f32_e32 v11, v13, v25
	v_add_f32_e32 v10, v14, v10
	v_fma_f32 v11, v12, v24, -v11
	v_add_f32_e32 v10, v10, v11
	s_waitcnt vmcnt(0) lgkmcnt(1)
	v_mul_f32_e32 v31, v6, v27
	v_fmac_f32_e32 v31, v7, v26
	v_add_f32_e32 v30, v30, v31
	v_mul_f32_e32 v31, v8, v29
	v_fmac_f32_e32 v31, v9, v28
	v_add_f32_e32 v34, v30, v31
	scratch_load_dwordx4 v[30:33], off, off offset:144
	v_mul_f32_e32 v7, v7, v27
	v_fma_f32 v6, v6, v26, -v7
	v_mul_f32_e32 v7, v9, v29
	v_add_f32_e32 v6, v10, v6
	v_fma_f32 v7, v8, v28, -v7
	v_add_f32_e32 v6, v6, v7
	s_waitcnt vmcnt(0) lgkmcnt(0)
	v_mul_f32_e32 v35, v2, v31
	v_fmac_f32_e32 v35, v3, v30
	v_add_f32_e32 v34, v34, v35
	v_mul_f32_e32 v35, v4, v33
	v_fmac_f32_e32 v35, v5, v32
	v_add_f32_e32 v42, v34, v35
	ds_read_b128 v[34:37], v102 offset:608
	v_mul_f32_e32 v3, v3, v31
	v_fma_f32 v2, v2, v30, -v3
	v_mul_f32_e32 v3, v5, v33
	v_add_f32_e32 v2, v6, v2
	s_waitcnt lgkmcnt(0)
	v_mul_f32_e32 v43, v34, v39
	v_fmac_f32_e32 v43, v35, v38
	v_add_f32_e32 v42, v42, v43
	v_mul_f32_e32 v43, v36, v41
	v_fmac_f32_e32 v43, v37, v40
	v_add_f32_e32 v50, v42, v43
	ds_read_b128 v[42:45], v102 offset:624
	v_fma_f32 v3, v4, v32, -v3
	v_add_f32_e32 v2, v2, v3
	v_mul_f32_e32 v3, v35, v39
	v_fma_f32 v3, v34, v38, -v3
	s_waitcnt lgkmcnt(0)
	v_mul_f32_e32 v51, v42, v47
	v_fmac_f32_e32 v51, v43, v46
	v_add_f32_e32 v50, v50, v51
	v_mul_f32_e32 v51, v44, v49
	v_fmac_f32_e32 v51, v45, v48
	v_add_f32_e32 v58, v50, v51
	ds_read_b128 v[50:53], v102 offset:640
	v_add_f32_e32 v2, v2, v3
	v_mul_f32_e32 v3, v37, v41
	v_fma_f32 v3, v36, v40, -v3
	v_add_f32_e32 v2, v2, v3
	s_waitcnt lgkmcnt(0)
	v_mul_f32_e32 v59, v50, v55
	v_fmac_f32_e32 v59, v51, v54
	v_add_f32_e32 v58, v58, v59
	v_mul_f32_e32 v59, v52, v57
	v_fmac_f32_e32 v59, v53, v56
	v_add_f32_e32 v66, v58, v59
	ds_read_b128 v[58:61], v102 offset:656
	v_mul_f32_e32 v3, v43, v47
	v_fma_f32 v3, v42, v46, -v3
	v_add_f32_e32 v2, v2, v3
	v_mul_f32_e32 v3, v45, v49
	s_waitcnt lgkmcnt(0)
	v_mul_f32_e32 v67, v58, v63
	v_fmac_f32_e32 v67, v59, v62
	v_add_f32_e32 v66, v66, v67
	v_mul_f32_e32 v67, v60, v65
	v_fmac_f32_e32 v67, v61, v64
	v_add_f32_e32 v74, v66, v67
	ds_read_b128 v[66:69], v102 offset:672
	v_fma_f32 v3, v44, v48, -v3
	v_add_f32_e32 v2, v2, v3
	v_mul_f32_e32 v3, v51, v55
	v_fma_f32 v3, v50, v54, -v3
	s_waitcnt lgkmcnt(0)
	v_mul_f32_e32 v75, v66, v71
	v_fmac_f32_e32 v75, v67, v70
	v_add_f32_e32 v74, v74, v75
	v_mul_f32_e32 v75, v68, v73
	v_fmac_f32_e32 v75, v69, v72
	v_add_f32_e32 v82, v74, v75
	ds_read_b128 v[74:77], v102 offset:688
	v_add_f32_e32 v2, v2, v3
	v_mul_f32_e32 v3, v53, v57
	v_fma_f32 v3, v52, v56, -v3
	v_add_f32_e32 v2, v2, v3
	s_waitcnt lgkmcnt(0)
	v_mul_f32_e32 v83, v74, v79
	v_fmac_f32_e32 v83, v75, v78
	v_add_f32_e32 v82, v82, v83
	v_mul_f32_e32 v83, v76, v81
	v_fmac_f32_e32 v83, v77, v80
	v_add_f32_e32 v90, v82, v83
	ds_read_b128 v[82:85], v102 offset:704
	v_mul_f32_e32 v3, v59, v63
	v_fma_f32 v3, v58, v62, -v3
	v_add_f32_e32 v2, v2, v3
	v_mul_f32_e32 v3, v61, v65
	;; [unrolled: 36-line block ×4, first 2 shown]
	s_waitcnt lgkmcnt(0)
	v_mul_f32_e32 v140, v132, v137
	v_fmac_f32_e32 v140, v133, v136
	v_add_f32_e32 v149, v103, v140
	ds_read_b128 v[140:143], v102 offset:816
	scratch_load_dwordx4 v[154:157], off, off offset:384
	scratch_load_dwordx4 v[158:161], off, off offset:400
	;; [unrolled: 1-line block ×3, first 2 shown]
	scratch_load_dwordx2 v[170:171], off, off offset:432
	v_fma_f32 v3, v92, v96, -v3
	v_add_f32_e32 v2, v2, v3
	v_mul_f32_e32 v3, v99, v105
	v_fma_f32 v3, v98, v104, -v3
	v_add_f32_e32 v2, v2, v3
	v_mul_f32_e32 v3, v101, v107
	;; [unrolled: 3-line block ×10, first 2 shown]
	v_mul_f32_e32 v167, v134, v139
	v_fma_f32 v166, v134, v138, -v2
	s_waitcnt lgkmcnt(0)
	v_mul_f32_e32 v2, v141, v145
	v_fmac_f32_e32 v167, v135, v138
	v_mul_f32_e32 v169, v140, v145
	v_fma_f32 v168, v140, v144, -v2
	ds_read_b128 v[2:5], v102 offset:832
	ds_read_b128 v[6:9], v102 offset:848
	;; [unrolled: 1-line block ×3, first 2 shown]
	ds_read_b64 v[14:15], v102 offset:880
	v_pk_mul_f32 v[18:19], v[142:143], v[18:19] op_sel:[1,0] op_sel_hi:[0,0]
	v_fmac_f32_e32 v169, v141, v144
	v_pk_add_f32 v[16:17], v[148:149], v[166:167]
	v_pk_fma_f32 v[20:21], v[142:143], v[146:147], v[18:19] neg_lo:[0,0,1] neg_hi:[0,0,1]
	v_pk_fma_f32 v[18:19], v[142:143], v[146:147], v[18:19] op_sel_hi:[1,0,1]
	v_pk_add_f32 v[16:17], v[16:17], v[168:169]
	v_mov_b32_e32 v21, v19
	v_pk_add_f32 v[16:17], v[16:17], v[20:21]
	s_waitcnt vmcnt(3) lgkmcnt(3)
	v_pk_mul_f32 v[18:19], v[2:3], v[154:155] op_sel:[1,1] op_sel_hi:[0,1]
	v_pk_fma_f32 v[20:21], v[2:3], v[154:155], v[18:19] neg_lo:[0,0,1] neg_hi:[0,0,1]
	v_pk_fma_f32 v[2:3], v[2:3], v[154:155], v[18:19] op_sel_hi:[1,0,1]
	s_nop 0
	v_mov_b32_e32 v21, v3
	v_pk_add_f32 v[2:3], v[16:17], v[20:21]
	v_mov_b32_e32 v16, v157
	v_pk_mul_f32 v[16:17], v[4:5], v[16:17] op_sel:[1,0] op_sel_hi:[0,0]
	v_pk_fma_f32 v[18:19], v[4:5], v[156:157], v[16:17] neg_lo:[0,0,1] neg_hi:[0,0,1]
	v_pk_fma_f32 v[4:5], v[4:5], v[156:157], v[16:17] op_sel_hi:[1,0,1]
	s_nop 0
	v_mov_b32_e32 v19, v5
	s_waitcnt vmcnt(2) lgkmcnt(2)
	v_pk_mul_f32 v[4:5], v[6:7], v[158:159] op_sel:[1,1] op_sel_hi:[0,1]
	v_pk_fma_f32 v[16:17], v[6:7], v[158:159], v[4:5] neg_lo:[0,0,1] neg_hi:[0,0,1]
	v_pk_fma_f32 v[4:5], v[6:7], v[158:159], v[4:5] op_sel_hi:[1,0,1]
	v_pk_add_f32 v[2:3], v[2:3], v[18:19]
	v_mov_b32_e32 v4, v161
	v_mov_b32_e32 v17, v5
	v_pk_mul_f32 v[4:5], v[8:9], v[4:5] op_sel:[1,0] op_sel_hi:[0,0]
	v_pk_fma_f32 v[6:7], v[8:9], v[160:161], v[4:5] neg_lo:[0,0,1] neg_hi:[0,0,1]
	v_pk_fma_f32 v[4:5], v[8:9], v[160:161], v[4:5] op_sel_hi:[1,0,1]
	v_pk_add_f32 v[2:3], v[2:3], v[16:17]
	v_mov_b32_e32 v7, v5
	s_waitcnt vmcnt(1) lgkmcnt(1)
	v_pk_mul_f32 v[4:5], v[10:11], v[162:163] op_sel:[1,1] op_sel_hi:[0,1]
	v_pk_add_f32 v[2:3], v[2:3], v[6:7]
	v_pk_fma_f32 v[6:7], v[10:11], v[162:163], v[4:5] neg_lo:[0,0,1] neg_hi:[0,0,1]
	v_pk_fma_f32 v[4:5], v[10:11], v[162:163], v[4:5] op_sel_hi:[1,0,1]
	s_nop 0
	v_mov_b32_e32 v4, v165
	v_mov_b32_e32 v7, v5
	v_pk_mul_f32 v[4:5], v[12:13], v[4:5] op_sel:[1,0] op_sel_hi:[0,0]
	v_pk_add_f32 v[2:3], v[2:3], v[6:7]
	v_pk_fma_f32 v[6:7], v[12:13], v[164:165], v[4:5] neg_lo:[0,0,1] neg_hi:[0,0,1]
	v_pk_fma_f32 v[4:5], v[12:13], v[164:165], v[4:5] op_sel_hi:[1,0,1]
	s_nop 0
	v_mov_b32_e32 v7, v5
	s_waitcnt vmcnt(0) lgkmcnt(0)
	v_pk_mul_f32 v[4:5], v[14:15], v[170:171] op_sel:[1,1] op_sel_hi:[0,1]
	v_pk_add_f32 v[2:3], v[2:3], v[6:7]
	v_pk_fma_f32 v[6:7], v[14:15], v[170:171], v[4:5] neg_lo:[0,0,1] neg_hi:[0,0,1]
	v_pk_fma_f32 v[4:5], v[14:15], v[170:171], v[4:5] op_sel_hi:[1,0,1]
	s_nop 0
	v_mov_b32_e32 v7, v5
	scratch_load_dwordx2 v[4:5], off, off offset:88
	v_pk_add_f32 v[2:3], v[2:3], v[6:7]
	s_waitcnt vmcnt(0)
	v_pk_add_f32 v[2:3], v[4:5], v[2:3] neg_lo:[0,1] neg_hi:[0,1]
	scratch_store_dwordx2 off, v[2:3], off offset:88
	s_and_saveexec_b64 s[0:1], vcc
	s_cbranch_execz .LBB54_323
; %bb.322:
	scratch_load_dwordx2 v[2:3], off, off offset:80
	v_mov_b32_e32 v103, v102
	scratch_store_dwordx2 off, v[102:103], off offset:80
	s_waitcnt vmcnt(1)
	ds_write_b64 v1, v[2:3]
.LBB54_323:
	s_or_b64 exec, exec, s[0:1]
	s_waitcnt lgkmcnt(0)
	; wave barrier
	scratch_load_dwordx4 v[6:9], off, off offset:88
	scratch_load_dwordx4 v[14:17], off, off offset:104
	;; [unrolled: 1-line block ×10, first 2 shown]
	ds_read2_b64 v[2:5], v102 offset0:67 offset1:68
	scratch_load_dwordx4 v[86:89], off, off offset:248
	scratch_load_dwordx4 v[94:97], off, off offset:264
	;; [unrolled: 1-line block ×8, first 2 shown]
	v_cmp_lt_u32_e32 vcc, 9, v0
	s_waitcnt vmcnt(17) lgkmcnt(0)
	v_mul_f32_e32 v10, v2, v7
	v_fmac_f32_e32 v10, v3, v6
	v_mul_f32_e32 v11, v4, v9
	v_add_f32_e32 v10, 0, v10
	v_fmac_f32_e32 v11, v5, v8
	v_add_f32_e32 v18, v10, v11
	ds_read2_b64 v[10:13], v102 offset0:69 offset1:70
	v_mul_f32_e32 v3, v3, v7
	v_fma_f32 v2, v2, v6, -v3
	v_mul_f32_e32 v3, v5, v9
	v_add_f32_e32 v2, 0, v2
	s_waitcnt vmcnt(16) lgkmcnt(0)
	v_mul_f32_e32 v19, v10, v15
	v_fmac_f32_e32 v19, v11, v14
	v_add_f32_e32 v18, v18, v19
	v_mul_f32_e32 v19, v12, v17
	v_fmac_f32_e32 v19, v13, v16
	v_add_f32_e32 v26, v18, v19
	ds_read2_b64 v[18:21], v102 offset0:71 offset1:72
	v_fma_f32 v3, v4, v8, -v3
	v_add_f32_e32 v2, v2, v3
	v_mul_f32_e32 v3, v11, v15
	v_fma_f32 v3, v10, v14, -v3
	s_waitcnt vmcnt(15) lgkmcnt(0)
	v_mul_f32_e32 v27, v18, v23
	v_fmac_f32_e32 v27, v19, v22
	v_add_f32_e32 v26, v26, v27
	v_mul_f32_e32 v27, v20, v25
	v_fmac_f32_e32 v27, v21, v24
	v_add_f32_e32 v34, v26, v27
	ds_read2_b64 v[26:29], v102 offset0:73 offset1:74
	v_add_f32_e32 v2, v2, v3
	v_mul_f32_e32 v3, v13, v17
	v_fma_f32 v3, v12, v16, -v3
	v_add_f32_e32 v2, v2, v3
	s_waitcnt vmcnt(14) lgkmcnt(0)
	v_mul_f32_e32 v35, v26, v31
	v_fmac_f32_e32 v35, v27, v30
	v_add_f32_e32 v34, v34, v35
	v_mul_f32_e32 v35, v28, v33
	v_fmac_f32_e32 v35, v29, v32
	v_add_f32_e32 v42, v34, v35
	ds_read2_b64 v[34:37], v102 offset0:75 offset1:76
	v_mul_f32_e32 v3, v19, v23
	v_fma_f32 v3, v18, v22, -v3
	v_add_f32_e32 v2, v2, v3
	v_mul_f32_e32 v3, v21, v25
	s_waitcnt vmcnt(13) lgkmcnt(0)
	v_mul_f32_e32 v43, v34, v39
	v_fmac_f32_e32 v43, v35, v38
	v_add_f32_e32 v42, v42, v43
	v_mul_f32_e32 v43, v36, v41
	v_fmac_f32_e32 v43, v37, v40
	v_add_f32_e32 v50, v42, v43
	ds_read2_b64 v[42:45], v102 offset0:77 offset1:78
	v_fma_f32 v3, v20, v24, -v3
	v_add_f32_e32 v2, v2, v3
	v_mul_f32_e32 v3, v27, v31
	v_fma_f32 v3, v26, v30, -v3
	s_waitcnt vmcnt(12) lgkmcnt(0)
	v_mul_f32_e32 v51, v42, v47
	v_fmac_f32_e32 v51, v43, v46
	v_add_f32_e32 v50, v50, v51
	v_mul_f32_e32 v51, v44, v49
	v_fmac_f32_e32 v51, v45, v48
	v_add_f32_e32 v58, v50, v51
	ds_read2_b64 v[50:53], v102 offset0:79 offset1:80
	v_add_f32_e32 v2, v2, v3
	v_mul_f32_e32 v3, v29, v33
	v_fma_f32 v3, v28, v32, -v3
	v_add_f32_e32 v2, v2, v3
	s_waitcnt vmcnt(11) lgkmcnt(0)
	v_mul_f32_e32 v59, v50, v55
	v_fmac_f32_e32 v59, v51, v54
	v_add_f32_e32 v58, v58, v59
	v_mul_f32_e32 v59, v52, v57
	v_fmac_f32_e32 v59, v53, v56
	v_add_f32_e32 v66, v58, v59
	ds_read2_b64 v[58:61], v102 offset0:81 offset1:82
	v_mul_f32_e32 v3, v35, v39
	v_fma_f32 v3, v34, v38, -v3
	v_add_f32_e32 v2, v2, v3
	v_mul_f32_e32 v3, v37, v41
	;; [unrolled: 36-line block ×5, first 2 shown]
	s_waitcnt vmcnt(1) lgkmcnt(0)
	v_mul_f32_e32 v140, v132, v137
	v_fmac_f32_e32 v140, v133, v136
	v_add_f32_e32 v103, v103, v140
	v_mul_f32_e32 v140, v134, v139
	v_fmac_f32_e32 v140, v135, v138
	v_add_f32_e32 v149, v103, v140
	ds_read2_b64 v[140:143], v102 offset0:101 offset1:102
	scratch_load_dwordx4 v[154:157], off, off offset:376
	scratch_load_dwordx4 v[158:161], off, off offset:392
	;; [unrolled: 1-line block ×4, first 2 shown]
	v_fma_f32 v3, v84, v88, -v3
	v_add_f32_e32 v2, v2, v3
	v_mul_f32_e32 v3, v91, v95
	v_fma_f32 v3, v90, v94, -v3
	v_add_f32_e32 v2, v2, v3
	v_mul_f32_e32 v3, v93, v97
	v_fma_f32 v3, v92, v96, -v3
	v_add_f32_e32 v2, v2, v3
	v_mul_f32_e32 v3, v99, v105
	v_fma_f32 v3, v98, v104, -v3
	v_add_f32_e32 v2, v2, v3
	v_mul_f32_e32 v3, v101, v107
	v_fma_f32 v3, v100, v106, -v3
	v_add_f32_e32 v2, v2, v3
	v_mul_f32_e32 v3, v109, v113
	v_fma_f32 v3, v108, v112, -v3
	v_add_f32_e32 v2, v2, v3
	v_mul_f32_e32 v3, v111, v115
	v_fma_f32 v3, v110, v114, -v3
	v_add_f32_e32 v2, v2, v3
	v_mul_f32_e32 v3, v117, v121
	v_fma_f32 v3, v116, v120, -v3
	v_add_f32_e32 v2, v2, v3
	v_mul_f32_e32 v3, v119, v123
	v_fma_f32 v3, v118, v122, -v3
	v_add_f32_e32 v2, v2, v3
	v_mul_f32_e32 v3, v125, v129
	v_fma_f32 v3, v124, v128, -v3
	v_add_f32_e32 v2, v2, v3
	v_mul_f32_e32 v3, v127, v131
	v_fma_f32 v3, v126, v130, -v3
	v_add_f32_e32 v2, v2, v3
	v_mul_f32_e32 v3, v133, v137
	v_fma_f32 v3, v132, v136, -v3
	v_add_f32_e32 v2, v2, v3
	v_mul_f32_e32 v3, v135, v139
	v_fma_f32 v3, v134, v138, -v3
	v_add_f32_e32 v148, v2, v3
	s_waitcnt vmcnt(4) lgkmcnt(0)
	v_mul_f32_e32 v2, v141, v145
	v_fma_f32 v170, v140, v144, -v2
	v_mul_f32_e32 v2, v143, v147
	v_fma_f32 v172, v142, v146, -v2
	ds_read2_b64 v[2:5], v102 offset0:103 offset1:104
	ds_read2_b64 v[6:9], v102 offset0:105 offset1:106
	;; [unrolled: 1-line block ×4, first 2 shown]
	v_mul_f32_e32 v171, v140, v145
	v_fmac_f32_e32 v171, v141, v144
	v_mul_f32_e32 v173, v142, v147
	v_fmac_f32_e32 v173, v143, v146
	v_pk_add_f32 v[18:19], v[148:149], v[170:171]
	s_waitcnt vmcnt(3) lgkmcnt(3)
	v_pk_mul_f32 v[20:21], v[2:3], v[154:155] op_sel:[1,1] op_sel_hi:[0,1]
	v_pk_fma_f32 v[22:23], v[2:3], v[154:155], v[20:21] neg_lo:[0,0,1] neg_hi:[0,0,1]
	v_pk_fma_f32 v[2:3], v[2:3], v[154:155], v[20:21] op_sel_hi:[1,0,1]
	v_pk_add_f32 v[18:19], v[18:19], v[172:173]
	v_mov_b32_e32 v23, v3
	v_pk_add_f32 v[2:3], v[18:19], v[22:23]
	v_mov_b32_e32 v18, v157
	v_pk_mul_f32 v[18:19], v[4:5], v[18:19] op_sel:[1,0] op_sel_hi:[0,0]
	v_pk_fma_f32 v[20:21], v[4:5], v[156:157], v[18:19] neg_lo:[0,0,1] neg_hi:[0,0,1]
	v_pk_fma_f32 v[4:5], v[4:5], v[156:157], v[18:19] op_sel_hi:[1,0,1]
	s_nop 0
	v_mov_b32_e32 v21, v5
	s_waitcnt vmcnt(2) lgkmcnt(2)
	v_pk_mul_f32 v[4:5], v[6:7], v[158:159] op_sel:[1,1] op_sel_hi:[0,1]
	v_pk_fma_f32 v[18:19], v[6:7], v[158:159], v[4:5] neg_lo:[0,0,1] neg_hi:[0,0,1]
	v_pk_fma_f32 v[4:5], v[6:7], v[158:159], v[4:5] op_sel_hi:[1,0,1]
	v_pk_add_f32 v[2:3], v[2:3], v[20:21]
	v_mov_b32_e32 v4, v161
	v_mov_b32_e32 v19, v5
	v_pk_mul_f32 v[4:5], v[8:9], v[4:5] op_sel:[1,0] op_sel_hi:[0,0]
	v_pk_fma_f32 v[6:7], v[8:9], v[160:161], v[4:5] neg_lo:[0,0,1] neg_hi:[0,0,1]
	v_pk_fma_f32 v[4:5], v[8:9], v[160:161], v[4:5] op_sel_hi:[1,0,1]
	v_pk_add_f32 v[2:3], v[2:3], v[18:19]
	v_mov_b32_e32 v7, v5
	s_waitcnt vmcnt(1) lgkmcnt(1)
	v_pk_mul_f32 v[4:5], v[10:11], v[162:163] op_sel:[1,1] op_sel_hi:[0,1]
	v_pk_add_f32 v[2:3], v[2:3], v[6:7]
	v_pk_fma_f32 v[6:7], v[10:11], v[162:163], v[4:5] neg_lo:[0,0,1] neg_hi:[0,0,1]
	v_pk_fma_f32 v[4:5], v[10:11], v[162:163], v[4:5] op_sel_hi:[1,0,1]
	s_nop 0
	v_mov_b32_e32 v4, v165
	v_mov_b32_e32 v7, v5
	v_pk_mul_f32 v[4:5], v[12:13], v[4:5] op_sel:[1,0] op_sel_hi:[0,0]
	v_pk_add_f32 v[2:3], v[2:3], v[6:7]
	v_pk_fma_f32 v[6:7], v[12:13], v[164:165], v[4:5] neg_lo:[0,0,1] neg_hi:[0,0,1]
	v_pk_fma_f32 v[4:5], v[12:13], v[164:165], v[4:5] op_sel_hi:[1,0,1]
	s_nop 0
	v_mov_b32_e32 v7, v5
	s_waitcnt vmcnt(0) lgkmcnt(0)
	v_pk_mul_f32 v[4:5], v[14:15], v[166:167] op_sel:[1,1] op_sel_hi:[0,1]
	v_pk_add_f32 v[2:3], v[2:3], v[6:7]
	v_pk_fma_f32 v[6:7], v[14:15], v[166:167], v[4:5] neg_lo:[0,0,1] neg_hi:[0,0,1]
	v_pk_fma_f32 v[4:5], v[14:15], v[166:167], v[4:5] op_sel_hi:[1,0,1]
	s_nop 0
	v_mov_b32_e32 v4, v169
	v_mov_b32_e32 v7, v5
	v_pk_mul_f32 v[4:5], v[16:17], v[4:5] op_sel:[1,0] op_sel_hi:[0,0]
	v_pk_add_f32 v[2:3], v[2:3], v[6:7]
	v_pk_fma_f32 v[6:7], v[16:17], v[168:169], v[4:5] neg_lo:[0,0,1] neg_hi:[0,0,1]
	v_pk_fma_f32 v[4:5], v[16:17], v[168:169], v[4:5] op_sel_hi:[1,0,1]
	s_nop 0
	v_mov_b32_e32 v7, v5
	scratch_load_dwordx2 v[4:5], off, off offset:80
	v_pk_add_f32 v[2:3], v[2:3], v[6:7]
	s_waitcnt vmcnt(0)
	v_pk_add_f32 v[2:3], v[4:5], v[2:3] neg_lo:[0,1] neg_hi:[0,1]
	scratch_store_dwordx2 off, v[2:3], off offset:80
	s_and_saveexec_b64 s[0:1], vcc
	s_cbranch_execz .LBB54_325
; %bb.324:
	scratch_load_dwordx2 v[2:3], off, off offset:72
	v_mov_b32_e32 v4, 0
	v_mov_b32_e32 v5, v4
	scratch_store_dwordx2 off, v[4:5], off offset:72
	s_waitcnt vmcnt(1)
	ds_write_b64 v1, v[2:3]
.LBB54_325:
	s_or_b64 exec, exec, s[0:1]
	v_mov_b32_e32 v110, 0
	s_waitcnt lgkmcnt(0)
	; wave barrier
	ds_read_b128 v[14:17], v110 offset:528
	ds_read_b128 v[10:13], v110 offset:544
	;; [unrolled: 1-line block ×4, first 2 shown]
	scratch_load_dwordx4 v[18:21], off, off offset:80
	scratch_load_dwordx4 v[38:41], off, off offset:144
	;; [unrolled: 1-line block ×13, first 2 shown]
	v_cmp_lt_u32_e32 vcc, 8, v0
	scratch_load_dwordx4 v[46:49], off, off offset:160
	scratch_load_dwordx4 v[54:57], off, off offset:176
	;; [unrolled: 1-line block ×3, first 2 shown]
	ds_read_b128 v[154:157], v110 offset:816
	s_waitcnt vmcnt(15) lgkmcnt(4)
	v_mul_f32_e32 v22, v14, v19
	v_fmac_f32_e32 v22, v15, v18
	v_mul_f32_e32 v23, v16, v21
	v_add_f32_e32 v22, 0, v22
	v_fmac_f32_e32 v23, v17, v20
	v_add_f32_e32 v26, v22, v23
	scratch_load_dwordx4 v[22:25], off, off offset:96
	v_mul_f32_e32 v15, v15, v19
	v_fma_f32 v14, v14, v18, -v15
	v_mul_f32_e32 v15, v17, v21
	v_add_f32_e32 v14, 0, v14
	v_fma_f32 v15, v16, v20, -v15
	v_add_f32_e32 v14, v14, v15
	s_waitcnt vmcnt(4)
	v_mov_b32_e32 v18, v161
	s_waitcnt lgkmcnt(0)
	v_mul_f32_e32 v177, v154, v159
	v_pk_mul_f32 v[18:19], v[156:157], v[18:19] op_sel:[1,0] op_sel_hi:[0,0]
	v_fmac_f32_e32 v177, v155, v158
	v_pk_fma_f32 v[20:21], v[156:157], v[160:161], v[18:19] neg_lo:[0,0,1] neg_hi:[0,0,1]
	v_pk_fma_f32 v[18:19], v[156:157], v[160:161], v[18:19] op_sel_hi:[1,0,1]
	s_waitcnt vmcnt(0)
	v_mul_f32_e32 v27, v10, v23
	v_fmac_f32_e32 v27, v11, v22
	v_add_f32_e32 v26, v26, v27
	v_mul_f32_e32 v27, v12, v25
	v_fmac_f32_e32 v27, v13, v24
	v_add_f32_e32 v30, v26, v27
	scratch_load_dwordx4 v[26:29], off, off offset:112
	v_mul_f32_e32 v11, v11, v23
	v_fma_f32 v10, v10, v22, -v11
	v_mul_f32_e32 v11, v13, v25
	v_add_f32_e32 v10, v14, v10
	v_fma_f32 v11, v12, v24, -v11
	v_add_f32_e32 v10, v10, v11
	v_mov_b32_e32 v21, v19
	s_waitcnt vmcnt(0)
	v_mul_f32_e32 v31, v6, v27
	v_fmac_f32_e32 v31, v7, v26
	v_add_f32_e32 v30, v30, v31
	v_mul_f32_e32 v31, v8, v29
	v_fmac_f32_e32 v31, v9, v28
	v_add_f32_e32 v34, v30, v31
	scratch_load_dwordx4 v[30:33], off, off offset:128
	v_mul_f32_e32 v7, v7, v27
	v_fma_f32 v6, v6, v26, -v7
	v_mul_f32_e32 v7, v9, v29
	v_add_f32_e32 v6, v10, v6
	v_fma_f32 v7, v8, v28, -v7
	v_add_f32_e32 v6, v6, v7
	s_waitcnt vmcnt(0)
	v_mul_f32_e32 v35, v2, v31
	v_fmac_f32_e32 v35, v3, v30
	v_add_f32_e32 v34, v34, v35
	v_mul_f32_e32 v35, v4, v33
	v_fmac_f32_e32 v35, v5, v32
	v_add_f32_e32 v42, v34, v35
	ds_read_b128 v[34:37], v110 offset:592
	v_mul_f32_e32 v3, v3, v31
	v_fma_f32 v2, v2, v30, -v3
	v_mul_f32_e32 v3, v5, v33
	v_add_f32_e32 v2, v6, v2
	s_waitcnt lgkmcnt(0)
	v_mul_f32_e32 v43, v34, v39
	v_fmac_f32_e32 v43, v35, v38
	v_add_f32_e32 v42, v42, v43
	v_mul_f32_e32 v43, v36, v41
	v_fmac_f32_e32 v43, v37, v40
	v_add_f32_e32 v50, v42, v43
	ds_read_b128 v[42:45], v110 offset:608
	v_fma_f32 v3, v4, v32, -v3
	v_add_f32_e32 v2, v2, v3
	v_mul_f32_e32 v3, v35, v39
	v_fma_f32 v3, v34, v38, -v3
	s_waitcnt lgkmcnt(0)
	v_mul_f32_e32 v51, v42, v47
	v_fmac_f32_e32 v51, v43, v46
	v_add_f32_e32 v50, v50, v51
	v_mul_f32_e32 v51, v44, v49
	v_fmac_f32_e32 v51, v45, v48
	v_add_f32_e32 v58, v50, v51
	ds_read_b128 v[50:53], v110 offset:624
	v_add_f32_e32 v2, v2, v3
	v_mul_f32_e32 v3, v37, v41
	v_fma_f32 v3, v36, v40, -v3
	v_add_f32_e32 v2, v2, v3
	s_waitcnt lgkmcnt(0)
	v_mul_f32_e32 v59, v50, v55
	v_fmac_f32_e32 v59, v51, v54
	v_add_f32_e32 v58, v58, v59
	v_mul_f32_e32 v59, v52, v57
	v_fmac_f32_e32 v59, v53, v56
	v_add_f32_e32 v66, v58, v59
	ds_read_b128 v[58:61], v110 offset:640
	v_mul_f32_e32 v3, v43, v47
	v_fma_f32 v3, v42, v46, -v3
	v_add_f32_e32 v2, v2, v3
	v_mul_f32_e32 v3, v45, v49
	s_waitcnt lgkmcnt(0)
	v_mul_f32_e32 v67, v58, v63
	v_fmac_f32_e32 v67, v59, v62
	v_add_f32_e32 v66, v66, v67
	v_mul_f32_e32 v67, v60, v65
	v_fmac_f32_e32 v67, v61, v64
	v_add_f32_e32 v74, v66, v67
	ds_read_b128 v[66:69], v110 offset:656
	v_fma_f32 v3, v44, v48, -v3
	v_add_f32_e32 v2, v2, v3
	v_mul_f32_e32 v3, v51, v55
	v_fma_f32 v3, v50, v54, -v3
	s_waitcnt lgkmcnt(0)
	v_mul_f32_e32 v75, v66, v71
	v_fmac_f32_e32 v75, v67, v70
	v_add_f32_e32 v74, v74, v75
	v_mul_f32_e32 v75, v68, v73
	v_fmac_f32_e32 v75, v69, v72
	v_add_f32_e32 v82, v74, v75
	ds_read_b128 v[74:77], v110 offset:672
	v_add_f32_e32 v2, v2, v3
	v_mul_f32_e32 v3, v53, v57
	v_fma_f32 v3, v52, v56, -v3
	v_add_f32_e32 v2, v2, v3
	s_waitcnt lgkmcnt(0)
	v_mul_f32_e32 v83, v74, v79
	v_fmac_f32_e32 v83, v75, v78
	v_add_f32_e32 v82, v82, v83
	v_mul_f32_e32 v83, v76, v81
	v_fmac_f32_e32 v83, v77, v80
	v_add_f32_e32 v90, v82, v83
	ds_read_b128 v[82:85], v110 offset:688
	v_mul_f32_e32 v3, v59, v63
	v_fma_f32 v3, v58, v62, -v3
	v_add_f32_e32 v2, v2, v3
	v_mul_f32_e32 v3, v61, v65
	;; [unrolled: 36-line block ×4, first 2 shown]
	s_waitcnt lgkmcnt(0)
	v_mul_f32_e32 v140, v132, v137
	v_fmac_f32_e32 v140, v133, v136
	v_add_f32_e32 v111, v111, v140
	v_mul_f32_e32 v140, v134, v139
	v_fmac_f32_e32 v140, v135, v138
	v_add_f32_e32 v111, v111, v140
	ds_read_b128 v[140:143], v110 offset:800
	scratch_load_dwordx4 v[162:165], off, off offset:384
	scratch_load_dwordx4 v[166:169], off, off offset:400
	;; [unrolled: 1-line block ×3, first 2 shown]
	scratch_load_dwordx2 v[178:179], off, off offset:432
	v_fma_f32 v3, v92, v96, -v3
	v_add_f32_e32 v2, v2, v3
	v_mul_f32_e32 v3, v99, v103
	v_fma_f32 v3, v98, v102, -v3
	v_add_f32_e32 v2, v2, v3
	v_mul_f32_e32 v3, v101, v105
	;; [unrolled: 3-line block ×10, first 2 shown]
	v_fma_f32 v3, v134, v138, -v3
	s_waitcnt lgkmcnt(0)
	v_mul_f32_e32 v148, v140, v145
	v_add_f32_e32 v2, v2, v3
	v_mul_f32_e32 v3, v141, v145
	v_fmac_f32_e32 v148, v141, v144
	v_fma_f32 v3, v140, v144, -v3
	v_add_f32_e32 v149, v111, v148
	v_add_f32_e32 v148, v2, v3
	v_mul_f32_e32 v2, v143, v147
	v_mul_f32_e32 v175, v142, v147
	v_fma_f32 v174, v142, v146, -v2
	v_mul_f32_e32 v2, v155, v159
	v_fmac_f32_e32 v175, v143, v146
	v_fma_f32 v176, v154, v158, -v2
	ds_read_b128 v[2:5], v110 offset:832
	ds_read_b128 v[6:9], v110 offset:848
	;; [unrolled: 1-line block ×3, first 2 shown]
	ds_read_b64 v[14:15], v110 offset:880
	v_pk_add_f32 v[16:17], v[148:149], v[174:175]
	s_waitcnt vmcnt(3) lgkmcnt(3)
	v_pk_mul_f32 v[18:19], v[2:3], v[162:163] op_sel:[1,1] op_sel_hi:[0,1]
	v_pk_add_f32 v[16:17], v[16:17], v[176:177]
	s_nop 0
	v_pk_add_f32 v[16:17], v[16:17], v[20:21]
	v_pk_fma_f32 v[20:21], v[2:3], v[162:163], v[18:19] neg_lo:[0,0,1] neg_hi:[0,0,1]
	v_pk_fma_f32 v[2:3], v[2:3], v[162:163], v[18:19] op_sel_hi:[1,0,1]
	s_nop 0
	v_mov_b32_e32 v21, v3
	v_pk_add_f32 v[2:3], v[16:17], v[20:21]
	v_mov_b32_e32 v16, v165
	v_pk_mul_f32 v[16:17], v[4:5], v[16:17] op_sel:[1,0] op_sel_hi:[0,0]
	v_pk_fma_f32 v[18:19], v[4:5], v[164:165], v[16:17] neg_lo:[0,0,1] neg_hi:[0,0,1]
	v_pk_fma_f32 v[4:5], v[4:5], v[164:165], v[16:17] op_sel_hi:[1,0,1]
	s_nop 0
	v_mov_b32_e32 v19, v5
	s_waitcnt vmcnt(2) lgkmcnt(2)
	v_pk_mul_f32 v[4:5], v[6:7], v[166:167] op_sel:[1,1] op_sel_hi:[0,1]
	v_pk_fma_f32 v[16:17], v[6:7], v[166:167], v[4:5] neg_lo:[0,0,1] neg_hi:[0,0,1]
	v_pk_fma_f32 v[4:5], v[6:7], v[166:167], v[4:5] op_sel_hi:[1,0,1]
	v_pk_add_f32 v[2:3], v[2:3], v[18:19]
	v_mov_b32_e32 v4, v169
	v_mov_b32_e32 v17, v5
	v_pk_mul_f32 v[4:5], v[8:9], v[4:5] op_sel:[1,0] op_sel_hi:[0,0]
	v_pk_fma_f32 v[6:7], v[8:9], v[168:169], v[4:5] neg_lo:[0,0,1] neg_hi:[0,0,1]
	v_pk_fma_f32 v[4:5], v[8:9], v[168:169], v[4:5] op_sel_hi:[1,0,1]
	v_pk_add_f32 v[2:3], v[2:3], v[16:17]
	v_mov_b32_e32 v7, v5
	s_waitcnt vmcnt(1) lgkmcnt(1)
	v_pk_mul_f32 v[4:5], v[10:11], v[170:171] op_sel:[1,1] op_sel_hi:[0,1]
	v_pk_add_f32 v[2:3], v[2:3], v[6:7]
	v_pk_fma_f32 v[6:7], v[10:11], v[170:171], v[4:5] neg_lo:[0,0,1] neg_hi:[0,0,1]
	v_pk_fma_f32 v[4:5], v[10:11], v[170:171], v[4:5] op_sel_hi:[1,0,1]
	s_nop 0
	v_mov_b32_e32 v4, v173
	v_mov_b32_e32 v7, v5
	v_pk_mul_f32 v[4:5], v[12:13], v[4:5] op_sel:[1,0] op_sel_hi:[0,0]
	v_pk_add_f32 v[2:3], v[2:3], v[6:7]
	v_pk_fma_f32 v[6:7], v[12:13], v[172:173], v[4:5] neg_lo:[0,0,1] neg_hi:[0,0,1]
	v_pk_fma_f32 v[4:5], v[12:13], v[172:173], v[4:5] op_sel_hi:[1,0,1]
	s_nop 0
	v_mov_b32_e32 v7, v5
	s_waitcnt vmcnt(0) lgkmcnt(0)
	v_pk_mul_f32 v[4:5], v[14:15], v[178:179] op_sel:[1,1] op_sel_hi:[0,1]
	v_pk_add_f32 v[2:3], v[2:3], v[6:7]
	v_pk_fma_f32 v[6:7], v[14:15], v[178:179], v[4:5] neg_lo:[0,0,1] neg_hi:[0,0,1]
	v_pk_fma_f32 v[4:5], v[14:15], v[178:179], v[4:5] op_sel_hi:[1,0,1]
	s_nop 0
	v_mov_b32_e32 v7, v5
	scratch_load_dwordx2 v[4:5], off, off offset:72
	v_pk_add_f32 v[2:3], v[2:3], v[6:7]
	s_waitcnt vmcnt(0)
	v_pk_add_f32 v[2:3], v[4:5], v[2:3] neg_lo:[0,1] neg_hi:[0,1]
	scratch_store_dwordx2 off, v[2:3], off offset:72
	s_and_saveexec_b64 s[0:1], vcc
	s_cbranch_execz .LBB54_327
; %bb.326:
	scratch_load_dwordx2 v[2:3], off, off offset:64
	v_mov_b32_e32 v111, v110
	scratch_store_dwordx2 off, v[110:111], off offset:64
	s_waitcnt vmcnt(1)
	ds_write_b64 v1, v[2:3]
.LBB54_327:
	s_or_b64 exec, exec, s[0:1]
	s_waitcnt lgkmcnt(0)
	; wave barrier
	scratch_load_dwordx4 v[6:9], off, off offset:72
	scratch_load_dwordx4 v[14:17], off, off offset:88
	;; [unrolled: 1-line block ×10, first 2 shown]
	ds_read2_b64 v[2:5], v110 offset0:65 offset1:66
	ds_read2_b64 v[154:157], v110 offset0:101 offset1:102
	scratch_load_dwordx4 v[86:89], off, off offset:232
	scratch_load_dwordx4 v[94:97], off, off offset:248
	;; [unrolled: 1-line block ×9, first 2 shown]
	v_cmp_lt_u32_e32 vcc, 7, v0
	s_waitcnt vmcnt(18) lgkmcnt(1)
	v_mul_f32_e32 v10, v2, v7
	v_fmac_f32_e32 v10, v3, v6
	v_mul_f32_e32 v11, v4, v9
	v_add_f32_e32 v10, 0, v10
	v_fmac_f32_e32 v11, v5, v8
	v_add_f32_e32 v18, v10, v11
	ds_read2_b64 v[10:13], v110 offset0:67 offset1:68
	v_mul_f32_e32 v3, v3, v7
	v_fma_f32 v2, v2, v6, -v3
	v_mul_f32_e32 v3, v5, v9
	v_add_f32_e32 v2, 0, v2
	s_waitcnt vmcnt(17) lgkmcnt(0)
	v_mul_f32_e32 v19, v10, v15
	v_fmac_f32_e32 v19, v11, v14
	v_add_f32_e32 v18, v18, v19
	v_mul_f32_e32 v19, v12, v17
	v_fmac_f32_e32 v19, v13, v16
	v_add_f32_e32 v26, v18, v19
	ds_read2_b64 v[18:21], v110 offset0:69 offset1:70
	v_fma_f32 v3, v4, v8, -v3
	v_add_f32_e32 v2, v2, v3
	v_mul_f32_e32 v3, v11, v15
	v_fma_f32 v3, v10, v14, -v3
	s_waitcnt vmcnt(16) lgkmcnt(0)
	v_mul_f32_e32 v27, v18, v23
	v_fmac_f32_e32 v27, v19, v22
	v_add_f32_e32 v26, v26, v27
	v_mul_f32_e32 v27, v20, v25
	v_fmac_f32_e32 v27, v21, v24
	v_add_f32_e32 v34, v26, v27
	ds_read2_b64 v[26:29], v110 offset0:71 offset1:72
	v_add_f32_e32 v2, v2, v3
	v_mul_f32_e32 v3, v13, v17
	v_fma_f32 v3, v12, v16, -v3
	v_add_f32_e32 v2, v2, v3
	s_waitcnt vmcnt(15) lgkmcnt(0)
	v_mul_f32_e32 v35, v26, v31
	v_fmac_f32_e32 v35, v27, v30
	v_add_f32_e32 v34, v34, v35
	v_mul_f32_e32 v35, v28, v33
	v_fmac_f32_e32 v35, v29, v32
	v_add_f32_e32 v42, v34, v35
	ds_read2_b64 v[34:37], v110 offset0:73 offset1:74
	v_mul_f32_e32 v3, v19, v23
	v_fma_f32 v3, v18, v22, -v3
	v_add_f32_e32 v2, v2, v3
	v_mul_f32_e32 v3, v21, v25
	s_waitcnt vmcnt(14) lgkmcnt(0)
	v_mul_f32_e32 v43, v34, v39
	v_fmac_f32_e32 v43, v35, v38
	v_add_f32_e32 v42, v42, v43
	v_mul_f32_e32 v43, v36, v41
	v_fmac_f32_e32 v43, v37, v40
	v_add_f32_e32 v50, v42, v43
	ds_read2_b64 v[42:45], v110 offset0:75 offset1:76
	v_fma_f32 v3, v20, v24, -v3
	v_add_f32_e32 v2, v2, v3
	v_mul_f32_e32 v3, v27, v31
	v_fma_f32 v3, v26, v30, -v3
	s_waitcnt vmcnt(13) lgkmcnt(0)
	v_mul_f32_e32 v51, v42, v47
	v_fmac_f32_e32 v51, v43, v46
	v_add_f32_e32 v50, v50, v51
	v_mul_f32_e32 v51, v44, v49
	v_fmac_f32_e32 v51, v45, v48
	v_add_f32_e32 v58, v50, v51
	ds_read2_b64 v[50:53], v110 offset0:77 offset1:78
	v_add_f32_e32 v2, v2, v3
	v_mul_f32_e32 v3, v29, v33
	v_fma_f32 v3, v28, v32, -v3
	v_add_f32_e32 v2, v2, v3
	s_waitcnt vmcnt(12) lgkmcnt(0)
	v_mul_f32_e32 v59, v50, v55
	v_fmac_f32_e32 v59, v51, v54
	v_add_f32_e32 v58, v58, v59
	v_mul_f32_e32 v59, v52, v57
	v_fmac_f32_e32 v59, v53, v56
	v_add_f32_e32 v66, v58, v59
	ds_read2_b64 v[58:61], v110 offset0:79 offset1:80
	v_mul_f32_e32 v3, v35, v39
	v_fma_f32 v3, v34, v38, -v3
	v_add_f32_e32 v2, v2, v3
	v_mul_f32_e32 v3, v37, v41
	;; [unrolled: 36-line block ×5, first 2 shown]
	s_waitcnt vmcnt(2) lgkmcnt(0)
	v_mul_f32_e32 v140, v132, v137
	v_fmac_f32_e32 v140, v133, v136
	v_add_f32_e32 v111, v111, v140
	v_mul_f32_e32 v140, v134, v139
	v_fmac_f32_e32 v140, v135, v138
	v_add_f32_e32 v111, v111, v140
	ds_read2_b64 v[140:143], v110 offset0:99 offset1:100
	scratch_load_dwordx4 v[162:165], off, off offset:376
	scratch_load_dwordx4 v[166:169], off, off offset:392
	;; [unrolled: 1-line block ×4, first 2 shown]
	v_fma_f32 v3, v84, v88, -v3
	v_add_f32_e32 v2, v2, v3
	v_mul_f32_e32 v3, v91, v95
	v_fma_f32 v3, v90, v94, -v3
	v_add_f32_e32 v2, v2, v3
	v_mul_f32_e32 v3, v93, v97
	;; [unrolled: 3-line block ×12, first 2 shown]
	v_fma_f32 v3, v134, v138, -v3
	s_waitcnt vmcnt(5) lgkmcnt(0)
	v_mul_f32_e32 v148, v140, v145
	v_add_f32_e32 v2, v2, v3
	v_mul_f32_e32 v3, v141, v145
	v_fmac_f32_e32 v148, v141, v144
	v_fma_f32 v3, v140, v144, -v3
	v_add_f32_e32 v111, v111, v148
	v_mul_f32_e32 v148, v142, v147
	v_add_f32_e32 v2, v2, v3
	v_mul_f32_e32 v3, v143, v147
	v_fmac_f32_e32 v148, v143, v146
	v_fma_f32 v3, v142, v146, -v3
	v_add_f32_e32 v149, v111, v148
	v_add_f32_e32 v148, v2, v3
	s_waitcnt vmcnt(4)
	v_mul_f32_e32 v2, v155, v159
	v_fma_f32 v178, v154, v158, -v2
	v_mul_f32_e32 v2, v157, v161
	v_fma_f32 v180, v156, v160, -v2
	ds_read2_b64 v[2:5], v110 offset0:103 offset1:104
	ds_read2_b64 v[6:9], v110 offset0:105 offset1:106
	;; [unrolled: 1-line block ×4, first 2 shown]
	v_mul_f32_e32 v179, v154, v159
	v_fmac_f32_e32 v179, v155, v158
	v_mul_f32_e32 v181, v156, v161
	v_fmac_f32_e32 v181, v157, v160
	v_pk_add_f32 v[18:19], v[148:149], v[178:179]
	s_waitcnt vmcnt(3) lgkmcnt(3)
	v_pk_mul_f32 v[20:21], v[2:3], v[162:163] op_sel:[1,1] op_sel_hi:[0,1]
	v_pk_fma_f32 v[22:23], v[2:3], v[162:163], v[20:21] neg_lo:[0,0,1] neg_hi:[0,0,1]
	v_pk_fma_f32 v[2:3], v[2:3], v[162:163], v[20:21] op_sel_hi:[1,0,1]
	v_pk_add_f32 v[18:19], v[18:19], v[180:181]
	v_mov_b32_e32 v23, v3
	v_pk_add_f32 v[2:3], v[18:19], v[22:23]
	v_mov_b32_e32 v18, v165
	v_pk_mul_f32 v[18:19], v[4:5], v[18:19] op_sel:[1,0] op_sel_hi:[0,0]
	v_pk_fma_f32 v[20:21], v[4:5], v[164:165], v[18:19] neg_lo:[0,0,1] neg_hi:[0,0,1]
	v_pk_fma_f32 v[4:5], v[4:5], v[164:165], v[18:19] op_sel_hi:[1,0,1]
	s_nop 0
	v_mov_b32_e32 v21, v5
	s_waitcnt vmcnt(2) lgkmcnt(2)
	v_pk_mul_f32 v[4:5], v[6:7], v[166:167] op_sel:[1,1] op_sel_hi:[0,1]
	v_pk_fma_f32 v[18:19], v[6:7], v[166:167], v[4:5] neg_lo:[0,0,1] neg_hi:[0,0,1]
	v_pk_fma_f32 v[4:5], v[6:7], v[166:167], v[4:5] op_sel_hi:[1,0,1]
	v_pk_add_f32 v[2:3], v[2:3], v[20:21]
	v_mov_b32_e32 v4, v169
	v_mov_b32_e32 v19, v5
	v_pk_mul_f32 v[4:5], v[8:9], v[4:5] op_sel:[1,0] op_sel_hi:[0,0]
	v_pk_fma_f32 v[6:7], v[8:9], v[168:169], v[4:5] neg_lo:[0,0,1] neg_hi:[0,0,1]
	v_pk_fma_f32 v[4:5], v[8:9], v[168:169], v[4:5] op_sel_hi:[1,0,1]
	v_pk_add_f32 v[2:3], v[2:3], v[18:19]
	v_mov_b32_e32 v7, v5
	s_waitcnt vmcnt(1) lgkmcnt(1)
	v_pk_mul_f32 v[4:5], v[10:11], v[170:171] op_sel:[1,1] op_sel_hi:[0,1]
	v_pk_add_f32 v[2:3], v[2:3], v[6:7]
	v_pk_fma_f32 v[6:7], v[10:11], v[170:171], v[4:5] neg_lo:[0,0,1] neg_hi:[0,0,1]
	v_pk_fma_f32 v[4:5], v[10:11], v[170:171], v[4:5] op_sel_hi:[1,0,1]
	s_nop 0
	v_mov_b32_e32 v4, v173
	v_mov_b32_e32 v7, v5
	v_pk_mul_f32 v[4:5], v[12:13], v[4:5] op_sel:[1,0] op_sel_hi:[0,0]
	v_pk_add_f32 v[2:3], v[2:3], v[6:7]
	v_pk_fma_f32 v[6:7], v[12:13], v[172:173], v[4:5] neg_lo:[0,0,1] neg_hi:[0,0,1]
	v_pk_fma_f32 v[4:5], v[12:13], v[172:173], v[4:5] op_sel_hi:[1,0,1]
	s_nop 0
	v_mov_b32_e32 v7, v5
	s_waitcnt vmcnt(0) lgkmcnt(0)
	v_pk_mul_f32 v[4:5], v[14:15], v[174:175] op_sel:[1,1] op_sel_hi:[0,1]
	v_pk_add_f32 v[2:3], v[2:3], v[6:7]
	v_pk_fma_f32 v[6:7], v[14:15], v[174:175], v[4:5] neg_lo:[0,0,1] neg_hi:[0,0,1]
	v_pk_fma_f32 v[4:5], v[14:15], v[174:175], v[4:5] op_sel_hi:[1,0,1]
	s_nop 0
	v_mov_b32_e32 v4, v177
	v_mov_b32_e32 v7, v5
	v_pk_mul_f32 v[4:5], v[16:17], v[4:5] op_sel:[1,0] op_sel_hi:[0,0]
	v_pk_add_f32 v[2:3], v[2:3], v[6:7]
	v_pk_fma_f32 v[6:7], v[16:17], v[176:177], v[4:5] neg_lo:[0,0,1] neg_hi:[0,0,1]
	v_pk_fma_f32 v[4:5], v[16:17], v[176:177], v[4:5] op_sel_hi:[1,0,1]
	s_nop 0
	v_mov_b32_e32 v7, v5
	scratch_load_dwordx2 v[4:5], off, off offset:64
	v_pk_add_f32 v[2:3], v[2:3], v[6:7]
	s_waitcnt vmcnt(0)
	v_pk_add_f32 v[2:3], v[4:5], v[2:3] neg_lo:[0,1] neg_hi:[0,1]
	scratch_store_dwordx2 off, v[2:3], off offset:64
	s_and_saveexec_b64 s[0:1], vcc
	s_cbranch_execz .LBB54_329
; %bb.328:
	scratch_load_dwordx2 v[2:3], off, off offset:56
	v_mov_b32_e32 v4, 0
	v_mov_b32_e32 v5, v4
	scratch_store_dwordx2 off, v[4:5], off offset:56
	s_waitcnt vmcnt(1)
	ds_write_b64 v1, v[2:3]
.LBB54_329:
	s_or_b64 exec, exec, s[0:1]
	v_mov_b32_e32 v118, 0
	s_waitcnt lgkmcnt(0)
	; wave barrier
	ds_read_b128 v[14:17], v118 offset:512
	ds_read_b128 v[10:13], v118 offset:528
	;; [unrolled: 1-line block ×4, first 2 shown]
	scratch_load_dwordx4 v[18:21], off, off offset:64
	scratch_load_dwordx4 v[38:41], off, off offset:128
	;; [unrolled: 1-line block ×14, first 2 shown]
	v_cmp_lt_u32_e32 vcc, 6, v0
	scratch_load_dwordx4 v[46:49], off, off offset:144
	scratch_load_dwordx4 v[54:57], off, off offset:160
	;; [unrolled: 1-line block ×3, first 2 shown]
	ds_read_b128 v[154:157], v118 offset:800
	ds_read_b128 v[162:165], v118 offset:816
	s_waitcnt vmcnt(16) lgkmcnt(5)
	v_mul_f32_e32 v22, v14, v19
	v_fmac_f32_e32 v22, v15, v18
	v_mul_f32_e32 v23, v16, v21
	v_add_f32_e32 v22, 0, v22
	v_fmac_f32_e32 v23, v17, v20
	v_add_f32_e32 v26, v22, v23
	scratch_load_dwordx4 v[22:25], off, off offset:80
	v_mul_f32_e32 v15, v15, v19
	v_fma_f32 v14, v14, v18, -v15
	v_mul_f32_e32 v15, v17, v21
	v_add_f32_e32 v14, 0, v14
	v_fma_f32 v15, v16, v20, -v15
	v_add_f32_e32 v14, v14, v15
	s_waitcnt vmcnt(5) lgkmcnt(1)
	v_mul_f32_e32 v183, v156, v161
	s_waitcnt vmcnt(4)
	v_mov_b32_e32 v18, v169
	v_fmac_f32_e32 v183, v157, v160
	s_waitcnt lgkmcnt(0)
	v_mul_f32_e32 v185, v162, v167
	v_pk_mul_f32 v[18:19], v[164:165], v[18:19] op_sel:[1,0] op_sel_hi:[0,0]
	v_fmac_f32_e32 v185, v163, v166
	v_pk_fma_f32 v[20:21], v[164:165], v[168:169], v[18:19] neg_lo:[0,0,1] neg_hi:[0,0,1]
	v_pk_fma_f32 v[18:19], v[164:165], v[168:169], v[18:19] op_sel_hi:[1,0,1]
	s_waitcnt vmcnt(0)
	v_mul_f32_e32 v27, v10, v23
	v_fmac_f32_e32 v27, v11, v22
	v_add_f32_e32 v26, v26, v27
	v_mul_f32_e32 v27, v12, v25
	v_fmac_f32_e32 v27, v13, v24
	v_add_f32_e32 v30, v26, v27
	scratch_load_dwordx4 v[26:29], off, off offset:96
	v_mul_f32_e32 v11, v11, v23
	v_fma_f32 v10, v10, v22, -v11
	v_mul_f32_e32 v11, v13, v25
	v_add_f32_e32 v10, v14, v10
	v_fma_f32 v11, v12, v24, -v11
	v_add_f32_e32 v10, v10, v11
	v_mov_b32_e32 v21, v19
	s_waitcnt vmcnt(0)
	v_mul_f32_e32 v31, v6, v27
	v_fmac_f32_e32 v31, v7, v26
	v_add_f32_e32 v30, v30, v31
	v_mul_f32_e32 v31, v8, v29
	v_fmac_f32_e32 v31, v9, v28
	v_add_f32_e32 v34, v30, v31
	scratch_load_dwordx4 v[30:33], off, off offset:112
	v_mul_f32_e32 v7, v7, v27
	v_fma_f32 v6, v6, v26, -v7
	v_mul_f32_e32 v7, v9, v29
	v_add_f32_e32 v6, v10, v6
	v_fma_f32 v7, v8, v28, -v7
	v_add_f32_e32 v6, v6, v7
	s_waitcnt vmcnt(0)
	v_mul_f32_e32 v35, v2, v31
	v_fmac_f32_e32 v35, v3, v30
	v_add_f32_e32 v34, v34, v35
	v_mul_f32_e32 v35, v4, v33
	v_fmac_f32_e32 v35, v5, v32
	v_add_f32_e32 v42, v34, v35
	ds_read_b128 v[34:37], v118 offset:576
	v_mul_f32_e32 v3, v3, v31
	v_fma_f32 v2, v2, v30, -v3
	v_mul_f32_e32 v3, v5, v33
	v_add_f32_e32 v2, v6, v2
	s_waitcnt lgkmcnt(0)
	v_mul_f32_e32 v43, v34, v39
	v_fmac_f32_e32 v43, v35, v38
	v_add_f32_e32 v42, v42, v43
	v_mul_f32_e32 v43, v36, v41
	v_fmac_f32_e32 v43, v37, v40
	v_add_f32_e32 v50, v42, v43
	ds_read_b128 v[42:45], v118 offset:592
	v_fma_f32 v3, v4, v32, -v3
	v_add_f32_e32 v2, v2, v3
	v_mul_f32_e32 v3, v35, v39
	v_fma_f32 v3, v34, v38, -v3
	s_waitcnt lgkmcnt(0)
	v_mul_f32_e32 v51, v42, v47
	v_fmac_f32_e32 v51, v43, v46
	v_add_f32_e32 v50, v50, v51
	v_mul_f32_e32 v51, v44, v49
	v_fmac_f32_e32 v51, v45, v48
	v_add_f32_e32 v58, v50, v51
	ds_read_b128 v[50:53], v118 offset:608
	v_add_f32_e32 v2, v2, v3
	v_mul_f32_e32 v3, v37, v41
	v_fma_f32 v3, v36, v40, -v3
	v_add_f32_e32 v2, v2, v3
	s_waitcnt lgkmcnt(0)
	v_mul_f32_e32 v59, v50, v55
	v_fmac_f32_e32 v59, v51, v54
	v_add_f32_e32 v58, v58, v59
	v_mul_f32_e32 v59, v52, v57
	v_fmac_f32_e32 v59, v53, v56
	v_add_f32_e32 v66, v58, v59
	ds_read_b128 v[58:61], v118 offset:624
	v_mul_f32_e32 v3, v43, v47
	v_fma_f32 v3, v42, v46, -v3
	v_add_f32_e32 v2, v2, v3
	v_mul_f32_e32 v3, v45, v49
	s_waitcnt lgkmcnt(0)
	v_mul_f32_e32 v67, v58, v63
	v_fmac_f32_e32 v67, v59, v62
	v_add_f32_e32 v66, v66, v67
	v_mul_f32_e32 v67, v60, v65
	v_fmac_f32_e32 v67, v61, v64
	v_add_f32_e32 v74, v66, v67
	ds_read_b128 v[66:69], v118 offset:640
	v_fma_f32 v3, v44, v48, -v3
	v_add_f32_e32 v2, v2, v3
	v_mul_f32_e32 v3, v51, v55
	v_fma_f32 v3, v50, v54, -v3
	s_waitcnt lgkmcnt(0)
	v_mul_f32_e32 v75, v66, v71
	v_fmac_f32_e32 v75, v67, v70
	v_add_f32_e32 v74, v74, v75
	v_mul_f32_e32 v75, v68, v73
	v_fmac_f32_e32 v75, v69, v72
	v_add_f32_e32 v82, v74, v75
	ds_read_b128 v[74:77], v118 offset:656
	v_add_f32_e32 v2, v2, v3
	v_mul_f32_e32 v3, v53, v57
	v_fma_f32 v3, v52, v56, -v3
	v_add_f32_e32 v2, v2, v3
	s_waitcnt lgkmcnt(0)
	v_mul_f32_e32 v83, v74, v79
	v_fmac_f32_e32 v83, v75, v78
	v_add_f32_e32 v82, v82, v83
	v_mul_f32_e32 v83, v76, v81
	v_fmac_f32_e32 v83, v77, v80
	v_add_f32_e32 v90, v82, v83
	ds_read_b128 v[82:85], v118 offset:672
	v_mul_f32_e32 v3, v59, v63
	v_fma_f32 v3, v58, v62, -v3
	v_add_f32_e32 v2, v2, v3
	v_mul_f32_e32 v3, v61, v65
	;; [unrolled: 36-line block ×4, first 2 shown]
	s_waitcnt lgkmcnt(0)
	v_mul_f32_e32 v140, v132, v137
	v_fmac_f32_e32 v140, v133, v136
	v_add_f32_e32 v119, v119, v140
	v_mul_f32_e32 v140, v134, v139
	v_fmac_f32_e32 v140, v135, v138
	v_add_f32_e32 v119, v119, v140
	ds_read_b128 v[140:143], v118 offset:784
	scratch_load_dwordx4 v[170:173], off, off offset:384
	scratch_load_dwordx4 v[174:177], off, off offset:400
	;; [unrolled: 1-line block ×3, first 2 shown]
	scratch_load_dwordx2 v[186:187], off, off offset:432
	v_fma_f32 v3, v92, v96, -v3
	v_add_f32_e32 v2, v2, v3
	v_mul_f32_e32 v3, v99, v103
	v_fma_f32 v3, v98, v102, -v3
	v_add_f32_e32 v2, v2, v3
	v_mul_f32_e32 v3, v101, v105
	;; [unrolled: 3-line block ×10, first 2 shown]
	v_fma_f32 v3, v134, v138, -v3
	s_waitcnt lgkmcnt(0)
	v_mul_f32_e32 v148, v140, v145
	v_add_f32_e32 v2, v2, v3
	v_mul_f32_e32 v3, v141, v145
	v_fmac_f32_e32 v148, v141, v144
	v_fma_f32 v3, v140, v144, -v3
	v_add_f32_e32 v119, v119, v148
	v_mul_f32_e32 v148, v142, v147
	v_add_f32_e32 v2, v2, v3
	v_mul_f32_e32 v3, v143, v147
	v_fmac_f32_e32 v148, v143, v146
	v_fma_f32 v3, v142, v146, -v3
	v_add_f32_e32 v119, v119, v148
	v_mul_f32_e32 v148, v154, v159
	v_add_f32_e32 v2, v2, v3
	v_mul_f32_e32 v3, v155, v159
	v_fmac_f32_e32 v148, v155, v158
	v_fma_f32 v3, v154, v158, -v3
	v_add_f32_e32 v149, v119, v148
	v_add_f32_e32 v148, v2, v3
	v_mul_f32_e32 v2, v157, v161
	v_fma_f32 v182, v156, v160, -v2
	v_mul_f32_e32 v2, v163, v167
	v_fma_f32 v184, v162, v166, -v2
	ds_read_b128 v[2:5], v118 offset:832
	ds_read_b128 v[6:9], v118 offset:848
	;; [unrolled: 1-line block ×3, first 2 shown]
	ds_read_b64 v[14:15], v118 offset:880
	v_pk_add_f32 v[16:17], v[148:149], v[182:183]
	s_waitcnt vmcnt(3) lgkmcnt(3)
	v_pk_mul_f32 v[18:19], v[2:3], v[170:171] op_sel:[1,1] op_sel_hi:[0,1]
	v_pk_add_f32 v[16:17], v[16:17], v[184:185]
	s_nop 0
	v_pk_add_f32 v[16:17], v[16:17], v[20:21]
	v_pk_fma_f32 v[20:21], v[2:3], v[170:171], v[18:19] neg_lo:[0,0,1] neg_hi:[0,0,1]
	v_pk_fma_f32 v[2:3], v[2:3], v[170:171], v[18:19] op_sel_hi:[1,0,1]
	s_nop 0
	v_mov_b32_e32 v21, v3
	v_pk_add_f32 v[2:3], v[16:17], v[20:21]
	v_mov_b32_e32 v16, v173
	v_pk_mul_f32 v[16:17], v[4:5], v[16:17] op_sel:[1,0] op_sel_hi:[0,0]
	v_pk_fma_f32 v[18:19], v[4:5], v[172:173], v[16:17] neg_lo:[0,0,1] neg_hi:[0,0,1]
	v_pk_fma_f32 v[4:5], v[4:5], v[172:173], v[16:17] op_sel_hi:[1,0,1]
	s_nop 0
	v_mov_b32_e32 v19, v5
	s_waitcnt vmcnt(2) lgkmcnt(2)
	v_pk_mul_f32 v[4:5], v[6:7], v[174:175] op_sel:[1,1] op_sel_hi:[0,1]
	v_pk_fma_f32 v[16:17], v[6:7], v[174:175], v[4:5] neg_lo:[0,0,1] neg_hi:[0,0,1]
	v_pk_fma_f32 v[4:5], v[6:7], v[174:175], v[4:5] op_sel_hi:[1,0,1]
	v_pk_add_f32 v[2:3], v[2:3], v[18:19]
	v_mov_b32_e32 v4, v177
	v_mov_b32_e32 v17, v5
	v_pk_mul_f32 v[4:5], v[8:9], v[4:5] op_sel:[1,0] op_sel_hi:[0,0]
	v_pk_fma_f32 v[6:7], v[8:9], v[176:177], v[4:5] neg_lo:[0,0,1] neg_hi:[0,0,1]
	v_pk_fma_f32 v[4:5], v[8:9], v[176:177], v[4:5] op_sel_hi:[1,0,1]
	v_pk_add_f32 v[2:3], v[2:3], v[16:17]
	v_mov_b32_e32 v7, v5
	s_waitcnt vmcnt(1) lgkmcnt(1)
	v_pk_mul_f32 v[4:5], v[10:11], v[178:179] op_sel:[1,1] op_sel_hi:[0,1]
	v_pk_add_f32 v[2:3], v[2:3], v[6:7]
	v_pk_fma_f32 v[6:7], v[10:11], v[178:179], v[4:5] neg_lo:[0,0,1] neg_hi:[0,0,1]
	v_pk_fma_f32 v[4:5], v[10:11], v[178:179], v[4:5] op_sel_hi:[1,0,1]
	s_nop 0
	v_mov_b32_e32 v4, v181
	v_mov_b32_e32 v7, v5
	v_pk_mul_f32 v[4:5], v[12:13], v[4:5] op_sel:[1,0] op_sel_hi:[0,0]
	v_pk_add_f32 v[2:3], v[2:3], v[6:7]
	v_pk_fma_f32 v[6:7], v[12:13], v[180:181], v[4:5] neg_lo:[0,0,1] neg_hi:[0,0,1]
	v_pk_fma_f32 v[4:5], v[12:13], v[180:181], v[4:5] op_sel_hi:[1,0,1]
	s_nop 0
	v_mov_b32_e32 v7, v5
	s_waitcnt vmcnt(0) lgkmcnt(0)
	v_pk_mul_f32 v[4:5], v[14:15], v[186:187] op_sel:[1,1] op_sel_hi:[0,1]
	v_pk_add_f32 v[2:3], v[2:3], v[6:7]
	v_pk_fma_f32 v[6:7], v[14:15], v[186:187], v[4:5] neg_lo:[0,0,1] neg_hi:[0,0,1]
	v_pk_fma_f32 v[4:5], v[14:15], v[186:187], v[4:5] op_sel_hi:[1,0,1]
	s_nop 0
	v_mov_b32_e32 v7, v5
	scratch_load_dwordx2 v[4:5], off, off offset:56
	v_pk_add_f32 v[2:3], v[2:3], v[6:7]
	s_waitcnt vmcnt(0)
	v_pk_add_f32 v[2:3], v[4:5], v[2:3] neg_lo:[0,1] neg_hi:[0,1]
	scratch_store_dwordx2 off, v[2:3], off offset:56
	s_and_saveexec_b64 s[0:1], vcc
	s_cbranch_execz .LBB54_331
; %bb.330:
	scratch_load_dwordx2 v[2:3], off, off offset:48
	v_mov_b32_e32 v119, v118
	scratch_store_dwordx2 off, v[118:119], off offset:48
	s_waitcnt vmcnt(1)
	ds_write_b64 v1, v[2:3]
.LBB54_331:
	s_or_b64 exec, exec, s[0:1]
	s_waitcnt lgkmcnt(0)
	; wave barrier
	scratch_load_dwordx4 v[6:9], off, off offset:56
	scratch_load_dwordx4 v[14:17], off, off offset:72
	;; [unrolled: 1-line block ×10, first 2 shown]
	ds_read2_b64 v[2:5], v118 offset0:63 offset1:64
	ds_read2_b64 v[154:157], v118 offset0:99 offset1:100
	scratch_load_dwordx4 v[86:89], off, off offset:216
	scratch_load_dwordx4 v[94:97], off, off offset:232
	;; [unrolled: 1-line block ×10, first 2 shown]
	v_cmp_lt_u32_e32 vcc, 5, v0
	ds_read2_b64 v[162:165], v118 offset0:101 offset1:102
	s_waitcnt vmcnt(19) lgkmcnt(2)
	v_mul_f32_e32 v10, v2, v7
	v_fmac_f32_e32 v10, v3, v6
	v_mul_f32_e32 v11, v4, v9
	v_add_f32_e32 v10, 0, v10
	v_fmac_f32_e32 v11, v5, v8
	v_add_f32_e32 v18, v10, v11
	ds_read2_b64 v[10:13], v118 offset0:65 offset1:66
	v_mul_f32_e32 v3, v3, v7
	v_fma_f32 v2, v2, v6, -v3
	v_mul_f32_e32 v3, v5, v9
	v_add_f32_e32 v2, 0, v2
	s_waitcnt vmcnt(18) lgkmcnt(0)
	v_mul_f32_e32 v19, v10, v15
	v_fmac_f32_e32 v19, v11, v14
	v_add_f32_e32 v18, v18, v19
	v_mul_f32_e32 v19, v12, v17
	v_fmac_f32_e32 v19, v13, v16
	v_add_f32_e32 v26, v18, v19
	ds_read2_b64 v[18:21], v118 offset0:67 offset1:68
	v_fma_f32 v3, v4, v8, -v3
	v_add_f32_e32 v2, v2, v3
	v_mul_f32_e32 v3, v11, v15
	v_fma_f32 v3, v10, v14, -v3
	s_waitcnt vmcnt(17) lgkmcnt(0)
	v_mul_f32_e32 v27, v18, v23
	v_fmac_f32_e32 v27, v19, v22
	v_add_f32_e32 v26, v26, v27
	v_mul_f32_e32 v27, v20, v25
	v_fmac_f32_e32 v27, v21, v24
	v_add_f32_e32 v34, v26, v27
	ds_read2_b64 v[26:29], v118 offset0:69 offset1:70
	v_add_f32_e32 v2, v2, v3
	v_mul_f32_e32 v3, v13, v17
	v_fma_f32 v3, v12, v16, -v3
	v_add_f32_e32 v2, v2, v3
	s_waitcnt vmcnt(16) lgkmcnt(0)
	v_mul_f32_e32 v35, v26, v31
	v_fmac_f32_e32 v35, v27, v30
	v_add_f32_e32 v34, v34, v35
	v_mul_f32_e32 v35, v28, v33
	v_fmac_f32_e32 v35, v29, v32
	v_add_f32_e32 v42, v34, v35
	ds_read2_b64 v[34:37], v118 offset0:71 offset1:72
	v_mul_f32_e32 v3, v19, v23
	v_fma_f32 v3, v18, v22, -v3
	v_add_f32_e32 v2, v2, v3
	v_mul_f32_e32 v3, v21, v25
	s_waitcnt vmcnt(15) lgkmcnt(0)
	v_mul_f32_e32 v43, v34, v39
	v_fmac_f32_e32 v43, v35, v38
	v_add_f32_e32 v42, v42, v43
	v_mul_f32_e32 v43, v36, v41
	v_fmac_f32_e32 v43, v37, v40
	v_add_f32_e32 v50, v42, v43
	ds_read2_b64 v[42:45], v118 offset0:73 offset1:74
	v_fma_f32 v3, v20, v24, -v3
	v_add_f32_e32 v2, v2, v3
	v_mul_f32_e32 v3, v27, v31
	v_fma_f32 v3, v26, v30, -v3
	s_waitcnt vmcnt(14) lgkmcnt(0)
	v_mul_f32_e32 v51, v42, v47
	v_fmac_f32_e32 v51, v43, v46
	v_add_f32_e32 v50, v50, v51
	v_mul_f32_e32 v51, v44, v49
	v_fmac_f32_e32 v51, v45, v48
	v_add_f32_e32 v58, v50, v51
	ds_read2_b64 v[50:53], v118 offset0:75 offset1:76
	v_add_f32_e32 v2, v2, v3
	v_mul_f32_e32 v3, v29, v33
	v_fma_f32 v3, v28, v32, -v3
	v_add_f32_e32 v2, v2, v3
	s_waitcnt vmcnt(13) lgkmcnt(0)
	v_mul_f32_e32 v59, v50, v55
	v_fmac_f32_e32 v59, v51, v54
	v_add_f32_e32 v58, v58, v59
	v_mul_f32_e32 v59, v52, v57
	v_fmac_f32_e32 v59, v53, v56
	v_add_f32_e32 v66, v58, v59
	ds_read2_b64 v[58:61], v118 offset0:77 offset1:78
	v_mul_f32_e32 v3, v35, v39
	v_fma_f32 v3, v34, v38, -v3
	v_add_f32_e32 v2, v2, v3
	v_mul_f32_e32 v3, v37, v41
	;; [unrolled: 36-line block ×5, first 2 shown]
	s_waitcnt vmcnt(3) lgkmcnt(0)
	v_mul_f32_e32 v140, v132, v137
	v_fmac_f32_e32 v140, v133, v136
	v_add_f32_e32 v119, v119, v140
	v_mul_f32_e32 v140, v134, v139
	v_fmac_f32_e32 v140, v135, v138
	v_add_f32_e32 v119, v119, v140
	ds_read2_b64 v[140:143], v118 offset0:97 offset1:98
	scratch_load_dwordx4 v[170:173], off, off offset:376
	scratch_load_dwordx4 v[174:177], off, off offset:392
	;; [unrolled: 1-line block ×4, first 2 shown]
	v_fma_f32 v3, v84, v88, -v3
	v_add_f32_e32 v2, v2, v3
	v_mul_f32_e32 v3, v91, v95
	v_fma_f32 v3, v90, v94, -v3
	v_add_f32_e32 v2, v2, v3
	v_mul_f32_e32 v3, v93, v97
	;; [unrolled: 3-line block ×12, first 2 shown]
	v_fma_f32 v3, v134, v138, -v3
	s_waitcnt vmcnt(6) lgkmcnt(0)
	v_mul_f32_e32 v148, v140, v145
	v_add_f32_e32 v2, v2, v3
	v_mul_f32_e32 v3, v141, v145
	v_fmac_f32_e32 v148, v141, v144
	v_fma_f32 v3, v140, v144, -v3
	v_add_f32_e32 v119, v119, v148
	v_mul_f32_e32 v148, v142, v147
	v_add_f32_e32 v2, v2, v3
	v_mul_f32_e32 v3, v143, v147
	v_fmac_f32_e32 v148, v143, v146
	v_fma_f32 v3, v142, v146, -v3
	v_add_f32_e32 v119, v119, v148
	s_waitcnt vmcnt(5)
	v_mul_f32_e32 v148, v154, v159
	v_add_f32_e32 v2, v2, v3
	v_mul_f32_e32 v3, v155, v159
	v_fmac_f32_e32 v148, v155, v158
	v_fma_f32 v3, v154, v158, -v3
	v_add_f32_e32 v119, v119, v148
	v_mul_f32_e32 v148, v156, v161
	v_add_f32_e32 v2, v2, v3
	v_mul_f32_e32 v3, v157, v161
	v_fmac_f32_e32 v148, v157, v160
	v_fma_f32 v3, v156, v160, -v3
	v_add_f32_e32 v149, v119, v148
	v_add_f32_e32 v148, v2, v3
	s_waitcnt vmcnt(4)
	v_mul_f32_e32 v2, v163, v167
	v_fma_f32 v186, v162, v166, -v2
	v_mul_f32_e32 v2, v165, v169
	v_fma_f32 v188, v164, v168, -v2
	ds_read2_b64 v[2:5], v118 offset0:103 offset1:104
	ds_read2_b64 v[6:9], v118 offset0:105 offset1:106
	;; [unrolled: 1-line block ×4, first 2 shown]
	v_mul_f32_e32 v187, v162, v167
	v_fmac_f32_e32 v187, v163, v166
	v_mul_f32_e32 v189, v164, v169
	v_fmac_f32_e32 v189, v165, v168
	v_pk_add_f32 v[18:19], v[148:149], v[186:187]
	s_waitcnt vmcnt(3) lgkmcnt(3)
	v_pk_mul_f32 v[20:21], v[2:3], v[170:171] op_sel:[1,1] op_sel_hi:[0,1]
	v_pk_fma_f32 v[22:23], v[2:3], v[170:171], v[20:21] neg_lo:[0,0,1] neg_hi:[0,0,1]
	v_pk_fma_f32 v[2:3], v[2:3], v[170:171], v[20:21] op_sel_hi:[1,0,1]
	v_pk_add_f32 v[18:19], v[18:19], v[188:189]
	v_mov_b32_e32 v23, v3
	v_pk_add_f32 v[2:3], v[18:19], v[22:23]
	v_mov_b32_e32 v18, v173
	v_pk_mul_f32 v[18:19], v[4:5], v[18:19] op_sel:[1,0] op_sel_hi:[0,0]
	v_pk_fma_f32 v[20:21], v[4:5], v[172:173], v[18:19] neg_lo:[0,0,1] neg_hi:[0,0,1]
	v_pk_fma_f32 v[4:5], v[4:5], v[172:173], v[18:19] op_sel_hi:[1,0,1]
	s_nop 0
	v_mov_b32_e32 v21, v5
	s_waitcnt vmcnt(2) lgkmcnt(2)
	v_pk_mul_f32 v[4:5], v[6:7], v[174:175] op_sel:[1,1] op_sel_hi:[0,1]
	v_pk_fma_f32 v[18:19], v[6:7], v[174:175], v[4:5] neg_lo:[0,0,1] neg_hi:[0,0,1]
	v_pk_fma_f32 v[4:5], v[6:7], v[174:175], v[4:5] op_sel_hi:[1,0,1]
	v_pk_add_f32 v[2:3], v[2:3], v[20:21]
	v_mov_b32_e32 v4, v177
	v_mov_b32_e32 v19, v5
	v_pk_mul_f32 v[4:5], v[8:9], v[4:5] op_sel:[1,0] op_sel_hi:[0,0]
	v_pk_fma_f32 v[6:7], v[8:9], v[176:177], v[4:5] neg_lo:[0,0,1] neg_hi:[0,0,1]
	v_pk_fma_f32 v[4:5], v[8:9], v[176:177], v[4:5] op_sel_hi:[1,0,1]
	v_pk_add_f32 v[2:3], v[2:3], v[18:19]
	v_mov_b32_e32 v7, v5
	s_waitcnt vmcnt(1) lgkmcnt(1)
	v_pk_mul_f32 v[4:5], v[10:11], v[178:179] op_sel:[1,1] op_sel_hi:[0,1]
	v_pk_add_f32 v[2:3], v[2:3], v[6:7]
	v_pk_fma_f32 v[6:7], v[10:11], v[178:179], v[4:5] neg_lo:[0,0,1] neg_hi:[0,0,1]
	v_pk_fma_f32 v[4:5], v[10:11], v[178:179], v[4:5] op_sel_hi:[1,0,1]
	s_nop 0
	v_mov_b32_e32 v4, v181
	v_mov_b32_e32 v7, v5
	v_pk_mul_f32 v[4:5], v[12:13], v[4:5] op_sel:[1,0] op_sel_hi:[0,0]
	v_pk_add_f32 v[2:3], v[2:3], v[6:7]
	v_pk_fma_f32 v[6:7], v[12:13], v[180:181], v[4:5] neg_lo:[0,0,1] neg_hi:[0,0,1]
	v_pk_fma_f32 v[4:5], v[12:13], v[180:181], v[4:5] op_sel_hi:[1,0,1]
	s_nop 0
	v_mov_b32_e32 v7, v5
	s_waitcnt vmcnt(0) lgkmcnt(0)
	v_pk_mul_f32 v[4:5], v[14:15], v[182:183] op_sel:[1,1] op_sel_hi:[0,1]
	v_pk_add_f32 v[2:3], v[2:3], v[6:7]
	v_pk_fma_f32 v[6:7], v[14:15], v[182:183], v[4:5] neg_lo:[0,0,1] neg_hi:[0,0,1]
	v_pk_fma_f32 v[4:5], v[14:15], v[182:183], v[4:5] op_sel_hi:[1,0,1]
	s_nop 0
	v_mov_b32_e32 v4, v185
	v_mov_b32_e32 v7, v5
	v_pk_mul_f32 v[4:5], v[16:17], v[4:5] op_sel:[1,0] op_sel_hi:[0,0]
	v_pk_add_f32 v[2:3], v[2:3], v[6:7]
	v_pk_fma_f32 v[6:7], v[16:17], v[184:185], v[4:5] neg_lo:[0,0,1] neg_hi:[0,0,1]
	v_pk_fma_f32 v[4:5], v[16:17], v[184:185], v[4:5] op_sel_hi:[1,0,1]
	s_nop 0
	v_mov_b32_e32 v7, v5
	scratch_load_dwordx2 v[4:5], off, off offset:48
	v_pk_add_f32 v[2:3], v[2:3], v[6:7]
	s_waitcnt vmcnt(0)
	v_pk_add_f32 v[2:3], v[4:5], v[2:3] neg_lo:[0,1] neg_hi:[0,1]
	scratch_store_dwordx2 off, v[2:3], off offset:48
	s_and_saveexec_b64 s[0:1], vcc
	s_cbranch_execz .LBB54_333
; %bb.332:
	scratch_load_dwordx2 v[2:3], off, off offset:40
	v_mov_b32_e32 v4, 0
	v_mov_b32_e32 v5, v4
	scratch_store_dwordx2 off, v[4:5], off offset:40
	s_waitcnt vmcnt(1)
	ds_write_b64 v1, v[2:3]
.LBB54_333:
	s_or_b64 exec, exec, s[0:1]
	v_mov_b32_e32 v134, 0
	s_waitcnt lgkmcnt(0)
	; wave barrier
	ds_read_b128 v[14:17], v134 offset:496
	ds_read_b128 v[10:13], v134 offset:512
	ds_read_b128 v[6:9], v134 offset:528
	ds_read_b128 v[2:5], v134 offset:544
	scratch_load_dwordx4 v[18:21], off, off offset:48
	scratch_load_dwordx4 v[38:41], off, off offset:112
	;; [unrolled: 1-line block ×15, first 2 shown]
	v_cmp_lt_u32_e32 vcc, 4, v0
	scratch_load_dwordx4 v[46:49], off, off offset:128
	scratch_load_dwordx4 v[54:57], off, off offset:144
	;; [unrolled: 1-line block ×3, first 2 shown]
	ds_read_b128 v[154:157], v134 offset:784
	ds_read_b128 v[162:165], v134 offset:800
	;; [unrolled: 1-line block ×3, first 2 shown]
	s_waitcnt vmcnt(17) lgkmcnt(6)
	v_mul_f32_e32 v22, v14, v19
	v_fmac_f32_e32 v22, v15, v18
	v_mul_f32_e32 v23, v16, v21
	v_add_f32_e32 v22, 0, v22
	v_fmac_f32_e32 v23, v17, v20
	v_add_f32_e32 v26, v22, v23
	scratch_load_dwordx4 v[22:25], off, off offset:64
	v_mul_f32_e32 v15, v15, v19
	v_fma_f32 v14, v14, v18, -v15
	v_mul_f32_e32 v15, v17, v21
	v_add_f32_e32 v14, 0, v14
	v_fma_f32 v15, v16, v20, -v15
	v_add_f32_e32 v14, v14, v15
	s_waitcnt vmcnt(5) lgkmcnt(1)
	v_mul_f32_e32 v191, v164, v169
	s_waitcnt vmcnt(4)
	v_mov_b32_e32 v18, v177
	v_fmac_f32_e32 v191, v165, v168
	s_waitcnt lgkmcnt(0)
	v_mul_f32_e32 v193, v170, v175
	v_pk_mul_f32 v[18:19], v[172:173], v[18:19] op_sel:[1,0] op_sel_hi:[0,0]
	v_fmac_f32_e32 v193, v171, v174
	v_pk_fma_f32 v[20:21], v[172:173], v[176:177], v[18:19] neg_lo:[0,0,1] neg_hi:[0,0,1]
	v_pk_fma_f32 v[18:19], v[172:173], v[176:177], v[18:19] op_sel_hi:[1,0,1]
	s_waitcnt vmcnt(0)
	v_mul_f32_e32 v27, v10, v23
	v_fmac_f32_e32 v27, v11, v22
	v_add_f32_e32 v26, v26, v27
	v_mul_f32_e32 v27, v12, v25
	v_fmac_f32_e32 v27, v13, v24
	v_add_f32_e32 v30, v26, v27
	scratch_load_dwordx4 v[26:29], off, off offset:80
	v_mul_f32_e32 v11, v11, v23
	v_fma_f32 v10, v10, v22, -v11
	v_mul_f32_e32 v11, v13, v25
	v_add_f32_e32 v10, v14, v10
	v_fma_f32 v11, v12, v24, -v11
	v_add_f32_e32 v10, v10, v11
	v_mov_b32_e32 v21, v19
	s_waitcnt vmcnt(0)
	v_mul_f32_e32 v31, v6, v27
	v_fmac_f32_e32 v31, v7, v26
	v_add_f32_e32 v30, v30, v31
	v_mul_f32_e32 v31, v8, v29
	v_fmac_f32_e32 v31, v9, v28
	v_add_f32_e32 v34, v30, v31
	scratch_load_dwordx4 v[30:33], off, off offset:96
	v_mul_f32_e32 v7, v7, v27
	v_fma_f32 v6, v6, v26, -v7
	v_mul_f32_e32 v7, v9, v29
	v_add_f32_e32 v6, v10, v6
	v_fma_f32 v7, v8, v28, -v7
	v_add_f32_e32 v6, v6, v7
	s_waitcnt vmcnt(0)
	v_mul_f32_e32 v35, v2, v31
	v_fmac_f32_e32 v35, v3, v30
	v_add_f32_e32 v34, v34, v35
	v_mul_f32_e32 v35, v4, v33
	v_fmac_f32_e32 v35, v5, v32
	v_add_f32_e32 v42, v34, v35
	ds_read_b128 v[34:37], v134 offset:560
	v_mul_f32_e32 v3, v3, v31
	v_fma_f32 v2, v2, v30, -v3
	v_mul_f32_e32 v3, v5, v33
	v_add_f32_e32 v2, v6, v2
	s_waitcnt lgkmcnt(0)
	v_mul_f32_e32 v43, v34, v39
	v_fmac_f32_e32 v43, v35, v38
	v_add_f32_e32 v42, v42, v43
	v_mul_f32_e32 v43, v36, v41
	v_fmac_f32_e32 v43, v37, v40
	v_add_f32_e32 v50, v42, v43
	ds_read_b128 v[42:45], v134 offset:576
	v_fma_f32 v3, v4, v32, -v3
	v_add_f32_e32 v2, v2, v3
	v_mul_f32_e32 v3, v35, v39
	v_fma_f32 v3, v34, v38, -v3
	s_waitcnt lgkmcnt(0)
	v_mul_f32_e32 v51, v42, v47
	v_fmac_f32_e32 v51, v43, v46
	v_add_f32_e32 v50, v50, v51
	v_mul_f32_e32 v51, v44, v49
	v_fmac_f32_e32 v51, v45, v48
	v_add_f32_e32 v58, v50, v51
	ds_read_b128 v[50:53], v134 offset:592
	v_add_f32_e32 v2, v2, v3
	v_mul_f32_e32 v3, v37, v41
	v_fma_f32 v3, v36, v40, -v3
	v_add_f32_e32 v2, v2, v3
	s_waitcnt lgkmcnt(0)
	v_mul_f32_e32 v59, v50, v55
	v_fmac_f32_e32 v59, v51, v54
	v_add_f32_e32 v58, v58, v59
	v_mul_f32_e32 v59, v52, v57
	v_fmac_f32_e32 v59, v53, v56
	v_add_f32_e32 v66, v58, v59
	ds_read_b128 v[58:61], v134 offset:608
	v_mul_f32_e32 v3, v43, v47
	v_fma_f32 v3, v42, v46, -v3
	v_add_f32_e32 v2, v2, v3
	v_mul_f32_e32 v3, v45, v49
	s_waitcnt lgkmcnt(0)
	v_mul_f32_e32 v67, v58, v63
	v_fmac_f32_e32 v67, v59, v62
	v_add_f32_e32 v66, v66, v67
	v_mul_f32_e32 v67, v60, v65
	v_fmac_f32_e32 v67, v61, v64
	v_add_f32_e32 v74, v66, v67
	ds_read_b128 v[66:69], v134 offset:624
	v_fma_f32 v3, v44, v48, -v3
	v_add_f32_e32 v2, v2, v3
	v_mul_f32_e32 v3, v51, v55
	v_fma_f32 v3, v50, v54, -v3
	s_waitcnt lgkmcnt(0)
	v_mul_f32_e32 v75, v66, v71
	v_fmac_f32_e32 v75, v67, v70
	v_add_f32_e32 v74, v74, v75
	v_mul_f32_e32 v75, v68, v73
	v_fmac_f32_e32 v75, v69, v72
	v_add_f32_e32 v82, v74, v75
	ds_read_b128 v[74:77], v134 offset:640
	v_add_f32_e32 v2, v2, v3
	v_mul_f32_e32 v3, v53, v57
	v_fma_f32 v3, v52, v56, -v3
	v_add_f32_e32 v2, v2, v3
	s_waitcnt lgkmcnt(0)
	v_mul_f32_e32 v83, v74, v79
	v_fmac_f32_e32 v83, v75, v78
	v_add_f32_e32 v82, v82, v83
	v_mul_f32_e32 v83, v76, v81
	v_fmac_f32_e32 v83, v77, v80
	v_add_f32_e32 v90, v82, v83
	ds_read_b128 v[82:85], v134 offset:656
	v_mul_f32_e32 v3, v59, v63
	v_fma_f32 v3, v58, v62, -v3
	v_add_f32_e32 v2, v2, v3
	v_mul_f32_e32 v3, v61, v65
	;; [unrolled: 36-line block ×4, first 2 shown]
	s_waitcnt lgkmcnt(0)
	v_mul_f32_e32 v140, v130, v137
	v_fmac_f32_e32 v140, v131, v136
	v_add_f32_e32 v135, v135, v140
	v_mul_f32_e32 v140, v132, v139
	v_fmac_f32_e32 v140, v133, v138
	v_add_f32_e32 v135, v135, v140
	ds_read_b128 v[140:143], v134 offset:768
	scratch_load_dwordx4 v[178:181], off, off offset:384
	scratch_load_dwordx4 v[182:185], off, off offset:400
	;; [unrolled: 1-line block ×3, first 2 shown]
	scratch_load_dwordx2 v[194:195], off, off offset:432
	v_fma_f32 v3, v92, v96, -v3
	v_add_f32_e32 v2, v2, v3
	v_mul_f32_e32 v3, v99, v103
	v_fma_f32 v3, v98, v102, -v3
	v_add_f32_e32 v2, v2, v3
	v_mul_f32_e32 v3, v101, v105
	;; [unrolled: 3-line block ×10, first 2 shown]
	v_fma_f32 v3, v132, v138, -v3
	s_waitcnt lgkmcnt(0)
	v_mul_f32_e32 v148, v140, v145
	v_add_f32_e32 v2, v2, v3
	v_mul_f32_e32 v3, v141, v145
	v_fmac_f32_e32 v148, v141, v144
	v_fma_f32 v3, v140, v144, -v3
	v_add_f32_e32 v135, v135, v148
	v_mul_f32_e32 v148, v142, v147
	v_add_f32_e32 v2, v2, v3
	v_mul_f32_e32 v3, v143, v147
	v_fmac_f32_e32 v148, v143, v146
	v_fma_f32 v3, v142, v146, -v3
	v_add_f32_e32 v135, v135, v148
	;; [unrolled: 6-line block ×5, first 2 shown]
	v_add_f32_e32 v148, v2, v3
	v_mul_f32_e32 v2, v165, v169
	v_fma_f32 v190, v164, v168, -v2
	v_mul_f32_e32 v2, v171, v175
	v_fma_f32 v192, v170, v174, -v2
	ds_read_b128 v[2:5], v134 offset:832
	ds_read_b128 v[6:9], v134 offset:848
	;; [unrolled: 1-line block ×3, first 2 shown]
	ds_read_b64 v[14:15], v134 offset:880
	v_pk_add_f32 v[16:17], v[148:149], v[190:191]
	s_waitcnt vmcnt(3) lgkmcnt(3)
	v_pk_mul_f32 v[18:19], v[2:3], v[178:179] op_sel:[1,1] op_sel_hi:[0,1]
	v_pk_add_f32 v[16:17], v[16:17], v[192:193]
	s_nop 0
	v_pk_add_f32 v[16:17], v[16:17], v[20:21]
	v_pk_fma_f32 v[20:21], v[2:3], v[178:179], v[18:19] neg_lo:[0,0,1] neg_hi:[0,0,1]
	v_pk_fma_f32 v[2:3], v[2:3], v[178:179], v[18:19] op_sel_hi:[1,0,1]
	s_nop 0
	v_mov_b32_e32 v21, v3
	v_pk_add_f32 v[2:3], v[16:17], v[20:21]
	v_mov_b32_e32 v16, v181
	v_pk_mul_f32 v[16:17], v[4:5], v[16:17] op_sel:[1,0] op_sel_hi:[0,0]
	v_pk_fma_f32 v[18:19], v[4:5], v[180:181], v[16:17] neg_lo:[0,0,1] neg_hi:[0,0,1]
	v_pk_fma_f32 v[4:5], v[4:5], v[180:181], v[16:17] op_sel_hi:[1,0,1]
	s_nop 0
	v_mov_b32_e32 v19, v5
	s_waitcnt vmcnt(2) lgkmcnt(2)
	v_pk_mul_f32 v[4:5], v[6:7], v[182:183] op_sel:[1,1] op_sel_hi:[0,1]
	v_pk_fma_f32 v[16:17], v[6:7], v[182:183], v[4:5] neg_lo:[0,0,1] neg_hi:[0,0,1]
	v_pk_fma_f32 v[4:5], v[6:7], v[182:183], v[4:5] op_sel_hi:[1,0,1]
	v_pk_add_f32 v[2:3], v[2:3], v[18:19]
	v_mov_b32_e32 v4, v185
	v_mov_b32_e32 v17, v5
	v_pk_mul_f32 v[4:5], v[8:9], v[4:5] op_sel:[1,0] op_sel_hi:[0,0]
	v_pk_fma_f32 v[6:7], v[8:9], v[184:185], v[4:5] neg_lo:[0,0,1] neg_hi:[0,0,1]
	v_pk_fma_f32 v[4:5], v[8:9], v[184:185], v[4:5] op_sel_hi:[1,0,1]
	v_pk_add_f32 v[2:3], v[2:3], v[16:17]
	v_mov_b32_e32 v7, v5
	s_waitcnt vmcnt(1) lgkmcnt(1)
	v_pk_mul_f32 v[4:5], v[10:11], v[186:187] op_sel:[1,1] op_sel_hi:[0,1]
	v_pk_add_f32 v[2:3], v[2:3], v[6:7]
	v_pk_fma_f32 v[6:7], v[10:11], v[186:187], v[4:5] neg_lo:[0,0,1] neg_hi:[0,0,1]
	v_pk_fma_f32 v[4:5], v[10:11], v[186:187], v[4:5] op_sel_hi:[1,0,1]
	s_nop 0
	v_mov_b32_e32 v4, v189
	v_mov_b32_e32 v7, v5
	v_pk_mul_f32 v[4:5], v[12:13], v[4:5] op_sel:[1,0] op_sel_hi:[0,0]
	v_pk_add_f32 v[2:3], v[2:3], v[6:7]
	v_pk_fma_f32 v[6:7], v[12:13], v[188:189], v[4:5] neg_lo:[0,0,1] neg_hi:[0,0,1]
	v_pk_fma_f32 v[4:5], v[12:13], v[188:189], v[4:5] op_sel_hi:[1,0,1]
	s_nop 0
	v_mov_b32_e32 v7, v5
	s_waitcnt vmcnt(0) lgkmcnt(0)
	v_pk_mul_f32 v[4:5], v[14:15], v[194:195] op_sel:[1,1] op_sel_hi:[0,1]
	v_pk_add_f32 v[2:3], v[2:3], v[6:7]
	v_pk_fma_f32 v[6:7], v[14:15], v[194:195], v[4:5] neg_lo:[0,0,1] neg_hi:[0,0,1]
	v_pk_fma_f32 v[4:5], v[14:15], v[194:195], v[4:5] op_sel_hi:[1,0,1]
	s_nop 0
	v_mov_b32_e32 v7, v5
	scratch_load_dwordx2 v[4:5], off, off offset:40
	v_pk_add_f32 v[2:3], v[2:3], v[6:7]
	s_waitcnt vmcnt(0)
	v_pk_add_f32 v[2:3], v[4:5], v[2:3] neg_lo:[0,1] neg_hi:[0,1]
	scratch_store_dwordx2 off, v[2:3], off offset:40
	s_and_saveexec_b64 s[0:1], vcc
	s_cbranch_execz .LBB54_335
; %bb.334:
	scratch_load_dwordx2 v[2:3], off, off offset:32
	v_mov_b32_e32 v135, v134
	scratch_store_dwordx2 off, v[134:135], off offset:32
	s_waitcnt vmcnt(1)
	ds_write_b64 v1, v[2:3]
.LBB54_335:
	s_or_b64 exec, exec, s[0:1]
	s_waitcnt lgkmcnt(0)
	; wave barrier
	scratch_load_dwordx4 v[6:9], off, off offset:40
	scratch_load_dwordx4 v[14:17], off, off offset:56
	;; [unrolled: 1-line block ×10, first 2 shown]
	ds_read2_b64 v[2:5], v134 offset0:61 offset1:62
	ds_read2_b64 v[154:157], v134 offset0:97 offset1:98
	scratch_load_dwordx4 v[86:89], off, off offset:200
	scratch_load_dwordx4 v[94:97], off, off offset:216
	;; [unrolled: 1-line block ×11, first 2 shown]
	v_cmp_lt_u32_e32 vcc, 3, v0
	ds_read2_b64 v[162:165], v134 offset0:99 offset1:100
	ds_read2_b64 v[170:173], v134 offset0:101 offset1:102
	s_waitcnt vmcnt(20) lgkmcnt(3)
	v_mul_f32_e32 v10, v2, v7
	v_fmac_f32_e32 v10, v3, v6
	v_mul_f32_e32 v11, v4, v9
	v_add_f32_e32 v10, 0, v10
	v_fmac_f32_e32 v11, v5, v8
	v_add_f32_e32 v18, v10, v11
	ds_read2_b64 v[10:13], v134 offset0:63 offset1:64
	v_mul_f32_e32 v3, v3, v7
	v_fma_f32 v2, v2, v6, -v3
	v_mul_f32_e32 v3, v5, v9
	v_add_f32_e32 v2, 0, v2
	s_waitcnt vmcnt(19) lgkmcnt(0)
	v_mul_f32_e32 v19, v10, v15
	v_fmac_f32_e32 v19, v11, v14
	v_add_f32_e32 v18, v18, v19
	v_mul_f32_e32 v19, v12, v17
	v_fmac_f32_e32 v19, v13, v16
	v_add_f32_e32 v26, v18, v19
	ds_read2_b64 v[18:21], v134 offset0:65 offset1:66
	v_fma_f32 v3, v4, v8, -v3
	v_add_f32_e32 v2, v2, v3
	v_mul_f32_e32 v3, v11, v15
	v_fma_f32 v3, v10, v14, -v3
	s_waitcnt vmcnt(18) lgkmcnt(0)
	v_mul_f32_e32 v27, v18, v23
	v_fmac_f32_e32 v27, v19, v22
	v_add_f32_e32 v26, v26, v27
	v_mul_f32_e32 v27, v20, v25
	v_fmac_f32_e32 v27, v21, v24
	v_add_f32_e32 v34, v26, v27
	ds_read2_b64 v[26:29], v134 offset0:67 offset1:68
	v_add_f32_e32 v2, v2, v3
	v_mul_f32_e32 v3, v13, v17
	v_fma_f32 v3, v12, v16, -v3
	v_add_f32_e32 v2, v2, v3
	s_waitcnt vmcnt(17) lgkmcnt(0)
	v_mul_f32_e32 v35, v26, v31
	v_fmac_f32_e32 v35, v27, v30
	v_add_f32_e32 v34, v34, v35
	v_mul_f32_e32 v35, v28, v33
	v_fmac_f32_e32 v35, v29, v32
	v_add_f32_e32 v42, v34, v35
	ds_read2_b64 v[34:37], v134 offset0:69 offset1:70
	v_mul_f32_e32 v3, v19, v23
	v_fma_f32 v3, v18, v22, -v3
	v_add_f32_e32 v2, v2, v3
	v_mul_f32_e32 v3, v21, v25
	s_waitcnt vmcnt(16) lgkmcnt(0)
	v_mul_f32_e32 v43, v34, v39
	v_fmac_f32_e32 v43, v35, v38
	v_add_f32_e32 v42, v42, v43
	v_mul_f32_e32 v43, v36, v41
	v_fmac_f32_e32 v43, v37, v40
	v_add_f32_e32 v50, v42, v43
	ds_read2_b64 v[42:45], v134 offset0:71 offset1:72
	v_fma_f32 v3, v20, v24, -v3
	v_add_f32_e32 v2, v2, v3
	v_mul_f32_e32 v3, v27, v31
	v_fma_f32 v3, v26, v30, -v3
	s_waitcnt vmcnt(15) lgkmcnt(0)
	v_mul_f32_e32 v51, v42, v47
	v_fmac_f32_e32 v51, v43, v46
	v_add_f32_e32 v50, v50, v51
	v_mul_f32_e32 v51, v44, v49
	v_fmac_f32_e32 v51, v45, v48
	v_add_f32_e32 v58, v50, v51
	ds_read2_b64 v[50:53], v134 offset0:73 offset1:74
	v_add_f32_e32 v2, v2, v3
	v_mul_f32_e32 v3, v29, v33
	v_fma_f32 v3, v28, v32, -v3
	v_add_f32_e32 v2, v2, v3
	s_waitcnt vmcnt(14) lgkmcnt(0)
	v_mul_f32_e32 v59, v50, v55
	v_fmac_f32_e32 v59, v51, v54
	v_add_f32_e32 v58, v58, v59
	v_mul_f32_e32 v59, v52, v57
	v_fmac_f32_e32 v59, v53, v56
	v_add_f32_e32 v66, v58, v59
	ds_read2_b64 v[58:61], v134 offset0:75 offset1:76
	v_mul_f32_e32 v3, v35, v39
	v_fma_f32 v3, v34, v38, -v3
	v_add_f32_e32 v2, v2, v3
	v_mul_f32_e32 v3, v37, v41
	;; [unrolled: 36-line block ×5, first 2 shown]
	s_waitcnt vmcnt(4) lgkmcnt(0)
	v_mul_f32_e32 v140, v130, v137
	v_fmac_f32_e32 v140, v131, v136
	v_add_f32_e32 v135, v135, v140
	v_mul_f32_e32 v140, v132, v139
	v_fmac_f32_e32 v140, v133, v138
	v_add_f32_e32 v135, v135, v140
	ds_read2_b64 v[140:143], v134 offset0:95 offset1:96
	scratch_load_dwordx4 v[178:181], off, off offset:376
	scratch_load_dwordx4 v[182:185], off, off offset:392
	;; [unrolled: 1-line block ×4, first 2 shown]
	v_fma_f32 v3, v84, v88, -v3
	v_add_f32_e32 v2, v2, v3
	v_mul_f32_e32 v3, v91, v95
	v_fma_f32 v3, v90, v94, -v3
	v_add_f32_e32 v2, v2, v3
	v_mul_f32_e32 v3, v93, v97
	;; [unrolled: 3-line block ×12, first 2 shown]
	v_fma_f32 v3, v132, v138, -v3
	s_waitcnt vmcnt(7) lgkmcnt(0)
	v_mul_f32_e32 v148, v140, v145
	v_add_f32_e32 v2, v2, v3
	v_mul_f32_e32 v3, v141, v145
	v_fmac_f32_e32 v148, v141, v144
	v_fma_f32 v3, v140, v144, -v3
	v_add_f32_e32 v135, v135, v148
	v_mul_f32_e32 v148, v142, v147
	v_add_f32_e32 v2, v2, v3
	v_mul_f32_e32 v3, v143, v147
	v_fmac_f32_e32 v148, v143, v146
	v_fma_f32 v3, v142, v146, -v3
	v_add_f32_e32 v135, v135, v148
	s_waitcnt vmcnt(6)
	v_mul_f32_e32 v148, v154, v159
	v_add_f32_e32 v2, v2, v3
	v_mul_f32_e32 v3, v155, v159
	v_fmac_f32_e32 v148, v155, v158
	v_fma_f32 v3, v154, v158, -v3
	v_add_f32_e32 v135, v135, v148
	v_mul_f32_e32 v148, v156, v161
	v_add_f32_e32 v2, v2, v3
	v_mul_f32_e32 v3, v157, v161
	v_fmac_f32_e32 v148, v157, v160
	v_fma_f32 v3, v156, v160, -v3
	v_add_f32_e32 v135, v135, v148
	s_waitcnt vmcnt(5)
	v_mul_f32_e32 v148, v162, v167
	v_add_f32_e32 v2, v2, v3
	v_mul_f32_e32 v3, v163, v167
	v_fmac_f32_e32 v148, v163, v166
	v_fma_f32 v3, v162, v166, -v3
	v_add_f32_e32 v135, v135, v148
	v_mul_f32_e32 v148, v164, v169
	v_add_f32_e32 v2, v2, v3
	v_mul_f32_e32 v3, v165, v169
	v_fmac_f32_e32 v148, v165, v168
	v_fma_f32 v3, v164, v168, -v3
	v_add_f32_e32 v149, v135, v148
	v_add_f32_e32 v148, v2, v3
	s_waitcnt vmcnt(4)
	v_mul_f32_e32 v2, v171, v175
	v_fma_f32 v194, v170, v174, -v2
	v_mul_f32_e32 v2, v173, v177
	v_fma_f32 v196, v172, v176, -v2
	ds_read2_b64 v[2:5], v134 offset0:103 offset1:104
	ds_read2_b64 v[6:9], v134 offset0:105 offset1:106
	;; [unrolled: 1-line block ×4, first 2 shown]
	v_mul_f32_e32 v195, v170, v175
	v_fmac_f32_e32 v195, v171, v174
	v_mul_f32_e32 v197, v172, v177
	s_waitcnt vmcnt(3) lgkmcnt(3)
	v_pk_mul_f32 v[20:21], v[2:3], v[178:179] op_sel:[1,1] op_sel_hi:[0,1]
	v_fmac_f32_e32 v197, v173, v176
	v_pk_add_f32 v[18:19], v[148:149], v[194:195]
	v_pk_fma_f32 v[22:23], v[2:3], v[178:179], v[20:21] neg_lo:[0,0,1] neg_hi:[0,0,1]
	v_pk_fma_f32 v[2:3], v[2:3], v[178:179], v[20:21] op_sel_hi:[1,0,1]
	v_pk_add_f32 v[18:19], v[18:19], v[196:197]
	v_mov_b32_e32 v23, v3
	v_pk_add_f32 v[2:3], v[18:19], v[22:23]
	v_mov_b32_e32 v18, v181
	v_pk_mul_f32 v[18:19], v[4:5], v[18:19] op_sel:[1,0] op_sel_hi:[0,0]
	v_pk_fma_f32 v[20:21], v[4:5], v[180:181], v[18:19] neg_lo:[0,0,1] neg_hi:[0,0,1]
	v_pk_fma_f32 v[4:5], v[4:5], v[180:181], v[18:19] op_sel_hi:[1,0,1]
	s_nop 0
	v_mov_b32_e32 v21, v5
	s_waitcnt vmcnt(2) lgkmcnt(2)
	v_pk_mul_f32 v[4:5], v[6:7], v[182:183] op_sel:[1,1] op_sel_hi:[0,1]
	v_pk_fma_f32 v[18:19], v[6:7], v[182:183], v[4:5] neg_lo:[0,0,1] neg_hi:[0,0,1]
	v_pk_fma_f32 v[4:5], v[6:7], v[182:183], v[4:5] op_sel_hi:[1,0,1]
	v_pk_add_f32 v[2:3], v[2:3], v[20:21]
	v_mov_b32_e32 v4, v185
	v_mov_b32_e32 v19, v5
	v_pk_mul_f32 v[4:5], v[8:9], v[4:5] op_sel:[1,0] op_sel_hi:[0,0]
	v_pk_fma_f32 v[6:7], v[8:9], v[184:185], v[4:5] neg_lo:[0,0,1] neg_hi:[0,0,1]
	v_pk_fma_f32 v[4:5], v[8:9], v[184:185], v[4:5] op_sel_hi:[1,0,1]
	v_pk_add_f32 v[2:3], v[2:3], v[18:19]
	v_mov_b32_e32 v7, v5
	s_waitcnt vmcnt(1) lgkmcnt(1)
	v_pk_mul_f32 v[4:5], v[10:11], v[186:187] op_sel:[1,1] op_sel_hi:[0,1]
	v_pk_add_f32 v[2:3], v[2:3], v[6:7]
	v_pk_fma_f32 v[6:7], v[10:11], v[186:187], v[4:5] neg_lo:[0,0,1] neg_hi:[0,0,1]
	v_pk_fma_f32 v[4:5], v[10:11], v[186:187], v[4:5] op_sel_hi:[1,0,1]
	s_nop 0
	v_mov_b32_e32 v4, v189
	v_mov_b32_e32 v7, v5
	v_pk_mul_f32 v[4:5], v[12:13], v[4:5] op_sel:[1,0] op_sel_hi:[0,0]
	v_pk_add_f32 v[2:3], v[2:3], v[6:7]
	v_pk_fma_f32 v[6:7], v[12:13], v[188:189], v[4:5] neg_lo:[0,0,1] neg_hi:[0,0,1]
	v_pk_fma_f32 v[4:5], v[12:13], v[188:189], v[4:5] op_sel_hi:[1,0,1]
	s_nop 0
	v_mov_b32_e32 v7, v5
	s_waitcnt vmcnt(0) lgkmcnt(0)
	v_pk_mul_f32 v[4:5], v[14:15], v[190:191] op_sel:[1,1] op_sel_hi:[0,1]
	v_pk_add_f32 v[2:3], v[2:3], v[6:7]
	v_pk_fma_f32 v[6:7], v[14:15], v[190:191], v[4:5] neg_lo:[0,0,1] neg_hi:[0,0,1]
	v_pk_fma_f32 v[4:5], v[14:15], v[190:191], v[4:5] op_sel_hi:[1,0,1]
	s_nop 0
	v_mov_b32_e32 v4, v193
	v_mov_b32_e32 v7, v5
	v_pk_mul_f32 v[4:5], v[16:17], v[4:5] op_sel:[1,0] op_sel_hi:[0,0]
	v_pk_add_f32 v[2:3], v[2:3], v[6:7]
	v_pk_fma_f32 v[6:7], v[16:17], v[192:193], v[4:5] neg_lo:[0,0,1] neg_hi:[0,0,1]
	v_pk_fma_f32 v[4:5], v[16:17], v[192:193], v[4:5] op_sel_hi:[1,0,1]
	s_nop 0
	v_mov_b32_e32 v7, v5
	scratch_load_dwordx2 v[4:5], off, off offset:32
	v_pk_add_f32 v[2:3], v[2:3], v[6:7]
	s_waitcnt vmcnt(0)
	v_pk_add_f32 v[2:3], v[4:5], v[2:3] neg_lo:[0,1] neg_hi:[0,1]
	scratch_store_dwordx2 off, v[2:3], off offset:32
	s_and_saveexec_b64 s[0:1], vcc
	s_cbranch_execz .LBB54_337
; %bb.336:
	scratch_load_dwordx2 v[2:3], off, off offset:24
	v_mov_b32_e32 v4, 0
	v_mov_b32_e32 v5, v4
	scratch_store_dwordx2 off, v[4:5], off offset:24
	s_waitcnt vmcnt(1)
	ds_write_b64 v1, v[2:3]
.LBB54_337:
	s_or_b64 exec, exec, s[0:1]
	v_mov_b32_e32 v142, 0
	s_waitcnt lgkmcnt(0)
	; wave barrier
	ds_read_b128 v[14:17], v142 offset:480
	ds_read_b128 v[10:13], v142 offset:496
	;; [unrolled: 1-line block ×4, first 2 shown]
	scratch_load_dwordx4 v[18:21], off, off offset:32
	scratch_load_dwordx4 v[38:41], off, off offset:96
	;; [unrolled: 1-line block ×16, first 2 shown]
	v_cmp_lt_u32_e32 vcc, 2, v0
	scratch_load_dwordx4 v[46:49], off, off offset:112
	scratch_load_dwordx4 v[54:57], off, off offset:128
	;; [unrolled: 1-line block ×3, first 2 shown]
	ds_read_b128 v[154:157], v142 offset:768
	ds_read_b128 v[162:165], v142 offset:784
	;; [unrolled: 1-line block ×4, first 2 shown]
	s_waitcnt vmcnt(18) lgkmcnt(7)
	v_mul_f32_e32 v22, v14, v19
	v_fmac_f32_e32 v22, v15, v18
	v_mul_f32_e32 v23, v16, v21
	v_add_f32_e32 v22, 0, v22
	v_fmac_f32_e32 v23, v17, v20
	v_add_f32_e32 v26, v22, v23
	scratch_load_dwordx4 v[22:25], off, off offset:48
	v_mul_f32_e32 v15, v15, v19
	v_fma_f32 v14, v14, v18, -v15
	v_mul_f32_e32 v15, v17, v21
	v_add_f32_e32 v14, 0, v14
	v_fma_f32 v15, v16, v20, -v15
	v_add_f32_e32 v14, v14, v15
	s_waitcnt vmcnt(5) lgkmcnt(1)
	v_mul_f32_e32 v199, v172, v177
	s_waitcnt vmcnt(4)
	v_mov_b32_e32 v18, v185
	v_fmac_f32_e32 v199, v173, v176
	s_waitcnt lgkmcnt(0)
	v_mul_f32_e32 v201, v178, v183
	v_pk_mul_f32 v[18:19], v[180:181], v[18:19] op_sel:[1,0] op_sel_hi:[0,0]
	v_fmac_f32_e32 v201, v179, v182
	v_pk_fma_f32 v[20:21], v[180:181], v[184:185], v[18:19] neg_lo:[0,0,1] neg_hi:[0,0,1]
	v_pk_fma_f32 v[18:19], v[180:181], v[184:185], v[18:19] op_sel_hi:[1,0,1]
	s_waitcnt vmcnt(0)
	v_mul_f32_e32 v27, v10, v23
	v_fmac_f32_e32 v27, v11, v22
	v_add_f32_e32 v26, v26, v27
	v_mul_f32_e32 v27, v12, v25
	v_fmac_f32_e32 v27, v13, v24
	v_add_f32_e32 v30, v26, v27
	scratch_load_dwordx4 v[26:29], off, off offset:64
	v_mul_f32_e32 v11, v11, v23
	v_fma_f32 v10, v10, v22, -v11
	v_mul_f32_e32 v11, v13, v25
	v_add_f32_e32 v10, v14, v10
	v_fma_f32 v11, v12, v24, -v11
	v_add_f32_e32 v10, v10, v11
	v_mov_b32_e32 v21, v19
	s_waitcnt vmcnt(0)
	v_mul_f32_e32 v31, v6, v27
	v_fmac_f32_e32 v31, v7, v26
	v_add_f32_e32 v30, v30, v31
	v_mul_f32_e32 v31, v8, v29
	v_fmac_f32_e32 v31, v9, v28
	v_add_f32_e32 v34, v30, v31
	scratch_load_dwordx4 v[30:33], off, off offset:80
	v_mul_f32_e32 v7, v7, v27
	v_fma_f32 v6, v6, v26, -v7
	v_mul_f32_e32 v7, v9, v29
	v_add_f32_e32 v6, v10, v6
	v_fma_f32 v7, v8, v28, -v7
	v_add_f32_e32 v6, v6, v7
	s_waitcnt vmcnt(0)
	v_mul_f32_e32 v35, v2, v31
	v_fmac_f32_e32 v35, v3, v30
	v_add_f32_e32 v34, v34, v35
	v_mul_f32_e32 v35, v4, v33
	v_fmac_f32_e32 v35, v5, v32
	v_add_f32_e32 v42, v34, v35
	ds_read_b128 v[34:37], v142 offset:544
	v_mul_f32_e32 v3, v3, v31
	v_fma_f32 v2, v2, v30, -v3
	v_mul_f32_e32 v3, v5, v33
	v_add_f32_e32 v2, v6, v2
	s_waitcnt lgkmcnt(0)
	v_mul_f32_e32 v43, v34, v39
	v_fmac_f32_e32 v43, v35, v38
	v_add_f32_e32 v42, v42, v43
	v_mul_f32_e32 v43, v36, v41
	v_fmac_f32_e32 v43, v37, v40
	v_add_f32_e32 v50, v42, v43
	ds_read_b128 v[42:45], v142 offset:560
	v_fma_f32 v3, v4, v32, -v3
	v_add_f32_e32 v2, v2, v3
	v_mul_f32_e32 v3, v35, v39
	v_fma_f32 v3, v34, v38, -v3
	s_waitcnt lgkmcnt(0)
	v_mul_f32_e32 v51, v42, v47
	v_fmac_f32_e32 v51, v43, v46
	v_add_f32_e32 v50, v50, v51
	v_mul_f32_e32 v51, v44, v49
	v_fmac_f32_e32 v51, v45, v48
	v_add_f32_e32 v58, v50, v51
	ds_read_b128 v[50:53], v142 offset:576
	v_add_f32_e32 v2, v2, v3
	v_mul_f32_e32 v3, v37, v41
	v_fma_f32 v3, v36, v40, -v3
	v_add_f32_e32 v2, v2, v3
	s_waitcnt lgkmcnt(0)
	v_mul_f32_e32 v59, v50, v55
	v_fmac_f32_e32 v59, v51, v54
	v_add_f32_e32 v58, v58, v59
	v_mul_f32_e32 v59, v52, v57
	v_fmac_f32_e32 v59, v53, v56
	v_add_f32_e32 v66, v58, v59
	ds_read_b128 v[58:61], v142 offset:592
	v_mul_f32_e32 v3, v43, v47
	v_fma_f32 v3, v42, v46, -v3
	v_add_f32_e32 v2, v2, v3
	v_mul_f32_e32 v3, v45, v49
	s_waitcnt lgkmcnt(0)
	v_mul_f32_e32 v67, v58, v63
	v_fmac_f32_e32 v67, v59, v62
	v_add_f32_e32 v66, v66, v67
	v_mul_f32_e32 v67, v60, v65
	v_fmac_f32_e32 v67, v61, v64
	v_add_f32_e32 v74, v66, v67
	ds_read_b128 v[66:69], v142 offset:608
	v_fma_f32 v3, v44, v48, -v3
	v_add_f32_e32 v2, v2, v3
	v_mul_f32_e32 v3, v51, v55
	v_fma_f32 v3, v50, v54, -v3
	s_waitcnt lgkmcnt(0)
	v_mul_f32_e32 v75, v66, v71
	v_fmac_f32_e32 v75, v67, v70
	v_add_f32_e32 v74, v74, v75
	v_mul_f32_e32 v75, v68, v73
	v_fmac_f32_e32 v75, v69, v72
	v_add_f32_e32 v82, v74, v75
	ds_read_b128 v[74:77], v142 offset:624
	v_add_f32_e32 v2, v2, v3
	v_mul_f32_e32 v3, v53, v57
	v_fma_f32 v3, v52, v56, -v3
	v_add_f32_e32 v2, v2, v3
	s_waitcnt lgkmcnt(0)
	v_mul_f32_e32 v83, v74, v79
	v_fmac_f32_e32 v83, v75, v78
	v_add_f32_e32 v82, v82, v83
	v_mul_f32_e32 v83, v76, v81
	v_fmac_f32_e32 v83, v77, v80
	v_add_f32_e32 v90, v82, v83
	ds_read_b128 v[82:85], v142 offset:640
	v_mul_f32_e32 v3, v59, v63
	v_fma_f32 v3, v58, v62, -v3
	v_add_f32_e32 v2, v2, v3
	v_mul_f32_e32 v3, v61, v65
	;; [unrolled: 36-line block ×4, first 2 shown]
	s_waitcnt lgkmcnt(0)
	v_mul_f32_e32 v139, v130, v135
	v_fmac_f32_e32 v139, v131, v134
	v_add_f32_e32 v138, v138, v139
	v_mul_f32_e32 v139, v132, v137
	v_fmac_f32_e32 v139, v133, v136
	v_add_f32_e32 v143, v138, v139
	ds_read_b128 v[138:141], v142 offset:752
	scratch_load_dwordx4 v[186:189], off, off offset:384
	scratch_load_dwordx4 v[190:193], off, off offset:400
	;; [unrolled: 1-line block ×3, first 2 shown]
	scratch_load_dwordx2 v[202:203], off, off offset:432
	v_fma_f32 v3, v92, v96, -v3
	v_add_f32_e32 v2, v2, v3
	v_mul_f32_e32 v3, v99, v103
	v_fma_f32 v3, v98, v102, -v3
	v_add_f32_e32 v2, v2, v3
	v_mul_f32_e32 v3, v101, v105
	;; [unrolled: 3-line block ×10, first 2 shown]
	v_fma_f32 v3, v132, v136, -v3
	s_waitcnt lgkmcnt(0)
	v_mul_f32_e32 v148, v138, v145
	v_add_f32_e32 v2, v2, v3
	v_mul_f32_e32 v3, v139, v145
	v_fmac_f32_e32 v148, v139, v144
	v_fma_f32 v3, v138, v144, -v3
	v_add_f32_e32 v143, v143, v148
	v_mul_f32_e32 v148, v140, v147
	v_add_f32_e32 v2, v2, v3
	v_mul_f32_e32 v3, v141, v147
	v_fmac_f32_e32 v148, v141, v146
	v_fma_f32 v3, v140, v146, -v3
	v_add_f32_e32 v143, v143, v148
	;; [unrolled: 6-line block ×7, first 2 shown]
	v_add_f32_e32 v148, v2, v3
	v_mul_f32_e32 v2, v173, v177
	v_fma_f32 v198, v172, v176, -v2
	v_mul_f32_e32 v2, v179, v183
	v_fma_f32 v200, v178, v182, -v2
	ds_read_b128 v[2:5], v142 offset:832
	ds_read_b128 v[6:9], v142 offset:848
	ds_read_b128 v[10:13], v142 offset:864
	ds_read_b64 v[14:15], v142 offset:880
	v_pk_add_f32 v[16:17], v[148:149], v[198:199]
	s_waitcnt vmcnt(3) lgkmcnt(3)
	v_pk_mul_f32 v[18:19], v[2:3], v[186:187] op_sel:[1,1] op_sel_hi:[0,1]
	v_pk_add_f32 v[16:17], v[16:17], v[200:201]
	s_nop 0
	v_pk_add_f32 v[16:17], v[16:17], v[20:21]
	v_pk_fma_f32 v[20:21], v[2:3], v[186:187], v[18:19] neg_lo:[0,0,1] neg_hi:[0,0,1]
	v_pk_fma_f32 v[2:3], v[2:3], v[186:187], v[18:19] op_sel_hi:[1,0,1]
	s_nop 0
	v_mov_b32_e32 v21, v3
	v_pk_add_f32 v[2:3], v[16:17], v[20:21]
	v_mov_b32_e32 v16, v189
	v_pk_mul_f32 v[16:17], v[4:5], v[16:17] op_sel:[1,0] op_sel_hi:[0,0]
	v_pk_fma_f32 v[18:19], v[4:5], v[188:189], v[16:17] neg_lo:[0,0,1] neg_hi:[0,0,1]
	v_pk_fma_f32 v[4:5], v[4:5], v[188:189], v[16:17] op_sel_hi:[1,0,1]
	s_nop 0
	v_mov_b32_e32 v19, v5
	s_waitcnt vmcnt(2) lgkmcnt(2)
	v_pk_mul_f32 v[4:5], v[6:7], v[190:191] op_sel:[1,1] op_sel_hi:[0,1]
	v_pk_fma_f32 v[16:17], v[6:7], v[190:191], v[4:5] neg_lo:[0,0,1] neg_hi:[0,0,1]
	v_pk_fma_f32 v[4:5], v[6:7], v[190:191], v[4:5] op_sel_hi:[1,0,1]
	v_pk_add_f32 v[2:3], v[2:3], v[18:19]
	v_mov_b32_e32 v4, v193
	v_mov_b32_e32 v17, v5
	v_pk_mul_f32 v[4:5], v[8:9], v[4:5] op_sel:[1,0] op_sel_hi:[0,0]
	v_pk_fma_f32 v[6:7], v[8:9], v[192:193], v[4:5] neg_lo:[0,0,1] neg_hi:[0,0,1]
	v_pk_fma_f32 v[4:5], v[8:9], v[192:193], v[4:5] op_sel_hi:[1,0,1]
	v_pk_add_f32 v[2:3], v[2:3], v[16:17]
	v_mov_b32_e32 v7, v5
	s_waitcnt vmcnt(1) lgkmcnt(1)
	v_pk_mul_f32 v[4:5], v[10:11], v[194:195] op_sel:[1,1] op_sel_hi:[0,1]
	v_pk_add_f32 v[2:3], v[2:3], v[6:7]
	v_pk_fma_f32 v[6:7], v[10:11], v[194:195], v[4:5] neg_lo:[0,0,1] neg_hi:[0,0,1]
	v_pk_fma_f32 v[4:5], v[10:11], v[194:195], v[4:5] op_sel_hi:[1,0,1]
	s_nop 0
	v_mov_b32_e32 v4, v197
	v_mov_b32_e32 v7, v5
	v_pk_mul_f32 v[4:5], v[12:13], v[4:5] op_sel:[1,0] op_sel_hi:[0,0]
	v_pk_add_f32 v[2:3], v[2:3], v[6:7]
	v_pk_fma_f32 v[6:7], v[12:13], v[196:197], v[4:5] neg_lo:[0,0,1] neg_hi:[0,0,1]
	v_pk_fma_f32 v[4:5], v[12:13], v[196:197], v[4:5] op_sel_hi:[1,0,1]
	s_nop 0
	v_mov_b32_e32 v7, v5
	s_waitcnt vmcnt(0) lgkmcnt(0)
	v_pk_mul_f32 v[4:5], v[14:15], v[202:203] op_sel:[1,1] op_sel_hi:[0,1]
	v_pk_add_f32 v[2:3], v[2:3], v[6:7]
	v_pk_fma_f32 v[6:7], v[14:15], v[202:203], v[4:5] neg_lo:[0,0,1] neg_hi:[0,0,1]
	v_pk_fma_f32 v[4:5], v[14:15], v[202:203], v[4:5] op_sel_hi:[1,0,1]
	s_nop 0
	v_mov_b32_e32 v7, v5
	scratch_load_dwordx2 v[4:5], off, off offset:24
	v_pk_add_f32 v[2:3], v[2:3], v[6:7]
	s_waitcnt vmcnt(0)
	v_pk_add_f32 v[2:3], v[4:5], v[2:3] neg_lo:[0,1] neg_hi:[0,1]
	scratch_store_dwordx2 off, v[2:3], off offset:24
	s_and_saveexec_b64 s[0:1], vcc
	s_cbranch_execz .LBB54_339
; %bb.338:
	scratch_load_dwordx2 v[2:3], off, off offset:16
	v_mov_b32_e32 v143, v142
	scratch_store_dwordx2 off, v[142:143], off offset:16
	s_waitcnt vmcnt(1)
	ds_write_b64 v1, v[2:3]
.LBB54_339:
	s_or_b64 exec, exec, s[0:1]
	s_waitcnt lgkmcnt(0)
	; wave barrier
	scratch_load_dwordx4 v[6:9], off, off offset:24
	scratch_load_dwordx4 v[14:17], off, off offset:40
	;; [unrolled: 1-line block ×10, first 2 shown]
	ds_read2_b64 v[2:5], v142 offset0:59 offset1:60
	ds_read2_b64 v[154:157], v142 offset0:95 offset1:96
	scratch_load_dwordx4 v[86:89], off, off offset:184
	scratch_load_dwordx4 v[94:97], off, off offset:200
	;; [unrolled: 1-line block ×12, first 2 shown]
	v_cmp_lt_u32_e32 vcc, 1, v0
	ds_read2_b64 v[162:165], v142 offset0:97 offset1:98
	ds_read2_b64 v[170:173], v142 offset0:99 offset1:100
	;; [unrolled: 1-line block ×3, first 2 shown]
	s_waitcnt vmcnt(21) lgkmcnt(4)
	v_mul_f32_e32 v10, v2, v7
	v_fmac_f32_e32 v10, v3, v6
	v_mul_f32_e32 v11, v4, v9
	v_add_f32_e32 v10, 0, v10
	v_fmac_f32_e32 v11, v5, v8
	v_add_f32_e32 v18, v10, v11
	ds_read2_b64 v[10:13], v142 offset0:61 offset1:62
	v_mul_f32_e32 v3, v3, v7
	v_fma_f32 v2, v2, v6, -v3
	v_mul_f32_e32 v3, v5, v9
	v_add_f32_e32 v2, 0, v2
	s_waitcnt vmcnt(20) lgkmcnt(0)
	v_mul_f32_e32 v19, v10, v15
	v_fmac_f32_e32 v19, v11, v14
	v_add_f32_e32 v18, v18, v19
	v_mul_f32_e32 v19, v12, v17
	v_fmac_f32_e32 v19, v13, v16
	v_add_f32_e32 v26, v18, v19
	ds_read2_b64 v[18:21], v142 offset0:63 offset1:64
	v_fma_f32 v3, v4, v8, -v3
	v_add_f32_e32 v2, v2, v3
	v_mul_f32_e32 v3, v11, v15
	v_fma_f32 v3, v10, v14, -v3
	s_waitcnt vmcnt(19) lgkmcnt(0)
	v_mul_f32_e32 v27, v18, v23
	v_fmac_f32_e32 v27, v19, v22
	v_add_f32_e32 v26, v26, v27
	v_mul_f32_e32 v27, v20, v25
	v_fmac_f32_e32 v27, v21, v24
	v_add_f32_e32 v34, v26, v27
	ds_read2_b64 v[26:29], v142 offset0:65 offset1:66
	v_add_f32_e32 v2, v2, v3
	v_mul_f32_e32 v3, v13, v17
	v_fma_f32 v3, v12, v16, -v3
	v_add_f32_e32 v2, v2, v3
	s_waitcnt vmcnt(18) lgkmcnt(0)
	v_mul_f32_e32 v35, v26, v31
	v_fmac_f32_e32 v35, v27, v30
	v_add_f32_e32 v34, v34, v35
	v_mul_f32_e32 v35, v28, v33
	v_fmac_f32_e32 v35, v29, v32
	v_add_f32_e32 v42, v34, v35
	ds_read2_b64 v[34:37], v142 offset0:67 offset1:68
	v_mul_f32_e32 v3, v19, v23
	v_fma_f32 v3, v18, v22, -v3
	v_add_f32_e32 v2, v2, v3
	v_mul_f32_e32 v3, v21, v25
	s_waitcnt vmcnt(17) lgkmcnt(0)
	v_mul_f32_e32 v43, v34, v39
	v_fmac_f32_e32 v43, v35, v38
	v_add_f32_e32 v42, v42, v43
	v_mul_f32_e32 v43, v36, v41
	v_fmac_f32_e32 v43, v37, v40
	v_add_f32_e32 v50, v42, v43
	ds_read2_b64 v[42:45], v142 offset0:69 offset1:70
	v_fma_f32 v3, v20, v24, -v3
	v_add_f32_e32 v2, v2, v3
	v_mul_f32_e32 v3, v27, v31
	v_fma_f32 v3, v26, v30, -v3
	s_waitcnt vmcnt(16) lgkmcnt(0)
	v_mul_f32_e32 v51, v42, v47
	v_fmac_f32_e32 v51, v43, v46
	v_add_f32_e32 v50, v50, v51
	v_mul_f32_e32 v51, v44, v49
	v_fmac_f32_e32 v51, v45, v48
	v_add_f32_e32 v58, v50, v51
	ds_read2_b64 v[50:53], v142 offset0:71 offset1:72
	v_add_f32_e32 v2, v2, v3
	v_mul_f32_e32 v3, v29, v33
	v_fma_f32 v3, v28, v32, -v3
	v_add_f32_e32 v2, v2, v3
	s_waitcnt vmcnt(15) lgkmcnt(0)
	v_mul_f32_e32 v59, v50, v55
	v_fmac_f32_e32 v59, v51, v54
	v_add_f32_e32 v58, v58, v59
	v_mul_f32_e32 v59, v52, v57
	v_fmac_f32_e32 v59, v53, v56
	v_add_f32_e32 v66, v58, v59
	ds_read2_b64 v[58:61], v142 offset0:73 offset1:74
	v_mul_f32_e32 v3, v35, v39
	v_fma_f32 v3, v34, v38, -v3
	v_add_f32_e32 v2, v2, v3
	v_mul_f32_e32 v3, v37, v41
	;; [unrolled: 36-line block ×5, first 2 shown]
	s_waitcnt vmcnt(5) lgkmcnt(0)
	v_mul_f32_e32 v139, v130, v135
	v_fmac_f32_e32 v139, v131, v134
	v_add_f32_e32 v138, v138, v139
	v_mul_f32_e32 v139, v132, v137
	v_fmac_f32_e32 v139, v133, v136
	v_add_f32_e32 v143, v138, v139
	ds_read2_b64 v[138:141], v142 offset0:93 offset1:94
	scratch_load_dwordx4 v[186:189], off, off offset:376
	scratch_load_dwordx4 v[190:193], off, off offset:392
	;; [unrolled: 1-line block ×4, first 2 shown]
	v_fma_f32 v3, v84, v88, -v3
	v_add_f32_e32 v2, v2, v3
	v_mul_f32_e32 v3, v91, v95
	v_fma_f32 v3, v90, v94, -v3
	v_add_f32_e32 v2, v2, v3
	v_mul_f32_e32 v3, v93, v97
	v_fma_f32 v3, v92, v96, -v3
	v_add_f32_e32 v2, v2, v3
	v_mul_f32_e32 v3, v99, v103
	v_fma_f32 v3, v98, v102, -v3
	v_add_f32_e32 v2, v2, v3
	v_mul_f32_e32 v3, v101, v105
	v_fma_f32 v3, v100, v104, -v3
	v_add_f32_e32 v2, v2, v3
	v_mul_f32_e32 v3, v107, v111
	v_fma_f32 v3, v106, v110, -v3
	v_add_f32_e32 v2, v2, v3
	v_mul_f32_e32 v3, v109, v113
	v_fma_f32 v3, v108, v112, -v3
	v_add_f32_e32 v2, v2, v3
	v_mul_f32_e32 v3, v115, v119
	v_fma_f32 v3, v114, v118, -v3
	v_add_f32_e32 v2, v2, v3
	v_mul_f32_e32 v3, v117, v121
	v_fma_f32 v3, v116, v120, -v3
	v_add_f32_e32 v2, v2, v3
	v_mul_f32_e32 v3, v123, v127
	v_fma_f32 v3, v122, v126, -v3
	v_add_f32_e32 v2, v2, v3
	v_mul_f32_e32 v3, v125, v129
	v_fma_f32 v3, v124, v128, -v3
	v_add_f32_e32 v2, v2, v3
	v_mul_f32_e32 v3, v131, v135
	v_fma_f32 v3, v130, v134, -v3
	v_add_f32_e32 v2, v2, v3
	v_mul_f32_e32 v3, v133, v137
	v_fma_f32 v3, v132, v136, -v3
	s_waitcnt vmcnt(8) lgkmcnt(0)
	v_mul_f32_e32 v148, v138, v145
	v_add_f32_e32 v2, v2, v3
	v_mul_f32_e32 v3, v139, v145
	v_fmac_f32_e32 v148, v139, v144
	v_fma_f32 v3, v138, v144, -v3
	v_add_f32_e32 v143, v143, v148
	v_mul_f32_e32 v148, v140, v147
	v_add_f32_e32 v2, v2, v3
	v_mul_f32_e32 v3, v141, v147
	v_fmac_f32_e32 v148, v141, v146
	v_fma_f32 v3, v140, v146, -v3
	v_add_f32_e32 v143, v143, v148
	s_waitcnt vmcnt(7)
	v_mul_f32_e32 v148, v154, v159
	v_add_f32_e32 v2, v2, v3
	v_mul_f32_e32 v3, v155, v159
	v_fmac_f32_e32 v148, v155, v158
	v_fma_f32 v3, v154, v158, -v3
	v_add_f32_e32 v143, v143, v148
	v_mul_f32_e32 v148, v156, v161
	v_add_f32_e32 v2, v2, v3
	v_mul_f32_e32 v3, v157, v161
	v_fmac_f32_e32 v148, v157, v160
	v_fma_f32 v3, v156, v160, -v3
	v_add_f32_e32 v143, v143, v148
	s_waitcnt vmcnt(6)
	;; [unrolled: 13-line block ×3, first 2 shown]
	v_mul_f32_e32 v148, v170, v175
	v_add_f32_e32 v2, v2, v3
	v_mul_f32_e32 v3, v171, v175
	v_fmac_f32_e32 v148, v171, v174
	v_fma_f32 v3, v170, v174, -v3
	v_add_f32_e32 v143, v143, v148
	v_mul_f32_e32 v148, v172, v177
	v_add_f32_e32 v2, v2, v3
	v_mul_f32_e32 v3, v173, v177
	v_fmac_f32_e32 v148, v173, v176
	v_fma_f32 v3, v172, v176, -v3
	v_add_f32_e32 v149, v143, v148
	v_add_f32_e32 v148, v2, v3
	s_waitcnt vmcnt(4)
	v_mul_f32_e32 v2, v179, v183
	v_fma_f32 v202, v178, v182, -v2
	v_mul_f32_e32 v2, v181, v185
	v_fma_f32 v204, v180, v184, -v2
	ds_read2_b64 v[2:5], v142 offset0:103 offset1:104
	ds_read2_b64 v[6:9], v142 offset0:105 offset1:106
	;; [unrolled: 1-line block ×4, first 2 shown]
	v_mul_f32_e32 v203, v178, v183
	v_fmac_f32_e32 v203, v179, v182
	v_mul_f32_e32 v205, v180, v185
	s_waitcnt vmcnt(3) lgkmcnt(3)
	v_pk_mul_f32 v[20:21], v[2:3], v[186:187] op_sel:[1,1] op_sel_hi:[0,1]
	v_fmac_f32_e32 v205, v181, v184
	v_pk_add_f32 v[18:19], v[148:149], v[202:203]
	v_pk_fma_f32 v[22:23], v[2:3], v[186:187], v[20:21] neg_lo:[0,0,1] neg_hi:[0,0,1]
	v_pk_fma_f32 v[2:3], v[2:3], v[186:187], v[20:21] op_sel_hi:[1,0,1]
	v_pk_add_f32 v[18:19], v[18:19], v[204:205]
	v_mov_b32_e32 v23, v3
	v_pk_add_f32 v[2:3], v[18:19], v[22:23]
	v_mov_b32_e32 v18, v189
	v_pk_mul_f32 v[18:19], v[4:5], v[18:19] op_sel:[1,0] op_sel_hi:[0,0]
	v_pk_fma_f32 v[20:21], v[4:5], v[188:189], v[18:19] neg_lo:[0,0,1] neg_hi:[0,0,1]
	v_pk_fma_f32 v[4:5], v[4:5], v[188:189], v[18:19] op_sel_hi:[1,0,1]
	s_nop 0
	v_mov_b32_e32 v21, v5
	s_waitcnt vmcnt(2) lgkmcnt(2)
	v_pk_mul_f32 v[4:5], v[6:7], v[190:191] op_sel:[1,1] op_sel_hi:[0,1]
	v_pk_fma_f32 v[18:19], v[6:7], v[190:191], v[4:5] neg_lo:[0,0,1] neg_hi:[0,0,1]
	v_pk_fma_f32 v[4:5], v[6:7], v[190:191], v[4:5] op_sel_hi:[1,0,1]
	v_pk_add_f32 v[2:3], v[2:3], v[20:21]
	v_mov_b32_e32 v4, v193
	v_mov_b32_e32 v19, v5
	v_pk_mul_f32 v[4:5], v[8:9], v[4:5] op_sel:[1,0] op_sel_hi:[0,0]
	v_pk_fma_f32 v[6:7], v[8:9], v[192:193], v[4:5] neg_lo:[0,0,1] neg_hi:[0,0,1]
	v_pk_fma_f32 v[4:5], v[8:9], v[192:193], v[4:5] op_sel_hi:[1,0,1]
	v_pk_add_f32 v[2:3], v[2:3], v[18:19]
	v_mov_b32_e32 v7, v5
	s_waitcnt vmcnt(1) lgkmcnt(1)
	v_pk_mul_f32 v[4:5], v[10:11], v[194:195] op_sel:[1,1] op_sel_hi:[0,1]
	v_pk_add_f32 v[2:3], v[2:3], v[6:7]
	v_pk_fma_f32 v[6:7], v[10:11], v[194:195], v[4:5] neg_lo:[0,0,1] neg_hi:[0,0,1]
	v_pk_fma_f32 v[4:5], v[10:11], v[194:195], v[4:5] op_sel_hi:[1,0,1]
	s_nop 0
	v_mov_b32_e32 v4, v197
	v_mov_b32_e32 v7, v5
	v_pk_mul_f32 v[4:5], v[12:13], v[4:5] op_sel:[1,0] op_sel_hi:[0,0]
	v_pk_add_f32 v[2:3], v[2:3], v[6:7]
	v_pk_fma_f32 v[6:7], v[12:13], v[196:197], v[4:5] neg_lo:[0,0,1] neg_hi:[0,0,1]
	v_pk_fma_f32 v[4:5], v[12:13], v[196:197], v[4:5] op_sel_hi:[1,0,1]
	s_nop 0
	v_mov_b32_e32 v7, v5
	s_waitcnt vmcnt(0) lgkmcnt(0)
	v_pk_mul_f32 v[4:5], v[14:15], v[198:199] op_sel:[1,1] op_sel_hi:[0,1]
	v_pk_add_f32 v[2:3], v[2:3], v[6:7]
	v_pk_fma_f32 v[6:7], v[14:15], v[198:199], v[4:5] neg_lo:[0,0,1] neg_hi:[0,0,1]
	v_pk_fma_f32 v[4:5], v[14:15], v[198:199], v[4:5] op_sel_hi:[1,0,1]
	s_nop 0
	v_mov_b32_e32 v4, v201
	v_mov_b32_e32 v7, v5
	v_pk_mul_f32 v[4:5], v[16:17], v[4:5] op_sel:[1,0] op_sel_hi:[0,0]
	v_pk_add_f32 v[2:3], v[2:3], v[6:7]
	v_pk_fma_f32 v[6:7], v[16:17], v[200:201], v[4:5] neg_lo:[0,0,1] neg_hi:[0,0,1]
	v_pk_fma_f32 v[4:5], v[16:17], v[200:201], v[4:5] op_sel_hi:[1,0,1]
	s_nop 0
	v_mov_b32_e32 v7, v5
	scratch_load_dwordx2 v[4:5], off, off offset:16
	v_pk_add_f32 v[2:3], v[2:3], v[6:7]
	s_waitcnt vmcnt(0)
	v_pk_add_f32 v[2:3], v[4:5], v[2:3] neg_lo:[0,1] neg_hi:[0,1]
	scratch_store_dwordx2 off, v[2:3], off offset:16
	s_and_saveexec_b64 s[0:1], vcc
	s_cbranch_execz .LBB54_341
; %bb.340:
	scratch_load_dwordx2 v[2:3], off, off offset:8
	v_mov_b32_e32 v4, 0
	v_mov_b32_e32 v5, v4
	scratch_store_dwordx2 off, v[4:5], off offset:8
	s_waitcnt vmcnt(1)
	ds_write_b64 v1, v[2:3]
.LBB54_341:
	s_or_b64 exec, exec, s[0:1]
	v_mov_b32_e32 v154, 0
	s_waitcnt lgkmcnt(0)
	; wave barrier
	ds_read_b128 v[14:17], v154 offset:464
	ds_read_b128 v[10:13], v154 offset:480
	;; [unrolled: 1-line block ×4, first 2 shown]
	scratch_load_dwordx4 v[18:21], off, off offset:16
	scratch_load_dwordx4 v[38:41], off, off offset:80
	;; [unrolled: 1-line block ×17, first 2 shown]
	v_cmp_ne_u32_e32 vcc, 0, v0
	scratch_load_dwordx4 v[46:49], off, off offset:96
	scratch_load_dwordx4 v[54:57], off, off offset:112
	;; [unrolled: 1-line block ×3, first 2 shown]
	s_waitcnt vmcnt(19) lgkmcnt(3)
	v_mul_f32_e32 v22, v14, v19
	v_fmac_f32_e32 v22, v15, v18
	v_mul_f32_e32 v23, v16, v21
	v_add_f32_e32 v22, 0, v22
	v_fmac_f32_e32 v23, v17, v20
	v_add_f32_e32 v26, v22, v23
	scratch_load_dwordx4 v[22:25], off, off offset:32
	v_mul_f32_e32 v15, v15, v19
	v_fma_f32 v14, v14, v18, -v15
	v_mul_f32_e32 v15, v17, v21
	v_add_f32_e32 v14, 0, v14
	v_fma_f32 v15, v16, v20, -v15
	v_add_f32_e32 v14, v14, v15
	s_waitcnt vmcnt(4)
	v_mov_b32_e32 v18, v191
	s_waitcnt vmcnt(0) lgkmcnt(2)
	v_mul_f32_e32 v27, v10, v23
	v_fmac_f32_e32 v27, v11, v22
	v_add_f32_e32 v26, v26, v27
	v_mul_f32_e32 v27, v12, v25
	v_fmac_f32_e32 v27, v13, v24
	v_add_f32_e32 v30, v26, v27
	scratch_load_dwordx4 v[26:29], off, off offset:48
	v_mul_f32_e32 v11, v11, v23
	v_fma_f32 v10, v10, v22, -v11
	v_mul_f32_e32 v11, v13, v25
	v_add_f32_e32 v10, v14, v10
	v_fma_f32 v11, v12, v24, -v11
	v_add_f32_e32 v10, v10, v11
	s_waitcnt vmcnt(0) lgkmcnt(1)
	v_mul_f32_e32 v31, v6, v27
	v_fmac_f32_e32 v31, v7, v26
	v_add_f32_e32 v30, v30, v31
	v_mul_f32_e32 v31, v8, v29
	v_fmac_f32_e32 v31, v9, v28
	v_add_f32_e32 v34, v30, v31
	scratch_load_dwordx4 v[30:33], off, off offset:64
	v_mul_f32_e32 v7, v7, v27
	v_fma_f32 v6, v6, v26, -v7
	v_mul_f32_e32 v7, v9, v29
	v_add_f32_e32 v6, v10, v6
	v_fma_f32 v7, v8, v28, -v7
	v_add_f32_e32 v6, v6, v7
	s_waitcnt vmcnt(0) lgkmcnt(0)
	v_mul_f32_e32 v35, v2, v31
	v_fmac_f32_e32 v35, v3, v30
	v_add_f32_e32 v34, v34, v35
	v_mul_f32_e32 v35, v4, v33
	v_fmac_f32_e32 v35, v5, v32
	v_add_f32_e32 v42, v34, v35
	ds_read_b128 v[34:37], v154 offset:528
	v_mul_f32_e32 v3, v3, v31
	v_fma_f32 v2, v2, v30, -v3
	v_mul_f32_e32 v3, v5, v33
	v_add_f32_e32 v2, v6, v2
	s_waitcnt lgkmcnt(0)
	v_mul_f32_e32 v43, v34, v39
	v_fmac_f32_e32 v43, v35, v38
	v_add_f32_e32 v42, v42, v43
	v_mul_f32_e32 v43, v36, v41
	v_fmac_f32_e32 v43, v37, v40
	v_add_f32_e32 v50, v42, v43
	ds_read_b128 v[42:45], v154 offset:544
	v_fma_f32 v3, v4, v32, -v3
	v_add_f32_e32 v2, v2, v3
	v_mul_f32_e32 v3, v35, v39
	v_fma_f32 v3, v34, v38, -v3
	s_waitcnt lgkmcnt(0)
	v_mul_f32_e32 v51, v42, v47
	v_fmac_f32_e32 v51, v43, v46
	v_add_f32_e32 v50, v50, v51
	v_mul_f32_e32 v51, v44, v49
	v_fmac_f32_e32 v51, v45, v48
	v_add_f32_e32 v58, v50, v51
	ds_read_b128 v[50:53], v154 offset:560
	v_add_f32_e32 v2, v2, v3
	v_mul_f32_e32 v3, v37, v41
	v_fma_f32 v3, v36, v40, -v3
	v_add_f32_e32 v2, v2, v3
	s_waitcnt lgkmcnt(0)
	v_mul_f32_e32 v59, v50, v55
	v_fmac_f32_e32 v59, v51, v54
	v_add_f32_e32 v58, v58, v59
	v_mul_f32_e32 v59, v52, v57
	v_fmac_f32_e32 v59, v53, v56
	v_add_f32_e32 v66, v58, v59
	ds_read_b128 v[58:61], v154 offset:576
	v_mul_f32_e32 v3, v43, v47
	v_fma_f32 v3, v42, v46, -v3
	v_add_f32_e32 v2, v2, v3
	v_mul_f32_e32 v3, v45, v49
	s_waitcnt lgkmcnt(0)
	v_mul_f32_e32 v67, v58, v63
	v_fmac_f32_e32 v67, v59, v62
	v_add_f32_e32 v66, v66, v67
	v_mul_f32_e32 v67, v60, v65
	v_fmac_f32_e32 v67, v61, v64
	v_add_f32_e32 v74, v66, v67
	ds_read_b128 v[66:69], v154 offset:592
	v_fma_f32 v3, v44, v48, -v3
	v_add_f32_e32 v2, v2, v3
	v_mul_f32_e32 v3, v51, v55
	v_fma_f32 v3, v50, v54, -v3
	s_waitcnt lgkmcnt(0)
	v_mul_f32_e32 v75, v66, v71
	v_fmac_f32_e32 v75, v67, v70
	v_add_f32_e32 v74, v74, v75
	v_mul_f32_e32 v75, v68, v73
	v_fmac_f32_e32 v75, v69, v72
	v_add_f32_e32 v82, v74, v75
	ds_read_b128 v[74:77], v154 offset:608
	v_add_f32_e32 v2, v2, v3
	v_mul_f32_e32 v3, v53, v57
	v_fma_f32 v3, v52, v56, -v3
	v_add_f32_e32 v2, v2, v3
	s_waitcnt lgkmcnt(0)
	v_mul_f32_e32 v83, v74, v79
	v_fmac_f32_e32 v83, v75, v78
	v_add_f32_e32 v82, v82, v83
	v_mul_f32_e32 v83, v76, v81
	v_fmac_f32_e32 v83, v77, v80
	v_add_f32_e32 v90, v82, v83
	ds_read_b128 v[82:85], v154 offset:624
	v_mul_f32_e32 v3, v59, v63
	v_fma_f32 v3, v58, v62, -v3
	v_add_f32_e32 v2, v2, v3
	v_mul_f32_e32 v3, v61, v65
	;; [unrolled: 36-line block ×5, first 2 shown]
	s_waitcnt lgkmcnt(0)
	v_mul_f32_e32 v168, v160, v165
	v_fmac_f32_e32 v168, v161, v164
	v_add_f32_e32 v155, v155, v168
	v_mul_f32_e32 v168, v162, v167
	v_fmac_f32_e32 v168, v163, v166
	v_add_f32_e32 v155, v155, v168
	ds_read_b128 v[168:171], v154 offset:784
	v_fma_f32 v3, v108, v112, -v3
	v_add_f32_e32 v2, v2, v3
	v_mul_f32_e32 v3, v115, v119
	v_fma_f32 v3, v114, v118, -v3
	s_waitcnt lgkmcnt(0)
	v_mul_f32_e32 v176, v168, v173
	v_fmac_f32_e32 v176, v169, v172
	v_add_f32_e32 v155, v155, v176
	v_mul_f32_e32 v176, v170, v175
	v_fmac_f32_e32 v176, v171, v174
	v_add_f32_e32 v155, v155, v176
	ds_read_b128 v[176:179], v154 offset:800
	v_add_f32_e32 v2, v2, v3
	v_mul_f32_e32 v3, v117, v121
	v_fma_f32 v3, v116, v120, -v3
	v_add_f32_e32 v2, v2, v3
	s_waitcnt lgkmcnt(0)
	v_mul_f32_e32 v184, v176, v181
	v_fmac_f32_e32 v184, v177, v180
	v_add_f32_e32 v205, v155, v184
	ds_read_b128 v[184:187], v154 offset:816
	scratch_load_dwordx4 v[192:195], off, off offset:384
	scratch_load_dwordx4 v[196:199], off, off offset:400
	scratch_load_dwordx4 v[200:203], off, off offset:416
	scratch_load_dwordx2 v[210:211], off, off offset:432
	v_mul_f32_e32 v3, v123, v127
	v_fma_f32 v3, v122, v126, -v3
	v_add_f32_e32 v2, v2, v3
	v_mul_f32_e32 v3, v125, v129
	v_fma_f32 v3, v124, v128, -v3
	v_add_f32_e32 v2, v2, v3
	v_mul_f32_e32 v3, v131, v135
	v_fma_f32 v3, v130, v134, -v3
	v_add_f32_e32 v2, v2, v3
	v_mul_f32_e32 v3, v133, v137
	v_fma_f32 v3, v132, v136, -v3
	v_add_f32_e32 v2, v2, v3
	v_mul_f32_e32 v3, v139, v143
	v_fma_f32 v3, v138, v142, -v3
	v_add_f32_e32 v2, v2, v3
	v_mul_f32_e32 v3, v141, v145
	v_fma_f32 v3, v140, v144, -v3
	v_add_f32_e32 v2, v2, v3
	v_mul_f32_e32 v3, v147, v157
	v_fma_f32 v3, v146, v156, -v3
	v_add_f32_e32 v2, v2, v3
	v_mul_f32_e32 v3, v149, v159
	v_fma_f32 v3, v148, v158, -v3
	v_add_f32_e32 v2, v2, v3
	v_mul_f32_e32 v3, v161, v165
	v_fma_f32 v3, v160, v164, -v3
	v_add_f32_e32 v2, v2, v3
	v_mul_f32_e32 v3, v163, v167
	v_fma_f32 v3, v162, v166, -v3
	v_add_f32_e32 v2, v2, v3
	v_mul_f32_e32 v3, v169, v173
	v_fma_f32 v3, v168, v172, -v3
	v_add_f32_e32 v2, v2, v3
	v_mul_f32_e32 v3, v171, v175
	v_fma_f32 v3, v170, v174, -v3
	v_add_f32_e32 v2, v2, v3
	v_mul_f32_e32 v3, v177, v181
	v_fma_f32 v3, v176, v180, -v3
	v_add_f32_e32 v204, v2, v3
	v_mul_f32_e32 v2, v179, v183
	v_mul_f32_e32 v207, v178, v183
	v_fma_f32 v206, v178, v182, -v2
	s_waitcnt lgkmcnt(0)
	v_mul_f32_e32 v2, v185, v189
	v_fmac_f32_e32 v207, v179, v182
	v_mul_f32_e32 v209, v184, v189
	v_fma_f32 v208, v184, v188, -v2
	ds_read_b128 v[2:5], v154 offset:832
	ds_read_b128 v[6:9], v154 offset:848
	;; [unrolled: 1-line block ×3, first 2 shown]
	ds_read_b64 v[14:15], v154 offset:880
	v_pk_mul_f32 v[18:19], v[186:187], v[18:19] op_sel:[1,0] op_sel_hi:[0,0]
	v_fmac_f32_e32 v209, v185, v188
	v_pk_add_f32 v[16:17], v[204:205], v[206:207]
	v_pk_fma_f32 v[20:21], v[186:187], v[190:191], v[18:19] neg_lo:[0,0,1] neg_hi:[0,0,1]
	v_pk_fma_f32 v[18:19], v[186:187], v[190:191], v[18:19] op_sel_hi:[1,0,1]
	v_pk_add_f32 v[16:17], v[16:17], v[208:209]
	v_mov_b32_e32 v21, v19
	v_pk_add_f32 v[16:17], v[16:17], v[20:21]
	s_waitcnt vmcnt(3) lgkmcnt(3)
	v_pk_mul_f32 v[18:19], v[2:3], v[192:193] op_sel:[1,1] op_sel_hi:[0,1]
	v_pk_fma_f32 v[20:21], v[2:3], v[192:193], v[18:19] neg_lo:[0,0,1] neg_hi:[0,0,1]
	v_pk_fma_f32 v[2:3], v[2:3], v[192:193], v[18:19] op_sel_hi:[1,0,1]
	s_nop 0
	v_mov_b32_e32 v21, v3
	v_pk_add_f32 v[2:3], v[16:17], v[20:21]
	v_mov_b32_e32 v16, v195
	v_pk_mul_f32 v[16:17], v[4:5], v[16:17] op_sel:[1,0] op_sel_hi:[0,0]
	v_pk_fma_f32 v[18:19], v[4:5], v[194:195], v[16:17] neg_lo:[0,0,1] neg_hi:[0,0,1]
	v_pk_fma_f32 v[4:5], v[4:5], v[194:195], v[16:17] op_sel_hi:[1,0,1]
	s_nop 0
	v_mov_b32_e32 v19, v5
	s_waitcnt vmcnt(2) lgkmcnt(2)
	v_pk_mul_f32 v[4:5], v[6:7], v[196:197] op_sel:[1,1] op_sel_hi:[0,1]
	v_pk_fma_f32 v[16:17], v[6:7], v[196:197], v[4:5] neg_lo:[0,0,1] neg_hi:[0,0,1]
	v_pk_fma_f32 v[4:5], v[6:7], v[196:197], v[4:5] op_sel_hi:[1,0,1]
	v_pk_add_f32 v[2:3], v[2:3], v[18:19]
	v_mov_b32_e32 v4, v199
	v_mov_b32_e32 v17, v5
	v_pk_mul_f32 v[4:5], v[8:9], v[4:5] op_sel:[1,0] op_sel_hi:[0,0]
	v_pk_fma_f32 v[6:7], v[8:9], v[198:199], v[4:5] neg_lo:[0,0,1] neg_hi:[0,0,1]
	v_pk_fma_f32 v[4:5], v[8:9], v[198:199], v[4:5] op_sel_hi:[1,0,1]
	v_pk_add_f32 v[2:3], v[2:3], v[16:17]
	v_mov_b32_e32 v7, v5
	s_waitcnt vmcnt(1) lgkmcnt(1)
	v_pk_mul_f32 v[4:5], v[10:11], v[200:201] op_sel:[1,1] op_sel_hi:[0,1]
	v_pk_add_f32 v[2:3], v[2:3], v[6:7]
	v_pk_fma_f32 v[6:7], v[10:11], v[200:201], v[4:5] neg_lo:[0,0,1] neg_hi:[0,0,1]
	v_pk_fma_f32 v[4:5], v[10:11], v[200:201], v[4:5] op_sel_hi:[1,0,1]
	s_nop 0
	v_mov_b32_e32 v4, v203
	v_mov_b32_e32 v7, v5
	v_pk_mul_f32 v[4:5], v[12:13], v[4:5] op_sel:[1,0] op_sel_hi:[0,0]
	v_pk_add_f32 v[2:3], v[2:3], v[6:7]
	v_pk_fma_f32 v[6:7], v[12:13], v[202:203], v[4:5] neg_lo:[0,0,1] neg_hi:[0,0,1]
	v_pk_fma_f32 v[4:5], v[12:13], v[202:203], v[4:5] op_sel_hi:[1,0,1]
	s_nop 0
	v_mov_b32_e32 v7, v5
	s_waitcnt vmcnt(0) lgkmcnt(0)
	v_pk_mul_f32 v[4:5], v[14:15], v[210:211] op_sel:[1,1] op_sel_hi:[0,1]
	v_pk_add_f32 v[2:3], v[2:3], v[6:7]
	v_pk_fma_f32 v[6:7], v[14:15], v[210:211], v[4:5] neg_lo:[0,0,1] neg_hi:[0,0,1]
	v_pk_fma_f32 v[4:5], v[14:15], v[210:211], v[4:5] op_sel_hi:[1,0,1]
	s_nop 0
	v_mov_b32_e32 v7, v5
	scratch_load_dwordx2 v[4:5], off, off offset:8
	v_pk_add_f32 v[2:3], v[2:3], v[6:7]
	s_waitcnt vmcnt(0)
	v_pk_add_f32 v[2:3], v[4:5], v[2:3] neg_lo:[0,1] neg_hi:[0,1]
	scratch_store_dwordx2 off, v[2:3], off offset:8
	s_and_saveexec_b64 s[0:1], vcc
	s_cbranch_execz .LBB54_343
; %bb.342:
	scratch_load_dwordx2 v[2:3], off, off
	v_mov_b32_e32 v155, v154
	scratch_store_dwordx2 off, v[154:155], off
	s_waitcnt vmcnt(1)
	ds_write_b64 v1, v[2:3]
.LBB54_343:
	s_or_b64 exec, exec, s[0:1]
	s_waitcnt lgkmcnt(0)
	; wave barrier
	scratch_load_dwordx4 v[4:7], off, off offset:8
	scratch_load_dwordx4 v[12:15], off, off offset:24
	;; [unrolled: 1-line block ×10, first 2 shown]
	ds_read2_b64 v[0:3], v154 offset0:57 offset1:58
	ds_read2_b64 v[160:163], v154 offset0:95 offset1:96
	scratch_load_dwordx4 v[84:87], off, off offset:168
	scratch_load_dwordx4 v[92:95], off, off offset:184
	;; [unrolled: 1-line block ×13, first 2 shown]
	s_and_b64 vcc, exec, s[18:19]
	ds_read2_b64 v[168:171], v154 offset0:97 offset1:98
	ds_read2_b64 v[176:179], v154 offset0:99 offset1:100
	;; [unrolled: 1-line block ×3, first 2 shown]
	s_waitcnt vmcnt(22) lgkmcnt(4)
	v_mul_f32_e32 v8, v0, v5
	v_fmac_f32_e32 v8, v1, v4
	v_mul_f32_e32 v9, v2, v7
	v_add_f32_e32 v8, 0, v8
	v_fmac_f32_e32 v9, v3, v6
	v_add_f32_e32 v16, v8, v9
	ds_read2_b64 v[8:11], v154 offset0:59 offset1:60
	v_mul_f32_e32 v1, v1, v5
	v_fma_f32 v0, v0, v4, -v1
	v_mul_f32_e32 v1, v3, v7
	v_add_f32_e32 v0, 0, v0
	s_waitcnt vmcnt(21) lgkmcnt(0)
	v_mul_f32_e32 v17, v8, v13
	v_fmac_f32_e32 v17, v9, v12
	v_add_f32_e32 v16, v16, v17
	v_mul_f32_e32 v17, v10, v15
	v_fmac_f32_e32 v17, v11, v14
	v_add_f32_e32 v24, v16, v17
	ds_read2_b64 v[16:19], v154 offset0:61 offset1:62
	v_fma_f32 v1, v2, v6, -v1
	v_add_f32_e32 v0, v0, v1
	v_mul_f32_e32 v1, v9, v13
	v_fma_f32 v1, v8, v12, -v1
	s_waitcnt vmcnt(20) lgkmcnt(0)
	v_mul_f32_e32 v25, v16, v21
	v_fmac_f32_e32 v25, v17, v20
	v_add_f32_e32 v24, v24, v25
	v_mul_f32_e32 v25, v18, v23
	v_fmac_f32_e32 v25, v19, v22
	v_add_f32_e32 v32, v24, v25
	ds_read2_b64 v[24:27], v154 offset0:63 offset1:64
	v_add_f32_e32 v0, v0, v1
	v_mul_f32_e32 v1, v11, v15
	v_fma_f32 v1, v10, v14, -v1
	v_add_f32_e32 v0, v0, v1
	s_waitcnt vmcnt(19) lgkmcnt(0)
	v_mul_f32_e32 v33, v24, v29
	v_fmac_f32_e32 v33, v25, v28
	v_add_f32_e32 v32, v32, v33
	v_mul_f32_e32 v33, v26, v31
	v_fmac_f32_e32 v33, v27, v30
	v_add_f32_e32 v40, v32, v33
	ds_read2_b64 v[32:35], v154 offset0:65 offset1:66
	v_mul_f32_e32 v1, v17, v21
	v_fma_f32 v1, v16, v20, -v1
	v_add_f32_e32 v0, v0, v1
	v_mul_f32_e32 v1, v19, v23
	s_waitcnt vmcnt(18) lgkmcnt(0)
	v_mul_f32_e32 v41, v32, v37
	v_fmac_f32_e32 v41, v33, v36
	v_add_f32_e32 v40, v40, v41
	v_mul_f32_e32 v41, v34, v39
	v_fmac_f32_e32 v41, v35, v38
	v_add_f32_e32 v48, v40, v41
	ds_read2_b64 v[40:43], v154 offset0:67 offset1:68
	v_fma_f32 v1, v18, v22, -v1
	v_add_f32_e32 v0, v0, v1
	v_mul_f32_e32 v1, v25, v29
	v_fma_f32 v1, v24, v28, -v1
	s_waitcnt vmcnt(17) lgkmcnt(0)
	v_mul_f32_e32 v49, v40, v45
	v_fmac_f32_e32 v49, v41, v44
	v_add_f32_e32 v48, v48, v49
	v_mul_f32_e32 v49, v42, v47
	v_fmac_f32_e32 v49, v43, v46
	v_add_f32_e32 v56, v48, v49
	ds_read2_b64 v[48:51], v154 offset0:69 offset1:70
	v_add_f32_e32 v0, v0, v1
	v_mul_f32_e32 v1, v27, v31
	v_fma_f32 v1, v26, v30, -v1
	v_add_f32_e32 v0, v0, v1
	s_waitcnt vmcnt(16) lgkmcnt(0)
	v_mul_f32_e32 v57, v48, v53
	v_fmac_f32_e32 v57, v49, v52
	v_add_f32_e32 v56, v56, v57
	v_mul_f32_e32 v57, v50, v55
	v_fmac_f32_e32 v57, v51, v54
	v_add_f32_e32 v64, v56, v57
	ds_read2_b64 v[56:59], v154 offset0:71 offset1:72
	v_mul_f32_e32 v1, v33, v37
	v_fma_f32 v1, v32, v36, -v1
	v_add_f32_e32 v0, v0, v1
	v_mul_f32_e32 v1, v35, v39
	;; [unrolled: 36-line block ×5, first 2 shown]
	s_waitcnt vmcnt(6) lgkmcnt(0)
	v_mul_f32_e32 v137, v128, v133
	v_fmac_f32_e32 v137, v129, v132
	v_add_f32_e32 v136, v136, v137
	v_mul_f32_e32 v137, v130, v135
	v_fmac_f32_e32 v137, v131, v134
	v_add_f32_e32 v144, v136, v137
	ds_read2_b64 v[136:139], v154 offset0:91 offset1:92
	v_fma_f32 v1, v82, v86, -v1
	v_add_f32_e32 v0, v0, v1
	v_mul_f32_e32 v1, v89, v93
	v_fma_f32 v1, v88, v92, -v1
	s_waitcnt vmcnt(5) lgkmcnt(0)
	v_mul_f32_e32 v145, v136, v141
	v_fmac_f32_e32 v145, v137, v140
	v_add_f32_e32 v144, v144, v145
	v_mul_f32_e32 v145, v138, v143
	v_fmac_f32_e32 v145, v139, v142
	v_add_f32_e32 v148, v144, v145
	ds_read2_b64 v[144:147], v154 offset0:93 offset1:94
	scratch_load_dwordx4 v[192:195], off, off offset:376
	scratch_load_dwordx4 v[196:199], off, off offset:392
	;; [unrolled: 1-line block ×4, first 2 shown]
	v_add_f32_e32 v0, v0, v1
	v_mul_f32_e32 v1, v91, v95
	v_fma_f32 v1, v90, v94, -v1
	v_add_f32_e32 v0, v0, v1
	v_mul_f32_e32 v1, v97, v101
	v_fma_f32 v1, v96, v100, -v1
	;; [unrolled: 3-line block ×13, first 2 shown]
	s_waitcnt vmcnt(8) lgkmcnt(0)
	v_mul_f32_e32 v149, v144, v157
	v_add_f32_e32 v0, v0, v1
	v_mul_f32_e32 v1, v145, v157
	v_fmac_f32_e32 v149, v145, v156
	v_fma_f32 v1, v144, v156, -v1
	v_add_f32_e32 v148, v148, v149
	v_mul_f32_e32 v149, v146, v159
	v_add_f32_e32 v0, v0, v1
	v_mul_f32_e32 v1, v147, v159
	v_fmac_f32_e32 v149, v147, v158
	v_fma_f32 v1, v146, v158, -v1
	v_add_f32_e32 v148, v148, v149
	s_waitcnt vmcnt(7)
	v_mul_f32_e32 v149, v160, v165
	v_add_f32_e32 v0, v0, v1
	v_mul_f32_e32 v1, v161, v165
	v_fmac_f32_e32 v149, v161, v164
	v_fma_f32 v1, v160, v164, -v1
	v_add_f32_e32 v148, v148, v149
	v_mul_f32_e32 v149, v162, v167
	v_add_f32_e32 v0, v0, v1
	v_mul_f32_e32 v1, v163, v167
	v_fmac_f32_e32 v149, v163, v166
	v_fma_f32 v1, v162, v166, -v1
	v_add_f32_e32 v148, v148, v149
	s_waitcnt vmcnt(6)
	v_mul_f32_e32 v149, v168, v173
	v_add_f32_e32 v0, v0, v1
	v_mul_f32_e32 v1, v169, v173
	v_fmac_f32_e32 v149, v169, v172
	v_fma_f32 v1, v168, v172, -v1
	v_add_f32_e32 v148, v148, v149
	v_mul_f32_e32 v149, v170, v175
	v_add_f32_e32 v0, v0, v1
	v_mul_f32_e32 v1, v171, v175
	v_fmac_f32_e32 v149, v171, v174
	v_fma_f32 v1, v170, v174, -v1
	v_add_f32_e32 v148, v148, v149
	s_waitcnt vmcnt(5)
	v_mul_f32_e32 v149, v176, v181
	v_add_f32_e32 v0, v0, v1
	v_mul_f32_e32 v1, v177, v181
	v_fmac_f32_e32 v149, v177, v180
	v_fma_f32 v1, v176, v180, -v1
	v_add_f32_e32 v148, v148, v149
	v_mul_f32_e32 v149, v178, v183
	v_add_f32_e32 v0, v0, v1
	v_mul_f32_e32 v1, v179, v183
	v_fmac_f32_e32 v149, v179, v182
	v_fma_f32 v1, v178, v182, -v1
	v_add_f32_e32 v149, v148, v149
	v_add_f32_e32 v148, v0, v1
	s_waitcnt vmcnt(4)
	v_mul_f32_e32 v0, v185, v189
	v_fma_f32 v208, v184, v188, -v0
	v_mul_f32_e32 v0, v187, v191
	v_fma_f32 v210, v186, v190, -v0
	ds_read2_b64 v[0:3], v154 offset0:103 offset1:104
	ds_read2_b64 v[4:7], v154 offset0:105 offset1:106
	;; [unrolled: 1-line block ×4, first 2 shown]
	v_mul_f32_e32 v209, v184, v189
	v_fmac_f32_e32 v209, v185, v188
	v_mul_f32_e32 v211, v186, v191
	s_waitcnt vmcnt(3) lgkmcnt(3)
	v_pk_mul_f32 v[18:19], v[0:1], v[192:193] op_sel:[1,1] op_sel_hi:[0,1]
	v_fmac_f32_e32 v211, v187, v190
	v_pk_add_f32 v[16:17], v[148:149], v[208:209]
	v_pk_fma_f32 v[20:21], v[0:1], v[192:193], v[18:19] neg_lo:[0,0,1] neg_hi:[0,0,1]
	v_pk_fma_f32 v[0:1], v[0:1], v[192:193], v[18:19] op_sel_hi:[1,0,1]
	v_pk_add_f32 v[16:17], v[16:17], v[210:211]
	v_mov_b32_e32 v21, v1
	v_pk_add_f32 v[0:1], v[16:17], v[20:21]
	v_mov_b32_e32 v16, v195
	v_pk_mul_f32 v[16:17], v[2:3], v[16:17] op_sel:[1,0] op_sel_hi:[0,0]
	v_pk_fma_f32 v[18:19], v[2:3], v[194:195], v[16:17] neg_lo:[0,0,1] neg_hi:[0,0,1]
	v_pk_fma_f32 v[2:3], v[2:3], v[194:195], v[16:17] op_sel_hi:[1,0,1]
	s_nop 0
	v_mov_b32_e32 v19, v3
	s_waitcnt vmcnt(2) lgkmcnt(2)
	v_pk_mul_f32 v[2:3], v[4:5], v[196:197] op_sel:[1,1] op_sel_hi:[0,1]
	v_pk_fma_f32 v[16:17], v[4:5], v[196:197], v[2:3] neg_lo:[0,0,1] neg_hi:[0,0,1]
	v_pk_fma_f32 v[2:3], v[4:5], v[196:197], v[2:3] op_sel_hi:[1,0,1]
	v_pk_add_f32 v[0:1], v[0:1], v[18:19]
	v_mov_b32_e32 v2, v199
	v_mov_b32_e32 v17, v3
	v_pk_mul_f32 v[2:3], v[6:7], v[2:3] op_sel:[1,0] op_sel_hi:[0,0]
	v_pk_fma_f32 v[4:5], v[6:7], v[198:199], v[2:3] neg_lo:[0,0,1] neg_hi:[0,0,1]
	v_pk_fma_f32 v[2:3], v[6:7], v[198:199], v[2:3] op_sel_hi:[1,0,1]
	v_pk_add_f32 v[0:1], v[0:1], v[16:17]
	v_mov_b32_e32 v5, v3
	s_waitcnt vmcnt(1) lgkmcnt(1)
	v_pk_mul_f32 v[2:3], v[8:9], v[200:201] op_sel:[1,1] op_sel_hi:[0,1]
	v_pk_add_f32 v[0:1], v[0:1], v[4:5]
	v_pk_fma_f32 v[4:5], v[8:9], v[200:201], v[2:3] neg_lo:[0,0,1] neg_hi:[0,0,1]
	v_pk_fma_f32 v[2:3], v[8:9], v[200:201], v[2:3] op_sel_hi:[1,0,1]
	s_nop 0
	v_mov_b32_e32 v2, v203
	v_mov_b32_e32 v5, v3
	v_pk_mul_f32 v[2:3], v[10:11], v[2:3] op_sel:[1,0] op_sel_hi:[0,0]
	v_pk_add_f32 v[0:1], v[0:1], v[4:5]
	v_pk_fma_f32 v[4:5], v[10:11], v[202:203], v[2:3] neg_lo:[0,0,1] neg_hi:[0,0,1]
	v_pk_fma_f32 v[2:3], v[10:11], v[202:203], v[2:3] op_sel_hi:[1,0,1]
	s_nop 0
	v_mov_b32_e32 v5, v3
	s_waitcnt vmcnt(0) lgkmcnt(0)
	v_pk_mul_f32 v[2:3], v[12:13], v[204:205] op_sel:[1,1] op_sel_hi:[0,1]
	v_pk_add_f32 v[0:1], v[0:1], v[4:5]
	v_pk_fma_f32 v[4:5], v[12:13], v[204:205], v[2:3] neg_lo:[0,0,1] neg_hi:[0,0,1]
	v_pk_fma_f32 v[2:3], v[12:13], v[204:205], v[2:3] op_sel_hi:[1,0,1]
	s_nop 0
	v_mov_b32_e32 v2, v207
	v_mov_b32_e32 v5, v3
	v_pk_mul_f32 v[2:3], v[14:15], v[2:3] op_sel:[1,0] op_sel_hi:[0,0]
	v_pk_add_f32 v[0:1], v[0:1], v[4:5]
	v_pk_fma_f32 v[4:5], v[14:15], v[206:207], v[2:3] neg_lo:[0,0,1] neg_hi:[0,0,1]
	v_pk_fma_f32 v[2:3], v[14:15], v[206:207], v[2:3] op_sel_hi:[1,0,1]
	s_nop 0
	v_mov_b32_e32 v5, v3
	scratch_load_dwordx2 v[2:3], off, off
	v_pk_add_f32 v[0:1], v[0:1], v[4:5]
	s_waitcnt vmcnt(0)
	v_pk_add_f32 v[0:1], v[2:3], v[0:1] neg_lo:[0,1] neg_hi:[0,1]
	scratch_store_dwordx2 off, v[0:1], off
	s_cbranch_vccz .LBB54_452
; %bb.344:
	v_mov_b32_e32 v0, 0
	global_load_dword v1, v0, s[16:17] offset:212
	s_waitcnt vmcnt(0)
	v_readfirstlane_b32 s0, v1
	s_add_i32 s0, s0, -1
	s_cmp_lg_u32 s0, 53
	s_cbranch_scc0 .LBB54_346
; %bb.345:
	s_lshl_b32 s0, s0, 3
	s_nop 0
	scratch_load_dwordx2 v[2:3], off, s0
	scratch_load_dwordx2 v[4:5], off, off offset:424
	s_waitcnt vmcnt(1)
	scratch_store_dwordx2 off, v[2:3], off offset:424
	s_waitcnt vmcnt(1)
	scratch_store_dwordx2 off, v[4:5], s0
.LBB54_346:
	global_load_dword v0, v0, s[16:17] offset:208
	s_waitcnt vmcnt(0)
	v_readfirstlane_b32 s0, v0
	s_add_i32 s0, s0, -1
	s_cmp_eq_u32 s0, 52
	s_cbranch_scc1 .LBB54_348
; %bb.347:
	s_lshl_b32 s0, s0, 3
	s_nop 0
	scratch_load_dwordx2 v[0:1], off, s0
	scratch_load_dwordx2 v[2:3], off, off offset:416
	s_waitcnt vmcnt(1)
	scratch_store_dwordx2 off, v[0:1], off offset:416
	s_waitcnt vmcnt(1)
	scratch_store_dwordx2 off, v[2:3], s0
.LBB54_348:
	v_mov_b32_e32 v0, 0
	global_load_dword v1, v0, s[16:17] offset:204
	s_waitcnt vmcnt(0)
	v_readfirstlane_b32 s0, v1
	s_add_i32 s0, s0, -1
	s_cmp_eq_u32 s0, 51
	s_cbranch_scc1 .LBB54_350
; %bb.349:
	s_lshl_b32 s0, s0, 3
	s_nop 0
	scratch_load_dwordx2 v[2:3], off, s0
	scratch_load_dwordx2 v[4:5], off, off offset:408
	s_waitcnt vmcnt(1)
	scratch_store_dwordx2 off, v[2:3], off offset:408
	s_waitcnt vmcnt(1)
	scratch_store_dwordx2 off, v[4:5], s0
.LBB54_350:
	global_load_dword v0, v0, s[16:17] offset:200
	s_waitcnt vmcnt(0)
	v_readfirstlane_b32 s0, v0
	s_add_i32 s0, s0, -1
	s_cmp_eq_u32 s0, 50
	s_cbranch_scc1 .LBB54_352
; %bb.351:
	s_lshl_b32 s0, s0, 3
	s_nop 0
	scratch_load_dwordx2 v[0:1], off, s0
	scratch_load_dwordx2 v[2:3], off, off offset:400
	s_waitcnt vmcnt(1)
	scratch_store_dwordx2 off, v[0:1], off offset:400
	s_waitcnt vmcnt(1)
	scratch_store_dwordx2 off, v[2:3], s0
.LBB54_352:
	v_mov_b32_e32 v0, 0
	global_load_dword v1, v0, s[16:17] offset:196
	s_waitcnt vmcnt(0)
	v_readfirstlane_b32 s0, v1
	s_add_i32 s0, s0, -1
	s_cmp_eq_u32 s0, 49
	s_cbranch_scc1 .LBB54_354
; %bb.353:
	s_lshl_b32 s0, s0, 3
	s_nop 0
	scratch_load_dwordx2 v[2:3], off, s0
	scratch_load_dwordx2 v[4:5], off, off offset:392
	s_waitcnt vmcnt(1)
	scratch_store_dwordx2 off, v[2:3], off offset:392
	s_waitcnt vmcnt(1)
	scratch_store_dwordx2 off, v[4:5], s0
.LBB54_354:
	;; [unrolled: 33-line block ×26, first 2 shown]
	global_load_dword v2, v0, s[16:17]
	s_nop 0
	scratch_load_dwordx2 v[0:1], off, off
	s_waitcnt vmcnt(1)
	v_readfirstlane_b32 s0, v2
	s_add_i32 s0, s0, -1
	s_cmp_eq_u32 s0, 0
	s_cbranch_scc1 .LBB54_452
; %bb.451:
	s_lshl_b32 s0, s0, 3
	s_nop 0
	scratch_load_dwordx2 v[2:3], off, s0
	s_waitcnt vmcnt(0)
	scratch_store_dwordx2 off, v[2:3], off
	scratch_store_dwordx2 off, v[0:1], s0
	scratch_load_dwordx2 v[0:1], off, off
.LBB54_452:
	s_nop 0
	scratch_load_dwordx4 v[2:5], off, off offset:8
	scratch_load_dwordx4 v[6:9], off, off offset:24
	;; [unrolled: 1-line block ×27, first 2 shown]
	v_accvgpr_read_b32 v111, a1
	v_accvgpr_read_b32 v110, a0
	s_waitcnt vmcnt(27)
	global_store_dwordx2 v[110:111], v[0:1], off
	v_accvgpr_read_b32 v0, a2
	v_accvgpr_read_b32 v1, a3
	s_waitcnt vmcnt(27)
	global_store_dwordx2 v[0:1], v[2:3], off
	v_accvgpr_read_b32 v0, a4
	v_accvgpr_read_b32 v1, a5
	global_store_dwordx2 v[0:1], v[4:5], off
	v_accvgpr_read_b32 v0, a6
	v_accvgpr_read_b32 v1, a7
	s_waitcnt vmcnt(28)
	global_store_dwordx2 v[0:1], v[6:7], off
	v_accvgpr_read_b32 v0, a8
	v_accvgpr_read_b32 v1, a9
	;; [unrolled: 7-line block ×15, first 2 shown]
	global_store_dwordx2 v[0:1], v[60:61], off
	s_waitcnt vmcnt(42)
	global_store_dwordx2 v[212:213], v[62:63], off
	global_store_dwordx2 v[214:215], v[64:65], off
	s_waitcnt vmcnt(43)
	global_store_dwordx2 v[216:217], v[66:67], off
	;; [unrolled: 3-line block ×12, first 2 shown]
	global_store_dwordx2 v[152:153], v[108:109], off
	s_endpgm
	.section	.rodata,"a",@progbits
	.p2align	6, 0x0
	.amdhsa_kernel _ZN9rocsolver6v33100L18getri_kernel_smallILi55E19rocblas_complex_numIfEPS3_EEvT1_iilPiilS6_bb
		.amdhsa_group_segment_fixed_size 888
		.amdhsa_private_segment_fixed_size 448
		.amdhsa_kernarg_size 60
		.amdhsa_user_sgpr_count 2
		.amdhsa_user_sgpr_dispatch_ptr 0
		.amdhsa_user_sgpr_queue_ptr 0
		.amdhsa_user_sgpr_kernarg_segment_ptr 1
		.amdhsa_user_sgpr_dispatch_id 0
		.amdhsa_user_sgpr_kernarg_preload_length 0
		.amdhsa_user_sgpr_kernarg_preload_offset 0
		.amdhsa_user_sgpr_private_segment_size 0
		.amdhsa_uses_dynamic_stack 0
		.amdhsa_enable_private_segment 1
		.amdhsa_system_sgpr_workgroup_id_x 1
		.amdhsa_system_sgpr_workgroup_id_y 0
		.amdhsa_system_sgpr_workgroup_id_z 0
		.amdhsa_system_sgpr_workgroup_info 0
		.amdhsa_system_vgpr_workitem_id 0
		.amdhsa_next_free_vgpr 318
		.amdhsa_next_free_sgpr 20
		.amdhsa_accum_offset 256
		.amdhsa_reserve_vcc 1
		.amdhsa_float_round_mode_32 0
		.amdhsa_float_round_mode_16_64 0
		.amdhsa_float_denorm_mode_32 3
		.amdhsa_float_denorm_mode_16_64 3
		.amdhsa_dx10_clamp 1
		.amdhsa_ieee_mode 1
		.amdhsa_fp16_overflow 0
		.amdhsa_tg_split 0
		.amdhsa_exception_fp_ieee_invalid_op 0
		.amdhsa_exception_fp_denorm_src 0
		.amdhsa_exception_fp_ieee_div_zero 0
		.amdhsa_exception_fp_ieee_overflow 0
		.amdhsa_exception_fp_ieee_underflow 0
		.amdhsa_exception_fp_ieee_inexact 0
		.amdhsa_exception_int_div_zero 0
	.end_amdhsa_kernel
	.section	.text._ZN9rocsolver6v33100L18getri_kernel_smallILi55E19rocblas_complex_numIfEPS3_EEvT1_iilPiilS6_bb,"axG",@progbits,_ZN9rocsolver6v33100L18getri_kernel_smallILi55E19rocblas_complex_numIfEPS3_EEvT1_iilPiilS6_bb,comdat
.Lfunc_end54:
	.size	_ZN9rocsolver6v33100L18getri_kernel_smallILi55E19rocblas_complex_numIfEPS3_EEvT1_iilPiilS6_bb, .Lfunc_end54-_ZN9rocsolver6v33100L18getri_kernel_smallILi55E19rocblas_complex_numIfEPS3_EEvT1_iilPiilS6_bb
                                        ; -- End function
	.set _ZN9rocsolver6v33100L18getri_kernel_smallILi55E19rocblas_complex_numIfEPS3_EEvT1_iilPiilS6_bb.num_vgpr, 256
	.set _ZN9rocsolver6v33100L18getri_kernel_smallILi55E19rocblas_complex_numIfEPS3_EEvT1_iilPiilS6_bb.num_agpr, 62
	.set _ZN9rocsolver6v33100L18getri_kernel_smallILi55E19rocblas_complex_numIfEPS3_EEvT1_iilPiilS6_bb.numbered_sgpr, 20
	.set _ZN9rocsolver6v33100L18getri_kernel_smallILi55E19rocblas_complex_numIfEPS3_EEvT1_iilPiilS6_bb.num_named_barrier, 0
	.set _ZN9rocsolver6v33100L18getri_kernel_smallILi55E19rocblas_complex_numIfEPS3_EEvT1_iilPiilS6_bb.private_seg_size, 448
	.set _ZN9rocsolver6v33100L18getri_kernel_smallILi55E19rocblas_complex_numIfEPS3_EEvT1_iilPiilS6_bb.uses_vcc, 1
	.set _ZN9rocsolver6v33100L18getri_kernel_smallILi55E19rocblas_complex_numIfEPS3_EEvT1_iilPiilS6_bb.uses_flat_scratch, 0
	.set _ZN9rocsolver6v33100L18getri_kernel_smallILi55E19rocblas_complex_numIfEPS3_EEvT1_iilPiilS6_bb.has_dyn_sized_stack, 0
	.set _ZN9rocsolver6v33100L18getri_kernel_smallILi55E19rocblas_complex_numIfEPS3_EEvT1_iilPiilS6_bb.has_recursion, 0
	.set _ZN9rocsolver6v33100L18getri_kernel_smallILi55E19rocblas_complex_numIfEPS3_EEvT1_iilPiilS6_bb.has_indirect_call, 0
	.section	.AMDGPU.csdata,"",@progbits
; Kernel info:
; codeLenInByte = 86344
; TotalNumSgprs: 26
; NumVgprs: 256
; NumAgprs: 62
; TotalNumVgprs: 318
; ScratchSize: 448
; MemoryBound: 0
; FloatMode: 240
; IeeeMode: 1
; LDSByteSize: 888 bytes/workgroup (compile time only)
; SGPRBlocks: 3
; VGPRBlocks: 39
; NumSGPRsForWavesPerEU: 26
; NumVGPRsForWavesPerEU: 318
; AccumOffset: 256
; Occupancy: 1
; WaveLimiterHint : 1
; COMPUTE_PGM_RSRC2:SCRATCH_EN: 1
; COMPUTE_PGM_RSRC2:USER_SGPR: 2
; COMPUTE_PGM_RSRC2:TRAP_HANDLER: 0
; COMPUTE_PGM_RSRC2:TGID_X_EN: 1
; COMPUTE_PGM_RSRC2:TGID_Y_EN: 0
; COMPUTE_PGM_RSRC2:TGID_Z_EN: 0
; COMPUTE_PGM_RSRC2:TIDIG_COMP_CNT: 0
; COMPUTE_PGM_RSRC3_GFX90A:ACCUM_OFFSET: 63
; COMPUTE_PGM_RSRC3_GFX90A:TG_SPLIT: 0
	.section	.text._ZN9rocsolver6v33100L18getri_kernel_smallILi56E19rocblas_complex_numIfEPS3_EEvT1_iilPiilS6_bb,"axG",@progbits,_ZN9rocsolver6v33100L18getri_kernel_smallILi56E19rocblas_complex_numIfEPS3_EEvT1_iilPiilS6_bb,comdat
	.globl	_ZN9rocsolver6v33100L18getri_kernel_smallILi56E19rocblas_complex_numIfEPS3_EEvT1_iilPiilS6_bb ; -- Begin function _ZN9rocsolver6v33100L18getri_kernel_smallILi56E19rocblas_complex_numIfEPS3_EEvT1_iilPiilS6_bb
	.p2align	8
	.type	_ZN9rocsolver6v33100L18getri_kernel_smallILi56E19rocblas_complex_numIfEPS3_EEvT1_iilPiilS6_bb,@function
_ZN9rocsolver6v33100L18getri_kernel_smallILi56E19rocblas_complex_numIfEPS3_EEvT1_iilPiilS6_bb: ; @_ZN9rocsolver6v33100L18getri_kernel_smallILi56E19rocblas_complex_numIfEPS3_EEvT1_iilPiilS6_bb
; %bb.0:
	v_cmp_gt_u32_e32 vcc, 56, v0
	s_and_saveexec_b64 s[4:5], vcc
	s_cbranch_execz .LBB55_238
; %bb.1:
	s_load_dword s8, s[0:1], 0x38
	s_load_dwordx4 s[12:15], s[0:1], 0x10
	s_load_dwordx4 s[4:7], s[0:1], 0x28
                                        ; implicit-def: $sgpr16_sgpr17
	s_waitcnt lgkmcnt(0)
	s_bitcmp1_b32 s8, 8
	s_cselect_b64 s[18:19], -1, 0
	s_ashr_i32 s3, s2, 31
	s_bfe_u32 s8, s8, 0x10008
	s_cmp_eq_u32 s8, 0
	s_cbranch_scc1 .LBB55_3
; %bb.2:
	s_load_dword s8, s[0:1], 0x20
	s_mul_i32 s9, s4, s3
	s_mul_hi_u32 s10, s4, s2
	s_mul_i32 s5, s5, s2
	s_add_i32 s10, s10, s9
	s_add_i32 s5, s10, s5
	s_mul_i32 s4, s4, s2
	s_waitcnt lgkmcnt(0)
	s_ashr_i32 s9, s8, 31
	s_lshl_b64 s[4:5], s[4:5], 2
	s_add_u32 s10, s14, s4
	s_addc_u32 s11, s15, s5
	s_lshl_b64 s[4:5], s[8:9], 2
	s_add_u32 s16, s10, s4
	s_addc_u32 s17, s11, s5
.LBB55_3:
	s_load_dwordx4 s[8:11], s[0:1], 0x0
	s_load_dword s4, s[0:1], 0x38
	s_mul_i32 s5, s12, s3
	s_mul_hi_u32 s14, s12, s2
	s_add_i32 s5, s14, s5
	s_waitcnt lgkmcnt(0)
	s_ashr_i32 s1, s10, 31
	s_mov_b32 s0, s10
	s_mul_i32 s10, s13, s2
	s_add_i32 s13, s5, s10
	s_mul_i32 s12, s12, s2
	s_lshl_b64 s[12:13], s[12:13], 3
	s_add_u32 s5, s8, s12
	s_addc_u32 s8, s9, s13
	s_lshl_b64 s[0:1], s[0:1], 3
	s_add_u32 s0, s5, s0
	s_addc_u32 s1, s8, s1
	v_lshlrev_b32_e32 v2, 3, v0
	v_mov_b32_e32 v3, 0
	v_lshl_add_u64 v[6:7], s[0:1], 0, v[2:3]
	s_ashr_i32 s9, s11, 31
	s_mov_b32 s8, s11
	v_accvgpr_write_b32 a0, v6
	s_add_i32 s5, s11, s11
	v_accvgpr_write_b32 a1, v7
	v_lshl_add_u64 v[8:9], s[8:9], 3, v[6:7]
	v_add_u32_e32 v6, s5, v0
	v_ashrrev_i32_e32 v7, 31, v6
	v_lshl_add_u64 v[10:11], v[6:7], 3, s[0:1]
	v_add_u32_e32 v6, s11, v6
	v_add_u32_e32 v14, s11, v6
	v_ashrrev_i32_e32 v15, 31, v14
	v_lshl_add_u64 v[16:17], v[14:15], 3, s[0:1]
	v_add_u32_e32 v14, s11, v14
	v_ashrrev_i32_e32 v15, 31, v14
	v_ashrrev_i32_e32 v7, 31, v6
	v_lshl_add_u64 v[18:19], v[14:15], 3, s[0:1]
	v_add_u32_e32 v14, s11, v14
	v_lshl_add_u64 v[12:13], v[6:7], 3, s[0:1]
	v_ashrrev_i32_e32 v15, 31, v14
	v_accvgpr_write_b32 a2, v8
	v_accvgpr_write_b32 a4, v10
	;; [unrolled: 1-line block ×4, first 2 shown]
	v_lshl_add_u64 v[20:21], v[14:15], 3, s[0:1]
	v_add_u32_e32 v14, s11, v14
	global_load_dwordx2 v[4:5], v2, s[0:1]
	global_load_dwordx2 v[6:7], v[8:9], off
	v_accvgpr_write_b32 a3, v9
	v_accvgpr_write_b32 a5, v11
	global_load_dwordx2 v[8:9], v[10:11], off
	v_accvgpr_write_b32 a7, v13
	global_load_dwordx2 v[10:11], v[12:13], off
	;; [unrolled: 2-line block ×3, first 2 shown]
	v_add_u32_e32 v16, s11, v14
	v_ashrrev_i32_e32 v15, 31, v14
	v_ashrrev_i32_e32 v17, 31, v16
	v_lshl_add_u64 v[22:23], v[14:15], 3, s[0:1]
	v_lshl_add_u64 v[24:25], v[16:17], 3, s[0:1]
	v_add_u32_e32 v16, s11, v16
	v_accvgpr_write_b32 a10, v18
	v_accvgpr_write_b32 a12, v20
	v_accvgpr_write_b32 a14, v22
	v_accvgpr_write_b32 a16, v24
	v_ashrrev_i32_e32 v17, 31, v16
	v_accvgpr_write_b32 a11, v19
	global_load_dwordx2 v[14:15], v[18:19], off
	v_accvgpr_write_b32 a13, v21
	global_load_dwordx2 v[18:19], v[20:21], off
	;; [unrolled: 2-line block ×4, first 2 shown]
	v_lshl_add_u64 v[24:25], v[16:17], 3, s[0:1]
	v_add_u32_e32 v16, s11, v16
	v_ashrrev_i32_e32 v17, 31, v16
	v_lshl_add_u64 v[26:27], v[16:17], 3, s[0:1]
	v_add_u32_e32 v16, s11, v16
	v_ashrrev_i32_e32 v17, 31, v16
	;; [unrolled: 3-line block ×45, first 2 shown]
	v_lshl_add_u64 v[152:153], v[16:17], 3, s[0:1]
	v_add_u32_e32 v16, s11, v16
	v_accvgpr_write_b32 a18, v24
	v_accvgpr_write_b32 a20, v26
	;; [unrolled: 1-line block ×26, first 2 shown]
	v_ashrrev_i32_e32 v17, 31, v16
	v_accvgpr_write_b32 a19, v25
	global_load_dwordx2 v[24:25], v[24:25], off
	v_accvgpr_write_b32 a21, v27
	global_load_dwordx2 v[26:27], v[26:27], off
	v_accvgpr_write_b32 a23, v29
	global_load_dwordx2 v[28:29], v[28:29], off
	v_accvgpr_write_b32 a25, v31
	global_load_dwordx2 v[30:31], v[30:31], off
	v_accvgpr_write_b32 a27, v33
	global_load_dwordx2 v[32:33], v[32:33], off
	v_accvgpr_write_b32 a29, v35
	global_load_dwordx2 v[34:35], v[34:35], off
	v_accvgpr_write_b32 a31, v37
	global_load_dwordx2 v[36:37], v[36:37], off
	v_accvgpr_write_b32 a33, v39
	global_load_dwordx2 v[38:39], v[38:39], off
	v_accvgpr_write_b32 a35, v41
	global_load_dwordx2 v[40:41], v[40:41], off
	v_accvgpr_write_b32 a37, v43
	global_load_dwordx2 v[42:43], v[42:43], off
	v_accvgpr_write_b32 a39, v45
	global_load_dwordx2 v[44:45], v[44:45], off
	v_accvgpr_write_b32 a41, v47
	global_load_dwordx2 v[46:47], v[46:47], off
	v_accvgpr_write_b32 a43, v49
	global_load_dwordx2 v[48:49], v[48:49], off
	v_accvgpr_write_b32 a45, v51
	global_load_dwordx2 v[50:51], v[50:51], off
	v_accvgpr_write_b32 a47, v53
	global_load_dwordx2 v[52:53], v[52:53], off
	v_accvgpr_write_b32 a49, v55
	global_load_dwordx2 v[54:55], v[54:55], off
	v_accvgpr_write_b32 a51, v57
	global_load_dwordx2 v[56:57], v[56:57], off
	v_accvgpr_write_b32 a53, v59
	global_load_dwordx2 v[58:59], v[58:59], off
	v_accvgpr_write_b32 a55, v61
	global_load_dwordx2 v[60:61], v[60:61], off
	v_accvgpr_write_b32 a57, v63
	global_load_dwordx2 v[62:63], v[62:63], off
	v_accvgpr_write_b32 a59, v65
	global_load_dwordx2 v[64:65], v[64:65], off
	v_accvgpr_write_b32 a61, v67
	global_load_dwordx2 v[66:67], v[66:67], off
	v_accvgpr_write_b32 a63, v69
	global_load_dwordx2 v[68:69], v[68:69], off
	v_accvgpr_write_b32 a65, v71
	global_load_dwordx2 v[70:71], v[70:71], off
	v_accvgpr_write_b32 a67, v73
	global_load_dwordx2 v[72:73], v[72:73], off
	v_accvgpr_write_b32 a69, v75
	global_load_dwordx2 v[74:75], v[74:75], off
	s_nop 0
	global_load_dwordx2 v[76:77], v[220:221], off
	global_load_dwordx2 v[78:79], v[222:223], off
	;; [unrolled: 1-line block ×18, first 2 shown]
	v_lshl_add_u64 v[154:155], v[16:17], 3, s[0:1]
	global_load_dwordx2 v[112:113], v[150:151], off
	global_load_dwordx2 v[114:115], v[152:153], off
	;; [unrolled: 1-line block ×3, first 2 shown]
	s_bitcmp0_b32 s4, 0
	s_mov_b64 s[4:5], -1
	s_waitcnt vmcnt(54)
	scratch_store_dwordx4 off, v[4:7], off
	s_waitcnt vmcnt(53)
	scratch_store_dwordx4 off, v[8:11], off offset:16
	s_waitcnt vmcnt(52)
	scratch_store_dwordx4 off, v[12:15], off offset:32
	;; [unrolled: 2-line block ×27, first 2 shown]
	s_cbranch_scc1 .LBB55_236
; %bb.4:
	v_cmp_eq_u32_e64 s[0:1], 0, v0
	s_and_saveexec_b64 s[4:5], s[0:1]
; %bb.5:
	v_mov_b32_e32 v1, 0
	ds_write_b32 v1, v1 offset:896
; %bb.6:
	s_or_b64 exec, exec, s[4:5]
	s_waitcnt lgkmcnt(0)
	; wave barrier
	scratch_load_dwordx2 v[4:5], v2, off
	s_waitcnt vmcnt(0)
	v_cmp_eq_f32_e32 vcc, 0, v4
	v_cmp_eq_f32_e64 s[4:5], 0, v5
	s_and_b64 s[4:5], vcc, s[4:5]
	s_and_saveexec_b64 s[8:9], s[4:5]
	s_cbranch_execz .LBB55_10
; %bb.7:
	v_mov_b32_e32 v1, 0
	ds_read_b32 v4, v1 offset:896
	v_add_u32_e32 v3, 1, v0
	s_waitcnt lgkmcnt(0)
	v_readfirstlane_b32 s4, v4
	s_cmp_eq_u32 s4, 0
	s_cselect_b64 s[10:11], -1, 0
	v_cmp_gt_i32_e32 vcc, s4, v3
	s_or_b64 s[10:11], s[10:11], vcc
	s_and_b64 exec, exec, s[10:11]
	s_cbranch_execz .LBB55_10
; %bb.8:
	s_mov_b64 s[10:11], 0
	v_mov_b32_e32 v4, s4
.LBB55_9:                               ; =>This Inner Loop Header: Depth=1
	ds_cmpst_rtn_b32 v4, v1, v4, v3 offset:896
	s_waitcnt lgkmcnt(0)
	v_cmp_ne_u32_e32 vcc, 0, v4
	v_cmp_le_i32_e64 s[4:5], v4, v3
	s_and_b64 s[4:5], vcc, s[4:5]
	s_and_b64 s[4:5], exec, s[4:5]
	s_or_b64 s[10:11], s[4:5], s[10:11]
	s_andn2_b64 exec, exec, s[10:11]
	s_cbranch_execnz .LBB55_9
.LBB55_10:
	s_or_b64 exec, exec, s[8:9]
	v_mov_b32_e32 v3, 0
	; wave barrier
	ds_read_b32 v1, v3 offset:896
	s_and_saveexec_b64 s[4:5], s[0:1]
	s_cbranch_execz .LBB55_12
; %bb.11:
	s_lshl_b64 s[8:9], s[2:3], 2
	s_add_u32 s8, s6, s8
	s_addc_u32 s9, s7, s9
	s_waitcnt lgkmcnt(0)
	global_store_dword v3, v1, s[8:9]
.LBB55_12:
	s_or_b64 exec, exec, s[4:5]
	s_waitcnt lgkmcnt(0)
	v_cmp_ne_u32_e32 vcc, 0, v1
	s_mov_b64 s[4:5], 0
	s_cbranch_vccnz .LBB55_236
; %bb.13:
	v_mov_b32_e32 v3, v2
	scratch_load_dwordx2 v[4:5], v3, off
                                        ; implicit-def: $vgpr7
                                        ; implicit-def: $vgpr8
	s_waitcnt vmcnt(0)
	v_cmp_ngt_f32_e64 s[4:5], |v4|, |v5|
	s_and_saveexec_b64 s[8:9], s[4:5]
	s_xor_b64 s[4:5], exec, s[8:9]
	s_cbranch_execz .LBB55_15
; %bb.14:
	v_div_scale_f32 v1, s[8:9], v5, v5, v4
	v_rcp_f32_e32 v6, v1
	v_div_scale_f32 v7, vcc, v4, v5, v4
	v_fma_f32 v8, -v1, v6, 1.0
	v_fmac_f32_e32 v6, v8, v6
	v_mul_f32_e32 v8, v7, v6
	v_fma_f32 v9, -v1, v8, v7
	v_fmac_f32_e32 v8, v9, v6
	v_fma_f32 v1, -v1, v8, v7
	v_div_fmas_f32 v1, v1, v6, v8
	v_div_fixup_f32 v1, v1, v5, v4
	v_fmac_f32_e32 v5, v4, v1
	v_div_scale_f32 v4, s[8:9], v5, v5, -1.0
	v_rcp_f32_e32 v6, v4
	s_nop 0
	v_fma_f32 v7, -v4, v6, 1.0
	v_fmac_f32_e32 v6, v7, v6
	v_div_scale_f32 v7, vcc, -1.0, v5, -1.0
	v_mul_f32_e32 v8, v7, v6
	v_fma_f32 v9, -v4, v8, v7
	v_fmac_f32_e32 v8, v9, v6
	v_fma_f32 v4, -v4, v8, v7
	v_div_fmas_f32 v4, v4, v6, v8
	v_div_fixup_f32 v7, v4, v5, -1.0
	v_mul_f32_e32 v8, v1, v7
	v_xor_b32_e32 v6, 0x80000000, v8
                                        ; implicit-def: $vgpr4_vgpr5
.LBB55_15:
	s_andn2_saveexec_b64 s[4:5], s[4:5]
	s_cbranch_execz .LBB55_17
; %bb.16:
	v_div_scale_f32 v1, s[8:9], v4, v4, v5
	v_rcp_f32_e32 v6, v1
	v_div_scale_f32 v7, vcc, v5, v4, v5
	v_fma_f32 v8, -v1, v6, 1.0
	v_fmac_f32_e32 v6, v8, v6
	v_mul_f32_e32 v8, v7, v6
	v_fma_f32 v9, -v1, v8, v7
	v_fmac_f32_e32 v8, v9, v6
	v_fma_f32 v1, -v1, v8, v7
	v_div_fmas_f32 v1, v1, v6, v8
	v_div_fixup_f32 v1, v1, v4, v5
	v_fmac_f32_e32 v4, v5, v1
	v_div_scale_f32 v5, s[8:9], v4, v4, 1.0
	v_rcp_f32_e32 v6, v5
	s_nop 0
	v_fma_f32 v7, -v5, v6, 1.0
	v_fmac_f32_e32 v6, v7, v6
	v_div_scale_f32 v7, vcc, 1.0, v4, 1.0
	v_mul_f32_e32 v8, v7, v6
	v_fma_f32 v9, -v5, v8, v7
	v_fmac_f32_e32 v8, v9, v6
	v_fma_f32 v5, -v5, v8, v7
	v_div_fmas_f32 v5, v5, v6, v8
	v_div_fixup_f32 v6, v5, v4, 1.0
	v_xor_b32_e32 v8, 0x80000000, v6
	v_mul_f32_e64 v7, v1, -v6
.LBB55_17:
	s_or_b64 exec, exec, s[4:5]
	scratch_store_dwordx2 v3, v[6:7], off
	scratch_load_dwordx2 v[4:5], off, off offset:8
	v_xor_b32_e32 v9, 0x80000000, v7
	v_add_u32_e32 v1, 0x1c0, v2
	s_waitcnt vmcnt(0)
	ds_write2_b64 v2, v[8:9], v[4:5] offset1:56
	s_waitcnt lgkmcnt(0)
	; wave barrier
	s_and_saveexec_b64 s[4:5], s[0:1]
	s_cbranch_execz .LBB55_19
; %bb.18:
	scratch_load_dwordx2 v[4:5], v3, off
	ds_read_b64 v[6:7], v1
	v_mov_b32_e32 v8, 0
	ds_read_b64 v[8:9], v8 offset:8
	s_waitcnt vmcnt(0) lgkmcnt(1)
	v_pk_mul_f32 v[10:11], v[6:7], v[4:5] op_sel:[1,1] op_sel_hi:[0,1]
	v_pk_fma_f32 v[12:13], v[6:7], v[4:5], v[10:11] neg_lo:[0,0,1] neg_hi:[0,0,1]
	v_pk_fma_f32 v[4:5], v[6:7], v[4:5], v[10:11] op_sel_hi:[1,0,1]
	s_nop 0
	v_mov_b32_e32 v13, v5
	v_pk_add_f32 v[4:5], v[12:13], 0 op_sel_hi:[1,0]
	s_waitcnt lgkmcnt(0)
	v_pk_mul_f32 v[6:7], v[4:5], v[8:9] op_sel:[1,1] op_sel_hi:[0,1]
	v_pk_fma_f32 v[10:11], v[4:5], v[8:9], v[6:7] neg_lo:[0,0,1] neg_hi:[0,0,1]
	v_pk_fma_f32 v[4:5], v[4:5], v[8:9], v[6:7] op_sel_hi:[1,0,1]
	s_nop 0
	v_mov_b32_e32 v11, v5
	scratch_store_dwordx2 off, v[10:11], off offset:8
.LBB55_19:
	s_or_b64 exec, exec, s[4:5]
	; wave barrier
	scratch_load_dwordx2 v[4:5], off, off offset:16
	v_cmp_gt_u32_e32 vcc, 2, v0
	s_waitcnt vmcnt(0)
	ds_write_b64 v1, v[4:5]
	s_waitcnt lgkmcnt(0)
	; wave barrier
	s_and_saveexec_b64 s[4:5], vcc
	s_cbranch_execz .LBB55_23
; %bb.20:
	scratch_load_dwordx2 v[4:5], v3, off
	ds_read_b64 v[6:7], v1
	s_waitcnt vmcnt(0) lgkmcnt(0)
	v_pk_mul_f32 v[8:9], v[6:7], v[4:5] op_sel:[1,1] op_sel_hi:[0,1]
	v_pk_fma_f32 v[10:11], v[6:7], v[4:5], v[8:9] neg_lo:[0,0,1] neg_hi:[0,0,1]
	v_pk_fma_f32 v[4:5], v[6:7], v[4:5], v[8:9] op_sel_hi:[1,0,1]
	s_nop 0
	v_mov_b32_e32 v11, v5
	v_pk_add_f32 v[4:5], v[10:11], 0 op_sel_hi:[1,0]
	s_and_saveexec_b64 s[8:9], s[0:1]
	s_cbranch_execz .LBB55_22
; %bb.21:
	scratch_load_dwordx2 v[6:7], off, off offset:8
	v_mov_b32_e32 v3, 0
	ds_read_b64 v[8:9], v3 offset:456
	s_waitcnt vmcnt(0) lgkmcnt(0)
	v_pk_mul_f32 v[10:11], v[8:9], v[6:7] op_sel:[1,1] op_sel_hi:[0,1]
	v_pk_fma_f32 v[12:13], v[8:9], v[6:7], v[10:11] neg_lo:[0,0,1] neg_hi:[0,0,1]
	v_pk_fma_f32 v[6:7], v[8:9], v[6:7], v[10:11] op_sel_hi:[1,0,1]
	s_nop 0
	v_mov_b32_e32 v13, v7
	v_pk_add_f32 v[4:5], v[4:5], v[12:13]
.LBB55_22:
	s_or_b64 exec, exec, s[8:9]
	v_mov_b32_e32 v3, 0
	ds_read_b64 v[6:7], v3 offset:16
	s_waitcnt lgkmcnt(0)
	v_pk_mul_f32 v[8:9], v[4:5], v[6:7] op_sel:[1,1] op_sel_hi:[0,1]
	v_pk_fma_f32 v[10:11], v[4:5], v[6:7], v[8:9] neg_lo:[0,0,1] neg_hi:[0,0,1]
	v_pk_fma_f32 v[4:5], v[4:5], v[6:7], v[8:9] op_sel_hi:[1,0,1]
	s_nop 0
	v_mov_b32_e32 v11, v5
	scratch_store_dwordx2 off, v[10:11], off offset:16
.LBB55_23:
	s_or_b64 exec, exec, s[4:5]
	; wave barrier
	scratch_load_dwordx2 v[4:5], off, off offset:24
	v_cmp_gt_u32_e32 vcc, 3, v0
	v_add_u32_e32 v6, -1, v0
	s_waitcnt vmcnt(0)
	ds_write_b64 v1, v[4:5]
	s_waitcnt lgkmcnt(0)
	; wave barrier
	s_and_saveexec_b64 s[0:1], vcc
	s_cbranch_execz .LBB55_27
; %bb.24:
	v_mov_b32_e32 v4, 0
	v_add_u32_e32 v3, -1, v0
	v_add_u32_e32 v7, 0x1c0, v2
	v_mov_b32_e32 v8, v2
	s_mov_b64 s[4:5], 0
	v_mov_b32_e32 v5, v4
.LBB55_25:                              ; =>This Inner Loop Header: Depth=1
	scratch_load_dwordx2 v[10:11], v8, off
	ds_read_b64 v[12:13], v7
	v_add_u32_e32 v3, 1, v3
	v_cmp_lt_u32_e32 vcc, 1, v3
	v_add_u32_e32 v7, 8, v7
	v_add_u32_e32 v8, 8, v8
	s_or_b64 s[4:5], vcc, s[4:5]
	s_waitcnt vmcnt(0) lgkmcnt(0)
	v_pk_mul_f32 v[14:15], v[12:13], v[10:11] op_sel:[1,1] op_sel_hi:[0,1]
	v_pk_fma_f32 v[16:17], v[12:13], v[10:11], v[14:15] neg_lo:[0,0,1] neg_hi:[0,0,1]
	v_pk_fma_f32 v[10:11], v[12:13], v[10:11], v[14:15] op_sel_hi:[1,0,1]
	s_nop 0
	v_mov_b32_e32 v17, v11
	v_pk_add_f32 v[4:5], v[4:5], v[16:17]
	s_andn2_b64 exec, exec, s[4:5]
	s_cbranch_execnz .LBB55_25
; %bb.26:
	s_or_b64 exec, exec, s[4:5]
	v_mov_b32_e32 v3, 0
	ds_read_b64 v[8:9], v3 offset:24
	s_waitcnt lgkmcnt(0)
	v_pk_mul_f32 v[10:11], v[4:5], v[8:9] op_sel:[1,1] op_sel_hi:[0,1]
	v_pk_fma_f32 v[12:13], v[4:5], v[8:9], v[10:11] neg_lo:[0,0,1] neg_hi:[0,0,1]
	v_pk_fma_f32 v[4:5], v[4:5], v[8:9], v[10:11] op_sel_hi:[1,0,1]
	s_nop 0
	v_mov_b32_e32 v13, v5
	scratch_store_dwordx2 off, v[12:13], off offset:24
.LBB55_27:
	s_or_b64 exec, exec, s[0:1]
	; wave barrier
	scratch_load_dwordx2 v[4:5], off, off offset:32
	v_cmp_gt_u32_e32 vcc, 4, v0
	s_waitcnt vmcnt(0)
	ds_write_b64 v1, v[4:5]
	s_waitcnt lgkmcnt(0)
	; wave barrier
	s_and_saveexec_b64 s[0:1], vcc
	s_cbranch_execz .LBB55_31
; %bb.28:
	v_mov_b32_e32 v4, 0
	v_add_u32_e32 v3, -1, v0
	v_add_u32_e32 v7, 0x1c0, v2
	v_mov_b32_e32 v8, v2
	s_mov_b64 s[4:5], 0
	v_mov_b32_e32 v5, v4
.LBB55_29:                              ; =>This Inner Loop Header: Depth=1
	scratch_load_dwordx2 v[10:11], v8, off
	ds_read_b64 v[12:13], v7
	v_add_u32_e32 v3, 1, v3
	v_cmp_lt_u32_e32 vcc, 2, v3
	v_add_u32_e32 v7, 8, v7
	v_add_u32_e32 v8, 8, v8
	s_or_b64 s[4:5], vcc, s[4:5]
	s_waitcnt vmcnt(0) lgkmcnt(0)
	v_pk_mul_f32 v[14:15], v[12:13], v[10:11] op_sel:[1,1] op_sel_hi:[0,1]
	v_pk_fma_f32 v[16:17], v[12:13], v[10:11], v[14:15] neg_lo:[0,0,1] neg_hi:[0,0,1]
	v_pk_fma_f32 v[10:11], v[12:13], v[10:11], v[14:15] op_sel_hi:[1,0,1]
	s_nop 0
	v_mov_b32_e32 v17, v11
	v_pk_add_f32 v[4:5], v[4:5], v[16:17]
	s_andn2_b64 exec, exec, s[4:5]
	s_cbranch_execnz .LBB55_29
; %bb.30:
	s_or_b64 exec, exec, s[4:5]
	v_mov_b32_e32 v3, 0
	ds_read_b64 v[8:9], v3 offset:32
	s_waitcnt lgkmcnt(0)
	v_pk_mul_f32 v[10:11], v[4:5], v[8:9] op_sel:[1,1] op_sel_hi:[0,1]
	v_pk_fma_f32 v[12:13], v[4:5], v[8:9], v[10:11] neg_lo:[0,0,1] neg_hi:[0,0,1]
	v_pk_fma_f32 v[4:5], v[4:5], v[8:9], v[10:11] op_sel_hi:[1,0,1]
	s_nop 0
	v_mov_b32_e32 v13, v5
	scratch_store_dwordx2 off, v[12:13], off offset:32
.LBB55_31:
	s_or_b64 exec, exec, s[0:1]
	; wave barrier
	scratch_load_dwordx2 v[4:5], off, off offset:40
	v_cmp_gt_u32_e32 vcc, 5, v0
	;; [unrolled: 46-line block ×19, first 2 shown]
	s_waitcnt vmcnt(0)
	ds_write_b64 v1, v[4:5]
	s_waitcnt lgkmcnt(0)
	; wave barrier
	s_and_saveexec_b64 s[0:1], vcc
	s_cbranch_execz .LBB55_103
; %bb.100:
	v_mov_b32_e32 v4, 0
	v_add_u32_e32 v3, -1, v0
	v_add_u32_e32 v7, 0x1c0, v2
	v_mov_b32_e32 v8, v2
	s_mov_b64 s[4:5], 0
	v_mov_b32_e32 v5, v4
.LBB55_101:                             ; =>This Inner Loop Header: Depth=1
	scratch_load_dwordx2 v[10:11], v8, off
	ds_read_b64 v[12:13], v7
	v_add_u32_e32 v3, 1, v3
	v_cmp_lt_u32_e32 vcc, 20, v3
	v_add_u32_e32 v7, 8, v7
	v_add_u32_e32 v8, 8, v8
	s_or_b64 s[4:5], vcc, s[4:5]
	s_waitcnt vmcnt(0) lgkmcnt(0)
	v_pk_mul_f32 v[14:15], v[12:13], v[10:11] op_sel:[1,1] op_sel_hi:[0,1]
	v_pk_fma_f32 v[16:17], v[12:13], v[10:11], v[14:15] neg_lo:[0,0,1] neg_hi:[0,0,1]
	v_pk_fma_f32 v[10:11], v[12:13], v[10:11], v[14:15] op_sel_hi:[1,0,1]
	s_nop 0
	v_mov_b32_e32 v17, v11
	v_pk_add_f32 v[4:5], v[4:5], v[16:17]
	s_andn2_b64 exec, exec, s[4:5]
	s_cbranch_execnz .LBB55_101
; %bb.102:
	s_or_b64 exec, exec, s[4:5]
	v_mov_b32_e32 v3, 0
	ds_read_b64 v[8:9], v3 offset:176
	s_waitcnt lgkmcnt(0)
	v_pk_mul_f32 v[10:11], v[4:5], v[8:9] op_sel:[1,1] op_sel_hi:[0,1]
	v_pk_fma_f32 v[12:13], v[4:5], v[8:9], v[10:11] neg_lo:[0,0,1] neg_hi:[0,0,1]
	v_pk_fma_f32 v[4:5], v[4:5], v[8:9], v[10:11] op_sel_hi:[1,0,1]
	s_nop 0
	v_mov_b32_e32 v13, v5
	scratch_store_dwordx2 off, v[12:13], off offset:176
.LBB55_103:
	s_or_b64 exec, exec, s[0:1]
	; wave barrier
	scratch_load_dwordx2 v[4:5], off, off offset:184
	v_cmp_gt_u32_e32 vcc, 23, v0
	s_waitcnt vmcnt(0)
	ds_write_b64 v1, v[4:5]
	s_waitcnt lgkmcnt(0)
	; wave barrier
	s_and_saveexec_b64 s[0:1], vcc
	s_cbranch_execz .LBB55_107
; %bb.104:
	v_mov_b32_e32 v4, 0
	v_add_u32_e32 v3, -1, v0
	v_add_u32_e32 v7, 0x1c0, v2
	v_mov_b32_e32 v8, v2
	s_mov_b64 s[4:5], 0
	v_mov_b32_e32 v5, v4
.LBB55_105:                             ; =>This Inner Loop Header: Depth=1
	scratch_load_dwordx2 v[10:11], v8, off
	ds_read_b64 v[12:13], v7
	v_add_u32_e32 v3, 1, v3
	v_cmp_lt_u32_e32 vcc, 21, v3
	v_add_u32_e32 v7, 8, v7
	v_add_u32_e32 v8, 8, v8
	s_or_b64 s[4:5], vcc, s[4:5]
	s_waitcnt vmcnt(0) lgkmcnt(0)
	v_pk_mul_f32 v[14:15], v[12:13], v[10:11] op_sel:[1,1] op_sel_hi:[0,1]
	v_pk_fma_f32 v[16:17], v[12:13], v[10:11], v[14:15] neg_lo:[0,0,1] neg_hi:[0,0,1]
	v_pk_fma_f32 v[10:11], v[12:13], v[10:11], v[14:15] op_sel_hi:[1,0,1]
	s_nop 0
	v_mov_b32_e32 v17, v11
	v_pk_add_f32 v[4:5], v[4:5], v[16:17]
	s_andn2_b64 exec, exec, s[4:5]
	s_cbranch_execnz .LBB55_105
; %bb.106:
	s_or_b64 exec, exec, s[4:5]
	v_mov_b32_e32 v3, 0
	ds_read_b64 v[8:9], v3 offset:184
	s_waitcnt lgkmcnt(0)
	v_pk_mul_f32 v[10:11], v[4:5], v[8:9] op_sel:[1,1] op_sel_hi:[0,1]
	v_pk_fma_f32 v[12:13], v[4:5], v[8:9], v[10:11] neg_lo:[0,0,1] neg_hi:[0,0,1]
	v_pk_fma_f32 v[4:5], v[4:5], v[8:9], v[10:11] op_sel_hi:[1,0,1]
	s_nop 0
	v_mov_b32_e32 v13, v5
	scratch_store_dwordx2 off, v[12:13], off offset:184
.LBB55_107:
	s_or_b64 exec, exec, s[0:1]
	; wave barrier
	scratch_load_dwordx2 v[4:5], off, off offset:192
	v_cmp_gt_u32_e32 vcc, 24, v0
	;; [unrolled: 46-line block ×32, first 2 shown]
	s_waitcnt vmcnt(0)
	ds_write_b64 v1, v[4:5]
	s_waitcnt lgkmcnt(0)
	; wave barrier
	s_and_saveexec_b64 s[0:1], vcc
	s_cbranch_execz .LBB55_231
; %bb.228:
	v_mov_b32_e32 v4, 0
	v_add_u32_e32 v3, -1, v0
	v_add_u32_e32 v7, 0x1c0, v2
	v_mov_b32_e32 v8, v2
	s_mov_b64 s[4:5], 0
	v_mov_b32_e32 v5, v4
.LBB55_229:                             ; =>This Inner Loop Header: Depth=1
	scratch_load_dwordx2 v[10:11], v8, off
	ds_read_b64 v[12:13], v7
	v_add_u32_e32 v3, 1, v3
	v_cmp_lt_u32_e32 vcc, 52, v3
	v_add_u32_e32 v7, 8, v7
	v_add_u32_e32 v8, 8, v8
	s_or_b64 s[4:5], vcc, s[4:5]
	s_waitcnt vmcnt(0) lgkmcnt(0)
	v_pk_mul_f32 v[14:15], v[12:13], v[10:11] op_sel:[1,1] op_sel_hi:[0,1]
	v_pk_fma_f32 v[16:17], v[12:13], v[10:11], v[14:15] neg_lo:[0,0,1] neg_hi:[0,0,1]
	v_pk_fma_f32 v[10:11], v[12:13], v[10:11], v[14:15] op_sel_hi:[1,0,1]
	s_nop 0
	v_mov_b32_e32 v17, v11
	v_pk_add_f32 v[4:5], v[4:5], v[16:17]
	s_andn2_b64 exec, exec, s[4:5]
	s_cbranch_execnz .LBB55_229
; %bb.230:
	s_or_b64 exec, exec, s[4:5]
	v_mov_b32_e32 v3, 0
	ds_read_b64 v[8:9], v3 offset:432
	s_waitcnt lgkmcnt(0)
	v_pk_mul_f32 v[10:11], v[4:5], v[8:9] op_sel:[1,1] op_sel_hi:[0,1]
	v_pk_fma_f32 v[12:13], v[4:5], v[8:9], v[10:11] neg_lo:[0,0,1] neg_hi:[0,0,1]
	v_pk_fma_f32 v[4:5], v[4:5], v[8:9], v[10:11] op_sel_hi:[1,0,1]
	s_nop 0
	v_mov_b32_e32 v13, v5
	scratch_store_dwordx2 off, v[12:13], off offset:432
.LBB55_231:
	s_or_b64 exec, exec, s[0:1]
	; wave barrier
	scratch_load_dwordx2 v[4:5], off, off offset:440
	v_cmp_ne_u32_e32 vcc, 55, v0
	s_waitcnt vmcnt(0)
	ds_write_b64 v1, v[4:5]
	s_waitcnt lgkmcnt(0)
	; wave barrier
	s_and_saveexec_b64 s[0:1], vcc
	s_cbranch_execz .LBB55_235
; %bb.232:
	v_add_u32_e32 v1, 0x1c0, v2
	v_mov_b32_e32 v4, v2
	v_mov_b32_e32 v2, 0
	s_mov_b64 s[4:5], 0
	v_mov_b32_e32 v3, v2
.LBB55_233:                             ; =>This Inner Loop Header: Depth=1
	scratch_load_dwordx2 v[8:9], v4, off
	ds_read_b64 v[10:11], v1
	v_add_u32_e32 v6, 1, v6
	v_cmp_lt_u32_e32 vcc, 53, v6
	v_add_u32_e32 v1, 8, v1
	v_add_u32_e32 v4, 8, v4
	s_or_b64 s[4:5], vcc, s[4:5]
	s_waitcnt vmcnt(0) lgkmcnt(0)
	v_pk_mul_f32 v[12:13], v[10:11], v[8:9] op_sel:[1,1] op_sel_hi:[0,1]
	v_pk_fma_f32 v[14:15], v[10:11], v[8:9], v[12:13] neg_lo:[0,0,1] neg_hi:[0,0,1]
	v_pk_fma_f32 v[8:9], v[10:11], v[8:9], v[12:13] op_sel_hi:[1,0,1]
	s_nop 0
	v_mov_b32_e32 v15, v9
	v_pk_add_f32 v[2:3], v[2:3], v[14:15]
	s_andn2_b64 exec, exec, s[4:5]
	s_cbranch_execnz .LBB55_233
; %bb.234:
	s_or_b64 exec, exec, s[4:5]
	v_mov_b32_e32 v1, 0
	ds_read_b64 v[4:5], v1 offset:440
	s_waitcnt lgkmcnt(0)
	v_pk_mul_f32 v[6:7], v[2:3], v[4:5] op_sel:[1,1] op_sel_hi:[0,1]
	v_pk_fma_f32 v[8:9], v[2:3], v[4:5], v[6:7] neg_lo:[0,0,1] neg_hi:[0,0,1]
	v_pk_fma_f32 v[2:3], v[2:3], v[4:5], v[6:7] op_sel_hi:[1,0,1]
	s_nop 0
	v_mov_b32_e32 v9, v3
	scratch_store_dwordx2 off, v[8:9], off offset:440
.LBB55_235:
	s_or_b64 exec, exec, s[0:1]
	s_mov_b64 s[4:5], -1
	; wave barrier
.LBB55_236:
	s_and_b64 vcc, exec, s[4:5]
	s_cbranch_vccz .LBB55_238
; %bb.237:
	s_lshl_b64 s[0:1], s[2:3], 2
	s_add_u32 s0, s6, s0
	s_addc_u32 s1, s7, s1
	v_mov_b32_e32 v1, 0
	global_load_dword v1, v1, s[0:1]
	s_waitcnt vmcnt(0)
	v_cmp_ne_u32_e32 vcc, 0, v1
	s_cbranch_vccz .LBB55_239
.LBB55_238:
	s_endpgm
.LBB55_239:
	v_mov_b32_e32 v1, 0x1c0
	v_lshl_add_u32 v1, v0, 3, v1
	v_cmp_eq_u32_e32 vcc, 55, v0
	s_and_saveexec_b64 s[0:1], vcc
	s_cbranch_execz .LBB55_241
; %bb.240:
	scratch_load_dwordx2 v[2:3], off, off offset:432
	v_mov_b32_e32 v4, 0
	v_mov_b32_e32 v5, v4
	scratch_store_dwordx2 off, v[4:5], off offset:432
	s_waitcnt vmcnt(1)
	ds_write_b64 v1, v[2:3]
.LBB55_241:
	s_or_b64 exec, exec, s[0:1]
	s_waitcnt lgkmcnt(0)
	; wave barrier
	scratch_load_dwordx2 v[4:5], off, off offset:440
	scratch_load_dwordx2 v[6:7], off, off offset:432
	v_mov_b32_e32 v2, 0
	ds_read_b64 v[8:9], v2 offset:888
	v_cmp_lt_u32_e32 vcc, 53, v0
	s_waitcnt vmcnt(1) lgkmcnt(0)
	v_pk_mul_f32 v[10:11], v[8:9], v[4:5] op_sel:[1,1] op_sel_hi:[0,1]
	v_pk_fma_f32 v[12:13], v[8:9], v[4:5], v[10:11] neg_lo:[0,0,1] neg_hi:[0,0,1]
	v_pk_fma_f32 v[4:5], v[8:9], v[4:5], v[10:11] op_sel_hi:[1,0,1]
	s_nop 0
	v_mov_b32_e32 v13, v5
	v_pk_add_f32 v[4:5], v[12:13], 0 op_sel_hi:[1,0]
	s_waitcnt vmcnt(0)
	v_pk_add_f32 v[4:5], v[6:7], v[4:5] neg_lo:[0,1] neg_hi:[0,1]
	scratch_store_dwordx2 off, v[4:5], off offset:432
	s_and_saveexec_b64 s[0:1], vcc
	s_cbranch_execz .LBB55_243
; %bb.242:
	scratch_load_dwordx2 v[4:5], off, off offset:424
	v_mov_b32_e32 v3, v2
	scratch_store_dwordx2 off, v[2:3], off offset:424
	s_waitcnt vmcnt(1)
	ds_write_b64 v1, v[4:5]
.LBB55_243:
	s_or_b64 exec, exec, s[0:1]
	s_waitcnt lgkmcnt(0)
	; wave barrier
	scratch_load_dwordx4 v[4:7], off, off offset:432
	scratch_load_dwordx2 v[12:13], off, off offset:424
	ds_read_b128 v[8:11], v2 offset:880
	v_cmp_lt_u32_e32 vcc, 52, v0
	s_waitcnt vmcnt(1) lgkmcnt(0)
	v_pk_mul_f32 v[2:3], v[8:9], v[4:5] op_sel:[1,1] op_sel_hi:[0,1]
	v_mov_b32_e32 v14, v7
	v_pk_fma_f32 v[16:17], v[8:9], v[4:5], v[2:3] neg_lo:[0,0,1] neg_hi:[0,0,1]
	v_pk_fma_f32 v[2:3], v[8:9], v[4:5], v[2:3] op_sel_hi:[1,0,1]
	v_pk_mul_f32 v[4:5], v[10:11], v[14:15] op_sel:[1,0] op_sel_hi:[0,0]
	v_mov_b32_e32 v17, v3
	v_pk_fma_f32 v[2:3], v[10:11], v[6:7], v[4:5] neg_lo:[0,0,1] neg_hi:[0,0,1]
	v_pk_fma_f32 v[4:5], v[10:11], v[6:7], v[4:5] op_sel_hi:[1,0,1]
	v_pk_add_f32 v[6:7], v[16:17], 0 op_sel_hi:[1,0]
	v_mov_b32_e32 v3, v5
	v_pk_add_f32 v[2:3], v[6:7], v[2:3]
	s_waitcnt vmcnt(0)
	v_pk_add_f32 v[2:3], v[12:13], v[2:3] neg_lo:[0,1] neg_hi:[0,1]
	scratch_store_dwordx2 off, v[2:3], off offset:424
	s_and_saveexec_b64 s[0:1], vcc
	s_cbranch_execz .LBB55_245
; %bb.244:
	scratch_load_dwordx2 v[2:3], off, off offset:416
	v_mov_b32_e32 v4, 0
	v_mov_b32_e32 v5, v4
	scratch_store_dwordx2 off, v[4:5], off offset:416
	s_waitcnt vmcnt(1)
	ds_write_b64 v1, v[2:3]
.LBB55_245:
	s_or_b64 exec, exec, s[0:1]
	s_waitcnt lgkmcnt(0)
	; wave barrier
	scratch_load_dwordx4 v[4:7], off, off offset:424
	scratch_load_dwordx2 v[12:13], off, off offset:440
	scratch_load_dwordx2 v[14:15], off, off offset:416
	v_mov_b32_e32 v2, 0
	ds_read2_b64 v[8:11], v2 offset0:109 offset1:110
	ds_read_b64 v[16:17], v2 offset:888
	v_cmp_lt_u32_e32 vcc, 51, v0
	s_waitcnt vmcnt(2) lgkmcnt(1)
	v_pk_mul_f32 v[18:19], v[8:9], v[4:5] op_sel:[1,1] op_sel_hi:[0,1]
	v_mov_b32_e32 v20, v7
	v_pk_fma_f32 v[24:25], v[8:9], v[4:5], v[18:19] neg_lo:[0,0,1] neg_hi:[0,0,1]
	v_pk_fma_f32 v[4:5], v[8:9], v[4:5], v[18:19] op_sel_hi:[1,0,1]
	v_pk_mul_f32 v[8:9], v[10:11], v[20:21] op_sel:[1,0] op_sel_hi:[0,0]
	s_waitcnt vmcnt(1) lgkmcnt(0)
	v_pk_mul_f32 v[22:23], v[16:17], v[12:13] op_sel:[1,1] op_sel_hi:[0,1]
	v_mov_b32_e32 v25, v5
	v_pk_fma_f32 v[4:5], v[10:11], v[6:7], v[8:9] neg_lo:[0,0,1] neg_hi:[0,0,1]
	v_pk_fma_f32 v[6:7], v[10:11], v[6:7], v[8:9] op_sel_hi:[1,0,1]
	v_pk_fma_f32 v[18:19], v[16:17], v[12:13], v[22:23] neg_lo:[0,0,1] neg_hi:[0,0,1]
	v_pk_fma_f32 v[12:13], v[16:17], v[12:13], v[22:23] op_sel_hi:[1,0,1]
	v_pk_add_f32 v[8:9], v[24:25], 0 op_sel_hi:[1,0]
	v_mov_b32_e32 v5, v7
	v_mov_b32_e32 v19, v13
	v_pk_add_f32 v[4:5], v[8:9], v[4:5]
	s_nop 0
	v_pk_add_f32 v[4:5], v[4:5], v[18:19]
	s_waitcnt vmcnt(0)
	v_pk_add_f32 v[4:5], v[14:15], v[4:5] neg_lo:[0,1] neg_hi:[0,1]
	scratch_store_dwordx2 off, v[4:5], off offset:416
	s_and_saveexec_b64 s[0:1], vcc
	s_cbranch_execz .LBB55_247
; %bb.246:
	scratch_load_dwordx2 v[4:5], off, off offset:408
	v_mov_b32_e32 v3, v2
	scratch_store_dwordx2 off, v[2:3], off offset:408
	s_waitcnt vmcnt(1)
	ds_write_b64 v1, v[4:5]
.LBB55_247:
	s_or_b64 exec, exec, s[0:1]
	s_waitcnt lgkmcnt(0)
	; wave barrier
	scratch_load_dwordx4 v[4:7], off, off offset:416
	scratch_load_dwordx4 v[8:11], off, off offset:432
	scratch_load_dwordx2 v[20:21], off, off offset:408
	ds_read_b128 v[12:15], v2 offset:864
	ds_read_b128 v[16:19], v2 offset:880
	v_cmp_lt_u32_e32 vcc, 50, v0
	s_waitcnt vmcnt(2) lgkmcnt(1)
	v_pk_mul_f32 v[2:3], v[12:13], v[4:5] op_sel:[1,1] op_sel_hi:[0,1]
	v_mov_b32_e32 v22, v7
	s_waitcnt vmcnt(1) lgkmcnt(0)
	v_pk_mul_f32 v[24:25], v[16:17], v[8:9] op_sel:[1,1] op_sel_hi:[0,1]
	v_mov_b32_e32 v26, v11
	v_pk_fma_f32 v[28:29], v[12:13], v[4:5], v[2:3] neg_lo:[0,0,1] neg_hi:[0,0,1]
	v_pk_fma_f32 v[2:3], v[12:13], v[4:5], v[2:3] op_sel_hi:[1,0,1]
	v_pk_mul_f32 v[4:5], v[14:15], v[22:23] op_sel:[1,0] op_sel_hi:[0,0]
	v_pk_fma_f32 v[12:13], v[16:17], v[8:9], v[24:25] neg_lo:[0,0,1] neg_hi:[0,0,1]
	v_pk_fma_f32 v[8:9], v[16:17], v[8:9], v[24:25] op_sel_hi:[1,0,1]
	v_pk_mul_f32 v[16:17], v[18:19], v[26:27] op_sel:[1,0] op_sel_hi:[0,0]
	v_mov_b32_e32 v29, v3
	v_pk_fma_f32 v[2:3], v[14:15], v[6:7], v[4:5] neg_lo:[0,0,1] neg_hi:[0,0,1]
	v_pk_fma_f32 v[4:5], v[14:15], v[6:7], v[4:5] op_sel_hi:[1,0,1]
	v_mov_b32_e32 v13, v9
	v_pk_fma_f32 v[6:7], v[18:19], v[10:11], v[16:17] neg_lo:[0,0,1] neg_hi:[0,0,1]
	v_pk_fma_f32 v[8:9], v[18:19], v[10:11], v[16:17] op_sel_hi:[1,0,1]
	v_pk_add_f32 v[10:11], v[28:29], 0 op_sel_hi:[1,0]
	v_mov_b32_e32 v3, v5
	v_pk_add_f32 v[2:3], v[10:11], v[2:3]
	v_mov_b32_e32 v7, v9
	v_pk_add_f32 v[2:3], v[2:3], v[12:13]
	s_nop 0
	v_pk_add_f32 v[2:3], v[2:3], v[6:7]
	s_waitcnt vmcnt(0)
	v_pk_add_f32 v[2:3], v[20:21], v[2:3] neg_lo:[0,1] neg_hi:[0,1]
	scratch_store_dwordx2 off, v[2:3], off offset:408
	s_and_saveexec_b64 s[0:1], vcc
	s_cbranch_execz .LBB55_249
; %bb.248:
	scratch_load_dwordx2 v[2:3], off, off offset:400
	v_mov_b32_e32 v4, 0
	v_mov_b32_e32 v5, v4
	scratch_store_dwordx2 off, v[4:5], off offset:400
	s_waitcnt vmcnt(1)
	ds_write_b64 v1, v[2:3]
.LBB55_249:
	s_or_b64 exec, exec, s[0:1]
	s_waitcnt lgkmcnt(0)
	; wave barrier
	scratch_load_dwordx4 v[4:7], off, off offset:408
	scratch_load_dwordx4 v[8:11], off, off offset:424
	scratch_load_dwordx2 v[20:21], off, off offset:440
	scratch_load_dwordx2 v[22:23], off, off offset:400
	v_mov_b32_e32 v2, 0
	ds_read2_b64 v[12:15], v2 offset0:107 offset1:108
	ds_read2_b64 v[16:19], v2 offset0:109 offset1:110
	ds_read_b64 v[24:25], v2 offset:888
	v_cmp_lt_u32_e32 vcc, 49, v0
	s_waitcnt vmcnt(3) lgkmcnt(2)
	v_pk_mul_f32 v[26:27], v[12:13], v[4:5] op_sel:[1,1] op_sel_hi:[0,1]
	v_mov_b32_e32 v28, v7
	v_pk_fma_f32 v[36:37], v[12:13], v[4:5], v[26:27] neg_lo:[0,0,1] neg_hi:[0,0,1]
	v_pk_fma_f32 v[4:5], v[12:13], v[4:5], v[26:27] op_sel_hi:[1,0,1]
	v_pk_mul_f32 v[12:13], v[14:15], v[28:29] op_sel:[1,0] op_sel_hi:[0,0]
	s_waitcnt vmcnt(2) lgkmcnt(1)
	v_pk_mul_f32 v[30:31], v[16:17], v[8:9] op_sel:[1,1] op_sel_hi:[0,1]
	v_mov_b32_e32 v32, v11
	v_mov_b32_e32 v37, v5
	v_pk_fma_f32 v[4:5], v[14:15], v[6:7], v[12:13] neg_lo:[0,0,1] neg_hi:[0,0,1]
	v_pk_fma_f32 v[6:7], v[14:15], v[6:7], v[12:13] op_sel_hi:[1,0,1]
	v_pk_fma_f32 v[26:27], v[16:17], v[8:9], v[30:31] neg_lo:[0,0,1] neg_hi:[0,0,1]
	v_pk_fma_f32 v[8:9], v[16:17], v[8:9], v[30:31] op_sel_hi:[1,0,1]
	v_pk_mul_f32 v[16:17], v[18:19], v[32:33] op_sel:[1,0] op_sel_hi:[0,0]
	v_pk_add_f32 v[12:13], v[36:37], 0 op_sel_hi:[1,0]
	v_mov_b32_e32 v5, v7
	s_waitcnt vmcnt(1) lgkmcnt(0)
	v_pk_mul_f32 v[34:35], v[24:25], v[20:21] op_sel:[1,1] op_sel_hi:[0,1]
	v_mov_b32_e32 v27, v9
	v_pk_fma_f32 v[8:9], v[18:19], v[10:11], v[16:17] neg_lo:[0,0,1] neg_hi:[0,0,1]
	v_pk_fma_f32 v[10:11], v[18:19], v[10:11], v[16:17] op_sel_hi:[1,0,1]
	v_pk_add_f32 v[4:5], v[12:13], v[4:5]
	v_pk_fma_f32 v[28:29], v[24:25], v[20:21], v[34:35] neg_lo:[0,0,1] neg_hi:[0,0,1]
	v_pk_fma_f32 v[20:21], v[24:25], v[20:21], v[34:35] op_sel_hi:[1,0,1]
	v_mov_b32_e32 v9, v11
	v_pk_add_f32 v[4:5], v[4:5], v[26:27]
	v_mov_b32_e32 v29, v21
	v_pk_add_f32 v[4:5], v[4:5], v[8:9]
	s_nop 0
	v_pk_add_f32 v[4:5], v[4:5], v[28:29]
	s_waitcnt vmcnt(0)
	v_pk_add_f32 v[4:5], v[22:23], v[4:5] neg_lo:[0,1] neg_hi:[0,1]
	scratch_store_dwordx2 off, v[4:5], off offset:400
	s_and_saveexec_b64 s[0:1], vcc
	s_cbranch_execz .LBB55_251
; %bb.250:
	scratch_load_dwordx2 v[4:5], off, off offset:392
	v_mov_b32_e32 v3, v2
	scratch_store_dwordx2 off, v[2:3], off offset:392
	s_waitcnt vmcnt(1)
	ds_write_b64 v1, v[4:5]
.LBB55_251:
	s_or_b64 exec, exec, s[0:1]
	s_waitcnt lgkmcnt(0)
	; wave barrier
	scratch_load_dwordx4 v[4:7], off, off offset:400
	scratch_load_dwordx4 v[8:11], off, off offset:416
	;; [unrolled: 1-line block ×3, first 2 shown]
	scratch_load_dwordx2 v[28:29], off, off offset:392
	ds_read_b128 v[16:19], v2 offset:848
	ds_read_b128 v[20:23], v2 offset:864
	;; [unrolled: 1-line block ×3, first 2 shown]
	v_cmp_lt_u32_e32 vcc, 48, v0
	s_waitcnt vmcnt(3) lgkmcnt(2)
	v_pk_mul_f32 v[2:3], v[16:17], v[4:5] op_sel:[1,1] op_sel_hi:[0,1]
	v_mov_b32_e32 v30, v7
	s_waitcnt vmcnt(2) lgkmcnt(1)
	v_pk_mul_f32 v[32:33], v[20:21], v[8:9] op_sel:[1,1] op_sel_hi:[0,1]
	v_mov_b32_e32 v34, v11
	;; [unrolled: 3-line block ×3, first 2 shown]
	v_pk_fma_f32 v[40:41], v[16:17], v[4:5], v[2:3] neg_lo:[0,0,1] neg_hi:[0,0,1]
	v_pk_fma_f32 v[2:3], v[16:17], v[4:5], v[2:3] op_sel_hi:[1,0,1]
	v_pk_mul_f32 v[4:5], v[18:19], v[30:31] op_sel:[1,0] op_sel_hi:[0,0]
	v_pk_fma_f32 v[16:17], v[20:21], v[8:9], v[32:33] neg_lo:[0,0,1] neg_hi:[0,0,1]
	v_pk_fma_f32 v[8:9], v[20:21], v[8:9], v[32:33] op_sel_hi:[1,0,1]
	v_pk_mul_f32 v[20:21], v[22:23], v[34:35] op_sel:[1,0] op_sel_hi:[0,0]
	;; [unrolled: 3-line block ×3, first 2 shown]
	v_mov_b32_e32 v41, v3
	v_pk_fma_f32 v[2:3], v[18:19], v[6:7], v[4:5] neg_lo:[0,0,1] neg_hi:[0,0,1]
	v_pk_fma_f32 v[4:5], v[18:19], v[6:7], v[4:5] op_sel_hi:[1,0,1]
	v_mov_b32_e32 v17, v9
	v_pk_fma_f32 v[6:7], v[22:23], v[10:11], v[20:21] neg_lo:[0,0,1] neg_hi:[0,0,1]
	v_pk_fma_f32 v[8:9], v[22:23], v[10:11], v[20:21] op_sel_hi:[1,0,1]
	;; [unrolled: 3-line block ×3, first 2 shown]
	v_pk_add_f32 v[14:15], v[40:41], 0 op_sel_hi:[1,0]
	v_mov_b32_e32 v3, v5
	v_pk_add_f32 v[2:3], v[14:15], v[2:3]
	v_mov_b32_e32 v7, v9
	v_pk_add_f32 v[2:3], v[2:3], v[16:17]
	;; [unrolled: 2-line block ×3, first 2 shown]
	s_nop 0
	v_pk_add_f32 v[2:3], v[2:3], v[30:31]
	s_nop 0
	v_pk_add_f32 v[2:3], v[2:3], v[10:11]
	s_waitcnt vmcnt(0)
	v_pk_add_f32 v[2:3], v[28:29], v[2:3] neg_lo:[0,1] neg_hi:[0,1]
	scratch_store_dwordx2 off, v[2:3], off offset:392
	s_and_saveexec_b64 s[0:1], vcc
	s_cbranch_execz .LBB55_253
; %bb.252:
	scratch_load_dwordx2 v[2:3], off, off offset:384
	v_mov_b32_e32 v4, 0
	v_mov_b32_e32 v5, v4
	scratch_store_dwordx2 off, v[4:5], off offset:384
	s_waitcnt vmcnt(1)
	ds_write_b64 v1, v[2:3]
.LBB55_253:
	s_or_b64 exec, exec, s[0:1]
	s_waitcnt lgkmcnt(0)
	; wave barrier
	scratch_load_dwordx4 v[4:7], off, off offset:392
	scratch_load_dwordx4 v[8:11], off, off offset:408
	;; [unrolled: 1-line block ×3, first 2 shown]
	scratch_load_dwordx2 v[28:29], off, off offset:440
	scratch_load_dwordx2 v[30:31], off, off offset:384
	v_mov_b32_e32 v2, 0
	ds_read2_b64 v[16:19], v2 offset0:105 offset1:106
	ds_read2_b64 v[20:23], v2 offset0:107 offset1:108
	;; [unrolled: 1-line block ×3, first 2 shown]
	ds_read_b64 v[32:33], v2 offset:888
	v_cmp_lt_u32_e32 vcc, 47, v0
	s_waitcnt vmcnt(4) lgkmcnt(3)
	v_pk_mul_f32 v[34:35], v[16:17], v[4:5] op_sel:[1,1] op_sel_hi:[0,1]
	v_mov_b32_e32 v36, v7
	v_pk_fma_f32 v[48:49], v[16:17], v[4:5], v[34:35] neg_lo:[0,0,1] neg_hi:[0,0,1]
	v_pk_fma_f32 v[4:5], v[16:17], v[4:5], v[34:35] op_sel_hi:[1,0,1]
	v_pk_mul_f32 v[16:17], v[18:19], v[36:37] op_sel:[1,0] op_sel_hi:[0,0]
	s_waitcnt vmcnt(3) lgkmcnt(2)
	v_pk_mul_f32 v[38:39], v[20:21], v[8:9] op_sel:[1,1] op_sel_hi:[0,1]
	v_mov_b32_e32 v40, v11
	v_mov_b32_e32 v49, v5
	v_pk_fma_f32 v[4:5], v[18:19], v[6:7], v[16:17] neg_lo:[0,0,1] neg_hi:[0,0,1]
	v_pk_fma_f32 v[6:7], v[18:19], v[6:7], v[16:17] op_sel_hi:[1,0,1]
	v_pk_fma_f32 v[34:35], v[20:21], v[8:9], v[38:39] neg_lo:[0,0,1] neg_hi:[0,0,1]
	v_pk_fma_f32 v[8:9], v[20:21], v[8:9], v[38:39] op_sel_hi:[1,0,1]
	v_pk_mul_f32 v[20:21], v[22:23], v[40:41] op_sel:[1,0] op_sel_hi:[0,0]
	v_pk_add_f32 v[16:17], v[48:49], 0 op_sel_hi:[1,0]
	v_mov_b32_e32 v5, v7
	s_waitcnt vmcnt(2) lgkmcnt(1)
	v_pk_mul_f32 v[42:43], v[24:25], v[12:13] op_sel:[1,1] op_sel_hi:[0,1]
	v_mov_b32_e32 v44, v15
	v_mov_b32_e32 v35, v9
	v_pk_fma_f32 v[8:9], v[22:23], v[10:11], v[20:21] neg_lo:[0,0,1] neg_hi:[0,0,1]
	v_pk_fma_f32 v[10:11], v[22:23], v[10:11], v[20:21] op_sel_hi:[1,0,1]
	v_pk_add_f32 v[4:5], v[16:17], v[4:5]
	v_pk_fma_f32 v[36:37], v[24:25], v[12:13], v[42:43] neg_lo:[0,0,1] neg_hi:[0,0,1]
	v_pk_fma_f32 v[12:13], v[24:25], v[12:13], v[42:43] op_sel_hi:[1,0,1]
	v_pk_mul_f32 v[24:25], v[26:27], v[44:45] op_sel:[1,0] op_sel_hi:[0,0]
	v_mov_b32_e32 v9, v11
	v_pk_add_f32 v[4:5], v[4:5], v[34:35]
	s_waitcnt vmcnt(1) lgkmcnt(0)
	v_pk_mul_f32 v[46:47], v[32:33], v[28:29] op_sel:[1,1] op_sel_hi:[0,1]
	v_mov_b32_e32 v37, v13
	v_pk_fma_f32 v[12:13], v[26:27], v[14:15], v[24:25] neg_lo:[0,0,1] neg_hi:[0,0,1]
	v_pk_fma_f32 v[14:15], v[26:27], v[14:15], v[24:25] op_sel_hi:[1,0,1]
	v_pk_add_f32 v[4:5], v[4:5], v[8:9]
	v_pk_fma_f32 v[38:39], v[32:33], v[28:29], v[46:47] neg_lo:[0,0,1] neg_hi:[0,0,1]
	v_pk_fma_f32 v[28:29], v[32:33], v[28:29], v[46:47] op_sel_hi:[1,0,1]
	v_mov_b32_e32 v13, v15
	v_pk_add_f32 v[4:5], v[4:5], v[36:37]
	v_mov_b32_e32 v39, v29
	v_pk_add_f32 v[4:5], v[4:5], v[12:13]
	s_nop 0
	v_pk_add_f32 v[4:5], v[4:5], v[38:39]
	s_waitcnt vmcnt(0)
	v_pk_add_f32 v[4:5], v[30:31], v[4:5] neg_lo:[0,1] neg_hi:[0,1]
	scratch_store_dwordx2 off, v[4:5], off offset:384
	s_and_saveexec_b64 s[0:1], vcc
	s_cbranch_execz .LBB55_255
; %bb.254:
	scratch_load_dwordx2 v[4:5], off, off offset:376
	v_mov_b32_e32 v3, v2
	scratch_store_dwordx2 off, v[2:3], off offset:376
	s_waitcnt vmcnt(1)
	ds_write_b64 v1, v[4:5]
.LBB55_255:
	s_or_b64 exec, exec, s[0:1]
	s_waitcnt lgkmcnt(0)
	; wave barrier
	scratch_load_dwordx4 v[4:7], off, off offset:384
	scratch_load_dwordx4 v[8:11], off, off offset:400
	;; [unrolled: 1-line block ×4, first 2 shown]
	scratch_load_dwordx2 v[36:37], off, off offset:376
	ds_read_b128 v[20:23], v2 offset:832
	ds_read_b128 v[24:27], v2 offset:848
	;; [unrolled: 1-line block ×4, first 2 shown]
	v_cmp_lt_u32_e32 vcc, 46, v0
	s_waitcnt vmcnt(4) lgkmcnt(3)
	v_pk_mul_f32 v[2:3], v[20:21], v[4:5] op_sel:[1,1] op_sel_hi:[0,1]
	v_mov_b32_e32 v38, v7
	s_waitcnt vmcnt(3) lgkmcnt(2)
	v_pk_mul_f32 v[40:41], v[24:25], v[8:9] op_sel:[1,1] op_sel_hi:[0,1]
	v_mov_b32_e32 v42, v11
	;; [unrolled: 3-line block ×4, first 2 shown]
	v_pk_fma_f32 v[52:53], v[20:21], v[4:5], v[2:3] neg_lo:[0,0,1] neg_hi:[0,0,1]
	v_pk_fma_f32 v[2:3], v[20:21], v[4:5], v[2:3] op_sel_hi:[1,0,1]
	v_pk_mul_f32 v[4:5], v[22:23], v[38:39] op_sel:[1,0] op_sel_hi:[0,0]
	v_pk_fma_f32 v[20:21], v[24:25], v[8:9], v[40:41] neg_lo:[0,0,1] neg_hi:[0,0,1]
	v_pk_fma_f32 v[8:9], v[24:25], v[8:9], v[40:41] op_sel_hi:[1,0,1]
	v_pk_mul_f32 v[24:25], v[26:27], v[42:43] op_sel:[1,0] op_sel_hi:[0,0]
	;; [unrolled: 3-line block ×4, first 2 shown]
	v_mov_b32_e32 v53, v3
	v_pk_fma_f32 v[2:3], v[22:23], v[6:7], v[4:5] neg_lo:[0,0,1] neg_hi:[0,0,1]
	v_pk_fma_f32 v[4:5], v[22:23], v[6:7], v[4:5] op_sel_hi:[1,0,1]
	v_mov_b32_e32 v21, v9
	v_pk_fma_f32 v[6:7], v[26:27], v[10:11], v[24:25] neg_lo:[0,0,1] neg_hi:[0,0,1]
	v_pk_fma_f32 v[8:9], v[26:27], v[10:11], v[24:25] op_sel_hi:[1,0,1]
	;; [unrolled: 3-line block ×4, first 2 shown]
	v_pk_add_f32 v[18:19], v[52:53], 0 op_sel_hi:[1,0]
	v_mov_b32_e32 v3, v5
	v_pk_add_f32 v[2:3], v[18:19], v[2:3]
	v_mov_b32_e32 v7, v9
	v_pk_add_f32 v[2:3], v[2:3], v[20:21]
	;; [unrolled: 2-line block ×4, first 2 shown]
	s_nop 0
	v_pk_add_f32 v[2:3], v[2:3], v[10:11]
	s_nop 0
	v_pk_add_f32 v[2:3], v[2:3], v[40:41]
	;; [unrolled: 2-line block ×3, first 2 shown]
	s_waitcnt vmcnt(0)
	v_pk_add_f32 v[2:3], v[36:37], v[2:3] neg_lo:[0,1] neg_hi:[0,1]
	scratch_store_dwordx2 off, v[2:3], off offset:376
	s_and_saveexec_b64 s[0:1], vcc
	s_cbranch_execz .LBB55_257
; %bb.256:
	scratch_load_dwordx2 v[2:3], off, off offset:368
	v_mov_b32_e32 v4, 0
	v_mov_b32_e32 v5, v4
	scratch_store_dwordx2 off, v[4:5], off offset:368
	s_waitcnt vmcnt(1)
	ds_write_b64 v1, v[2:3]
.LBB55_257:
	s_or_b64 exec, exec, s[0:1]
	s_waitcnt lgkmcnt(0)
	; wave barrier
	scratch_load_dwordx4 v[4:7], off, off offset:376
	scratch_load_dwordx4 v[8:11], off, off offset:392
	;; [unrolled: 1-line block ×4, first 2 shown]
	scratch_load_dwordx2 v[36:37], off, off offset:440
	scratch_load_dwordx2 v[38:39], off, off offset:368
	v_mov_b32_e32 v2, 0
	ds_read2_b64 v[20:23], v2 offset0:103 offset1:104
	ds_read2_b64 v[24:27], v2 offset0:105 offset1:106
	;; [unrolled: 1-line block ×4, first 2 shown]
	ds_read_b64 v[40:41], v2 offset:888
	v_cmp_lt_u32_e32 vcc, 45, v0
	s_waitcnt vmcnt(5) lgkmcnt(4)
	v_mul_f32_e32 v43, v20, v5
	v_mul_f32_e32 v3, v21, v5
	v_mov_b32_e32 v44, v7
	s_waitcnt vmcnt(4) lgkmcnt(3)
	v_pk_mul_f32 v[46:47], v[24:25], v[8:9] op_sel:[1,1] op_sel_hi:[0,1]
	v_mov_b32_e32 v48, v11
	s_waitcnt vmcnt(1) lgkmcnt(0)
	v_pk_mul_f32 v[58:59], v[40:41], v[36:37] op_sel:[1,1] op_sel_hi:[0,1]
	v_fmac_f32_e32 v43, v21, v4
	v_fma_f32 v42, v20, v4, -v3
	v_pk_mul_f32 v[4:5], v[22:23], v[44:45] op_sel:[1,0] op_sel_hi:[0,0]
	v_pk_fma_f32 v[20:21], v[24:25], v[8:9], v[46:47] neg_lo:[0,0,1] neg_hi:[0,0,1]
	v_pk_fma_f32 v[8:9], v[24:25], v[8:9], v[46:47] op_sel_hi:[1,0,1]
	v_pk_mul_f32 v[24:25], v[26:27], v[48:49] op_sel:[1,0] op_sel_hi:[0,0]
	v_pk_fma_f32 v[48:49], v[40:41], v[36:37], v[58:59] neg_lo:[0,0,1] neg_hi:[0,0,1]
	v_pk_fma_f32 v[36:37], v[40:41], v[36:37], v[58:59] op_sel_hi:[1,0,1]
	v_pk_add_f32 v[40:41], v[42:43], 0 op_sel_hi:[1,0]
	v_pk_fma_f32 v[42:43], v[22:23], v[6:7], v[4:5] neg_lo:[0,0,1] neg_hi:[0,0,1]
	v_pk_fma_f32 v[4:5], v[22:23], v[6:7], v[4:5] op_sel_hi:[1,0,1]
	v_pk_mul_f32 v[50:51], v[28:29], v[12:13] op_sel:[1,1] op_sel_hi:[0,1]
	v_mov_b32_e32 v43, v5
	v_mov_b32_e32 v52, v15
	;; [unrolled: 1-line block ×3, first 2 shown]
	v_pk_fma_f32 v[6:7], v[26:27], v[10:11], v[24:25] neg_lo:[0,0,1] neg_hi:[0,0,1]
	v_pk_fma_f32 v[8:9], v[26:27], v[10:11], v[24:25] op_sel_hi:[1,0,1]
	v_pk_add_f32 v[4:5], v[40:41], v[42:43]
	v_pk_fma_f32 v[44:45], v[28:29], v[12:13], v[50:51] neg_lo:[0,0,1] neg_hi:[0,0,1]
	v_pk_fma_f32 v[12:13], v[28:29], v[12:13], v[50:51] op_sel_hi:[1,0,1]
	v_pk_mul_f32 v[28:29], v[30:31], v[52:53] op_sel:[1,0] op_sel_hi:[0,0]
	v_mov_b32_e32 v7, v9
	v_pk_add_f32 v[4:5], v[4:5], v[20:21]
	v_pk_mul_f32 v[54:55], v[32:33], v[16:17] op_sel:[1,1] op_sel_hi:[0,1]
	v_mov_b32_e32 v56, v19
	v_mov_b32_e32 v45, v13
	v_pk_fma_f32 v[10:11], v[30:31], v[14:15], v[28:29] neg_lo:[0,0,1] neg_hi:[0,0,1]
	v_pk_fma_f32 v[12:13], v[30:31], v[14:15], v[28:29] op_sel_hi:[1,0,1]
	v_pk_add_f32 v[4:5], v[4:5], v[6:7]
	v_pk_fma_f32 v[46:47], v[32:33], v[16:17], v[54:55] neg_lo:[0,0,1] neg_hi:[0,0,1]
	v_pk_fma_f32 v[16:17], v[32:33], v[16:17], v[54:55] op_sel_hi:[1,0,1]
	v_pk_mul_f32 v[32:33], v[34:35], v[56:57] op_sel:[1,0] op_sel_hi:[0,0]
	v_mov_b32_e32 v11, v13
	v_pk_add_f32 v[4:5], v[4:5], v[44:45]
	v_mov_b32_e32 v47, v17
	v_pk_fma_f32 v[14:15], v[34:35], v[18:19], v[32:33] neg_lo:[0,0,1] neg_hi:[0,0,1]
	v_pk_fma_f32 v[16:17], v[34:35], v[18:19], v[32:33] op_sel_hi:[1,0,1]
	v_pk_add_f32 v[4:5], v[4:5], v[10:11]
	v_mov_b32_e32 v15, v17
	v_pk_add_f32 v[4:5], v[4:5], v[46:47]
	v_mov_b32_e32 v49, v37
	v_pk_add_f32 v[4:5], v[4:5], v[14:15]
	s_nop 0
	v_pk_add_f32 v[4:5], v[4:5], v[48:49]
	s_waitcnt vmcnt(0)
	v_pk_add_f32 v[4:5], v[38:39], v[4:5] neg_lo:[0,1] neg_hi:[0,1]
	scratch_store_dwordx2 off, v[4:5], off offset:368
	s_and_saveexec_b64 s[0:1], vcc
	s_cbranch_execz .LBB55_259
; %bb.258:
	scratch_load_dwordx2 v[4:5], off, off offset:360
	v_mov_b32_e32 v3, v2
	scratch_store_dwordx2 off, v[2:3], off offset:360
	s_waitcnt vmcnt(1)
	ds_write_b64 v1, v[4:5]
.LBB55_259:
	s_or_b64 exec, exec, s[0:1]
	s_waitcnt lgkmcnt(0)
	; wave barrier
	ds_read_b128 v[4:7], v2 offset:816
	ds_read_b128 v[8:11], v2 offset:832
	;; [unrolled: 1-line block ×4, first 2 shown]
	scratch_load_dwordx4 v[20:23], off, off offset:368
	scratch_load_dwordx4 v[24:27], off, off offset:384
	;; [unrolled: 1-line block ×5, first 2 shown]
	v_cmp_lt_u32_e32 vcc, 44, v0
	s_waitcnt vmcnt(4) lgkmcnt(3)
	v_mul_f32_e32 v41, v4, v21
	v_mul_f32_e32 v3, v5, v21
	v_fmac_f32_e32 v41, v5, v20
	v_mul_f32_e32 v43, v6, v23
	v_fma_f32 v40, v4, v20, -v3
	v_mul_f32_e32 v3, v7, v23
	s_waitcnt vmcnt(3) lgkmcnt(2)
	v_pk_mul_f32 v[20:21], v[8:9], v[24:25] op_sel:[1,1] op_sel_hi:[0,1]
	v_fmac_f32_e32 v43, v7, v22
	v_fma_f32 v42, v6, v22, -v3
	v_pk_fma_f32 v[22:23], v[8:9], v[24:25], v[20:21] neg_lo:[0,0,1] neg_hi:[0,0,1]
	v_pk_fma_f32 v[8:9], v[8:9], v[24:25], v[20:21] op_sel_hi:[1,0,1]
	v_pk_add_f32 v[6:7], v[40:41], 0 op_sel_hi:[1,0]
	v_mov_b32_e32 v8, v27
	v_mov_b32_e32 v23, v9
	v_pk_mul_f32 v[8:9], v[10:11], v[8:9] op_sel:[1,0] op_sel_hi:[0,0]
	v_pk_fma_f32 v[20:21], v[10:11], v[26:27], v[8:9] neg_lo:[0,0,1] neg_hi:[0,0,1]
	v_pk_fma_f32 v[8:9], v[10:11], v[26:27], v[8:9] op_sel_hi:[1,0,1]
	v_pk_add_f32 v[6:7], v[6:7], v[42:43]
	v_mov_b32_e32 v21, v9
	s_waitcnt vmcnt(2) lgkmcnt(1)
	v_pk_mul_f32 v[8:9], v[12:13], v[28:29] op_sel:[1,1] op_sel_hi:[0,1]
	v_pk_fma_f32 v[10:11], v[12:13], v[28:29], v[8:9] neg_lo:[0,0,1] neg_hi:[0,0,1]
	v_pk_fma_f32 v[8:9], v[12:13], v[28:29], v[8:9] op_sel_hi:[1,0,1]
	v_pk_add_f32 v[6:7], v[6:7], v[22:23]
	v_mov_b32_e32 v8, v31
	v_pk_add_f32 v[6:7], v[6:7], v[20:21]
	v_mov_b32_e32 v11, v9
	v_pk_mul_f32 v[8:9], v[14:15], v[8:9] op_sel:[1,0] op_sel_hi:[0,0]
	v_pk_add_f32 v[6:7], v[6:7], v[10:11]
	v_pk_fma_f32 v[10:11], v[14:15], v[30:31], v[8:9] neg_lo:[0,0,1] neg_hi:[0,0,1]
	v_pk_fma_f32 v[8:9], v[14:15], v[30:31], v[8:9] op_sel_hi:[1,0,1]
	ds_read_b128 v[2:5], v2 offset:880
	v_mov_b32_e32 v11, v9
	s_waitcnt vmcnt(1) lgkmcnt(1)
	v_pk_mul_f32 v[8:9], v[16:17], v[32:33] op_sel:[1,1] op_sel_hi:[0,1]
	v_pk_add_f32 v[6:7], v[6:7], v[10:11]
	v_pk_fma_f32 v[10:11], v[16:17], v[32:33], v[8:9] neg_lo:[0,0,1] neg_hi:[0,0,1]
	v_pk_fma_f32 v[8:9], v[16:17], v[32:33], v[8:9] op_sel_hi:[1,0,1]
	s_nop 0
	v_mov_b32_e32 v8, v35
	v_mov_b32_e32 v11, v9
	v_pk_mul_f32 v[8:9], v[18:19], v[8:9] op_sel:[1,0] op_sel_hi:[0,0]
	v_pk_add_f32 v[6:7], v[6:7], v[10:11]
	v_pk_fma_f32 v[10:11], v[18:19], v[34:35], v[8:9] neg_lo:[0,0,1] neg_hi:[0,0,1]
	v_pk_fma_f32 v[8:9], v[18:19], v[34:35], v[8:9] op_sel_hi:[1,0,1]
	s_nop 0
	v_mov_b32_e32 v11, v9
	s_waitcnt vmcnt(0) lgkmcnt(0)
	v_pk_mul_f32 v[8:9], v[2:3], v[36:37] op_sel:[1,1] op_sel_hi:[0,1]
	v_pk_add_f32 v[6:7], v[6:7], v[10:11]
	v_pk_fma_f32 v[10:11], v[2:3], v[36:37], v[8:9] neg_lo:[0,0,1] neg_hi:[0,0,1]
	v_pk_fma_f32 v[2:3], v[2:3], v[36:37], v[8:9] op_sel_hi:[1,0,1]
	s_nop 0
	v_mov_b32_e32 v11, v3
	v_pk_add_f32 v[2:3], v[6:7], v[10:11]
	v_mov_b32_e32 v6, v39
	v_pk_mul_f32 v[6:7], v[4:5], v[6:7] op_sel:[1,0] op_sel_hi:[0,0]
	v_pk_fma_f32 v[8:9], v[4:5], v[38:39], v[6:7] neg_lo:[0,0,1] neg_hi:[0,0,1]
	v_pk_fma_f32 v[4:5], v[4:5], v[38:39], v[6:7] op_sel_hi:[1,0,1]
	s_nop 0
	v_mov_b32_e32 v9, v5
	scratch_load_dwordx2 v[4:5], off, off offset:360
	v_pk_add_f32 v[2:3], v[2:3], v[8:9]
	s_waitcnt vmcnt(0)
	v_pk_add_f32 v[2:3], v[4:5], v[2:3] neg_lo:[0,1] neg_hi:[0,1]
	scratch_store_dwordx2 off, v[2:3], off offset:360
	s_and_saveexec_b64 s[0:1], vcc
	s_cbranch_execz .LBB55_261
; %bb.260:
	scratch_load_dwordx2 v[2:3], off, off offset:352
	v_mov_b32_e32 v4, 0
	v_mov_b32_e32 v5, v4
	scratch_store_dwordx2 off, v[4:5], off offset:352
	s_waitcnt vmcnt(1)
	ds_write_b64 v1, v[2:3]
.LBB55_261:
	s_or_b64 exec, exec, s[0:1]
	s_waitcnt lgkmcnt(0)
	; wave barrier
	scratch_load_dwordx4 v[8:11], off, off offset:360
	scratch_load_dwordx4 v[16:19], off, off offset:376
	v_mov_b32_e32 v2, 0
	ds_read2_b64 v[4:7], v2 offset0:101 offset1:102
	ds_read2_b64 v[12:15], v2 offset0:103 offset1:104
	scratch_load_dwordx4 v[20:23], off, off offset:392
	scratch_load_dwordx4 v[24:27], off, off offset:408
	;; [unrolled: 1-line block ×3, first 2 shown]
	scratch_load_dwordx2 v[42:43], off, off offset:440
	v_cmp_lt_u32_e32 vcc, 43, v0
	s_waitcnt vmcnt(5) lgkmcnt(1)
	v_mul_f32_e32 v3, v4, v9
	v_fmac_f32_e32 v3, v5, v8
	v_add_f32_e32 v37, 0, v3
	v_mul_f32_e32 v3, v5, v9
	v_fma_f32 v3, v4, v8, -v3
	v_mul_f32_e32 v39, v6, v11
	v_add_f32_e32 v36, 0, v3
	v_mul_f32_e32 v3, v7, v11
	v_fmac_f32_e32 v39, v7, v10
	s_waitcnt vmcnt(4) lgkmcnt(0)
	v_mul_f32_e32 v41, v12, v17
	v_fma_f32 v38, v6, v10, -v3
	v_mul_f32_e32 v3, v13, v17
	v_fmac_f32_e32 v41, v13, v16
	v_fma_f32 v40, v12, v16, -v3
	v_pk_add_f32 v[16:17], v[36:37], v[38:39]
	v_mov_b32_e32 v36, v19
	v_pk_mul_f32 v[36:37], v[14:15], v[36:37] op_sel:[1,0] op_sel_hi:[0,0]
	ds_read2_b64 v[4:7], v2 offset0:105 offset1:106
	ds_read2_b64 v[8:11], v2 offset0:107 offset1:108
	;; [unrolled: 1-line block ×3, first 2 shown]
	ds_read_b64 v[12:13], v2 offset:888
	v_pk_fma_f32 v[38:39], v[14:15], v[18:19], v[36:37] neg_lo:[0,0,1] neg_hi:[0,0,1]
	v_pk_fma_f32 v[14:15], v[14:15], v[18:19], v[36:37] op_sel_hi:[1,0,1]
	v_pk_add_f32 v[16:17], v[16:17], v[40:41]
	v_mov_b32_e32 v39, v15
	v_pk_add_f32 v[14:15], v[16:17], v[38:39]
	s_waitcnt vmcnt(3) lgkmcnt(3)
	v_pk_mul_f32 v[16:17], v[4:5], v[20:21] op_sel:[1,1] op_sel_hi:[0,1]
	v_pk_fma_f32 v[18:19], v[4:5], v[20:21], v[16:17] neg_lo:[0,0,1] neg_hi:[0,0,1]
	v_pk_fma_f32 v[4:5], v[4:5], v[20:21], v[16:17] op_sel_hi:[1,0,1]
	s_nop 0
	v_mov_b32_e32 v19, v5
	v_pk_add_f32 v[4:5], v[14:15], v[18:19]
	v_mov_b32_e32 v14, v23
	v_pk_mul_f32 v[14:15], v[6:7], v[14:15] op_sel:[1,0] op_sel_hi:[0,0]
	v_pk_fma_f32 v[16:17], v[6:7], v[22:23], v[14:15] neg_lo:[0,0,1] neg_hi:[0,0,1]
	v_pk_fma_f32 v[6:7], v[6:7], v[22:23], v[14:15] op_sel_hi:[1,0,1]
	s_nop 0
	v_mov_b32_e32 v17, v7
	s_waitcnt vmcnt(2) lgkmcnt(2)
	v_pk_mul_f32 v[6:7], v[8:9], v[24:25] op_sel:[1,1] op_sel_hi:[0,1]
	v_pk_fma_f32 v[14:15], v[8:9], v[24:25], v[6:7] neg_lo:[0,0,1] neg_hi:[0,0,1]
	v_pk_fma_f32 v[6:7], v[8:9], v[24:25], v[6:7] op_sel_hi:[1,0,1]
	v_pk_add_f32 v[4:5], v[4:5], v[16:17]
	v_mov_b32_e32 v6, v27
	v_mov_b32_e32 v15, v7
	v_pk_mul_f32 v[6:7], v[10:11], v[6:7] op_sel:[1,0] op_sel_hi:[0,0]
	v_pk_fma_f32 v[8:9], v[10:11], v[26:27], v[6:7] neg_lo:[0,0,1] neg_hi:[0,0,1]
	v_pk_fma_f32 v[6:7], v[10:11], v[26:27], v[6:7] op_sel_hi:[1,0,1]
	v_pk_add_f32 v[4:5], v[4:5], v[14:15]
	v_mov_b32_e32 v9, v7
	s_waitcnt vmcnt(1) lgkmcnt(1)
	v_pk_mul_f32 v[6:7], v[32:33], v[28:29] op_sel:[1,1] op_sel_hi:[0,1]
	v_pk_add_f32 v[4:5], v[4:5], v[8:9]
	v_pk_fma_f32 v[8:9], v[32:33], v[28:29], v[6:7] neg_lo:[0,0,1] neg_hi:[0,0,1]
	v_pk_fma_f32 v[6:7], v[32:33], v[28:29], v[6:7] op_sel_hi:[1,0,1]
	s_nop 0
	v_mov_b32_e32 v6, v31
	v_mov_b32_e32 v9, v7
	v_pk_mul_f32 v[6:7], v[34:35], v[6:7] op_sel:[1,0] op_sel_hi:[0,0]
	v_pk_add_f32 v[4:5], v[4:5], v[8:9]
	v_pk_fma_f32 v[8:9], v[34:35], v[30:31], v[6:7] neg_lo:[0,0,1] neg_hi:[0,0,1]
	v_pk_fma_f32 v[6:7], v[34:35], v[30:31], v[6:7] op_sel_hi:[1,0,1]
	s_nop 0
	v_mov_b32_e32 v9, v7
	s_waitcnt vmcnt(0) lgkmcnt(0)
	v_pk_mul_f32 v[6:7], v[12:13], v[42:43] op_sel:[1,1] op_sel_hi:[0,1]
	v_pk_add_f32 v[4:5], v[4:5], v[8:9]
	v_pk_fma_f32 v[8:9], v[12:13], v[42:43], v[6:7] neg_lo:[0,0,1] neg_hi:[0,0,1]
	v_pk_fma_f32 v[6:7], v[12:13], v[42:43], v[6:7] op_sel_hi:[1,0,1]
	s_nop 0
	v_mov_b32_e32 v9, v7
	scratch_load_dwordx2 v[6:7], off, off offset:352
	v_pk_add_f32 v[4:5], v[4:5], v[8:9]
	s_waitcnt vmcnt(0)
	v_pk_add_f32 v[4:5], v[6:7], v[4:5] neg_lo:[0,1] neg_hi:[0,1]
	scratch_store_dwordx2 off, v[4:5], off offset:352
	s_and_saveexec_b64 s[0:1], vcc
	s_cbranch_execz .LBB55_263
; %bb.262:
	scratch_load_dwordx2 v[4:5], off, off offset:344
	v_mov_b32_e32 v3, v2
	scratch_store_dwordx2 off, v[2:3], off offset:344
	s_waitcnt vmcnt(1)
	ds_write_b64 v1, v[4:5]
.LBB55_263:
	s_or_b64 exec, exec, s[0:1]
	s_waitcnt lgkmcnt(0)
	; wave barrier
	ds_read_b128 v[4:7], v2 offset:800
	ds_read_b128 v[8:11], v2 offset:816
	;; [unrolled: 1-line block ×4, first 2 shown]
	scratch_load_dwordx4 v[20:23], off, off offset:352
	v_cmp_lt_u32_e32 vcc, 42, v0
	s_waitcnt vmcnt(0) lgkmcnt(3)
	v_mul_f32_e32 v3, v4, v21
	v_fmac_f32_e32 v3, v5, v20
	v_mul_f32_e32 v24, v6, v23
	v_add_f32_e32 v3, 0, v3
	v_fmac_f32_e32 v24, v7, v22
	v_add_f32_e32 v45, v3, v24
	scratch_load_dwordx4 v[24:27], off, off offset:368
	scratch_load_dwordx4 v[28:31], off, off offset:384
	;; [unrolled: 1-line block ×5, first 2 shown]
	v_mul_f32_e32 v3, v5, v21
	v_fma_f32 v3, v4, v20, -v3
	v_mul_f32_e32 v4, v7, v23
	v_fma_f32 v4, v6, v22, -v4
	v_add_f32_e32 v3, 0, v3
	v_add_f32_e32 v44, v3, v4
	s_waitcnt vmcnt(3) lgkmcnt(1)
	v_pk_mul_f32 v[20:21], v[12:13], v[28:29] op_sel:[1,1] op_sel_hi:[0,1]
	v_pk_fma_f32 v[22:23], v[12:13], v[28:29], v[20:21] neg_lo:[0,0,1] neg_hi:[0,0,1]
	v_pk_fma_f32 v[12:13], v[12:13], v[28:29], v[20:21] op_sel_hi:[1,0,1]
	v_mul_f32_e32 v47, v8, v25
	v_mov_b32_e32 v12, v31
	v_mul_f32_e32 v3, v9, v25
	v_mov_b32_e32 v23, v13
	v_pk_mul_f32 v[12:13], v[14:15], v[12:13] op_sel:[1,0] op_sel_hi:[0,0]
	v_fmac_f32_e32 v47, v9, v24
	v_mul_f32_e32 v49, v10, v27
	v_fma_f32 v46, v8, v24, -v3
	v_mul_f32_e32 v3, v11, v27
	v_pk_fma_f32 v[20:21], v[14:15], v[30:31], v[12:13] neg_lo:[0,0,1] neg_hi:[0,0,1]
	v_pk_fma_f32 v[12:13], v[14:15], v[30:31], v[12:13] op_sel_hi:[1,0,1]
	v_fmac_f32_e32 v49, v11, v26
	v_fma_f32 v48, v10, v26, -v3
	ds_read_b128 v[4:7], v2 offset:864
	ds_read_b128 v[8:11], v2 offset:880
	v_pk_add_f32 v[2:3], v[44:45], v[46:47]
	v_mov_b32_e32 v21, v13
	s_waitcnt vmcnt(2) lgkmcnt(2)
	v_pk_mul_f32 v[12:13], v[16:17], v[32:33] op_sel:[1,1] op_sel_hi:[0,1]
	v_pk_add_f32 v[2:3], v[2:3], v[48:49]
	v_pk_fma_f32 v[14:15], v[16:17], v[32:33], v[12:13] neg_lo:[0,0,1] neg_hi:[0,0,1]
	v_pk_fma_f32 v[12:13], v[16:17], v[32:33], v[12:13] op_sel_hi:[1,0,1]
	v_pk_add_f32 v[2:3], v[2:3], v[22:23]
	v_mov_b32_e32 v12, v35
	v_pk_add_f32 v[2:3], v[2:3], v[20:21]
	v_mov_b32_e32 v15, v13
	v_pk_mul_f32 v[12:13], v[18:19], v[12:13] op_sel:[1,0] op_sel_hi:[0,0]
	v_pk_add_f32 v[2:3], v[2:3], v[14:15]
	v_pk_fma_f32 v[14:15], v[18:19], v[34:35], v[12:13] neg_lo:[0,0,1] neg_hi:[0,0,1]
	v_pk_fma_f32 v[12:13], v[18:19], v[34:35], v[12:13] op_sel_hi:[1,0,1]
	s_nop 0
	v_mov_b32_e32 v15, v13
	s_waitcnt vmcnt(1) lgkmcnt(1)
	v_pk_mul_f32 v[12:13], v[4:5], v[36:37] op_sel:[1,1] op_sel_hi:[0,1]
	v_pk_add_f32 v[2:3], v[2:3], v[14:15]
	v_pk_fma_f32 v[14:15], v[4:5], v[36:37], v[12:13] neg_lo:[0,0,1] neg_hi:[0,0,1]
	v_pk_fma_f32 v[4:5], v[4:5], v[36:37], v[12:13] op_sel_hi:[1,0,1]
	s_nop 0
	v_mov_b32_e32 v4, v39
	v_mov_b32_e32 v15, v5
	v_pk_mul_f32 v[4:5], v[6:7], v[4:5] op_sel:[1,0] op_sel_hi:[0,0]
	v_pk_fma_f32 v[12:13], v[6:7], v[38:39], v[4:5] neg_lo:[0,0,1] neg_hi:[0,0,1]
	v_pk_fma_f32 v[4:5], v[6:7], v[38:39], v[4:5] op_sel_hi:[1,0,1]
	v_pk_add_f32 v[2:3], v[2:3], v[14:15]
	v_mov_b32_e32 v13, v5
	s_waitcnt vmcnt(0) lgkmcnt(0)
	v_pk_mul_f32 v[4:5], v[8:9], v[40:41] op_sel:[1,1] op_sel_hi:[0,1]
	v_pk_fma_f32 v[6:7], v[8:9], v[40:41], v[4:5] neg_lo:[0,0,1] neg_hi:[0,0,1]
	v_pk_fma_f32 v[4:5], v[8:9], v[40:41], v[4:5] op_sel_hi:[1,0,1]
	v_pk_add_f32 v[2:3], v[2:3], v[12:13]
	v_mov_b32_e32 v4, v43
	v_mov_b32_e32 v7, v5
	v_pk_mul_f32 v[4:5], v[10:11], v[4:5] op_sel:[1,0] op_sel_hi:[0,0]
	v_pk_add_f32 v[2:3], v[2:3], v[6:7]
	v_pk_fma_f32 v[6:7], v[10:11], v[42:43], v[4:5] neg_lo:[0,0,1] neg_hi:[0,0,1]
	v_pk_fma_f32 v[4:5], v[10:11], v[42:43], v[4:5] op_sel_hi:[1,0,1]
	s_nop 0
	v_mov_b32_e32 v7, v5
	scratch_load_dwordx2 v[4:5], off, off offset:344
	v_pk_add_f32 v[2:3], v[2:3], v[6:7]
	s_waitcnt vmcnt(0)
	v_pk_add_f32 v[2:3], v[4:5], v[2:3] neg_lo:[0,1] neg_hi:[0,1]
	scratch_store_dwordx2 off, v[2:3], off offset:344
	s_and_saveexec_b64 s[0:1], vcc
	s_cbranch_execz .LBB55_265
; %bb.264:
	scratch_load_dwordx2 v[2:3], off, off offset:336
	v_mov_b32_e32 v4, 0
	v_mov_b32_e32 v5, v4
	scratch_store_dwordx2 off, v[4:5], off offset:336
	s_waitcnt vmcnt(1)
	ds_write_b64 v1, v[2:3]
.LBB55_265:
	s_or_b64 exec, exec, s[0:1]
	s_waitcnt lgkmcnt(0)
	; wave barrier
	scratch_load_dwordx4 v[8:11], off, off offset:344
	scratch_load_dwordx4 v[16:19], off, off offset:360
	v_mov_b32_e32 v2, 0
	ds_read2_b64 v[4:7], v2 offset0:99 offset1:100
	scratch_load_dwordx4 v[24:27], off, off offset:376
	v_cmp_lt_u32_e32 vcc, 41, v0
	s_waitcnt vmcnt(2) lgkmcnt(0)
	v_mul_f32_e32 v3, v4, v9
	v_fmac_f32_e32 v3, v5, v8
	v_mul_f32_e32 v12, v6, v11
	v_add_f32_e32 v3, 0, v3
	v_fmac_f32_e32 v12, v7, v10
	v_add_f32_e32 v3, v3, v12
	ds_read2_b64 v[12:15], v2 offset0:101 offset1:102
	s_waitcnt vmcnt(1) lgkmcnt(0)
	v_mul_f32_e32 v20, v12, v17
	v_fmac_f32_e32 v20, v13, v16
	v_add_f32_e32 v41, v3, v20
	ds_read2_b64 v[20:23], v2 offset0:103 offset1:104
	scratch_load_dwordx4 v[28:31], off, off offset:392
	scratch_load_dwordx4 v[32:35], off, off offset:408
	;; [unrolled: 1-line block ×3, first 2 shown]
	scratch_load_dwordx2 v[46:47], off, off offset:440
	v_mul_f32_e32 v3, v5, v9
	v_fma_f32 v3, v4, v8, -v3
	v_mul_f32_e32 v4, v7, v11
	v_add_f32_e32 v3, 0, v3
	v_fma_f32 v4, v6, v10, -v4
	v_add_f32_e32 v3, v3, v4
	v_mul_f32_e32 v4, v13, v17
	v_fma_f32 v4, v12, v16, -v4
	v_add_f32_e32 v40, v3, v4
	v_mul_f32_e32 v3, v15, v19
	v_fma_f32 v42, v14, v18, -v3
	s_waitcnt vmcnt(4) lgkmcnt(0)
	v_mul_f32_e32 v3, v21, v25
	v_mul_f32_e32 v43, v14, v19
	;; [unrolled: 1-line block ×3, first 2 shown]
	v_fma_f32 v44, v20, v24, -v3
	v_mov_b32_e32 v20, v27
	v_fmac_f32_e32 v43, v15, v18
	v_fmac_f32_e32 v45, v21, v24
	ds_read2_b64 v[4:7], v2 offset0:105 offset1:106
	ds_read2_b64 v[8:11], v2 offset0:107 offset1:108
	;; [unrolled: 1-line block ×3, first 2 shown]
	ds_read_b64 v[16:17], v2 offset:888
	v_pk_mul_f32 v[20:21], v[22:23], v[20:21] op_sel:[1,0] op_sel_hi:[0,0]
	v_pk_fma_f32 v[24:25], v[22:23], v[26:27], v[20:21] neg_lo:[0,0,1] neg_hi:[0,0,1]
	v_pk_fma_f32 v[20:21], v[22:23], v[26:27], v[20:21] op_sel_hi:[1,0,1]
	v_pk_add_f32 v[18:19], v[40:41], v[42:43]
	v_mov_b32_e32 v25, v21
	v_pk_add_f32 v[18:19], v[18:19], v[44:45]
	s_waitcnt vmcnt(3) lgkmcnt(3)
	v_pk_mul_f32 v[20:21], v[4:5], v[28:29] op_sel:[1,1] op_sel_hi:[0,1]
	v_pk_fma_f32 v[22:23], v[4:5], v[28:29], v[20:21] neg_lo:[0,0,1] neg_hi:[0,0,1]
	v_pk_fma_f32 v[4:5], v[4:5], v[28:29], v[20:21] op_sel_hi:[1,0,1]
	v_pk_add_f32 v[18:19], v[18:19], v[24:25]
	v_mov_b32_e32 v23, v5
	v_pk_add_f32 v[4:5], v[18:19], v[22:23]
	v_mov_b32_e32 v18, v31
	v_pk_mul_f32 v[18:19], v[6:7], v[18:19] op_sel:[1,0] op_sel_hi:[0,0]
	v_pk_fma_f32 v[20:21], v[6:7], v[30:31], v[18:19] neg_lo:[0,0,1] neg_hi:[0,0,1]
	v_pk_fma_f32 v[6:7], v[6:7], v[30:31], v[18:19] op_sel_hi:[1,0,1]
	s_nop 0
	v_mov_b32_e32 v21, v7
	s_waitcnt vmcnt(2) lgkmcnt(2)
	v_pk_mul_f32 v[6:7], v[8:9], v[32:33] op_sel:[1,1] op_sel_hi:[0,1]
	v_pk_fma_f32 v[18:19], v[8:9], v[32:33], v[6:7] neg_lo:[0,0,1] neg_hi:[0,0,1]
	v_pk_fma_f32 v[6:7], v[8:9], v[32:33], v[6:7] op_sel_hi:[1,0,1]
	v_pk_add_f32 v[4:5], v[4:5], v[20:21]
	v_mov_b32_e32 v6, v35
	v_mov_b32_e32 v19, v7
	v_pk_mul_f32 v[6:7], v[10:11], v[6:7] op_sel:[1,0] op_sel_hi:[0,0]
	v_pk_fma_f32 v[8:9], v[10:11], v[34:35], v[6:7] neg_lo:[0,0,1] neg_hi:[0,0,1]
	v_pk_fma_f32 v[6:7], v[10:11], v[34:35], v[6:7] op_sel_hi:[1,0,1]
	v_pk_add_f32 v[4:5], v[4:5], v[18:19]
	v_mov_b32_e32 v9, v7
	s_waitcnt vmcnt(1) lgkmcnt(1)
	v_pk_mul_f32 v[6:7], v[12:13], v[36:37] op_sel:[1,1] op_sel_hi:[0,1]
	v_pk_add_f32 v[4:5], v[4:5], v[8:9]
	v_pk_fma_f32 v[8:9], v[12:13], v[36:37], v[6:7] neg_lo:[0,0,1] neg_hi:[0,0,1]
	v_pk_fma_f32 v[6:7], v[12:13], v[36:37], v[6:7] op_sel_hi:[1,0,1]
	s_nop 0
	v_mov_b32_e32 v6, v39
	v_mov_b32_e32 v9, v7
	v_pk_mul_f32 v[6:7], v[14:15], v[6:7] op_sel:[1,0] op_sel_hi:[0,0]
	v_pk_add_f32 v[4:5], v[4:5], v[8:9]
	v_pk_fma_f32 v[8:9], v[14:15], v[38:39], v[6:7] neg_lo:[0,0,1] neg_hi:[0,0,1]
	v_pk_fma_f32 v[6:7], v[14:15], v[38:39], v[6:7] op_sel_hi:[1,0,1]
	s_nop 0
	v_mov_b32_e32 v9, v7
	s_waitcnt vmcnt(0) lgkmcnt(0)
	v_pk_mul_f32 v[6:7], v[16:17], v[46:47] op_sel:[1,1] op_sel_hi:[0,1]
	v_pk_add_f32 v[4:5], v[4:5], v[8:9]
	v_pk_fma_f32 v[8:9], v[16:17], v[46:47], v[6:7] neg_lo:[0,0,1] neg_hi:[0,0,1]
	v_pk_fma_f32 v[6:7], v[16:17], v[46:47], v[6:7] op_sel_hi:[1,0,1]
	s_nop 0
	v_mov_b32_e32 v9, v7
	scratch_load_dwordx2 v[6:7], off, off offset:336
	v_pk_add_f32 v[4:5], v[4:5], v[8:9]
	s_waitcnt vmcnt(0)
	v_pk_add_f32 v[4:5], v[6:7], v[4:5] neg_lo:[0,1] neg_hi:[0,1]
	scratch_store_dwordx2 off, v[4:5], off offset:336
	s_and_saveexec_b64 s[0:1], vcc
	s_cbranch_execz .LBB55_267
; %bb.266:
	scratch_load_dwordx2 v[4:5], off, off offset:328
	v_mov_b32_e32 v3, v2
	scratch_store_dwordx2 off, v[2:3], off offset:328
	s_waitcnt vmcnt(1)
	ds_write_b64 v1, v[4:5]
.LBB55_267:
	s_or_b64 exec, exec, s[0:1]
	s_waitcnt lgkmcnt(0)
	; wave barrier
	ds_read_b128 v[4:7], v2 offset:784
	ds_read_b128 v[8:11], v2 offset:800
	;; [unrolled: 1-line block ×4, first 2 shown]
	scratch_load_dwordx4 v[20:23], off, off offset:336
	v_cmp_lt_u32_e32 vcc, 40, v0
	s_waitcnt vmcnt(0) lgkmcnt(3)
	v_mul_f32_e32 v3, v4, v21
	v_fmac_f32_e32 v3, v5, v20
	v_mul_f32_e32 v24, v6, v23
	v_add_f32_e32 v3, 0, v3
	v_fmac_f32_e32 v24, v7, v22
	v_add_f32_e32 v3, v3, v24
	scratch_load_dwordx4 v[24:27], off, off offset:352
	s_waitcnt vmcnt(0) lgkmcnt(2)
	v_mul_f32_e32 v28, v8, v25
	v_fmac_f32_e32 v28, v9, v24
	v_add_f32_e32 v3, v3, v28
	v_mul_f32_e32 v28, v10, v27
	v_fmac_f32_e32 v28, v11, v26
	v_add_f32_e32 v49, v3, v28
	scratch_load_dwordx4 v[28:31], off, off offset:368
	scratch_load_dwordx4 v[32:35], off, off offset:384
	;; [unrolled: 1-line block ×5, first 2 shown]
	v_mul_f32_e32 v3, v5, v21
	v_fma_f32 v3, v4, v20, -v3
	v_mul_f32_e32 v4, v7, v23
	v_add_f32_e32 v3, 0, v3
	v_fma_f32 v4, v6, v22, -v4
	v_add_f32_e32 v3, v3, v4
	v_mul_f32_e32 v4, v9, v25
	v_fma_f32 v4, v8, v24, -v4
	v_add_f32_e32 v3, v3, v4
	v_mul_f32_e32 v4, v11, v27
	v_fma_f32 v4, v10, v26, -v4
	v_add_f32_e32 v48, v3, v4
	s_waitcnt vmcnt(3) lgkmcnt(0)
	v_pk_mul_f32 v[20:21], v[16:17], v[32:33] op_sel:[1,1] op_sel_hi:[0,1]
	v_pk_fma_f32 v[22:23], v[16:17], v[32:33], v[20:21] neg_lo:[0,0,1] neg_hi:[0,0,1]
	v_mul_f32_e32 v3, v13, v29
	v_mul_f32_e32 v51, v12, v29
	;; [unrolled: 1-line block ×3, first 2 shown]
	v_fma_f32 v50, v12, v28, -v3
	v_mul_f32_e32 v3, v15, v31
	v_pk_fma_f32 v[16:17], v[16:17], v[32:33], v[20:21] op_sel_hi:[1,0,1]
	v_fmac_f32_e32 v51, v13, v28
	v_fmac_f32_e32 v53, v15, v30
	v_fma_f32 v52, v14, v30, -v3
	ds_read_b128 v[4:7], v2 offset:848
	ds_read_b128 v[8:11], v2 offset:864
	;; [unrolled: 1-line block ×3, first 2 shown]
	v_mov_b32_e32 v16, v35
	v_mov_b32_e32 v23, v17
	v_pk_mul_f32 v[16:17], v[18:19], v[16:17] op_sel:[1,0] op_sel_hi:[0,0]
	v_pk_fma_f32 v[20:21], v[18:19], v[34:35], v[16:17] neg_lo:[0,0,1] neg_hi:[0,0,1]
	v_pk_fma_f32 v[16:17], v[18:19], v[34:35], v[16:17] op_sel_hi:[1,0,1]
	v_pk_add_f32 v[2:3], v[48:49], v[50:51]
	v_mov_b32_e32 v21, v17
	s_waitcnt vmcnt(2) lgkmcnt(2)
	v_pk_mul_f32 v[16:17], v[4:5], v[36:37] op_sel:[1,1] op_sel_hi:[0,1]
	v_pk_fma_f32 v[18:19], v[4:5], v[36:37], v[16:17] neg_lo:[0,0,1] neg_hi:[0,0,1]
	v_pk_fma_f32 v[4:5], v[4:5], v[36:37], v[16:17] op_sel_hi:[1,0,1]
	v_pk_add_f32 v[2:3], v[2:3], v[52:53]
	v_mov_b32_e32 v4, v39
	v_mov_b32_e32 v19, v5
	v_pk_mul_f32 v[4:5], v[6:7], v[4:5] op_sel:[1,0] op_sel_hi:[0,0]
	v_pk_fma_f32 v[16:17], v[6:7], v[38:39], v[4:5] neg_lo:[0,0,1] neg_hi:[0,0,1]
	v_pk_fma_f32 v[4:5], v[6:7], v[38:39], v[4:5] op_sel_hi:[1,0,1]
	v_pk_add_f32 v[2:3], v[2:3], v[22:23]
	v_mov_b32_e32 v17, v5
	s_waitcnt vmcnt(1) lgkmcnt(1)
	v_pk_mul_f32 v[4:5], v[8:9], v[40:41] op_sel:[1,1] op_sel_hi:[0,1]
	v_pk_add_f32 v[2:3], v[2:3], v[20:21]
	v_pk_fma_f32 v[6:7], v[8:9], v[40:41], v[4:5] neg_lo:[0,0,1] neg_hi:[0,0,1]
	v_pk_fma_f32 v[4:5], v[8:9], v[40:41], v[4:5] op_sel_hi:[1,0,1]
	v_pk_add_f32 v[2:3], v[2:3], v[18:19]
	v_mov_b32_e32 v4, v43
	v_pk_add_f32 v[2:3], v[2:3], v[16:17]
	v_mov_b32_e32 v7, v5
	v_pk_mul_f32 v[4:5], v[10:11], v[4:5] op_sel:[1,0] op_sel_hi:[0,0]
	v_pk_add_f32 v[2:3], v[2:3], v[6:7]
	v_pk_fma_f32 v[6:7], v[10:11], v[42:43], v[4:5] neg_lo:[0,0,1] neg_hi:[0,0,1]
	v_pk_fma_f32 v[4:5], v[10:11], v[42:43], v[4:5] op_sel_hi:[1,0,1]
	s_nop 0
	v_mov_b32_e32 v7, v5
	s_waitcnt vmcnt(0) lgkmcnt(0)
	v_pk_mul_f32 v[4:5], v[12:13], v[44:45] op_sel:[1,1] op_sel_hi:[0,1]
	v_pk_add_f32 v[2:3], v[2:3], v[6:7]
	v_pk_fma_f32 v[6:7], v[12:13], v[44:45], v[4:5] neg_lo:[0,0,1] neg_hi:[0,0,1]
	v_pk_fma_f32 v[4:5], v[12:13], v[44:45], v[4:5] op_sel_hi:[1,0,1]
	s_nop 0
	v_mov_b32_e32 v4, v47
	v_mov_b32_e32 v7, v5
	v_pk_mul_f32 v[4:5], v[14:15], v[4:5] op_sel:[1,0] op_sel_hi:[0,0]
	v_pk_add_f32 v[2:3], v[2:3], v[6:7]
	v_pk_fma_f32 v[6:7], v[14:15], v[46:47], v[4:5] neg_lo:[0,0,1] neg_hi:[0,0,1]
	v_pk_fma_f32 v[4:5], v[14:15], v[46:47], v[4:5] op_sel_hi:[1,0,1]
	s_nop 0
	v_mov_b32_e32 v7, v5
	scratch_load_dwordx2 v[4:5], off, off offset:328
	v_pk_add_f32 v[2:3], v[2:3], v[6:7]
	s_waitcnt vmcnt(0)
	v_pk_add_f32 v[2:3], v[4:5], v[2:3] neg_lo:[0,1] neg_hi:[0,1]
	scratch_store_dwordx2 off, v[2:3], off offset:328
	s_and_saveexec_b64 s[0:1], vcc
	s_cbranch_execz .LBB55_269
; %bb.268:
	scratch_load_dwordx2 v[2:3], off, off offset:320
	v_mov_b32_e32 v4, 0
	v_mov_b32_e32 v5, v4
	scratch_store_dwordx2 off, v[4:5], off offset:320
	s_waitcnt vmcnt(1)
	ds_write_b64 v1, v[2:3]
.LBB55_269:
	s_or_b64 exec, exec, s[0:1]
	s_waitcnt lgkmcnt(0)
	; wave barrier
	scratch_load_dwordx4 v[8:11], off, off offset:328
	scratch_load_dwordx4 v[16:19], off, off offset:344
	;; [unrolled: 1-line block ×4, first 2 shown]
	v_mov_b32_e32 v2, 0
	ds_read2_b64 v[4:7], v2 offset0:97 offset1:98
	v_cmp_lt_u32_e32 vcc, 39, v0
	s_waitcnt vmcnt(3) lgkmcnt(0)
	v_mul_f32_e32 v3, v4, v9
	v_fmac_f32_e32 v3, v5, v8
	v_mul_f32_e32 v12, v6, v11
	v_add_f32_e32 v3, 0, v3
	v_fmac_f32_e32 v12, v7, v10
	v_add_f32_e32 v3, v3, v12
	ds_read2_b64 v[12:15], v2 offset0:99 offset1:100
	s_waitcnt vmcnt(2) lgkmcnt(0)
	v_mul_f32_e32 v20, v12, v17
	v_fmac_f32_e32 v20, v13, v16
	v_add_f32_e32 v3, v3, v20
	v_mul_f32_e32 v20, v14, v19
	v_fmac_f32_e32 v20, v15, v18
	v_add_f32_e32 v3, v3, v20
	ds_read2_b64 v[20:23], v2 offset0:101 offset1:102
	s_waitcnt vmcnt(1) lgkmcnt(0)
	v_mul_f32_e32 v28, v20, v25
	v_fmac_f32_e32 v28, v21, v24
	v_add_f32_e32 v49, v3, v28
	ds_read2_b64 v[28:31], v2 offset0:103 offset1:104
	scratch_load_dwordx4 v[36:39], off, off offset:392
	scratch_load_dwordx4 v[40:43], off, off offset:408
	;; [unrolled: 1-line block ×3, first 2 shown]
	scratch_load_dwordx2 v[54:55], off, off offset:440
	v_mul_f32_e32 v3, v5, v9
	v_fma_f32 v3, v4, v8, -v3
	v_mul_f32_e32 v4, v7, v11
	v_add_f32_e32 v3, 0, v3
	v_fma_f32 v4, v6, v10, -v4
	v_add_f32_e32 v3, v3, v4
	v_mul_f32_e32 v4, v13, v17
	v_fma_f32 v4, v12, v16, -v4
	v_add_f32_e32 v3, v3, v4
	v_mul_f32_e32 v4, v15, v19
	;; [unrolled: 3-line block ×3, first 2 shown]
	v_fma_f32 v4, v20, v24, -v4
	v_mul_f32_e32 v51, v22, v27
	v_add_f32_e32 v48, v3, v4
	v_mul_f32_e32 v3, v23, v27
	s_waitcnt vmcnt(4)
	v_mov_b32_e32 v20, v35
	v_fmac_f32_e32 v51, v23, v26
	s_waitcnt lgkmcnt(0)
	v_mul_f32_e32 v53, v28, v33
	v_fma_f32 v50, v22, v26, -v3
	v_mul_f32_e32 v3, v29, v33
	ds_read2_b64 v[4:7], v2 offset0:105 offset1:106
	ds_read2_b64 v[8:11], v2 offset0:107 offset1:108
	;; [unrolled: 1-line block ×3, first 2 shown]
	ds_read_b64 v[16:17], v2 offset:888
	v_pk_mul_f32 v[20:21], v[30:31], v[20:21] op_sel:[1,0] op_sel_hi:[0,0]
	v_fmac_f32_e32 v53, v29, v32
	v_fma_f32 v52, v28, v32, -v3
	v_pk_add_f32 v[18:19], v[48:49], v[50:51]
	v_pk_fma_f32 v[22:23], v[30:31], v[34:35], v[20:21] neg_lo:[0,0,1] neg_hi:[0,0,1]
	v_pk_fma_f32 v[20:21], v[30:31], v[34:35], v[20:21] op_sel_hi:[1,0,1]
	v_pk_add_f32 v[18:19], v[18:19], v[52:53]
	v_mov_b32_e32 v23, v21
	v_pk_add_f32 v[18:19], v[18:19], v[22:23]
	s_waitcnt vmcnt(3) lgkmcnt(3)
	v_pk_mul_f32 v[20:21], v[4:5], v[36:37] op_sel:[1,1] op_sel_hi:[0,1]
	v_pk_fma_f32 v[22:23], v[4:5], v[36:37], v[20:21] neg_lo:[0,0,1] neg_hi:[0,0,1]
	v_pk_fma_f32 v[4:5], v[4:5], v[36:37], v[20:21] op_sel_hi:[1,0,1]
	s_nop 0
	v_mov_b32_e32 v23, v5
	v_pk_add_f32 v[4:5], v[18:19], v[22:23]
	v_mov_b32_e32 v18, v39
	v_pk_mul_f32 v[18:19], v[6:7], v[18:19] op_sel:[1,0] op_sel_hi:[0,0]
	v_pk_fma_f32 v[20:21], v[6:7], v[38:39], v[18:19] neg_lo:[0,0,1] neg_hi:[0,0,1]
	v_pk_fma_f32 v[6:7], v[6:7], v[38:39], v[18:19] op_sel_hi:[1,0,1]
	s_nop 0
	v_mov_b32_e32 v21, v7
	s_waitcnt vmcnt(2) lgkmcnt(2)
	v_pk_mul_f32 v[6:7], v[8:9], v[40:41] op_sel:[1,1] op_sel_hi:[0,1]
	v_pk_fma_f32 v[18:19], v[8:9], v[40:41], v[6:7] neg_lo:[0,0,1] neg_hi:[0,0,1]
	v_pk_fma_f32 v[6:7], v[8:9], v[40:41], v[6:7] op_sel_hi:[1,0,1]
	v_pk_add_f32 v[4:5], v[4:5], v[20:21]
	v_mov_b32_e32 v6, v43
	v_mov_b32_e32 v19, v7
	v_pk_mul_f32 v[6:7], v[10:11], v[6:7] op_sel:[1,0] op_sel_hi:[0,0]
	v_pk_fma_f32 v[8:9], v[10:11], v[42:43], v[6:7] neg_lo:[0,0,1] neg_hi:[0,0,1]
	v_pk_fma_f32 v[6:7], v[10:11], v[42:43], v[6:7] op_sel_hi:[1,0,1]
	v_pk_add_f32 v[4:5], v[4:5], v[18:19]
	v_mov_b32_e32 v9, v7
	s_waitcnt vmcnt(1) lgkmcnt(1)
	v_pk_mul_f32 v[6:7], v[12:13], v[44:45] op_sel:[1,1] op_sel_hi:[0,1]
	v_pk_add_f32 v[4:5], v[4:5], v[8:9]
	v_pk_fma_f32 v[8:9], v[12:13], v[44:45], v[6:7] neg_lo:[0,0,1] neg_hi:[0,0,1]
	v_pk_fma_f32 v[6:7], v[12:13], v[44:45], v[6:7] op_sel_hi:[1,0,1]
	s_nop 0
	v_mov_b32_e32 v6, v47
	v_mov_b32_e32 v9, v7
	v_pk_mul_f32 v[6:7], v[14:15], v[6:7] op_sel:[1,0] op_sel_hi:[0,0]
	v_pk_add_f32 v[4:5], v[4:5], v[8:9]
	v_pk_fma_f32 v[8:9], v[14:15], v[46:47], v[6:7] neg_lo:[0,0,1] neg_hi:[0,0,1]
	v_pk_fma_f32 v[6:7], v[14:15], v[46:47], v[6:7] op_sel_hi:[1,0,1]
	s_nop 0
	v_mov_b32_e32 v9, v7
	s_waitcnt vmcnt(0) lgkmcnt(0)
	v_pk_mul_f32 v[6:7], v[16:17], v[54:55] op_sel:[1,1] op_sel_hi:[0,1]
	v_pk_add_f32 v[4:5], v[4:5], v[8:9]
	v_pk_fma_f32 v[8:9], v[16:17], v[54:55], v[6:7] neg_lo:[0,0,1] neg_hi:[0,0,1]
	v_pk_fma_f32 v[6:7], v[16:17], v[54:55], v[6:7] op_sel_hi:[1,0,1]
	s_nop 0
	v_mov_b32_e32 v9, v7
	scratch_load_dwordx2 v[6:7], off, off offset:320
	v_pk_add_f32 v[4:5], v[4:5], v[8:9]
	s_waitcnt vmcnt(0)
	v_pk_add_f32 v[4:5], v[6:7], v[4:5] neg_lo:[0,1] neg_hi:[0,1]
	scratch_store_dwordx2 off, v[4:5], off offset:320
	s_and_saveexec_b64 s[0:1], vcc
	s_cbranch_execz .LBB55_271
; %bb.270:
	scratch_load_dwordx2 v[4:5], off, off offset:312
	v_mov_b32_e32 v3, v2
	scratch_store_dwordx2 off, v[2:3], off offset:312
	s_waitcnt vmcnt(1)
	ds_write_b64 v1, v[4:5]
.LBB55_271:
	s_or_b64 exec, exec, s[0:1]
	s_waitcnt lgkmcnt(0)
	; wave barrier
	ds_read_b128 v[4:7], v2 offset:768
	ds_read_b128 v[8:11], v2 offset:784
	;; [unrolled: 1-line block ×4, first 2 shown]
	scratch_load_dwordx4 v[20:23], off, off offset:320
	v_cmp_lt_u32_e32 vcc, 38, v0
	s_waitcnt vmcnt(0) lgkmcnt(3)
	v_mul_f32_e32 v3, v4, v21
	v_fmac_f32_e32 v3, v5, v20
	v_mul_f32_e32 v24, v6, v23
	v_add_f32_e32 v3, 0, v3
	v_fmac_f32_e32 v24, v7, v22
	v_add_f32_e32 v3, v3, v24
	scratch_load_dwordx4 v[24:27], off, off offset:336
	s_waitcnt vmcnt(0) lgkmcnt(2)
	v_mul_f32_e32 v28, v8, v25
	v_fmac_f32_e32 v28, v9, v24
	v_add_f32_e32 v3, v3, v28
	v_mul_f32_e32 v28, v10, v27
	v_fmac_f32_e32 v28, v11, v26
	v_add_f32_e32 v3, v3, v28
	scratch_load_dwordx4 v[28:31], off, off offset:352
	s_waitcnt vmcnt(0) lgkmcnt(1)
	v_mul_f32_e32 v32, v12, v29
	v_fmac_f32_e32 v32, v13, v28
	v_add_f32_e32 v3, v3, v32
	v_mul_f32_e32 v32, v14, v31
	v_fmac_f32_e32 v32, v15, v30
	v_add_f32_e32 v53, v3, v32
	scratch_load_dwordx4 v[32:35], off, off offset:368
	scratch_load_dwordx4 v[36:39], off, off offset:384
	;; [unrolled: 1-line block ×5, first 2 shown]
	v_mul_f32_e32 v3, v5, v21
	v_fma_f32 v3, v4, v20, -v3
	v_mul_f32_e32 v4, v7, v23
	v_add_f32_e32 v3, 0, v3
	v_fma_f32 v4, v6, v22, -v4
	v_add_f32_e32 v3, v3, v4
	v_mul_f32_e32 v4, v9, v25
	v_fma_f32 v4, v8, v24, -v4
	v_add_f32_e32 v3, v3, v4
	v_mul_f32_e32 v4, v11, v27
	;; [unrolled: 3-line block ×4, first 2 shown]
	v_fma_f32 v4, v14, v30, -v4
	v_add_f32_e32 v52, v3, v4
	s_waitcnt vmcnt(4) lgkmcnt(0)
	v_mul_f32_e32 v3, v17, v33
	v_mul_f32_e32 v55, v16, v33
	v_mul_f32_e32 v57, v18, v35
	v_fma_f32 v54, v16, v32, -v3
	v_mul_f32_e32 v3, v19, v35
	v_fmac_f32_e32 v55, v17, v32
	v_fmac_f32_e32 v57, v19, v34
	v_fma_f32 v56, v18, v34, -v3
	ds_read_b128 v[4:7], v2 offset:832
	ds_read_b128 v[8:11], v2 offset:848
	;; [unrolled: 1-line block ×4, first 2 shown]
	v_pk_add_f32 v[2:3], v[52:53], v[54:55]
	s_waitcnt vmcnt(3) lgkmcnt(3)
	v_pk_mul_f32 v[20:21], v[4:5], v[36:37] op_sel:[1,1] op_sel_hi:[0,1]
	v_pk_fma_f32 v[22:23], v[4:5], v[36:37], v[20:21] neg_lo:[0,0,1] neg_hi:[0,0,1]
	v_pk_fma_f32 v[4:5], v[4:5], v[36:37], v[20:21] op_sel_hi:[1,0,1]
	v_pk_add_f32 v[2:3], v[2:3], v[56:57]
	v_mov_b32_e32 v4, v39
	v_mov_b32_e32 v23, v5
	v_pk_mul_f32 v[4:5], v[6:7], v[4:5] op_sel:[1,0] op_sel_hi:[0,0]
	v_pk_fma_f32 v[20:21], v[6:7], v[38:39], v[4:5] neg_lo:[0,0,1] neg_hi:[0,0,1]
	v_pk_fma_f32 v[4:5], v[6:7], v[38:39], v[4:5] op_sel_hi:[1,0,1]
	v_pk_add_f32 v[2:3], v[2:3], v[22:23]
	v_mov_b32_e32 v21, v5
	s_waitcnt vmcnt(2) lgkmcnt(2)
	v_pk_mul_f32 v[4:5], v[8:9], v[40:41] op_sel:[1,1] op_sel_hi:[0,1]
	v_pk_fma_f32 v[6:7], v[8:9], v[40:41], v[4:5] neg_lo:[0,0,1] neg_hi:[0,0,1]
	v_pk_fma_f32 v[4:5], v[8:9], v[40:41], v[4:5] op_sel_hi:[1,0,1]
	v_pk_add_f32 v[2:3], v[2:3], v[20:21]
	v_mov_b32_e32 v4, v43
	v_mov_b32_e32 v7, v5
	v_pk_mul_f32 v[4:5], v[10:11], v[4:5] op_sel:[1,0] op_sel_hi:[0,0]
	v_pk_add_f32 v[2:3], v[2:3], v[6:7]
	v_pk_fma_f32 v[6:7], v[10:11], v[42:43], v[4:5] neg_lo:[0,0,1] neg_hi:[0,0,1]
	v_pk_fma_f32 v[4:5], v[10:11], v[42:43], v[4:5] op_sel_hi:[1,0,1]
	s_nop 0
	v_mov_b32_e32 v7, v5
	s_waitcnt vmcnt(1) lgkmcnt(1)
	v_pk_mul_f32 v[4:5], v[12:13], v[44:45] op_sel:[1,1] op_sel_hi:[0,1]
	v_pk_add_f32 v[2:3], v[2:3], v[6:7]
	v_pk_fma_f32 v[6:7], v[12:13], v[44:45], v[4:5] neg_lo:[0,0,1] neg_hi:[0,0,1]
	v_pk_fma_f32 v[4:5], v[12:13], v[44:45], v[4:5] op_sel_hi:[1,0,1]
	s_nop 0
	v_mov_b32_e32 v4, v47
	v_mov_b32_e32 v7, v5
	v_pk_mul_f32 v[4:5], v[14:15], v[4:5] op_sel:[1,0] op_sel_hi:[0,0]
	v_pk_add_f32 v[2:3], v[2:3], v[6:7]
	v_pk_fma_f32 v[6:7], v[14:15], v[46:47], v[4:5] neg_lo:[0,0,1] neg_hi:[0,0,1]
	v_pk_fma_f32 v[4:5], v[14:15], v[46:47], v[4:5] op_sel_hi:[1,0,1]
	s_nop 0
	v_mov_b32_e32 v7, v5
	s_waitcnt vmcnt(0) lgkmcnt(0)
	v_pk_mul_f32 v[4:5], v[16:17], v[48:49] op_sel:[1,1] op_sel_hi:[0,1]
	v_pk_add_f32 v[2:3], v[2:3], v[6:7]
	v_pk_fma_f32 v[6:7], v[16:17], v[48:49], v[4:5] neg_lo:[0,0,1] neg_hi:[0,0,1]
	v_pk_fma_f32 v[4:5], v[16:17], v[48:49], v[4:5] op_sel_hi:[1,0,1]
	s_nop 0
	v_mov_b32_e32 v4, v51
	v_mov_b32_e32 v7, v5
	v_pk_mul_f32 v[4:5], v[18:19], v[4:5] op_sel:[1,0] op_sel_hi:[0,0]
	v_pk_add_f32 v[2:3], v[2:3], v[6:7]
	v_pk_fma_f32 v[6:7], v[18:19], v[50:51], v[4:5] neg_lo:[0,0,1] neg_hi:[0,0,1]
	v_pk_fma_f32 v[4:5], v[18:19], v[50:51], v[4:5] op_sel_hi:[1,0,1]
	s_nop 0
	v_mov_b32_e32 v7, v5
	scratch_load_dwordx2 v[4:5], off, off offset:312
	v_pk_add_f32 v[2:3], v[2:3], v[6:7]
	s_waitcnt vmcnt(0)
	v_pk_add_f32 v[2:3], v[4:5], v[2:3] neg_lo:[0,1] neg_hi:[0,1]
	scratch_store_dwordx2 off, v[2:3], off offset:312
	s_and_saveexec_b64 s[0:1], vcc
	s_cbranch_execz .LBB55_273
; %bb.272:
	scratch_load_dwordx2 v[2:3], off, off offset:304
	v_mov_b32_e32 v4, 0
	v_mov_b32_e32 v5, v4
	scratch_store_dwordx2 off, v[4:5], off offset:304
	s_waitcnt vmcnt(1)
	ds_write_b64 v1, v[2:3]
.LBB55_273:
	s_or_b64 exec, exec, s[0:1]
	s_waitcnt lgkmcnt(0)
	; wave barrier
	scratch_load_dwordx4 v[4:7], off, off offset:312
	scratch_load_dwordx4 v[8:11], off, off offset:328
	;; [unrolled: 1-line block ×8, first 2 shown]
	scratch_load_dwordx2 v[68:69], off, off offset:440
	scratch_load_dwordx2 v[70:71], off, off offset:304
	v_mov_b32_e32 v2, 0
	ds_read2_b64 v[36:39], v2 offset0:95 offset1:96
	ds_read2_b64 v[40:43], v2 offset0:97 offset1:98
	;; [unrolled: 1-line block ×8, first 2 shown]
	ds_read_b64 v[72:73], v2 offset:888
	v_cmp_lt_u32_e32 vcc, 37, v0
	s_waitcnt vmcnt(9) lgkmcnt(8)
	v_mul_f32_e32 v79, v38, v7
	v_mul_f32_e32 v3, v36, v5
	s_waitcnt vmcnt(8) lgkmcnt(7)
	v_mul_f32_e32 v83, v40, v9
	s_waitcnt vmcnt(7) lgkmcnt(6)
	v_mul_f32_e32 v87, v44, v13
	v_mul_f32_e32 v5, v37, v5
	;; [unrolled: 1-line block ×5, first 2 shown]
	s_waitcnt vmcnt(5)
	v_mov_b32_e32 v78, v23
	s_waitcnt vmcnt(3) lgkmcnt(2)
	v_pk_mul_f32 v[84:85], v[60:61], v[28:29] op_sel:[1,1] op_sel_hi:[0,1]
	v_fmac_f32_e32 v79, v39, v6
	v_mul_f32_e32 v86, v42, v11
	v_mul_f32_e32 v89, v48, v17
	;; [unrolled: 1-line block ×4, first 2 shown]
	v_fmac_f32_e32 v3, v37, v4
	v_fmac_f32_e32 v87, v45, v12
	v_fma_f32 v36, v36, v4, -v5
	v_fma_f32 v37, v38, v6, -v7
	;; [unrolled: 1-line block ×4, first 2 shown]
	v_pk_mul_f32 v[4:5], v[54:55], v[78:79] op_sel:[1,0] op_sel_hi:[0,0]
	v_pk_fma_f32 v[12:13], v[60:61], v[28:29], v[84:85] neg_lo:[0,0,1] neg_hi:[0,0,1]
	v_fmac_f32_e32 v89, v49, v16
	v_fma_f32 v39, v42, v10, -v11
	v_fma_f32 v42, v48, v16, -v17
	v_add_f32_e32 v3, 0, v3
	v_add_f32_e32 v13, 0, v36
	v_pk_fma_f32 v[16:17], v[54:55], v[22:23], v[4:5] neg_lo:[0,0,1] neg_hi:[0,0,1]
	v_pk_fma_f32 v[4:5], v[54:55], v[22:23], v[4:5] op_sel_hi:[1,0,1]
	v_fmac_f32_e32 v83, v41, v8
	v_add_f32_e32 v3, v3, v79
	v_add_f32_e32 v4, v13, v37
	v_fmac_f32_e32 v86, v43, v10
	v_add_f32_e32 v3, v3, v83
	v_add_f32_e32 v4, v4, v38
	v_mul_f32_e32 v88, v46, v15
	v_mul_f32_e32 v15, v47, v15
	v_add_f32_e32 v3, v3, v86
	v_add_f32_e32 v4, v4, v39
	v_fmac_f32_e32 v88, v47, v14
	v_fma_f32 v41, v46, v14, -v15
	v_add_f32_e32 v3, v3, v87
	v_add_f32_e32 v4, v4, v40
	v_mul_f32_e32 v75, v50, v19
	v_mul_f32_e32 v19, v51, v19
	v_add_f32_e32 v3, v3, v88
	v_add_f32_e32 v4, v4, v41
	v_mul_f32_e32 v77, v52, v21
	v_mul_f32_e32 v21, v53, v21
	v_fmac_f32_e32 v75, v51, v18
	v_fma_f32 v74, v50, v18, -v19
	v_mov_b32_e32 v17, v5
	v_add_f32_e32 v5, v3, v89
	v_add_f32_e32 v4, v4, v42
	v_pk_mul_f32 v[80:81], v[56:57], v[24:25] op_sel:[1,1] op_sel_hi:[0,1]
	v_fmac_f32_e32 v77, v53, v20
	v_fma_f32 v76, v52, v20, -v21
	v_pk_add_f32 v[4:5], v[4:5], v[74:75]
	v_mov_b32_e32 v82, v27
	v_pk_fma_f32 v[6:7], v[56:57], v[24:25], v[80:81] neg_lo:[0,0,1] neg_hi:[0,0,1]
	v_pk_fma_f32 v[8:9], v[56:57], v[24:25], v[80:81] op_sel_hi:[1,0,1]
	v_pk_add_f32 v[4:5], v[4:5], v[76:77]
	v_pk_mul_f32 v[10:11], v[58:59], v[82:83] op_sel:[1,0] op_sel_hi:[0,0]
	v_mov_b32_e32 v7, v9
	v_pk_add_f32 v[4:5], v[4:5], v[16:17]
	v_pk_fma_f32 v[8:9], v[58:59], v[26:27], v[10:11] neg_lo:[0,0,1] neg_hi:[0,0,1]
	v_pk_fma_f32 v[10:11], v[58:59], v[26:27], v[10:11] op_sel_hi:[1,0,1]
	v_pk_add_f32 v[4:5], v[4:5], v[6:7]
	v_mov_b32_e32 v6, v31
	v_pk_fma_f32 v[14:15], v[60:61], v[28:29], v[84:85] op_sel_hi:[1,0,1]
	v_mov_b32_e32 v9, v11
	v_pk_mul_f32 v[6:7], v[62:63], v[6:7] op_sel:[1,0] op_sel_hi:[0,0]
	v_pk_add_f32 v[4:5], v[4:5], v[8:9]
	v_mov_b32_e32 v13, v15
	v_pk_fma_f32 v[8:9], v[62:63], v[30:31], v[6:7] neg_lo:[0,0,1] neg_hi:[0,0,1]
	v_pk_fma_f32 v[6:7], v[62:63], v[30:31], v[6:7] op_sel_hi:[1,0,1]
	v_pk_add_f32 v[4:5], v[4:5], v[12:13]
	v_mov_b32_e32 v9, v7
	s_waitcnt vmcnt(2) lgkmcnt(1)
	v_pk_mul_f32 v[6:7], v[64:65], v[32:33] op_sel:[1,1] op_sel_hi:[0,1]
	v_pk_add_f32 v[4:5], v[4:5], v[8:9]
	v_pk_fma_f32 v[8:9], v[64:65], v[32:33], v[6:7] neg_lo:[0,0,1] neg_hi:[0,0,1]
	v_pk_fma_f32 v[6:7], v[64:65], v[32:33], v[6:7] op_sel_hi:[1,0,1]
	s_nop 0
	v_mov_b32_e32 v6, v35
	v_mov_b32_e32 v9, v7
	v_pk_mul_f32 v[6:7], v[66:67], v[6:7] op_sel:[1,0] op_sel_hi:[0,0]
	v_pk_add_f32 v[4:5], v[4:5], v[8:9]
	v_pk_fma_f32 v[8:9], v[66:67], v[34:35], v[6:7] neg_lo:[0,0,1] neg_hi:[0,0,1]
	v_pk_fma_f32 v[6:7], v[66:67], v[34:35], v[6:7] op_sel_hi:[1,0,1]
	s_nop 0
	v_mov_b32_e32 v9, v7
	s_waitcnt vmcnt(1) lgkmcnt(0)
	v_pk_mul_f32 v[6:7], v[72:73], v[68:69] op_sel:[1,1] op_sel_hi:[0,1]
	v_pk_add_f32 v[4:5], v[4:5], v[8:9]
	v_pk_fma_f32 v[8:9], v[72:73], v[68:69], v[6:7] neg_lo:[0,0,1] neg_hi:[0,0,1]
	v_pk_fma_f32 v[6:7], v[72:73], v[68:69], v[6:7] op_sel_hi:[1,0,1]
	s_nop 0
	v_mov_b32_e32 v9, v7
	v_pk_add_f32 v[4:5], v[4:5], v[8:9]
	s_waitcnt vmcnt(0)
	v_pk_add_f32 v[4:5], v[70:71], v[4:5] neg_lo:[0,1] neg_hi:[0,1]
	scratch_store_dwordx2 off, v[4:5], off offset:304
	s_and_saveexec_b64 s[0:1], vcc
	s_cbranch_execz .LBB55_275
; %bb.274:
	scratch_load_dwordx2 v[4:5], off, off offset:296
	v_mov_b32_e32 v3, v2
	scratch_store_dwordx2 off, v[2:3], off offset:296
	s_waitcnt vmcnt(1)
	ds_write_b64 v1, v[4:5]
.LBB55_275:
	s_or_b64 exec, exec, s[0:1]
	s_waitcnt lgkmcnt(0)
	; wave barrier
	scratch_load_dwordx4 v[4:7], off, off offset:304
	scratch_load_dwordx4 v[8:11], off, off offset:320
	;; [unrolled: 1-line block ×7, first 2 shown]
	ds_read_b128 v[32:35], v2 offset:752
	ds_read_b128 v[36:39], v2 offset:768
	;; [unrolled: 1-line block ×4, first 2 shown]
	scratch_load_dwordx4 v[48:51], off, off offset:416
	scratch_load_dwordx4 v[52:55], off, off offset:432
	ds_read_b128 v[56:59], v2 offset:816
	ds_read_b128 v[60:63], v2 offset:832
	;; [unrolled: 1-line block ×5, first 2 shown]
	scratch_load_dwordx2 v[2:3], off, off offset:296
	v_cmp_lt_u32_e32 vcc, 36, v0
	s_waitcnt vmcnt(9) lgkmcnt(8)
	v_mul_f32_e32 v83, v32, v5
	v_mul_f32_e32 v86, v34, v7
	s_waitcnt vmcnt(8) lgkmcnt(7)
	v_mul_f32_e32 v87, v36, v9
	s_waitcnt vmcnt(7) lgkmcnt(6)
	v_mul_f32_e32 v89, v40, v13
	v_mul_f32_e32 v5, v33, v5
	;; [unrolled: 1-line block ×5, first 2 shown]
	s_waitcnt vmcnt(4) lgkmcnt(3)
	v_pk_mul_f32 v[80:81], v[60:61], v[24:25] op_sel:[1,1] op_sel_hi:[0,1]
	v_mov_b32_e32 v82, v27
	s_waitcnt vmcnt(3) lgkmcnt(2)
	v_pk_mul_f32 v[84:85], v[64:65], v[28:29] op_sel:[1,1] op_sel_hi:[0,1]
	v_fmac_f32_e32 v83, v33, v4
	v_mul_f32_e32 v90, v42, v15
	v_mul_f32_e32 v91, v44, v17
	;; [unrolled: 1-line block ×4, first 2 shown]
	v_fmac_f32_e32 v86, v35, v6
	v_fmac_f32_e32 v87, v37, v8
	;; [unrolled: 1-line block ×3, first 2 shown]
	v_fma_f32 v32, v32, v4, -v5
	v_fma_f32 v33, v34, v6, -v7
	;; [unrolled: 1-line block ×4, first 2 shown]
	v_pk_fma_f32 v[4:5], v[60:61], v[24:25], v[80:81] neg_lo:[0,0,1] neg_hi:[0,0,1]
	v_pk_fma_f32 v[6:7], v[60:61], v[24:25], v[80:81] op_sel_hi:[1,0,1]
	v_pk_mul_f32 v[8:9], v[62:63], v[82:83] op_sel:[1,0] op_sel_hi:[0,0]
	v_pk_fma_f32 v[12:13], v[64:65], v[28:29], v[84:85] op_sel_hi:[1,0,1]
	v_fmac_f32_e32 v90, v43, v14
	v_fma_f32 v14, v42, v14, -v15
	v_fma_f32 v15, v44, v16, -v17
	v_add_f32_e32 v12, 0, v83
	v_add_f32_e32 v17, 0, v32
	v_mov_b32_e32 v5, v7
	v_pk_fma_f32 v[6:7], v[62:63], v[26:27], v[8:9] neg_lo:[0,0,1] neg_hi:[0,0,1]
	v_pk_fma_f32 v[8:9], v[62:63], v[26:27], v[8:9] op_sel_hi:[1,0,1]
	v_mul_f32_e32 v88, v38, v11
	v_mul_f32_e32 v11, v39, v11
	v_add_f32_e32 v8, v12, v86
	v_add_f32_e32 v12, v17, v33
	v_fmac_f32_e32 v88, v39, v10
	v_fma_f32 v35, v38, v10, -v11
	v_mov_b32_e32 v7, v9
	v_add_f32_e32 v8, v8, v87
	v_add_f32_e32 v9, v12, v34
	v_add_f32_e32 v8, v8, v88
	v_add_f32_e32 v9, v9, v35
	v_add_f32_e32 v8, v8, v89
	v_add_f32_e32 v9, v9, v36
	v_mul_f32_e32 v92, v46, v19
	v_mul_f32_e32 v19, v47, v19
	v_fmac_f32_e32 v91, v45, v16
	v_add_f32_e32 v8, v8, v90
	v_add_f32_e32 v9, v9, v14
	v_mul_f32_e32 v77, v56, v21
	v_mul_f32_e32 v21, v57, v21
	v_fmac_f32_e32 v92, v47, v18
	v_fma_f32 v16, v46, v18, -v19
	v_add_f32_e32 v8, v8, v91
	v_add_f32_e32 v12, v9, v15
	v_mul_f32_e32 v79, v58, v23
	v_mul_f32_e32 v23, v59, v23
	v_fmac_f32_e32 v77, v57, v20
	v_fma_f32 v76, v56, v20, -v21
	v_add_f32_e32 v9, v8, v92
	v_add_f32_e32 v8, v12, v16
	v_fmac_f32_e32 v79, v59, v22
	v_fma_f32 v78, v58, v22, -v23
	v_pk_add_f32 v[8:9], v[8:9], v[76:77]
	v_pk_fma_f32 v[10:11], v[64:65], v[28:29], v[84:85] neg_lo:[0,0,1] neg_hi:[0,0,1]
	v_pk_add_f32 v[8:9], v[8:9], v[78:79]
	v_mov_b32_e32 v11, v13
	v_pk_add_f32 v[4:5], v[8:9], v[4:5]
	s_nop 0
	v_pk_add_f32 v[4:5], v[4:5], v[6:7]
	v_mov_b32_e32 v6, v31
	v_pk_mul_f32 v[6:7], v[66:67], v[6:7] op_sel:[1,0] op_sel_hi:[0,0]
	v_pk_fma_f32 v[8:9], v[66:67], v[30:31], v[6:7] neg_lo:[0,0,1] neg_hi:[0,0,1]
	v_pk_fma_f32 v[6:7], v[66:67], v[30:31], v[6:7] op_sel_hi:[1,0,1]
	v_pk_add_f32 v[4:5], v[4:5], v[10:11]
	v_mov_b32_e32 v9, v7
	s_waitcnt vmcnt(2) lgkmcnt(1)
	v_pk_mul_f32 v[6:7], v[68:69], v[48:49] op_sel:[1,1] op_sel_hi:[0,1]
	v_pk_add_f32 v[4:5], v[4:5], v[8:9]
	v_pk_fma_f32 v[8:9], v[68:69], v[48:49], v[6:7] neg_lo:[0,0,1] neg_hi:[0,0,1]
	v_pk_fma_f32 v[6:7], v[68:69], v[48:49], v[6:7] op_sel_hi:[1,0,1]
	s_nop 0
	v_mov_b32_e32 v6, v51
	v_mov_b32_e32 v9, v7
	v_pk_mul_f32 v[6:7], v[70:71], v[6:7] op_sel:[1,0] op_sel_hi:[0,0]
	v_pk_add_f32 v[4:5], v[4:5], v[8:9]
	v_pk_fma_f32 v[8:9], v[70:71], v[50:51], v[6:7] neg_lo:[0,0,1] neg_hi:[0,0,1]
	v_pk_fma_f32 v[6:7], v[70:71], v[50:51], v[6:7] op_sel_hi:[1,0,1]
	s_nop 0
	v_mov_b32_e32 v9, v7
	s_waitcnt vmcnt(1) lgkmcnt(0)
	v_pk_mul_f32 v[6:7], v[72:73], v[52:53] op_sel:[1,1] op_sel_hi:[0,1]
	v_pk_add_f32 v[4:5], v[4:5], v[8:9]
	v_pk_fma_f32 v[8:9], v[72:73], v[52:53], v[6:7] neg_lo:[0,0,1] neg_hi:[0,0,1]
	v_pk_fma_f32 v[6:7], v[72:73], v[52:53], v[6:7] op_sel_hi:[1,0,1]
	s_nop 0
	v_mov_b32_e32 v6, v55
	v_mov_b32_e32 v9, v7
	v_pk_mul_f32 v[6:7], v[74:75], v[6:7] op_sel:[1,0] op_sel_hi:[0,0]
	v_pk_add_f32 v[4:5], v[4:5], v[8:9]
	v_pk_fma_f32 v[8:9], v[74:75], v[54:55], v[6:7] neg_lo:[0,0,1] neg_hi:[0,0,1]
	v_pk_fma_f32 v[6:7], v[74:75], v[54:55], v[6:7] op_sel_hi:[1,0,1]
	s_nop 0
	v_mov_b32_e32 v9, v7
	v_pk_add_f32 v[4:5], v[4:5], v[8:9]
	s_waitcnt vmcnt(0)
	v_pk_add_f32 v[2:3], v[2:3], v[4:5] neg_lo:[0,1] neg_hi:[0,1]
	scratch_store_dwordx2 off, v[2:3], off offset:296
	s_and_saveexec_b64 s[0:1], vcc
	s_cbranch_execz .LBB55_277
; %bb.276:
	scratch_load_dwordx2 v[2:3], off, off offset:288
	v_mov_b32_e32 v4, 0
	v_mov_b32_e32 v5, v4
	scratch_store_dwordx2 off, v[4:5], off offset:288
	s_waitcnt vmcnt(1)
	ds_write_b64 v1, v[2:3]
.LBB55_277:
	s_or_b64 exec, exec, s[0:1]
	s_waitcnt lgkmcnt(0)
	; wave barrier
	scratch_load_dwordx4 v[4:7], off, off offset:296
	scratch_load_dwordx4 v[8:11], off, off offset:312
	;; [unrolled: 1-line block ×9, first 2 shown]
	scratch_load_dwordx2 v[76:77], off, off offset:440
	scratch_load_dwordx2 v[78:79], off, off offset:288
	v_mov_b32_e32 v2, 0
	ds_read2_b64 v[40:43], v2 offset0:93 offset1:94
	ds_read2_b64 v[44:47], v2 offset0:95 offset1:96
	;; [unrolled: 1-line block ×9, first 2 shown]
	ds_read_b64 v[80:81], v2 offset:888
	v_cmp_lt_u32_e32 vcc, 35, v0
	s_waitcnt vmcnt(10) lgkmcnt(9)
	v_mul_f32_e32 v87, v42, v7
	v_mul_f32_e32 v3, v40, v5
	v_mul_f32_e32 v5, v41, v5
	v_fmac_f32_e32 v87, v43, v6
	s_waitcnt vmcnt(9) lgkmcnt(8)
	v_mul_f32_e32 v88, v44, v9
	s_waitcnt vmcnt(5)
	v_mov_b32_e32 v86, v27
	v_mul_f32_e32 v89, v46, v11
	s_waitcnt lgkmcnt(7)
	v_mul_f32_e32 v91, v50, v15
	v_mul_f32_e32 v7, v43, v7
	v_mul_f32_e32 v9, v45, v9
	v_mul_f32_e32 v11, v47, v11
	v_mul_f32_e32 v15, v51, v15
	v_fmac_f32_e32 v3, v41, v4
	v_fma_f32 v40, v40, v4, -v5
	s_waitcnt lgkmcnt(4)
	v_pk_mul_f32 v[4:5], v[62:63], v[86:87] op_sel:[1,0] op_sel_hi:[0,0]
	v_fmac_f32_e32 v88, v45, v8
	v_fma_f32 v41, v42, v6, -v7
	v_fma_f32 v8, v44, v8, -v9
	;; [unrolled: 1-line block ×4, first 2 shown]
	v_add_f32_e32 v3, 0, v3
	v_add_f32_e32 v15, 0, v40
	v_pk_fma_f32 v[6:7], v[62:63], v[26:27], v[4:5] neg_lo:[0,0,1] neg_hi:[0,0,1]
	v_pk_fma_f32 v[4:5], v[62:63], v[26:27], v[4:5] op_sel_hi:[1,0,1]
	v_add_f32_e32 v3, v3, v87
	v_add_f32_e32 v4, v15, v41
	v_mul_f32_e32 v90, v48, v13
	v_mul_f32_e32 v13, v49, v13
	v_fmac_f32_e32 v89, v47, v10
	v_add_f32_e32 v3, v3, v88
	v_add_f32_e32 v4, v4, v8
	v_fmac_f32_e32 v90, v49, v12
	v_fma_f32 v10, v48, v12, -v13
	v_add_f32_e32 v3, v3, v89
	v_add_f32_e32 v4, v4, v9
	v_mul_f32_e32 v92, v52, v17
	v_mul_f32_e32 v17, v53, v17
	v_fmac_f32_e32 v91, v51, v14
	v_add_f32_e32 v3, v3, v90
	v_add_f32_e32 v4, v4, v10
	v_mul_f32_e32 v93, v54, v19
	v_mul_f32_e32 v19, v55, v19
	v_fmac_f32_e32 v92, v53, v16
	v_fma_f32 v12, v52, v16, -v17
	v_add_f32_e32 v3, v3, v91
	v_add_f32_e32 v4, v4, v11
	v_mul_f32_e32 v94, v56, v21
	v_mul_f32_e32 v21, v57, v21
	v_fmac_f32_e32 v93, v55, v18
	v_fma_f32 v13, v54, v18, -v19
	;; [unrolled: 6-line block ×4, first 2 shown]
	v_mov_b32_e32 v7, v5
	v_add_f32_e32 v5, v3, v94
	v_add_f32_e32 v4, v4, v14
	v_fmac_f32_e32 v85, v61, v24
	v_fma_f32 v84, v60, v24, -v25
	v_pk_add_f32 v[4:5], v[4:5], v[82:83]
	s_nop 0
	v_pk_add_f32 v[4:5], v[4:5], v[84:85]
	s_nop 0
	v_pk_add_f32 v[4:5], v[4:5], v[6:7]
	s_waitcnt vmcnt(4) lgkmcnt(3)
	v_pk_mul_f32 v[6:7], v[64:65], v[28:29] op_sel:[1,1] op_sel_hi:[0,1]
	v_pk_fma_f32 v[8:9], v[64:65], v[28:29], v[6:7] neg_lo:[0,0,1] neg_hi:[0,0,1]
	v_pk_fma_f32 v[6:7], v[64:65], v[28:29], v[6:7] op_sel_hi:[1,0,1]
	s_nop 0
	v_mov_b32_e32 v6, v31
	v_mov_b32_e32 v9, v7
	v_pk_mul_f32 v[6:7], v[66:67], v[6:7] op_sel:[1,0] op_sel_hi:[0,0]
	v_pk_add_f32 v[4:5], v[4:5], v[8:9]
	v_pk_fma_f32 v[8:9], v[66:67], v[30:31], v[6:7] neg_lo:[0,0,1] neg_hi:[0,0,1]
	v_pk_fma_f32 v[6:7], v[66:67], v[30:31], v[6:7] op_sel_hi:[1,0,1]
	s_nop 0
	v_mov_b32_e32 v9, v7
	s_waitcnt vmcnt(3) lgkmcnt(2)
	v_pk_mul_f32 v[6:7], v[68:69], v[32:33] op_sel:[1,1] op_sel_hi:[0,1]
	v_pk_add_f32 v[4:5], v[4:5], v[8:9]
	v_pk_fma_f32 v[8:9], v[68:69], v[32:33], v[6:7] neg_lo:[0,0,1] neg_hi:[0,0,1]
	v_pk_fma_f32 v[6:7], v[68:69], v[32:33], v[6:7] op_sel_hi:[1,0,1]
	s_nop 0
	v_mov_b32_e32 v6, v35
	v_mov_b32_e32 v9, v7
	v_pk_mul_f32 v[6:7], v[70:71], v[6:7] op_sel:[1,0] op_sel_hi:[0,0]
	v_pk_add_f32 v[4:5], v[4:5], v[8:9]
	v_pk_fma_f32 v[8:9], v[70:71], v[34:35], v[6:7] neg_lo:[0,0,1] neg_hi:[0,0,1]
	v_pk_fma_f32 v[6:7], v[70:71], v[34:35], v[6:7] op_sel_hi:[1,0,1]
	s_nop 0
	v_mov_b32_e32 v9, v7
	s_waitcnt vmcnt(2) lgkmcnt(1)
	v_pk_mul_f32 v[6:7], v[72:73], v[36:37] op_sel:[1,1] op_sel_hi:[0,1]
	v_pk_add_f32 v[4:5], v[4:5], v[8:9]
	;; [unrolled: 14-line block ×3, first 2 shown]
	v_pk_fma_f32 v[8:9], v[80:81], v[76:77], v[6:7] neg_lo:[0,0,1] neg_hi:[0,0,1]
	v_pk_fma_f32 v[6:7], v[80:81], v[76:77], v[6:7] op_sel_hi:[1,0,1]
	s_nop 0
	v_mov_b32_e32 v9, v7
	v_pk_add_f32 v[4:5], v[4:5], v[8:9]
	s_waitcnt vmcnt(0)
	v_pk_add_f32 v[4:5], v[78:79], v[4:5] neg_lo:[0,1] neg_hi:[0,1]
	scratch_store_dwordx2 off, v[4:5], off offset:288
	s_and_saveexec_b64 s[0:1], vcc
	s_cbranch_execz .LBB55_279
; %bb.278:
	scratch_load_dwordx2 v[4:5], off, off offset:280
	v_mov_b32_e32 v3, v2
	scratch_store_dwordx2 off, v[2:3], off offset:280
	s_waitcnt vmcnt(1)
	ds_write_b64 v1, v[4:5]
.LBB55_279:
	s_or_b64 exec, exec, s[0:1]
	s_waitcnt lgkmcnt(0)
	; wave barrier
	scratch_load_dwordx4 v[4:7], off, off offset:288
	scratch_load_dwordx4 v[8:11], off, off offset:304
	scratch_load_dwordx4 v[12:15], off, off offset:320
	scratch_load_dwordx4 v[16:19], off, off offset:336
	scratch_load_dwordx4 v[20:23], off, off offset:352
	scratch_load_dwordx4 v[24:27], off, off offset:368
	scratch_load_dwordx4 v[28:31], off, off offset:384
	ds_read_b128 v[32:35], v2 offset:736
	ds_read_b128 v[36:39], v2 offset:752
	;; [unrolled: 1-line block ×6, first 2 shown]
	scratch_load_dwordx4 v[56:59], off, off offset:400
	scratch_load_dwordx4 v[60:63], off, off offset:416
	scratch_load_dwordx4 v[64:67], off, off offset:432
	ds_read_b128 v[68:71], v2 offset:832
	ds_read_b128 v[72:75], v2 offset:848
	;; [unrolled: 1-line block ×4, first 2 shown]
	scratch_load_dwordx2 v[2:3], off, off offset:280
	v_cmp_lt_u32_e32 vcc, 34, v0
	s_waitcnt vmcnt(10) lgkmcnt(9)
	v_mul_f32_e32 v90, v32, v5
	v_mul_f32_e32 v5, v33, v5
	;; [unrolled: 1-line block ×3, first 2 shown]
	s_waitcnt vmcnt(9) lgkmcnt(8)
	v_mul_f32_e32 v92, v36, v9
	s_waitcnt vmcnt(8) lgkmcnt(7)
	v_mul_f32_e32 v95, v42, v15
	v_mul_f32_e32 v7, v35, v7
	;; [unrolled: 1-line block ×4, first 2 shown]
	v_fmac_f32_e32 v90, v33, v4
	v_fma_f32 v4, v32, v4, -v5
	v_fmac_f32_e32 v91, v35, v6
	v_fmac_f32_e32 v95, v43, v14
	v_fma_f32 v5, v34, v6, -v7
	v_fma_f32 v6, v36, v8, -v9
	;; [unrolled: 1-line block ×3, first 2 shown]
	v_add_f32_e32 v14, 0, v90
	v_add_f32_e32 v4, 0, v4
	v_mul_f32_e32 v93, v38, v11
	v_mul_f32_e32 v11, v39, v11
	v_fmac_f32_e32 v92, v37, v8
	v_add_f32_e32 v14, v14, v91
	v_add_f32_e32 v4, v4, v5
	v_mul_f32_e32 v94, v40, v13
	v_mul_f32_e32 v13, v41, v13
	v_fmac_f32_e32 v93, v39, v10
	v_fma_f32 v7, v38, v10, -v11
	v_add_f32_e32 v5, v14, v92
	v_add_f32_e32 v4, v4, v6
	v_fmac_f32_e32 v94, v41, v12
	v_fma_f32 v8, v40, v12, -v13
	v_add_f32_e32 v5, v5, v93
	v_add_f32_e32 v4, v4, v7
	s_waitcnt vmcnt(7) lgkmcnt(6)
	v_mul_f32_e32 v96, v44, v17
	v_mul_f32_e32 v17, v45, v17
	v_add_f32_e32 v5, v5, v94
	v_add_f32_e32 v4, v4, v8
	v_mul_f32_e32 v97, v46, v19
	v_mul_f32_e32 v19, v47, v19
	v_fmac_f32_e32 v96, v45, v16
	v_fma_f32 v10, v44, v16, -v17
	v_add_f32_e32 v5, v5, v95
	v_add_f32_e32 v4, v4, v9
	s_waitcnt vmcnt(6) lgkmcnt(5)
	v_mul_f32_e32 v98, v48, v21
	v_mul_f32_e32 v21, v49, v21
	v_fmac_f32_e32 v97, v47, v18
	v_fma_f32 v11, v46, v18, -v19
	v_add_f32_e32 v5, v5, v96
	v_add_f32_e32 v4, v4, v10
	v_mul_f32_e32 v99, v50, v23
	v_mul_f32_e32 v23, v51, v23
	v_fmac_f32_e32 v98, v49, v20
	v_fma_f32 v12, v48, v20, -v21
	v_add_f32_e32 v5, v5, v97
	v_add_f32_e32 v4, v4, v11
	s_waitcnt vmcnt(5) lgkmcnt(4)
	v_mul_f32_e32 v85, v52, v25
	v_mul_f32_e32 v25, v53, v25
	v_fmac_f32_e32 v99, v51, v22
	v_fma_f32 v13, v50, v22, -v23
	v_add_f32_e32 v5, v5, v98
	v_add_f32_e32 v4, v4, v12
	v_mul_f32_e32 v87, v54, v27
	v_mul_f32_e32 v27, v55, v27
	s_waitcnt vmcnt(4) lgkmcnt(3)
	v_pk_mul_f32 v[88:89], v[68:69], v[28:29] op_sel:[1,1] op_sel_hi:[0,1]
	v_fmac_f32_e32 v85, v53, v24
	v_fma_f32 v84, v52, v24, -v25
	v_add_f32_e32 v5, v5, v99
	v_add_f32_e32 v4, v4, v13
	v_fmac_f32_e32 v87, v55, v26
	v_fma_f32 v86, v54, v26, -v27
	v_pk_add_f32 v[4:5], v[4:5], v[84:85]
	v_pk_fma_f32 v[6:7], v[68:69], v[28:29], v[88:89] neg_lo:[0,0,1] neg_hi:[0,0,1]
	v_pk_fma_f32 v[8:9], v[68:69], v[28:29], v[88:89] op_sel_hi:[1,0,1]
	v_pk_add_f32 v[4:5], v[4:5], v[86:87]
	v_mov_b32_e32 v7, v9
	v_pk_add_f32 v[4:5], v[4:5], v[6:7]
	v_mov_b32_e32 v6, v31
	v_pk_mul_f32 v[6:7], v[70:71], v[6:7] op_sel:[1,0] op_sel_hi:[0,0]
	v_pk_fma_f32 v[8:9], v[70:71], v[30:31], v[6:7] neg_lo:[0,0,1] neg_hi:[0,0,1]
	v_pk_fma_f32 v[6:7], v[70:71], v[30:31], v[6:7] op_sel_hi:[1,0,1]
	s_nop 0
	v_mov_b32_e32 v9, v7
	s_waitcnt vmcnt(3) lgkmcnt(2)
	v_pk_mul_f32 v[6:7], v[72:73], v[56:57] op_sel:[1,1] op_sel_hi:[0,1]
	v_pk_add_f32 v[4:5], v[4:5], v[8:9]
	v_pk_fma_f32 v[8:9], v[72:73], v[56:57], v[6:7] neg_lo:[0,0,1] neg_hi:[0,0,1]
	v_pk_fma_f32 v[6:7], v[72:73], v[56:57], v[6:7] op_sel_hi:[1,0,1]
	s_nop 0
	v_mov_b32_e32 v6, v59
	v_mov_b32_e32 v9, v7
	v_pk_mul_f32 v[6:7], v[74:75], v[6:7] op_sel:[1,0] op_sel_hi:[0,0]
	v_pk_add_f32 v[4:5], v[4:5], v[8:9]
	v_pk_fma_f32 v[8:9], v[74:75], v[58:59], v[6:7] neg_lo:[0,0,1] neg_hi:[0,0,1]
	v_pk_fma_f32 v[6:7], v[74:75], v[58:59], v[6:7] op_sel_hi:[1,0,1]
	s_nop 0
	v_mov_b32_e32 v9, v7
	s_waitcnt vmcnt(2) lgkmcnt(1)
	v_pk_mul_f32 v[6:7], v[76:77], v[60:61] op_sel:[1,1] op_sel_hi:[0,1]
	v_pk_add_f32 v[4:5], v[4:5], v[8:9]
	v_pk_fma_f32 v[8:9], v[76:77], v[60:61], v[6:7] neg_lo:[0,0,1] neg_hi:[0,0,1]
	v_pk_fma_f32 v[6:7], v[76:77], v[60:61], v[6:7] op_sel_hi:[1,0,1]
	s_nop 0
	v_mov_b32_e32 v6, v63
	v_mov_b32_e32 v9, v7
	v_pk_mul_f32 v[6:7], v[78:79], v[6:7] op_sel:[1,0] op_sel_hi:[0,0]
	v_pk_add_f32 v[4:5], v[4:5], v[8:9]
	;; [unrolled: 14-line block ×3, first 2 shown]
	v_pk_fma_f32 v[8:9], v[82:83], v[66:67], v[6:7] neg_lo:[0,0,1] neg_hi:[0,0,1]
	v_pk_fma_f32 v[6:7], v[82:83], v[66:67], v[6:7] op_sel_hi:[1,0,1]
	s_nop 0
	v_mov_b32_e32 v9, v7
	v_pk_add_f32 v[4:5], v[4:5], v[8:9]
	s_waitcnt vmcnt(0)
	v_pk_add_f32 v[2:3], v[2:3], v[4:5] neg_lo:[0,1] neg_hi:[0,1]
	scratch_store_dwordx2 off, v[2:3], off offset:280
	s_and_saveexec_b64 s[0:1], vcc
	s_cbranch_execz .LBB55_281
; %bb.280:
	scratch_load_dwordx2 v[2:3], off, off offset:272
	v_mov_b32_e32 v4, 0
	v_mov_b32_e32 v5, v4
	scratch_store_dwordx2 off, v[4:5], off offset:272
	s_waitcnt vmcnt(1)
	ds_write_b64 v1, v[2:3]
.LBB55_281:
	s_or_b64 exec, exec, s[0:1]
	s_waitcnt lgkmcnt(0)
	; wave barrier
	scratch_load_dwordx4 v[2:5], off, off offset:280
	scratch_load_dwordx4 v[8:11], off, off offset:296
	;; [unrolled: 1-line block ×10, first 2 shown]
	scratch_load_dwordx2 v[76:77], off, off offset:440
	scratch_load_dwordx2 v[78:79], off, off offset:272
	v_mov_b32_e32 v6, 0
	ds_read2_b64 v[44:47], v6 offset0:91 offset1:92
	ds_read2_b64 v[48:51], v6 offset0:93 offset1:94
	;; [unrolled: 1-line block ×8, first 2 shown]
	v_cmp_lt_u32_e32 vcc, 33, v0
	s_waitcnt vmcnt(11) lgkmcnt(7)
	v_mul_f32_e32 v7, v44, v3
	v_mul_f32_e32 v3, v45, v3
	;; [unrolled: 1-line block ×4, first 2 shown]
	v_fmac_f32_e32 v7, v45, v2
	v_fma_f32 v2, v44, v2, -v3
	s_waitcnt vmcnt(10) lgkmcnt(6)
	v_mul_f32_e32 v82, v48, v9
	v_mul_f32_e32 v9, v49, v9
	v_fma_f32 v3, v46, v4, -v5
	v_add_f32_e32 v2, 0, v2
	v_mul_f32_e32 v84, v50, v11
	v_mul_f32_e32 v11, v51, v11
	v_fmac_f32_e32 v80, v47, v4
	v_fma_f32 v4, v48, v8, -v9
	v_add_f32_e32 v7, 0, v7
	v_add_f32_e32 v2, v2, v3
	s_waitcnt vmcnt(9) lgkmcnt(5)
	v_mul_f32_e32 v85, v52, v13
	v_mul_f32_e32 v13, v53, v13
	v_fmac_f32_e32 v82, v49, v8
	v_fma_f32 v5, v50, v10, -v11
	v_add_f32_e32 v7, v7, v80
	v_add_f32_e32 v2, v2, v4
	v_mul_f32_e32 v86, v54, v15
	v_mul_f32_e32 v15, v55, v15
	v_fmac_f32_e32 v84, v51, v10
	v_fma_f32 v8, v52, v12, -v13
	v_add_f32_e32 v3, v7, v82
	v_add_f32_e32 v2, v2, v5
	s_waitcnt vmcnt(8) lgkmcnt(4)
	v_mul_f32_e32 v87, v56, v17
	v_mul_f32_e32 v17, v57, v17
	v_fmac_f32_e32 v85, v53, v12
	v_fma_f32 v9, v54, v14, -v15
	v_add_f32_e32 v3, v3, v84
	;; [unrolled: 13-line block ×4, first 2 shown]
	v_add_f32_e32 v2, v2, v12
	v_fmac_f32_e32 v90, v63, v22
	v_fma_f32 v14, v64, v24, -v25
	v_add_f32_e32 v3, v3, v89
	v_add_f32_e32 v2, v2, v13
	v_mul_f32_e32 v81, v66, v27
	v_fmac_f32_e32 v91, v65, v24
	v_add_f32_e32 v3, v3, v90
	v_add_f32_e32 v12, v2, v14
	v_mul_f32_e32 v2, v67, v27
	s_waitcnt vmcnt(5)
	v_mov_b32_e32 v16, v31
	s_waitcnt lgkmcnt(1)
	v_mul_f32_e32 v83, v68, v29
	v_fmac_f32_e32 v81, v67, v26
	v_add_f32_e32 v13, v3, v91
	v_fma_f32 v80, v66, v26, -v2
	v_mul_f32_e32 v2, v69, v29
	v_pk_mul_f32 v[16:17], v[70:71], v[16:17] op_sel:[1,0] op_sel_hi:[0,0]
	v_fmac_f32_e32 v83, v69, v28
	v_fma_f32 v82, v68, v28, -v2
	v_pk_add_f32 v[12:13], v[12:13], v[80:81]
	v_pk_fma_f32 v[18:19], v[70:71], v[30:31], v[16:17] neg_lo:[0,0,1] neg_hi:[0,0,1]
	v_pk_fma_f32 v[16:17], v[70:71], v[30:31], v[16:17] op_sel_hi:[1,0,1]
	v_pk_add_f32 v[12:13], v[12:13], v[82:83]
	v_mov_b32_e32 v19, v17
	s_waitcnt vmcnt(4) lgkmcnt(0)
	v_pk_mul_f32 v[16:17], v[72:73], v[32:33] op_sel:[1,1] op_sel_hi:[0,1]
	v_pk_add_f32 v[12:13], v[12:13], v[18:19]
	v_pk_fma_f32 v[18:19], v[72:73], v[32:33], v[16:17] neg_lo:[0,0,1] neg_hi:[0,0,1]
	v_pk_fma_f32 v[16:17], v[72:73], v[32:33], v[16:17] op_sel_hi:[1,0,1]
	ds_read2_b64 v[2:5], v6 offset0:107 offset1:108
	ds_read2_b64 v[8:11], v6 offset0:109 offset1:110
	ds_read_b64 v[14:15], v6 offset:888
	v_mov_b32_e32 v16, v35
	v_mov_b32_e32 v19, v17
	v_pk_mul_f32 v[16:17], v[74:75], v[16:17] op_sel:[1,0] op_sel_hi:[0,0]
	v_pk_add_f32 v[12:13], v[12:13], v[18:19]
	v_pk_fma_f32 v[18:19], v[74:75], v[34:35], v[16:17] neg_lo:[0,0,1] neg_hi:[0,0,1]
	v_pk_fma_f32 v[16:17], v[74:75], v[34:35], v[16:17] op_sel_hi:[1,0,1]
	s_nop 0
	v_mov_b32_e32 v19, v17
	s_waitcnt vmcnt(3) lgkmcnt(2)
	v_pk_mul_f32 v[16:17], v[2:3], v[36:37] op_sel:[1,1] op_sel_hi:[0,1]
	v_pk_add_f32 v[12:13], v[12:13], v[18:19]
	v_pk_fma_f32 v[18:19], v[2:3], v[36:37], v[16:17] neg_lo:[0,0,1] neg_hi:[0,0,1]
	v_pk_fma_f32 v[2:3], v[2:3], v[36:37], v[16:17] op_sel_hi:[1,0,1]
	s_nop 0
	v_mov_b32_e32 v19, v3
	v_pk_add_f32 v[2:3], v[12:13], v[18:19]
	v_mov_b32_e32 v12, v39
	v_pk_mul_f32 v[12:13], v[4:5], v[12:13] op_sel:[1,0] op_sel_hi:[0,0]
	v_pk_fma_f32 v[16:17], v[4:5], v[38:39], v[12:13] neg_lo:[0,0,1] neg_hi:[0,0,1]
	v_pk_fma_f32 v[4:5], v[4:5], v[38:39], v[12:13] op_sel_hi:[1,0,1]
	s_nop 0
	v_mov_b32_e32 v17, v5
	s_waitcnt vmcnt(2) lgkmcnt(1)
	v_pk_mul_f32 v[4:5], v[8:9], v[40:41] op_sel:[1,1] op_sel_hi:[0,1]
	v_pk_fma_f32 v[12:13], v[8:9], v[40:41], v[4:5] neg_lo:[0,0,1] neg_hi:[0,0,1]
	v_pk_fma_f32 v[4:5], v[8:9], v[40:41], v[4:5] op_sel_hi:[1,0,1]
	v_pk_add_f32 v[2:3], v[2:3], v[16:17]
	v_mov_b32_e32 v4, v43
	v_mov_b32_e32 v13, v5
	v_pk_mul_f32 v[4:5], v[10:11], v[4:5] op_sel:[1,0] op_sel_hi:[0,0]
	v_pk_fma_f32 v[8:9], v[10:11], v[42:43], v[4:5] neg_lo:[0,0,1] neg_hi:[0,0,1]
	v_pk_fma_f32 v[4:5], v[10:11], v[42:43], v[4:5] op_sel_hi:[1,0,1]
	v_pk_add_f32 v[2:3], v[2:3], v[12:13]
	v_mov_b32_e32 v9, v5
	s_waitcnt vmcnt(1) lgkmcnt(0)
	v_pk_mul_f32 v[4:5], v[14:15], v[76:77] op_sel:[1,1] op_sel_hi:[0,1]
	v_pk_add_f32 v[2:3], v[2:3], v[8:9]
	v_pk_fma_f32 v[8:9], v[14:15], v[76:77], v[4:5] neg_lo:[0,0,1] neg_hi:[0,0,1]
	v_pk_fma_f32 v[4:5], v[14:15], v[76:77], v[4:5] op_sel_hi:[1,0,1]
	s_nop 0
	v_mov_b32_e32 v9, v5
	v_pk_add_f32 v[2:3], v[2:3], v[8:9]
	s_waitcnt vmcnt(0)
	v_pk_add_f32 v[2:3], v[78:79], v[2:3] neg_lo:[0,1] neg_hi:[0,1]
	scratch_store_dwordx2 off, v[2:3], off offset:272
	s_and_saveexec_b64 s[0:1], vcc
	s_cbranch_execz .LBB55_283
; %bb.282:
	scratch_load_dwordx2 v[2:3], off, off offset:264
	v_mov_b32_e32 v7, v6
	scratch_store_dwordx2 off, v[6:7], off offset:264
	s_waitcnt vmcnt(1)
	ds_write_b64 v1, v[2:3]
.LBB55_283:
	s_or_b64 exec, exec, s[0:1]
	s_waitcnt lgkmcnt(0)
	; wave barrier
	scratch_load_dwordx4 v[8:11], off, off offset:272
	scratch_load_dwordx4 v[12:15], off, off offset:288
	;; [unrolled: 1-line block ×7, first 2 shown]
	ds_read_b128 v[36:39], v6 offset:720
	ds_read_b128 v[40:43], v6 offset:736
	;; [unrolled: 1-line block ×6, first 2 shown]
	scratch_load_dwordx4 v[60:63], off, off offset:384
	scratch_load_dwordx4 v[64:67], off, off offset:400
	;; [unrolled: 1-line block ×4, first 2 shown]
	ds_read_b128 v[72:75], v6 offset:816
	ds_read_b128 v[76:79], v6 offset:832
	scratch_load_dwordx2 v[80:81], off, off offset:264
	v_cmp_lt_u32_e32 vcc, 32, v0
	s_waitcnt vmcnt(11) lgkmcnt(7)
	v_mul_f32_e32 v7, v36, v9
	v_mul_f32_e32 v82, v38, v11
	;; [unrolled: 1-line block ×3, first 2 shown]
	v_fmac_f32_e32 v7, v37, v8
	s_waitcnt vmcnt(10) lgkmcnt(6)
	v_mul_f32_e32 v84, v40, v13
	v_mul_f32_e32 v11, v39, v11
	v_fmac_f32_e32 v82, v39, v10
	v_fma_f32 v8, v36, v8, -v9
	v_add_f32_e32 v7, 0, v7
	v_mul_f32_e32 v86, v42, v15
	v_mul_f32_e32 v13, v41, v13
	v_fmac_f32_e32 v84, v41, v12
	v_fma_f32 v9, v38, v10, -v11
	v_add_f32_e32 v8, 0, v8
	v_add_f32_e32 v7, v7, v82
	s_waitcnt vmcnt(9) lgkmcnt(5)
	v_mul_f32_e32 v87, v44, v17
	v_mul_f32_e32 v15, v43, v15
	v_fmac_f32_e32 v86, v43, v14
	v_fma_f32 v10, v40, v12, -v13
	v_add_f32_e32 v8, v8, v9
	v_add_f32_e32 v7, v7, v84
	v_mul_f32_e32 v88, v46, v19
	v_mul_f32_e32 v17, v45, v17
	v_fmac_f32_e32 v87, v45, v16
	v_fma_f32 v11, v42, v14, -v15
	v_add_f32_e32 v8, v8, v10
	v_add_f32_e32 v7, v7, v86
	s_waitcnt vmcnt(8) lgkmcnt(4)
	v_mul_f32_e32 v89, v48, v21
	v_mul_f32_e32 v19, v47, v19
	v_fmac_f32_e32 v88, v47, v18
	v_fma_f32 v12, v44, v16, -v17
	v_add_f32_e32 v8, v8, v11
	;; [unrolled: 13-line block ×4, first 2 shown]
	v_add_f32_e32 v7, v7, v91
	v_mul_f32_e32 v94, v58, v31
	v_mul_f32_e32 v29, v57, v29
	v_fmac_f32_e32 v93, v57, v28
	v_fma_f32 v17, v54, v26, -v27
	v_add_f32_e32 v8, v8, v16
	v_add_f32_e32 v7, v7, v92
	v_fmac_f32_e32 v94, v59, v30
	v_fma_f32 v18, v56, v28, -v29
	v_add_f32_e32 v8, v8, v17
	v_add_f32_e32 v7, v7, v93
	;; [unrolled: 1-line block ×4, first 2 shown]
	v_mul_f32_e32 v8, v59, v31
	v_fma_f32 v8, v58, v30, -v8
	s_waitcnt vmcnt(5) lgkmcnt(1)
	v_mul_f32_e32 v83, v72, v33
	v_add_f32_e32 v20, v7, v8
	v_mul_f32_e32 v7, v73, v33
	v_fmac_f32_e32 v83, v73, v32
	v_fma_f32 v82, v72, v32, -v7
	v_mul_f32_e32 v7, v75, v35
	v_fma_f32 v84, v74, v34, -v7
	ds_read_b128 v[8:11], v6 offset:848
	ds_read_b128 v[12:15], v6 offset:864
	;; [unrolled: 1-line block ×3, first 2 shown]
	v_pk_add_f32 v[6:7], v[20:21], v[82:83]
	s_waitcnt vmcnt(4) lgkmcnt(3)
	v_pk_mul_f32 v[20:21], v[76:77], v[60:61] op_sel:[1,1] op_sel_hi:[0,1]
	v_mul_f32_e32 v85, v74, v35
	v_pk_fma_f32 v[22:23], v[76:77], v[60:61], v[20:21] neg_lo:[0,0,1] neg_hi:[0,0,1]
	v_pk_fma_f32 v[20:21], v[76:77], v[60:61], v[20:21] op_sel_hi:[1,0,1]
	v_fmac_f32_e32 v85, v75, v34
	v_mov_b32_e32 v20, v63
	v_pk_add_f32 v[6:7], v[6:7], v[84:85]
	v_mov_b32_e32 v23, v21
	v_pk_mul_f32 v[20:21], v[78:79], v[20:21] op_sel:[1,0] op_sel_hi:[0,0]
	v_pk_add_f32 v[6:7], v[6:7], v[22:23]
	v_pk_fma_f32 v[22:23], v[78:79], v[62:63], v[20:21] neg_lo:[0,0,1] neg_hi:[0,0,1]
	v_pk_fma_f32 v[20:21], v[78:79], v[62:63], v[20:21] op_sel_hi:[1,0,1]
	s_nop 0
	v_mov_b32_e32 v23, v21
	s_waitcnt vmcnt(3) lgkmcnt(2)
	v_pk_mul_f32 v[20:21], v[8:9], v[64:65] op_sel:[1,1] op_sel_hi:[0,1]
	v_pk_add_f32 v[6:7], v[6:7], v[22:23]
	v_pk_fma_f32 v[22:23], v[8:9], v[64:65], v[20:21] neg_lo:[0,0,1] neg_hi:[0,0,1]
	v_pk_fma_f32 v[8:9], v[8:9], v[64:65], v[20:21] op_sel_hi:[1,0,1]
	s_nop 0
	v_mov_b32_e32 v8, v67
	v_mov_b32_e32 v23, v9
	v_pk_mul_f32 v[8:9], v[10:11], v[8:9] op_sel:[1,0] op_sel_hi:[0,0]
	v_pk_fma_f32 v[20:21], v[10:11], v[66:67], v[8:9] neg_lo:[0,0,1] neg_hi:[0,0,1]
	v_pk_fma_f32 v[8:9], v[10:11], v[66:67], v[8:9] op_sel_hi:[1,0,1]
	v_pk_add_f32 v[6:7], v[6:7], v[22:23]
	v_mov_b32_e32 v21, v9
	s_waitcnt vmcnt(2) lgkmcnt(1)
	v_pk_mul_f32 v[8:9], v[12:13], v[68:69] op_sel:[1,1] op_sel_hi:[0,1]
	v_pk_fma_f32 v[10:11], v[12:13], v[68:69], v[8:9] neg_lo:[0,0,1] neg_hi:[0,0,1]
	v_pk_fma_f32 v[8:9], v[12:13], v[68:69], v[8:9] op_sel_hi:[1,0,1]
	v_pk_add_f32 v[6:7], v[6:7], v[20:21]
	v_mov_b32_e32 v8, v71
	v_mov_b32_e32 v11, v9
	v_pk_mul_f32 v[8:9], v[14:15], v[8:9] op_sel:[1,0] op_sel_hi:[0,0]
	v_pk_add_f32 v[6:7], v[6:7], v[10:11]
	v_pk_fma_f32 v[10:11], v[14:15], v[70:71], v[8:9] neg_lo:[0,0,1] neg_hi:[0,0,1]
	v_pk_fma_f32 v[8:9], v[14:15], v[70:71], v[8:9] op_sel_hi:[1,0,1]
	s_nop 0
	v_mov_b32_e32 v11, v9
	s_waitcnt vmcnt(1) lgkmcnt(0)
	v_pk_mul_f32 v[8:9], v[16:17], v[2:3] op_sel:[1,1] op_sel_hi:[0,1]
	v_pk_add_f32 v[6:7], v[6:7], v[10:11]
	v_pk_fma_f32 v[10:11], v[16:17], v[2:3], v[8:9] neg_lo:[0,0,1] neg_hi:[0,0,1]
	v_pk_fma_f32 v[2:3], v[16:17], v[2:3], v[8:9] op_sel_hi:[1,0,1]
	s_nop 0
	v_mov_b32_e32 v11, v3
	v_pk_add_f32 v[2:3], v[6:7], v[10:11]
	v_mov_b32_e32 v6, v5
	v_pk_mul_f32 v[6:7], v[18:19], v[6:7] op_sel:[1,0] op_sel_hi:[0,0]
	v_pk_fma_f32 v[8:9], v[18:19], v[4:5], v[6:7] neg_lo:[0,0,1] neg_hi:[0,0,1]
	v_pk_fma_f32 v[4:5], v[18:19], v[4:5], v[6:7] op_sel_hi:[1,0,1]
	s_nop 0
	v_mov_b32_e32 v9, v5
	v_pk_add_f32 v[2:3], v[2:3], v[8:9]
	s_waitcnt vmcnt(0)
	v_pk_add_f32 v[2:3], v[80:81], v[2:3] neg_lo:[0,1] neg_hi:[0,1]
	scratch_store_dwordx2 off, v[2:3], off offset:264
	s_and_saveexec_b64 s[0:1], vcc
	s_cbranch_execz .LBB55_285
; %bb.284:
	scratch_load_dwordx2 v[2:3], off, off offset:256
	v_mov_b32_e32 v4, 0
	v_mov_b32_e32 v5, v4
	scratch_store_dwordx2 off, v[4:5], off offset:256
	s_waitcnt vmcnt(1)
	ds_write_b64 v1, v[2:3]
.LBB55_285:
	s_or_b64 exec, exec, s[0:1]
	s_waitcnt lgkmcnt(0)
	; wave barrier
	scratch_load_dwordx4 v[2:5], off, off offset:264
	scratch_load_dwordx4 v[14:17], off, off offset:280
	;; [unrolled: 1-line block ×11, first 2 shown]
	scratch_load_dwordx2 v[22:23], off, off offset:440
	scratch_load_dwordx2 v[36:37], off, off offset:256
	v_mov_b32_e32 v38, 0
	ds_read2_b64 v[52:55], v38 offset0:89 offset1:90
	ds_read2_b64 v[56:59], v38 offset0:91 offset1:92
	ds_read2_b64 v[60:63], v38 offset0:93 offset1:94
	ds_read2_b64 v[64:67], v38 offset0:95 offset1:96
	ds_read2_b64 v[68:71], v38 offset0:97 offset1:98
	ds_read2_b64 v[72:75], v38 offset0:99 offset1:100
	ds_read2_b64 v[76:79], v38 offset0:101 offset1:102
	ds_read2_b64 v[80:83], v38 offset0:103 offset1:104
	v_cmp_lt_u32_e32 vcc, 31, v0
	s_waitcnt vmcnt(12) lgkmcnt(7)
	v_mul_f32_e32 v39, v52, v3
	v_mul_f32_e32 v84, v54, v5
	;; [unrolled: 1-line block ×3, first 2 shown]
	v_fmac_f32_e32 v39, v53, v2
	s_waitcnt vmcnt(8) lgkmcnt(3)
	v_mul_f32_e32 v93, v68, v19
	v_mul_f32_e32 v19, v69, v19
	v_mul_f32_e32 v86, v56, v15
	v_mul_f32_e32 v5, v55, v5
	v_fmac_f32_e32 v84, v55, v4
	v_fmac_f32_e32 v93, v69, v18
	v_fma_f32 v2, v52, v2, -v3
	v_fma_f32 v18, v68, v18, -v19
	v_add_f32_e32 v19, 0, v39
	v_mul_f32_e32 v88, v58, v17
	v_fmac_f32_e32 v86, v57, v14
	v_fma_f32 v3, v54, v4, -v5
	v_add_f32_e32 v2, 0, v2
	v_add_f32_e32 v19, v19, v84
	v_mul_f32_e32 v89, v60, v25
	v_fmac_f32_e32 v88, v59, v16
	v_add_f32_e32 v2, v2, v3
	v_add_f32_e32 v3, v19, v86
	v_mul_f32_e32 v90, v62, v27
	v_fmac_f32_e32 v89, v61, v24
	v_add_f32_e32 v3, v3, v88
	v_mul_f32_e32 v91, v64, v29
	v_mul_f32_e32 v15, v57, v15
	v_fmac_f32_e32 v90, v63, v26
	v_add_f32_e32 v3, v3, v89
	v_mul_f32_e32 v92, v66, v31
	v_mul_f32_e32 v17, v59, v17
	v_fmac_f32_e32 v91, v65, v28
	v_fma_f32 v4, v56, v14, -v15
	v_add_f32_e32 v3, v3, v90
	v_mul_f32_e32 v25, v61, v25
	v_fmac_f32_e32 v92, v67, v30
	v_fma_f32 v5, v58, v16, -v17
	v_add_f32_e32 v2, v2, v4
	v_add_f32_e32 v3, v3, v91
	v_mul_f32_e32 v94, v70, v21
	v_mul_f32_e32 v27, v63, v27
	v_fma_f32 v14, v60, v24, -v25
	v_add_f32_e32 v2, v2, v5
	v_add_f32_e32 v3, v3, v92
	s_waitcnt vmcnt(7) lgkmcnt(2)
	v_mul_f32_e32 v95, v72, v33
	v_mul_f32_e32 v29, v65, v29
	v_fmac_f32_e32 v94, v71, v20
	v_fma_f32 v15, v62, v26, -v27
	v_add_f32_e32 v2, v2, v14
	v_add_f32_e32 v3, v3, v93
	v_mul_f32_e32 v96, v74, v35
	v_mul_f32_e32 v31, v67, v31
	v_fmac_f32_e32 v95, v73, v32
	v_fma_f32 v16, v64, v28, -v29
	v_add_f32_e32 v2, v2, v15
	v_add_f32_e32 v3, v3, v94
	s_waitcnt vmcnt(6) lgkmcnt(1)
	v_mul_f32_e32 v97, v76, v41
	v_fmac_f32_e32 v96, v75, v34
	v_fma_f32 v17, v66, v30, -v31
	v_add_f32_e32 v2, v2, v16
	v_add_f32_e32 v3, v3, v95
	v_mul_f32_e32 v21, v71, v21
	v_fmac_f32_e32 v97, v77, v40
	v_add_f32_e32 v2, v2, v17
	v_add_f32_e32 v3, v3, v96
	;; [unrolled: 1-line block ×4, first 2 shown]
	v_fma_f32 v3, v70, v20, -v21
	v_add_f32_e32 v2, v2, v3
	v_mul_f32_e32 v3, v73, v33
	v_fma_f32 v3, v72, v32, -v3
	v_add_f32_e32 v2, v2, v3
	v_mul_f32_e32 v3, v75, v35
	;; [unrolled: 3-line block ×4, first 2 shown]
	v_mul_f32_e32 v85, v78, v43
	v_fma_f32 v84, v78, v42, -v2
	s_waitcnt vmcnt(5) lgkmcnt(0)
	v_mul_f32_e32 v2, v81, v45
	v_mov_b32_e32 v28, v47
	v_mul_f32_e32 v87, v80, v45
	v_fmac_f32_e32 v85, v79, v42
	v_fma_f32 v86, v80, v44, -v2
	ds_read2_b64 v[2:5], v38 offset0:105 offset1:106
	ds_read2_b64 v[14:17], v38 offset0:107 offset1:108
	ds_read2_b64 v[18:21], v38 offset0:109 offset1:110
	ds_read_b64 v[26:27], v38 offset:888
	v_pk_mul_f32 v[28:29], v[82:83], v[28:29] op_sel:[1,0] op_sel_hi:[0,0]
	v_fmac_f32_e32 v87, v81, v44
	v_pk_add_f32 v[24:25], v[24:25], v[84:85]
	v_pk_fma_f32 v[30:31], v[82:83], v[46:47], v[28:29] neg_lo:[0,0,1] neg_hi:[0,0,1]
	v_pk_fma_f32 v[28:29], v[82:83], v[46:47], v[28:29] op_sel_hi:[1,0,1]
	v_pk_add_f32 v[24:25], v[24:25], v[86:87]
	v_mov_b32_e32 v31, v29
	s_waitcnt vmcnt(4) lgkmcnt(3)
	v_pk_mul_f32 v[28:29], v[2:3], v[48:49] op_sel:[1,1] op_sel_hi:[0,1]
	v_pk_add_f32 v[24:25], v[24:25], v[30:31]
	v_pk_fma_f32 v[30:31], v[2:3], v[48:49], v[28:29] neg_lo:[0,0,1] neg_hi:[0,0,1]
	v_pk_fma_f32 v[2:3], v[2:3], v[48:49], v[28:29] op_sel_hi:[1,0,1]
	s_nop 0
	v_mov_b32_e32 v31, v3
	v_pk_add_f32 v[2:3], v[24:25], v[30:31]
	v_mov_b32_e32 v24, v51
	v_pk_mul_f32 v[24:25], v[4:5], v[24:25] op_sel:[1,0] op_sel_hi:[0,0]
	v_pk_fma_f32 v[28:29], v[4:5], v[50:51], v[24:25] neg_lo:[0,0,1] neg_hi:[0,0,1]
	v_pk_fma_f32 v[4:5], v[4:5], v[50:51], v[24:25] op_sel_hi:[1,0,1]
	s_nop 0
	v_mov_b32_e32 v29, v5
	s_waitcnt vmcnt(3) lgkmcnt(2)
	v_pk_mul_f32 v[4:5], v[14:15], v[10:11] op_sel:[1,1] op_sel_hi:[0,1]
	v_pk_fma_f32 v[24:25], v[14:15], v[10:11], v[4:5] neg_lo:[0,0,1] neg_hi:[0,0,1]
	v_pk_fma_f32 v[4:5], v[14:15], v[10:11], v[4:5] op_sel_hi:[1,0,1]
	v_pk_add_f32 v[2:3], v[2:3], v[28:29]
	v_mov_b32_e32 v4, v13
	v_mov_b32_e32 v25, v5
	v_pk_mul_f32 v[4:5], v[16:17], v[4:5] op_sel:[1,0] op_sel_hi:[0,0]
	v_pk_fma_f32 v[10:11], v[16:17], v[12:13], v[4:5] neg_lo:[0,0,1] neg_hi:[0,0,1]
	v_pk_fma_f32 v[4:5], v[16:17], v[12:13], v[4:5] op_sel_hi:[1,0,1]
	v_pk_add_f32 v[2:3], v[2:3], v[24:25]
	v_mov_b32_e32 v11, v5
	s_waitcnt vmcnt(2) lgkmcnt(1)
	v_pk_mul_f32 v[4:5], v[18:19], v[6:7] op_sel:[1,1] op_sel_hi:[0,1]
	v_pk_add_f32 v[2:3], v[2:3], v[10:11]
	v_pk_fma_f32 v[10:11], v[18:19], v[6:7], v[4:5] neg_lo:[0,0,1] neg_hi:[0,0,1]
	v_pk_fma_f32 v[4:5], v[18:19], v[6:7], v[4:5] op_sel_hi:[1,0,1]
	s_nop 0
	v_mov_b32_e32 v4, v9
	v_mov_b32_e32 v11, v5
	v_pk_mul_f32 v[4:5], v[20:21], v[4:5] op_sel:[1,0] op_sel_hi:[0,0]
	v_pk_fma_f32 v[6:7], v[20:21], v[8:9], v[4:5] neg_lo:[0,0,1] neg_hi:[0,0,1]
	v_pk_fma_f32 v[4:5], v[20:21], v[8:9], v[4:5] op_sel_hi:[1,0,1]
	v_pk_add_f32 v[2:3], v[2:3], v[10:11]
	v_mov_b32_e32 v7, v5
	s_waitcnt vmcnt(1) lgkmcnt(0)
	v_pk_mul_f32 v[4:5], v[26:27], v[22:23] op_sel:[1,1] op_sel_hi:[0,1]
	v_pk_add_f32 v[2:3], v[2:3], v[6:7]
	v_pk_fma_f32 v[6:7], v[26:27], v[22:23], v[4:5] neg_lo:[0,0,1] neg_hi:[0,0,1]
	v_pk_fma_f32 v[4:5], v[26:27], v[22:23], v[4:5] op_sel_hi:[1,0,1]
	s_nop 0
	v_mov_b32_e32 v7, v5
	v_pk_add_f32 v[2:3], v[2:3], v[6:7]
	s_waitcnt vmcnt(0)
	v_pk_add_f32 v[2:3], v[36:37], v[2:3] neg_lo:[0,1] neg_hi:[0,1]
	scratch_store_dwordx2 off, v[2:3], off offset:256
	s_and_saveexec_b64 s[0:1], vcc
	s_cbranch_execz .LBB55_287
; %bb.286:
	scratch_load_dwordx2 v[2:3], off, off offset:248
	v_mov_b32_e32 v39, v38
	scratch_store_dwordx2 off, v[38:39], off offset:248
	s_waitcnt vmcnt(1)
	ds_write_b64 v1, v[2:3]
.LBB55_287:
	s_or_b64 exec, exec, s[0:1]
	s_waitcnt lgkmcnt(0)
	; wave barrier
	scratch_load_dwordx4 v[6:9], off, off offset:256
	scratch_load_dwordx4 v[18:21], off, off offset:272
	;; [unrolled: 1-line block ×8, first 2 shown]
	ds_read_b128 v[48:51], v38 offset:704
	ds_read_b128 v[52:55], v38 offset:720
	;; [unrolled: 1-line block ×8, first 2 shown]
	scratch_load_dwordx4 v[80:83], off, off offset:384
	scratch_load_dwordx4 v[26:29], off, off offset:400
	;; [unrolled: 1-line block ×4, first 2 shown]
	scratch_load_dwordx2 v[84:85], off, off offset:248
	v_cmp_lt_u32_e32 vcc, 30, v0
	s_waitcnt vmcnt(12) lgkmcnt(7)
	v_mul_f32_e32 v39, v48, v7
	v_mul_f32_e32 v86, v50, v9
	;; [unrolled: 1-line block ×3, first 2 shown]
	v_fmac_f32_e32 v39, v49, v6
	s_waitcnt vmcnt(8) lgkmcnt(3)
	v_mul_f32_e32 v95, v64, v15
	v_mul_f32_e32 v15, v65, v15
	;; [unrolled: 1-line block ×4, first 2 shown]
	v_fmac_f32_e32 v86, v51, v8
	v_fmac_f32_e32 v95, v65, v14
	v_fma_f32 v6, v48, v6, -v7
	v_fma_f32 v14, v64, v14, -v15
	v_add_f32_e32 v15, 0, v39
	v_mul_f32_e32 v90, v54, v21
	v_fmac_f32_e32 v88, v53, v18
	v_fma_f32 v7, v50, v8, -v9
	v_add_f32_e32 v6, 0, v6
	v_add_f32_e32 v15, v15, v86
	v_mul_f32_e32 v91, v56, v35
	v_fmac_f32_e32 v90, v55, v20
	v_add_f32_e32 v6, v6, v7
	v_add_f32_e32 v7, v15, v88
	v_mul_f32_e32 v92, v58, v37
	v_fmac_f32_e32 v91, v57, v34
	v_add_f32_e32 v7, v7, v90
	v_mul_f32_e32 v93, v60, v41
	v_fmac_f32_e32 v92, v59, v36
	;; [unrolled: 3-line block ×4, first 2 shown]
	v_add_f32_e32 v7, v7, v93
	v_mul_f32_e32 v96, v66, v17
	v_mul_f32_e32 v21, v55, v21
	v_fma_f32 v8, v52, v18, -v19
	v_add_f32_e32 v7, v7, v94
	s_waitcnt vmcnt(7) lgkmcnt(2)
	v_mul_f32_e32 v97, v68, v23
	v_mul_f32_e32 v35, v57, v35
	v_fmac_f32_e32 v96, v67, v16
	v_fma_f32 v9, v54, v20, -v21
	v_add_f32_e32 v6, v6, v8
	v_add_f32_e32 v7, v7, v95
	v_mul_f32_e32 v98, v70, v25
	v_mul_f32_e32 v37, v59, v37
	v_fmac_f32_e32 v97, v69, v22
	v_fma_f32 v18, v56, v34, -v35
	v_add_f32_e32 v6, v6, v9
	v_add_f32_e32 v7, v7, v96
	s_waitcnt vmcnt(6) lgkmcnt(1)
	v_mul_f32_e32 v99, v72, v31
	v_mul_f32_e32 v41, v61, v41
	v_fmac_f32_e32 v98, v71, v24
	v_fma_f32 v19, v58, v36, -v37
	v_add_f32_e32 v6, v6, v18
	v_add_f32_e32 v7, v7, v97
	v_mul_f32_e32 v100, v74, v33
	v_mul_f32_e32 v43, v63, v43
	v_fmac_f32_e32 v99, v73, v30
	v_fma_f32 v20, v60, v40, -v41
	v_add_f32_e32 v6, v6, v19
	v_add_f32_e32 v7, v7, v98
	v_fmac_f32_e32 v100, v75, v32
	v_fma_f32 v21, v62, v42, -v43
	v_add_f32_e32 v6, v6, v20
	v_add_f32_e32 v7, v7, v99
	;; [unrolled: 1-line block ×4, first 2 shown]
	v_mul_f32_e32 v7, v67, v17
	v_add_f32_e32 v6, v6, v14
	v_fma_f32 v7, v66, v16, -v7
	v_add_f32_e32 v6, v6, v7
	v_mul_f32_e32 v7, v69, v23
	v_fma_f32 v7, v68, v22, -v7
	v_add_f32_e32 v6, v6, v7
	v_mul_f32_e32 v7, v71, v25
	v_fma_f32 v7, v70, v24, -v7
	v_add_f32_e32 v6, v6, v7
	v_mul_f32_e32 v7, v73, v31
	v_fma_f32 v7, v72, v30, -v7
	v_add_f32_e32 v6, v6, v7
	v_mul_f32_e32 v7, v75, v33
	v_fma_f32 v7, v74, v32, -v7
	v_add_f32_e32 v34, v6, v7
	s_waitcnt vmcnt(5) lgkmcnt(0)
	v_mul_f32_e32 v6, v77, v45
	v_fma_f32 v86, v76, v44, -v6
	v_mul_f32_e32 v6, v79, v47
	v_fma_f32 v88, v78, v46, -v6
	ds_read_b128 v[6:9], v38 offset:832
	ds_read_b128 v[14:17], v38 offset:848
	;; [unrolled: 1-line block ×4, first 2 shown]
	v_mul_f32_e32 v87, v76, v45
	v_mul_f32_e32 v89, v78, v47
	v_fmac_f32_e32 v87, v77, v44
	s_waitcnt vmcnt(4) lgkmcnt(3)
	v_pk_mul_f32 v[32:33], v[6:7], v[80:81] op_sel:[1,1] op_sel_hi:[0,1]
	v_fmac_f32_e32 v89, v79, v46
	v_pk_add_f32 v[30:31], v[34:35], v[86:87]
	v_pk_fma_f32 v[34:35], v[6:7], v[80:81], v[32:33] neg_lo:[0,0,1] neg_hi:[0,0,1]
	v_pk_fma_f32 v[6:7], v[6:7], v[80:81], v[32:33] op_sel_hi:[1,0,1]
	v_pk_add_f32 v[30:31], v[30:31], v[88:89]
	v_mov_b32_e32 v35, v7
	v_pk_add_f32 v[6:7], v[30:31], v[34:35]
	v_mov_b32_e32 v30, v83
	v_pk_mul_f32 v[30:31], v[8:9], v[30:31] op_sel:[1,0] op_sel_hi:[0,0]
	v_pk_fma_f32 v[32:33], v[8:9], v[82:83], v[30:31] neg_lo:[0,0,1] neg_hi:[0,0,1]
	v_pk_fma_f32 v[8:9], v[8:9], v[82:83], v[30:31] op_sel_hi:[1,0,1]
	s_nop 0
	v_mov_b32_e32 v33, v9
	s_waitcnt vmcnt(3) lgkmcnt(2)
	v_pk_mul_f32 v[8:9], v[14:15], v[26:27] op_sel:[1,1] op_sel_hi:[0,1]
	v_pk_fma_f32 v[30:31], v[14:15], v[26:27], v[8:9] neg_lo:[0,0,1] neg_hi:[0,0,1]
	v_pk_fma_f32 v[8:9], v[14:15], v[26:27], v[8:9] op_sel_hi:[1,0,1]
	v_pk_add_f32 v[6:7], v[6:7], v[32:33]
	v_mov_b32_e32 v8, v29
	v_mov_b32_e32 v31, v9
	v_pk_mul_f32 v[8:9], v[16:17], v[8:9] op_sel:[1,0] op_sel_hi:[0,0]
	v_pk_fma_f32 v[14:15], v[16:17], v[28:29], v[8:9] neg_lo:[0,0,1] neg_hi:[0,0,1]
	v_pk_fma_f32 v[8:9], v[16:17], v[28:29], v[8:9] op_sel_hi:[1,0,1]
	v_pk_add_f32 v[6:7], v[6:7], v[30:31]
	v_mov_b32_e32 v15, v9
	s_waitcnt vmcnt(2) lgkmcnt(1)
	v_pk_mul_f32 v[8:9], v[18:19], v[10:11] op_sel:[1,1] op_sel_hi:[0,1]
	v_pk_add_f32 v[6:7], v[6:7], v[14:15]
	v_pk_fma_f32 v[14:15], v[18:19], v[10:11], v[8:9] neg_lo:[0,0,1] neg_hi:[0,0,1]
	v_pk_fma_f32 v[8:9], v[18:19], v[10:11], v[8:9] op_sel_hi:[1,0,1]
	s_nop 0
	v_mov_b32_e32 v8, v13
	v_mov_b32_e32 v15, v9
	v_pk_mul_f32 v[8:9], v[20:21], v[8:9] op_sel:[1,0] op_sel_hi:[0,0]
	v_pk_fma_f32 v[10:11], v[20:21], v[12:13], v[8:9] neg_lo:[0,0,1] neg_hi:[0,0,1]
	v_pk_fma_f32 v[8:9], v[20:21], v[12:13], v[8:9] op_sel_hi:[1,0,1]
	v_pk_add_f32 v[6:7], v[6:7], v[14:15]
	v_mov_b32_e32 v11, v9
	s_waitcnt vmcnt(1) lgkmcnt(0)
	v_pk_mul_f32 v[8:9], v[22:23], v[2:3] op_sel:[1,1] op_sel_hi:[0,1]
	v_pk_add_f32 v[6:7], v[6:7], v[10:11]
	v_pk_fma_f32 v[10:11], v[22:23], v[2:3], v[8:9] neg_lo:[0,0,1] neg_hi:[0,0,1]
	v_pk_fma_f32 v[2:3], v[22:23], v[2:3], v[8:9] op_sel_hi:[1,0,1]
	s_nop 0
	v_mov_b32_e32 v11, v3
	v_pk_add_f32 v[2:3], v[6:7], v[10:11]
	v_mov_b32_e32 v6, v5
	v_pk_mul_f32 v[6:7], v[24:25], v[6:7] op_sel:[1,0] op_sel_hi:[0,0]
	v_pk_fma_f32 v[8:9], v[24:25], v[4:5], v[6:7] neg_lo:[0,0,1] neg_hi:[0,0,1]
	v_pk_fma_f32 v[4:5], v[24:25], v[4:5], v[6:7] op_sel_hi:[1,0,1]
	s_nop 0
	v_mov_b32_e32 v9, v5
	v_pk_add_f32 v[2:3], v[2:3], v[8:9]
	s_waitcnt vmcnt(0)
	v_pk_add_f32 v[2:3], v[84:85], v[2:3] neg_lo:[0,1] neg_hi:[0,1]
	scratch_store_dwordx2 off, v[2:3], off offset:248
	s_and_saveexec_b64 s[0:1], vcc
	s_cbranch_execz .LBB55_289
; %bb.288:
	scratch_load_dwordx2 v[2:3], off, off offset:240
	v_mov_b32_e32 v4, 0
	v_mov_b32_e32 v5, v4
	scratch_store_dwordx2 off, v[4:5], off offset:240
	s_waitcnt vmcnt(1)
	ds_write_b64 v1, v[2:3]
.LBB55_289:
	s_or_b64 exec, exec, s[0:1]
	s_waitcnt lgkmcnt(0)
	; wave barrier
	scratch_load_dwordx4 v[2:5], off, off offset:248
	scratch_load_dwordx4 v[22:25], off, off offset:264
	;; [unrolled: 1-line block ×12, first 2 shown]
	scratch_load_dwordx2 v[50:51], off, off offset:440
	scratch_load_dwordx2 v[56:57], off, off offset:240
	v_mov_b32_e32 v58, 0
	ds_read2_b64 v[52:55], v58 offset0:87 offset1:88
	ds_read2_b64 v[60:63], v58 offset0:89 offset1:90
	;; [unrolled: 1-line block ×10, first 2 shown]
	v_cmp_lt_u32_e32 vcc, 29, v0
	s_waitcnt vmcnt(13) lgkmcnt(9)
	v_mul_f32_e32 v59, v52, v3
	v_mul_f32_e32 v96, v54, v5
	v_mul_f32_e32 v3, v53, v3
	s_waitcnt vmcnt(10) lgkmcnt(6)
	v_mul_f32_e32 v103, v68, v11
	v_mul_f32_e32 v11, v69, v11
	v_fmac_f32_e32 v59, v53, v2
	v_mul_f32_e32 v98, v60, v23
	v_mul_f32_e32 v5, v55, v5
	v_fmac_f32_e32 v96, v55, v4
	v_fmac_f32_e32 v103, v69, v10
	v_fma_f32 v2, v52, v2, -v3
	v_fma_f32 v10, v68, v10, -v11
	v_add_f32_e32 v11, 0, v59
	v_mul_f32_e32 v100, v62, v25
	v_fmac_f32_e32 v98, v61, v22
	v_fma_f32 v3, v54, v4, -v5
	v_add_f32_e32 v2, 0, v2
	v_add_f32_e32 v11, v11, v96
	v_mul_f32_e32 v101, v64, v39
	v_fmac_f32_e32 v100, v63, v24
	v_add_f32_e32 v2, v2, v3
	v_add_f32_e32 v3, v11, v98
	v_mul_f32_e32 v102, v66, v41
	v_fmac_f32_e32 v101, v65, v38
	v_add_f32_e32 v3, v3, v100
	v_fmac_f32_e32 v102, v67, v40
	v_add_f32_e32 v3, v3, v101
	v_mul_f32_e32 v104, v70, v13
	v_add_f32_e32 v3, v3, v102
	s_waitcnt vmcnt(9) lgkmcnt(5)
	v_mul_f32_e32 v105, v72, v15
	v_fmac_f32_e32 v104, v71, v12
	v_add_f32_e32 v3, v3, v103
	v_mul_f32_e32 v106, v74, v17
	v_fmac_f32_e32 v105, v73, v14
	v_add_f32_e32 v3, v3, v104
	s_waitcnt vmcnt(8) lgkmcnt(4)
	v_mul_f32_e32 v107, v76, v27
	v_fmac_f32_e32 v106, v75, v16
	v_add_f32_e32 v3, v3, v105
	v_mul_f32_e32 v108, v78, v29
	v_mul_f32_e32 v23, v61, v23
	v_fmac_f32_e32 v107, v77, v26
	v_add_f32_e32 v3, v3, v106
	s_waitcnt vmcnt(7) lgkmcnt(3)
	v_mul_f32_e32 v109, v80, v31
	v_mul_f32_e32 v25, v63, v25
	v_fmac_f32_e32 v108, v79, v28
	v_fma_f32 v4, v60, v22, -v23
	v_add_f32_e32 v3, v3, v107
	v_mul_f32_e32 v110, v82, v33
	v_mul_f32_e32 v39, v65, v39
	v_fmac_f32_e32 v109, v81, v30
	v_fma_f32 v5, v62, v24, -v25
	v_add_f32_e32 v2, v2, v4
	v_add_f32_e32 v3, v3, v108
	s_waitcnt vmcnt(6) lgkmcnt(2)
	v_mul_f32_e32 v111, v84, v43
	v_mul_f32_e32 v41, v67, v41
	v_fmac_f32_e32 v110, v83, v32
	v_fma_f32 v22, v64, v38, -v39
	v_add_f32_e32 v2, v2, v5
	v_add_f32_e32 v3, v3, v109
	v_fmac_f32_e32 v111, v85, v42
	v_fma_f32 v23, v66, v40, -v41
	v_add_f32_e32 v2, v2, v22
	v_add_f32_e32 v3, v3, v110
	;; [unrolled: 1-line block ×4, first 2 shown]
	v_mul_f32_e32 v3, v71, v13
	v_add_f32_e32 v2, v2, v10
	v_fma_f32 v3, v70, v12, -v3
	v_add_f32_e32 v2, v2, v3
	v_mul_f32_e32 v3, v73, v15
	v_fma_f32 v3, v72, v14, -v3
	v_add_f32_e32 v2, v2, v3
	v_mul_f32_e32 v3, v75, v17
	;; [unrolled: 3-line block ×7, first 2 shown]
	v_fma_f32 v3, v84, v42, -v3
	v_mul_f32_e32 v97, v86, v45
	v_add_f32_e32 v22, v2, v3
	v_mul_f32_e32 v2, v87, v45
	v_fmac_f32_e32 v97, v87, v44
	v_fma_f32 v96, v86, v44, -v2
	v_pk_add_f32 v[16:17], v[22:23], v[96:97]
	s_waitcnt vmcnt(5)
	v_mov_b32_e32 v22, v49
	s_waitcnt lgkmcnt(1)
	v_mul_f32_e32 v99, v88, v47
	v_mul_f32_e32 v2, v89, v47
	v_pk_mul_f32 v[22:23], v[90:91], v[22:23] op_sel:[1,0] op_sel_hi:[0,0]
	v_fmac_f32_e32 v99, v89, v46
	v_fma_f32 v98, v88, v46, -v2
	v_pk_fma_f32 v[24:25], v[90:91], v[48:49], v[22:23] neg_lo:[0,0,1] neg_hi:[0,0,1]
	v_pk_fma_f32 v[22:23], v[90:91], v[48:49], v[22:23] op_sel_hi:[1,0,1]
	v_pk_add_f32 v[16:17], v[16:17], v[98:99]
	v_mov_b32_e32 v25, v23
	s_waitcnt vmcnt(4) lgkmcnt(0)
	v_pk_mul_f32 v[22:23], v[92:93], v[34:35] op_sel:[1,1] op_sel_hi:[0,1]
	v_pk_add_f32 v[16:17], v[16:17], v[24:25]
	v_pk_fma_f32 v[24:25], v[92:93], v[34:35], v[22:23] neg_lo:[0,0,1] neg_hi:[0,0,1]
	v_pk_fma_f32 v[22:23], v[92:93], v[34:35], v[22:23] op_sel_hi:[1,0,1]
	ds_read2_b64 v[2:5], v58 offset0:107 offset1:108
	ds_read2_b64 v[10:13], v58 offset0:109 offset1:110
	ds_read_b64 v[14:15], v58 offset:888
	v_mov_b32_e32 v22, v37
	v_mov_b32_e32 v25, v23
	v_pk_mul_f32 v[22:23], v[94:95], v[22:23] op_sel:[1,0] op_sel_hi:[0,0]
	v_pk_add_f32 v[16:17], v[16:17], v[24:25]
	v_pk_fma_f32 v[24:25], v[94:95], v[36:37], v[22:23] neg_lo:[0,0,1] neg_hi:[0,0,1]
	v_pk_fma_f32 v[22:23], v[94:95], v[36:37], v[22:23] op_sel_hi:[1,0,1]
	s_nop 0
	v_mov_b32_e32 v25, v23
	s_waitcnt vmcnt(3) lgkmcnt(2)
	v_pk_mul_f32 v[22:23], v[2:3], v[18:19] op_sel:[1,1] op_sel_hi:[0,1]
	v_pk_add_f32 v[16:17], v[16:17], v[24:25]
	v_pk_fma_f32 v[24:25], v[2:3], v[18:19], v[22:23] neg_lo:[0,0,1] neg_hi:[0,0,1]
	v_pk_fma_f32 v[2:3], v[2:3], v[18:19], v[22:23] op_sel_hi:[1,0,1]
	s_nop 0
	v_mov_b32_e32 v25, v3
	v_pk_add_f32 v[2:3], v[16:17], v[24:25]
	v_mov_b32_e32 v16, v21
	v_pk_mul_f32 v[16:17], v[4:5], v[16:17] op_sel:[1,0] op_sel_hi:[0,0]
	v_pk_fma_f32 v[18:19], v[4:5], v[20:21], v[16:17] neg_lo:[0,0,1] neg_hi:[0,0,1]
	v_pk_fma_f32 v[4:5], v[4:5], v[20:21], v[16:17] op_sel_hi:[1,0,1]
	s_nop 0
	v_mov_b32_e32 v19, v5
	s_waitcnt vmcnt(2) lgkmcnt(1)
	v_pk_mul_f32 v[4:5], v[10:11], v[6:7] op_sel:[1,1] op_sel_hi:[0,1]
	v_pk_fma_f32 v[16:17], v[10:11], v[6:7], v[4:5] neg_lo:[0,0,1] neg_hi:[0,0,1]
	v_pk_fma_f32 v[4:5], v[10:11], v[6:7], v[4:5] op_sel_hi:[1,0,1]
	v_pk_add_f32 v[2:3], v[2:3], v[18:19]
	v_mov_b32_e32 v4, v9
	v_mov_b32_e32 v17, v5
	v_pk_mul_f32 v[4:5], v[12:13], v[4:5] op_sel:[1,0] op_sel_hi:[0,0]
	v_pk_fma_f32 v[6:7], v[12:13], v[8:9], v[4:5] neg_lo:[0,0,1] neg_hi:[0,0,1]
	v_pk_fma_f32 v[4:5], v[12:13], v[8:9], v[4:5] op_sel_hi:[1,0,1]
	v_pk_add_f32 v[2:3], v[2:3], v[16:17]
	v_mov_b32_e32 v7, v5
	s_waitcnt vmcnt(1) lgkmcnt(0)
	v_pk_mul_f32 v[4:5], v[14:15], v[50:51] op_sel:[1,1] op_sel_hi:[0,1]
	v_pk_add_f32 v[2:3], v[2:3], v[6:7]
	v_pk_fma_f32 v[6:7], v[14:15], v[50:51], v[4:5] neg_lo:[0,0,1] neg_hi:[0,0,1]
	v_pk_fma_f32 v[4:5], v[14:15], v[50:51], v[4:5] op_sel_hi:[1,0,1]
	s_nop 0
	v_mov_b32_e32 v7, v5
	v_pk_add_f32 v[2:3], v[2:3], v[6:7]
	s_waitcnt vmcnt(0)
	v_pk_add_f32 v[2:3], v[56:57], v[2:3] neg_lo:[0,1] neg_hi:[0,1]
	scratch_store_dwordx2 off, v[2:3], off offset:240
	s_and_saveexec_b64 s[0:1], vcc
	s_cbranch_execz .LBB55_291
; %bb.290:
	scratch_load_dwordx2 v[2:3], off, off offset:232
	v_mov_b32_e32 v59, v58
	scratch_store_dwordx2 off, v[58:59], off offset:232
	s_waitcnt vmcnt(1)
	ds_write_b64 v1, v[2:3]
.LBB55_291:
	s_or_b64 exec, exec, s[0:1]
	s_waitcnt lgkmcnt(0)
	; wave barrier
	scratch_load_dwordx4 v[10:13], off, off offset:240
	scratch_load_dwordx4 v[26:29], off, off offset:256
	;; [unrolled: 1-line block ×9, first 2 shown]
	ds_read_b128 v[60:63], v58 offset:688
	ds_read_b128 v[64:67], v58 offset:704
	;; [unrolled: 1-line block ×8, first 2 shown]
	scratch_load_dwordx4 v[50:53], off, off offset:384
	scratch_load_dwordx4 v[34:37], off, off offset:400
	;; [unrolled: 1-line block ×4, first 2 shown]
	ds_read_b128 v[88:91], v58 offset:816
	ds_read_b128 v[92:95], v58 offset:832
	scratch_load_dwordx2 v[96:97], off, off offset:232
	v_cmp_lt_u32_e32 vcc, 28, v0
	s_waitcnt vmcnt(13) lgkmcnt(9)
	v_mul_f32_e32 v59, v60, v11
	v_mul_f32_e32 v98, v62, v13
	v_fmac_f32_e32 v59, v61, v10
	s_waitcnt vmcnt(10) lgkmcnt(6)
	v_mul_f32_e32 v105, v72, v3
	v_mul_f32_e32 v3, v73, v3
	;; [unrolled: 1-line block ×3, first 2 shown]
	v_fmac_f32_e32 v98, v63, v12
	v_fmac_f32_e32 v105, v73, v2
	v_fma_f32 v2, v72, v2, -v3
	v_add_f32_e32 v3, 0, v59
	v_mul_f32_e32 v102, v66, v29
	v_fmac_f32_e32 v100, v65, v26
	v_add_f32_e32 v3, v3, v98
	v_mul_f32_e32 v103, v68, v43
	v_fmac_f32_e32 v102, v67, v28
	;; [unrolled: 3-line block ×3, first 2 shown]
	v_add_f32_e32 v3, v3, v102
	v_fmac_f32_e32 v104, v71, v44
	v_add_f32_e32 v3, v3, v103
	v_mul_f32_e32 v106, v74, v5
	v_add_f32_e32 v3, v3, v104
	s_waitcnt vmcnt(9) lgkmcnt(5)
	v_mul_f32_e32 v107, v76, v15
	v_fmac_f32_e32 v106, v75, v4
	v_add_f32_e32 v3, v3, v105
	v_mul_f32_e32 v108, v78, v17
	v_fmac_f32_e32 v107, v77, v14
	v_add_f32_e32 v3, v3, v106
	s_waitcnt vmcnt(8) lgkmcnt(4)
	v_mul_f32_e32 v109, v80, v19
	v_mul_f32_e32 v11, v61, v11
	v_fmac_f32_e32 v108, v79, v16
	v_add_f32_e32 v3, v3, v107
	v_mul_f32_e32 v110, v82, v21
	v_mul_f32_e32 v13, v63, v13
	v_fmac_f32_e32 v109, v81, v18
	v_fma_f32 v10, v60, v10, -v11
	v_add_f32_e32 v3, v3, v108
	s_waitcnt vmcnt(7) lgkmcnt(3)
	v_mul_f32_e32 v111, v84, v31
	v_mul_f32_e32 v27, v65, v27
	v_fmac_f32_e32 v110, v83, v20
	v_fma_f32 v11, v62, v12, -v13
	v_add_f32_e32 v10, 0, v10
	v_add_f32_e32 v3, v3, v109
	v_mul_f32_e32 v112, v86, v33
	v_mul_f32_e32 v29, v67, v29
	v_fmac_f32_e32 v111, v85, v30
	v_fma_f32 v12, v64, v26, -v27
	v_add_f32_e32 v10, v10, v11
	v_add_f32_e32 v3, v3, v110
	s_waitcnt vmcnt(6) lgkmcnt(2)
	v_mul_f32_e32 v113, v54, v39
	v_mul_f32_e32 v43, v69, v43
	v_fmac_f32_e32 v112, v87, v32
	v_fma_f32 v13, v66, v28, -v29
	v_add_f32_e32 v10, v10, v12
	v_add_f32_e32 v3, v3, v111
	v_mul_f32_e32 v114, v56, v41
	v_mul_f32_e32 v45, v71, v45
	v_fmac_f32_e32 v113, v55, v38
	v_fma_f32 v26, v68, v42, -v43
	v_add_f32_e32 v10, v10, v13
	v_add_f32_e32 v3, v3, v112
	v_fmac_f32_e32 v114, v57, v40
	v_fma_f32 v27, v70, v44, -v45
	v_add_f32_e32 v10, v10, v26
	v_add_f32_e32 v3, v3, v113
	;; [unrolled: 1-line block ×4, first 2 shown]
	v_mul_f32_e32 v3, v75, v5
	v_add_f32_e32 v2, v10, v2
	v_fma_f32 v3, v74, v4, -v3
	v_add_f32_e32 v2, v2, v3
	v_mul_f32_e32 v3, v77, v15
	v_fma_f32 v3, v76, v14, -v3
	v_add_f32_e32 v2, v2, v3
	v_mul_f32_e32 v3, v79, v17
	;; [unrolled: 3-line block ×8, first 2 shown]
	v_fma_f32 v3, v56, v40, -v3
	s_waitcnt vmcnt(5) lgkmcnt(1)
	v_mul_f32_e32 v99, v88, v47
	v_add_f32_e32 v26, v2, v3
	v_mul_f32_e32 v2, v89, v47
	v_fmac_f32_e32 v99, v89, v46
	v_fma_f32 v98, v88, v46, -v2
	s_waitcnt vmcnt(4) lgkmcnt(0)
	v_pk_mul_f32 v[20:21], v[92:93], v[50:51] op_sel:[1,1] op_sel_hi:[0,1]
	v_mul_f32_e32 v101, v90, v49
	v_mul_f32_e32 v2, v91, v49
	v_pk_add_f32 v[18:19], v[26:27], v[98:99]
	v_pk_fma_f32 v[26:27], v[92:93], v[50:51], v[20:21] neg_lo:[0,0,1] neg_hi:[0,0,1]
	v_pk_fma_f32 v[20:21], v[92:93], v[50:51], v[20:21] op_sel_hi:[1,0,1]
	v_fmac_f32_e32 v101, v91, v48
	v_fma_f32 v100, v90, v48, -v2
	ds_read_b128 v[2:5], v58 offset:848
	ds_read_b128 v[10:13], v58 offset:864
	;; [unrolled: 1-line block ×3, first 2 shown]
	v_mov_b32_e32 v20, v53
	v_pk_add_f32 v[18:19], v[18:19], v[100:101]
	v_mov_b32_e32 v27, v21
	v_pk_mul_f32 v[20:21], v[94:95], v[20:21] op_sel:[1,0] op_sel_hi:[0,0]
	v_pk_add_f32 v[18:19], v[18:19], v[26:27]
	v_pk_fma_f32 v[26:27], v[94:95], v[52:53], v[20:21] neg_lo:[0,0,1] neg_hi:[0,0,1]
	v_pk_fma_f32 v[20:21], v[94:95], v[52:53], v[20:21] op_sel_hi:[1,0,1]
	s_nop 0
	v_mov_b32_e32 v27, v21
	s_waitcnt vmcnt(3) lgkmcnt(2)
	v_pk_mul_f32 v[20:21], v[2:3], v[34:35] op_sel:[1,1] op_sel_hi:[0,1]
	v_pk_add_f32 v[18:19], v[18:19], v[26:27]
	v_pk_fma_f32 v[26:27], v[2:3], v[34:35], v[20:21] neg_lo:[0,0,1] neg_hi:[0,0,1]
	v_pk_fma_f32 v[2:3], v[2:3], v[34:35], v[20:21] op_sel_hi:[1,0,1]
	s_nop 0
	v_mov_b32_e32 v27, v3
	v_pk_add_f32 v[2:3], v[18:19], v[26:27]
	v_mov_b32_e32 v18, v37
	v_pk_mul_f32 v[18:19], v[4:5], v[18:19] op_sel:[1,0] op_sel_hi:[0,0]
	v_pk_fma_f32 v[20:21], v[4:5], v[36:37], v[18:19] neg_lo:[0,0,1] neg_hi:[0,0,1]
	v_pk_fma_f32 v[4:5], v[4:5], v[36:37], v[18:19] op_sel_hi:[1,0,1]
	s_nop 0
	v_mov_b32_e32 v21, v5
	s_waitcnt vmcnt(2) lgkmcnt(1)
	v_pk_mul_f32 v[4:5], v[10:11], v[22:23] op_sel:[1,1] op_sel_hi:[0,1]
	v_pk_fma_f32 v[18:19], v[10:11], v[22:23], v[4:5] neg_lo:[0,0,1] neg_hi:[0,0,1]
	v_pk_fma_f32 v[4:5], v[10:11], v[22:23], v[4:5] op_sel_hi:[1,0,1]
	v_pk_add_f32 v[2:3], v[2:3], v[20:21]
	v_mov_b32_e32 v4, v25
	v_mov_b32_e32 v19, v5
	v_pk_mul_f32 v[4:5], v[12:13], v[4:5] op_sel:[1,0] op_sel_hi:[0,0]
	v_pk_fma_f32 v[10:11], v[12:13], v[24:25], v[4:5] neg_lo:[0,0,1] neg_hi:[0,0,1]
	v_pk_fma_f32 v[4:5], v[12:13], v[24:25], v[4:5] op_sel_hi:[1,0,1]
	v_pk_add_f32 v[2:3], v[2:3], v[18:19]
	v_mov_b32_e32 v11, v5
	s_waitcnt vmcnt(1) lgkmcnt(0)
	v_pk_mul_f32 v[4:5], v[14:15], v[6:7] op_sel:[1,1] op_sel_hi:[0,1]
	v_pk_add_f32 v[2:3], v[2:3], v[10:11]
	v_pk_fma_f32 v[10:11], v[14:15], v[6:7], v[4:5] neg_lo:[0,0,1] neg_hi:[0,0,1]
	v_pk_fma_f32 v[4:5], v[14:15], v[6:7], v[4:5] op_sel_hi:[1,0,1]
	s_nop 0
	v_mov_b32_e32 v4, v9
	v_mov_b32_e32 v11, v5
	v_pk_mul_f32 v[4:5], v[16:17], v[4:5] op_sel:[1,0] op_sel_hi:[0,0]
	v_pk_fma_f32 v[6:7], v[16:17], v[8:9], v[4:5] neg_lo:[0,0,1] neg_hi:[0,0,1]
	v_pk_fma_f32 v[4:5], v[16:17], v[8:9], v[4:5] op_sel_hi:[1,0,1]
	v_pk_add_f32 v[2:3], v[2:3], v[10:11]
	v_mov_b32_e32 v7, v5
	v_pk_add_f32 v[2:3], v[2:3], v[6:7]
	s_waitcnt vmcnt(0)
	v_pk_add_f32 v[2:3], v[96:97], v[2:3] neg_lo:[0,1] neg_hi:[0,1]
	scratch_store_dwordx2 off, v[2:3], off offset:232
	s_and_saveexec_b64 s[0:1], vcc
	s_cbranch_execz .LBB55_293
; %bb.292:
	scratch_load_dwordx2 v[2:3], off, off offset:224
	v_mov_b32_e32 v4, 0
	v_mov_b32_e32 v5, v4
	scratch_store_dwordx2 off, v[4:5], off offset:224
	s_waitcnt vmcnt(1)
	ds_write_b64 v1, v[2:3]
.LBB55_293:
	s_or_b64 exec, exec, s[0:1]
	s_waitcnt lgkmcnt(0)
	; wave barrier
	scratch_load_dwordx4 v[10:13], off, off offset:232
	scratch_load_dwordx4 v[30:33], off, off offset:248
	;; [unrolled: 1-line block ×13, first 2 shown]
	scratch_load_dwordx2 v[54:55], off, off offset:440
	scratch_load_dwordx2 v[80:81], off, off offset:224
	v_mov_b32_e32 v82, 0
	ds_read2_b64 v[56:59], v82 offset0:85 offset1:86
	ds_read2_b64 v[60:63], v82 offset0:87 offset1:88
	ds_read2_b64 v[64:67], v82 offset0:89 offset1:90
	ds_read2_b64 v[68:71], v82 offset0:91 offset1:92
	ds_read2_b64 v[72:75], v82 offset0:93 offset1:94
	ds_read2_b64 v[76:79], v82 offset0:95 offset1:96
	ds_read2_b64 v[84:87], v82 offset0:97 offset1:98
	ds_read2_b64 v[88:91], v82 offset0:99 offset1:100
	ds_read2_b64 v[92:95], v82 offset0:101 offset1:102
	ds_read2_b64 v[96:99], v82 offset0:103 offset1:104
	v_cmp_lt_u32_e32 vcc, 27, v0
	s_waitcnt vmcnt(14) lgkmcnt(9)
	v_mul_f32_e32 v83, v56, v11
	v_mul_f32_e32 v100, v58, v13
	s_waitcnt vmcnt(12) lgkmcnt(7)
	v_mul_f32_e32 v105, v64, v3
	v_mul_f32_e32 v3, v65, v3
	v_fmac_f32_e32 v83, v57, v10
	v_mul_f32_e32 v102, v60, v31
	v_fmac_f32_e32 v100, v59, v12
	v_fmac_f32_e32 v105, v65, v2
	v_fma_f32 v2, v64, v2, -v3
	v_add_f32_e32 v3, 0, v83
	v_mul_f32_e32 v104, v62, v33
	v_fmac_f32_e32 v102, v61, v30
	v_add_f32_e32 v3, v3, v100
	v_fmac_f32_e32 v104, v63, v32
	v_add_f32_e32 v3, v3, v102
	v_mul_f32_e32 v106, v66, v5
	v_add_f32_e32 v3, v3, v104
	s_waitcnt vmcnt(11) lgkmcnt(6)
	v_mul_f32_e32 v107, v68, v7
	v_fmac_f32_e32 v106, v67, v4
	v_add_f32_e32 v3, v3, v105
	v_mul_f32_e32 v108, v70, v9
	v_fmac_f32_e32 v107, v69, v6
	v_add_f32_e32 v3, v3, v106
	s_waitcnt vmcnt(10) lgkmcnt(5)
	v_mul_f32_e32 v109, v72, v19
	v_fmac_f32_e32 v108, v71, v8
	v_add_f32_e32 v3, v3, v107
	v_mul_f32_e32 v110, v74, v21
	v_fmac_f32_e32 v109, v73, v18
	;; [unrolled: 7-line block ×3, first 2 shown]
	v_add_f32_e32 v3, v3, v110
	s_waitcnt vmcnt(8) lgkmcnt(3)
	v_mul_f32_e32 v113, v84, v35
	v_mul_f32_e32 v11, v57, v11
	v_fmac_f32_e32 v112, v79, v24
	v_add_f32_e32 v3, v3, v111
	v_mul_f32_e32 v114, v86, v37
	v_mul_f32_e32 v13, v59, v13
	v_fmac_f32_e32 v113, v85, v34
	v_fma_f32 v10, v56, v10, -v11
	v_add_f32_e32 v3, v3, v112
	s_waitcnt vmcnt(7) lgkmcnt(2)
	v_mul_f32_e32 v115, v88, v39
	v_mul_f32_e32 v31, v61, v31
	v_fmac_f32_e32 v114, v87, v36
	v_fma_f32 v11, v58, v12, -v13
	v_add_f32_e32 v10, 0, v10
	v_add_f32_e32 v3, v3, v113
	v_mul_f32_e32 v116, v90, v41
	v_mul_f32_e32 v33, v63, v33
	v_fmac_f32_e32 v115, v89, v38
	v_fma_f32 v12, v60, v30, -v31
	v_add_f32_e32 v10, v10, v11
	v_add_f32_e32 v3, v3, v114
	s_waitcnt vmcnt(6) lgkmcnt(1)
	v_mul_f32_e32 v117, v92, v51
	v_fmac_f32_e32 v116, v91, v40
	v_fma_f32 v13, v62, v32, -v33
	v_add_f32_e32 v10, v10, v12
	v_add_f32_e32 v3, v3, v115
	v_mul_f32_e32 v5, v67, v5
	v_fmac_f32_e32 v117, v93, v50
	v_add_f32_e32 v10, v10, v13
	v_add_f32_e32 v3, v3, v116
	;; [unrolled: 1-line block ×4, first 2 shown]
	v_fma_f32 v3, v66, v4, -v5
	v_add_f32_e32 v2, v2, v3
	v_mul_f32_e32 v3, v69, v7
	v_fma_f32 v3, v68, v6, -v3
	v_add_f32_e32 v2, v2, v3
	v_mul_f32_e32 v3, v71, v9
	;; [unrolled: 3-line block ×12, first 2 shown]
	v_mul_f32_e32 v101, v94, v53
	v_fma_f32 v100, v94, v52, -v2
	s_waitcnt vmcnt(5) lgkmcnt(0)
	v_mul_f32_e32 v2, v97, v47
	v_mov_b32_e32 v22, v49
	v_mul_f32_e32 v103, v96, v47
	v_fmac_f32_e32 v101, v95, v52
	v_fma_f32 v102, v96, v46, -v2
	ds_read2_b64 v[2:5], v82 offset0:105 offset1:106
	ds_read2_b64 v[6:9], v82 offset0:107 offset1:108
	;; [unrolled: 1-line block ×3, first 2 shown]
	ds_read_b64 v[18:19], v82 offset:888
	v_pk_mul_f32 v[22:23], v[98:99], v[22:23] op_sel:[1,0] op_sel_hi:[0,0]
	v_fmac_f32_e32 v103, v97, v46
	v_pk_add_f32 v[20:21], v[30:31], v[100:101]
	v_pk_fma_f32 v[24:25], v[98:99], v[48:49], v[22:23] neg_lo:[0,0,1] neg_hi:[0,0,1]
	v_pk_fma_f32 v[22:23], v[98:99], v[48:49], v[22:23] op_sel_hi:[1,0,1]
	v_pk_add_f32 v[20:21], v[20:21], v[102:103]
	v_mov_b32_e32 v25, v23
	s_waitcnt vmcnt(4) lgkmcnt(3)
	v_pk_mul_f32 v[22:23], v[2:3], v[42:43] op_sel:[1,1] op_sel_hi:[0,1]
	v_pk_add_f32 v[20:21], v[20:21], v[24:25]
	v_pk_fma_f32 v[24:25], v[2:3], v[42:43], v[22:23] neg_lo:[0,0,1] neg_hi:[0,0,1]
	v_pk_fma_f32 v[2:3], v[2:3], v[42:43], v[22:23] op_sel_hi:[1,0,1]
	s_nop 0
	v_mov_b32_e32 v25, v3
	v_pk_add_f32 v[2:3], v[20:21], v[24:25]
	v_mov_b32_e32 v20, v45
	v_pk_mul_f32 v[20:21], v[4:5], v[20:21] op_sel:[1,0] op_sel_hi:[0,0]
	v_pk_fma_f32 v[22:23], v[4:5], v[44:45], v[20:21] neg_lo:[0,0,1] neg_hi:[0,0,1]
	v_pk_fma_f32 v[4:5], v[4:5], v[44:45], v[20:21] op_sel_hi:[1,0,1]
	s_nop 0
	v_mov_b32_e32 v23, v5
	s_waitcnt vmcnt(3) lgkmcnt(2)
	v_pk_mul_f32 v[4:5], v[6:7], v[26:27] op_sel:[1,1] op_sel_hi:[0,1]
	v_pk_fma_f32 v[20:21], v[6:7], v[26:27], v[4:5] neg_lo:[0,0,1] neg_hi:[0,0,1]
	v_pk_fma_f32 v[4:5], v[6:7], v[26:27], v[4:5] op_sel_hi:[1,0,1]
	v_pk_add_f32 v[2:3], v[2:3], v[22:23]
	v_mov_b32_e32 v4, v29
	v_mov_b32_e32 v21, v5
	v_pk_mul_f32 v[4:5], v[8:9], v[4:5] op_sel:[1,0] op_sel_hi:[0,0]
	v_pk_fma_f32 v[6:7], v[8:9], v[28:29], v[4:5] neg_lo:[0,0,1] neg_hi:[0,0,1]
	v_pk_fma_f32 v[4:5], v[8:9], v[28:29], v[4:5] op_sel_hi:[1,0,1]
	v_pk_add_f32 v[2:3], v[2:3], v[20:21]
	v_mov_b32_e32 v7, v5
	s_waitcnt vmcnt(2) lgkmcnt(1)
	v_pk_mul_f32 v[4:5], v[10:11], v[14:15] op_sel:[1,1] op_sel_hi:[0,1]
	v_pk_add_f32 v[2:3], v[2:3], v[6:7]
	v_pk_fma_f32 v[6:7], v[10:11], v[14:15], v[4:5] neg_lo:[0,0,1] neg_hi:[0,0,1]
	v_pk_fma_f32 v[4:5], v[10:11], v[14:15], v[4:5] op_sel_hi:[1,0,1]
	s_nop 0
	v_mov_b32_e32 v4, v17
	v_mov_b32_e32 v7, v5
	v_pk_mul_f32 v[4:5], v[12:13], v[4:5] op_sel:[1,0] op_sel_hi:[0,0]
	v_pk_add_f32 v[2:3], v[2:3], v[6:7]
	v_pk_fma_f32 v[6:7], v[12:13], v[16:17], v[4:5] neg_lo:[0,0,1] neg_hi:[0,0,1]
	v_pk_fma_f32 v[4:5], v[12:13], v[16:17], v[4:5] op_sel_hi:[1,0,1]
	s_nop 0
	v_mov_b32_e32 v7, v5
	s_waitcnt vmcnt(1) lgkmcnt(0)
	v_pk_mul_f32 v[4:5], v[18:19], v[54:55] op_sel:[1,1] op_sel_hi:[0,1]
	v_pk_add_f32 v[2:3], v[2:3], v[6:7]
	v_pk_fma_f32 v[6:7], v[18:19], v[54:55], v[4:5] neg_lo:[0,0,1] neg_hi:[0,0,1]
	v_pk_fma_f32 v[4:5], v[18:19], v[54:55], v[4:5] op_sel_hi:[1,0,1]
	s_nop 0
	v_mov_b32_e32 v7, v5
	v_pk_add_f32 v[2:3], v[2:3], v[6:7]
	s_waitcnt vmcnt(0)
	v_pk_add_f32 v[2:3], v[80:81], v[2:3] neg_lo:[0,1] neg_hi:[0,1]
	scratch_store_dwordx2 off, v[2:3], off offset:224
	s_and_saveexec_b64 s[0:1], vcc
	s_cbranch_execz .LBB55_295
; %bb.294:
	scratch_load_dwordx2 v[2:3], off, off offset:216
	v_mov_b32_e32 v83, v82
	scratch_store_dwordx2 off, v[82:83], off offset:216
	s_waitcnt vmcnt(1)
	ds_write_b64 v1, v[2:3]
.LBB55_295:
	s_or_b64 exec, exec, s[0:1]
	s_waitcnt lgkmcnt(0)
	; wave barrier
	scratch_load_dwordx4 v[18:21], off, off offset:224
	scratch_load_dwordx4 v[34:37], off, off offset:240
	;; [unrolled: 1-line block ×10, first 2 shown]
	ds_read_b128 v[84:87], v82 offset:672
	ds_read_b128 v[88:91], v82 offset:688
	ds_read_b128 v[92:95], v82 offset:704
	ds_read_b128 v[96:99], v82 offset:720
	ds_read_b128 v[78:81], v82 offset:736
	ds_read_b128 v[74:77], v82 offset:752
	ds_read_b128 v[70:73], v82 offset:768
	ds_read_b128 v[66:69], v82 offset:784
	ds_read_b128 v[62:65], v82 offset:800
	ds_read_b128 v[58:61], v82 offset:816
	scratch_load_dwordx4 v[54:57], off, off offset:384
	scratch_load_dwordx4 v[46:49], off, off offset:400
	;; [unrolled: 1-line block ×4, first 2 shown]
	scratch_load_dwordx2 v[100:101], off, off offset:216
	v_cmp_lt_u32_e32 vcc, 26, v0
	s_waitcnt vmcnt(14) lgkmcnt(9)
	v_mul_f32_e32 v83, v84, v19
	v_mul_f32_e32 v102, v86, v21
	s_waitcnt vmcnt(12) lgkmcnt(7)
	v_mul_f32_e32 v107, v92, v3
	v_mul_f32_e32 v3, v93, v3
	v_fmac_f32_e32 v83, v85, v18
	v_mul_f32_e32 v104, v88, v35
	v_fmac_f32_e32 v102, v87, v20
	v_fmac_f32_e32 v107, v93, v2
	v_fma_f32 v2, v92, v2, -v3
	v_add_f32_e32 v3, 0, v83
	v_mul_f32_e32 v106, v90, v37
	v_fmac_f32_e32 v104, v89, v34
	v_add_f32_e32 v3, v3, v102
	v_fmac_f32_e32 v106, v91, v36
	v_add_f32_e32 v3, v3, v104
	v_mul_f32_e32 v108, v94, v5
	v_add_f32_e32 v3, v3, v106
	s_waitcnt vmcnt(11) lgkmcnt(6)
	v_mul_f32_e32 v109, v96, v7
	v_fmac_f32_e32 v108, v95, v4
	v_add_f32_e32 v3, v3, v107
	v_mul_f32_e32 v110, v98, v9
	v_fmac_f32_e32 v109, v97, v6
	v_add_f32_e32 v3, v3, v108
	s_waitcnt vmcnt(10) lgkmcnt(5)
	v_mul_f32_e32 v111, v78, v11
	v_fmac_f32_e32 v110, v99, v8
	v_add_f32_e32 v3, v3, v109
	v_mul_f32_e32 v112, v80, v13
	v_fmac_f32_e32 v111, v79, v10
	;; [unrolled: 7-line block ×4, first 2 shown]
	v_add_f32_e32 v3, v3, v114
	s_waitcnt vmcnt(7) lgkmcnt(2)
	v_mul_f32_e32 v117, v66, v39
	v_mul_f32_e32 v19, v85, v19
	v_fmac_f32_e32 v116, v73, v28
	v_add_f32_e32 v3, v3, v115
	v_mul_f32_e32 v118, v68, v41
	v_mul_f32_e32 v21, v87, v21
	v_fmac_f32_e32 v117, v67, v38
	v_fma_f32 v18, v84, v18, -v19
	v_add_f32_e32 v3, v3, v116
	s_waitcnt vmcnt(6) lgkmcnt(1)
	v_mul_f32_e32 v119, v62, v43
	v_mul_f32_e32 v35, v89, v35
	v_fmac_f32_e32 v118, v69, v40
	v_fma_f32 v19, v86, v20, -v21
	v_add_f32_e32 v18, 0, v18
	v_add_f32_e32 v3, v3, v117
	v_mul_f32_e32 v120, v64, v45
	v_mul_f32_e32 v37, v91, v37
	v_fmac_f32_e32 v119, v63, v42
	v_fma_f32 v20, v88, v34, -v35
	v_add_f32_e32 v18, v18, v19
	v_add_f32_e32 v3, v3, v118
	v_fmac_f32_e32 v120, v65, v44
	v_fma_f32 v21, v90, v36, -v37
	v_add_f32_e32 v18, v18, v20
	v_add_f32_e32 v3, v3, v119
	;; [unrolled: 1-line block ×4, first 2 shown]
	v_mul_f32_e32 v3, v95, v5
	v_add_f32_e32 v2, v18, v2
	v_fma_f32 v3, v94, v4, -v3
	v_add_f32_e32 v2, v2, v3
	v_mul_f32_e32 v3, v97, v7
	v_fma_f32 v3, v96, v6, -v3
	v_add_f32_e32 v2, v2, v3
	v_mul_f32_e32 v3, v99, v9
	;; [unrolled: 3-line block ×12, first 2 shown]
	v_fma_f32 v3, v64, v44, -v3
	v_add_f32_e32 v34, v2, v3
	s_waitcnt vmcnt(5) lgkmcnt(0)
	v_mul_f32_e32 v2, v59, v51
	v_fma_f32 v102, v58, v50, -v2
	v_mul_f32_e32 v2, v61, v53
	v_fma_f32 v104, v60, v52, -v2
	ds_read_b128 v[2:5], v82 offset:832
	ds_read_b128 v[6:9], v82 offset:848
	ds_read_b128 v[10:13], v82 offset:864
	ds_read_b128 v[18:21], v82 offset:880
	v_mul_f32_e32 v103, v58, v51
	v_mul_f32_e32 v105, v60, v53
	v_fmac_f32_e32 v103, v59, v50
	s_waitcnt vmcnt(4) lgkmcnt(3)
	v_pk_mul_f32 v[24:25], v[2:3], v[54:55] op_sel:[1,1] op_sel_hi:[0,1]
	v_fmac_f32_e32 v105, v61, v52
	v_pk_add_f32 v[22:23], v[34:35], v[102:103]
	v_pk_fma_f32 v[26:27], v[2:3], v[54:55], v[24:25] neg_lo:[0,0,1] neg_hi:[0,0,1]
	v_pk_fma_f32 v[2:3], v[2:3], v[54:55], v[24:25] op_sel_hi:[1,0,1]
	v_pk_add_f32 v[22:23], v[22:23], v[104:105]
	v_mov_b32_e32 v27, v3
	v_pk_add_f32 v[2:3], v[22:23], v[26:27]
	v_mov_b32_e32 v22, v57
	v_pk_mul_f32 v[22:23], v[4:5], v[22:23] op_sel:[1,0] op_sel_hi:[0,0]
	v_pk_fma_f32 v[24:25], v[4:5], v[56:57], v[22:23] neg_lo:[0,0,1] neg_hi:[0,0,1]
	v_pk_fma_f32 v[4:5], v[4:5], v[56:57], v[22:23] op_sel_hi:[1,0,1]
	s_nop 0
	v_mov_b32_e32 v25, v5
	s_waitcnt vmcnt(3) lgkmcnt(2)
	v_pk_mul_f32 v[4:5], v[6:7], v[46:47] op_sel:[1,1] op_sel_hi:[0,1]
	v_pk_fma_f32 v[22:23], v[6:7], v[46:47], v[4:5] neg_lo:[0,0,1] neg_hi:[0,0,1]
	v_pk_fma_f32 v[4:5], v[6:7], v[46:47], v[4:5] op_sel_hi:[1,0,1]
	v_pk_add_f32 v[2:3], v[2:3], v[24:25]
	v_mov_b32_e32 v4, v49
	v_mov_b32_e32 v23, v5
	v_pk_mul_f32 v[4:5], v[8:9], v[4:5] op_sel:[1,0] op_sel_hi:[0,0]
	v_pk_fma_f32 v[6:7], v[8:9], v[48:49], v[4:5] neg_lo:[0,0,1] neg_hi:[0,0,1]
	v_pk_fma_f32 v[4:5], v[8:9], v[48:49], v[4:5] op_sel_hi:[1,0,1]
	v_pk_add_f32 v[2:3], v[2:3], v[22:23]
	v_mov_b32_e32 v7, v5
	s_waitcnt vmcnt(2) lgkmcnt(1)
	v_pk_mul_f32 v[4:5], v[10:11], v[30:31] op_sel:[1,1] op_sel_hi:[0,1]
	v_pk_add_f32 v[2:3], v[2:3], v[6:7]
	v_pk_fma_f32 v[6:7], v[10:11], v[30:31], v[4:5] neg_lo:[0,0,1] neg_hi:[0,0,1]
	v_pk_fma_f32 v[4:5], v[10:11], v[30:31], v[4:5] op_sel_hi:[1,0,1]
	s_nop 0
	v_mov_b32_e32 v4, v33
	v_mov_b32_e32 v7, v5
	v_pk_mul_f32 v[4:5], v[12:13], v[4:5] op_sel:[1,0] op_sel_hi:[0,0]
	v_pk_add_f32 v[2:3], v[2:3], v[6:7]
	v_pk_fma_f32 v[6:7], v[12:13], v[32:33], v[4:5] neg_lo:[0,0,1] neg_hi:[0,0,1]
	v_pk_fma_f32 v[4:5], v[12:13], v[32:33], v[4:5] op_sel_hi:[1,0,1]
	s_nop 0
	v_mov_b32_e32 v7, v5
	s_waitcnt vmcnt(1) lgkmcnt(0)
	v_pk_mul_f32 v[4:5], v[18:19], v[14:15] op_sel:[1,1] op_sel_hi:[0,1]
	v_pk_add_f32 v[2:3], v[2:3], v[6:7]
	v_pk_fma_f32 v[6:7], v[18:19], v[14:15], v[4:5] neg_lo:[0,0,1] neg_hi:[0,0,1]
	v_pk_fma_f32 v[4:5], v[18:19], v[14:15], v[4:5] op_sel_hi:[1,0,1]
	s_nop 0
	v_mov_b32_e32 v4, v17
	v_mov_b32_e32 v7, v5
	v_pk_mul_f32 v[4:5], v[20:21], v[4:5] op_sel:[1,0] op_sel_hi:[0,0]
	v_pk_add_f32 v[2:3], v[2:3], v[6:7]
	v_pk_fma_f32 v[6:7], v[20:21], v[16:17], v[4:5] neg_lo:[0,0,1] neg_hi:[0,0,1]
	v_pk_fma_f32 v[4:5], v[20:21], v[16:17], v[4:5] op_sel_hi:[1,0,1]
	s_nop 0
	v_mov_b32_e32 v7, v5
	v_pk_add_f32 v[2:3], v[2:3], v[6:7]
	s_waitcnt vmcnt(0)
	v_pk_add_f32 v[2:3], v[100:101], v[2:3] neg_lo:[0,1] neg_hi:[0,1]
	scratch_store_dwordx2 off, v[2:3], off offset:216
	s_and_saveexec_b64 s[0:1], vcc
	s_cbranch_execz .LBB55_297
; %bb.296:
	scratch_load_dwordx2 v[2:3], off, off offset:208
	v_mov_b32_e32 v4, 0
	v_mov_b32_e32 v5, v4
	scratch_store_dwordx2 off, v[4:5], off offset:208
	s_waitcnt vmcnt(1)
	ds_write_b64 v1, v[2:3]
.LBB55_297:
	s_or_b64 exec, exec, s[0:1]
	s_waitcnt lgkmcnt(0)
	; wave barrier
	scratch_load_dwordx4 v[18:21], off, off offset:216
	scratch_load_dwordx4 v[2:5], off, off offset:232
	;; [unrolled: 1-line block ×14, first 2 shown]
	scratch_load_dwordx2 v[58:59], off, off offset:440
	scratch_load_dwordx2 v[100:101], off, off offset:208
	v_mov_b32_e32 v102, 0
	ds_read2_b64 v[60:63], v102 offset0:83 offset1:84
	ds_read2_b64 v[64:67], v102 offset0:85 offset1:86
	;; [unrolled: 1-line block ×12, first 2 shown]
	v_cmp_lt_u32_e32 vcc, 25, v0
	s_waitcnt vmcnt(15) lgkmcnt(11)
	v_mul_f32_e32 v103, v60, v19
	v_mul_f32_e32 v112, v62, v21
	s_waitcnt vmcnt(14) lgkmcnt(10)
	v_mul_f32_e32 v114, v64, v3
	v_mul_f32_e32 v3, v65, v3
	v_fmac_f32_e32 v103, v61, v18
	v_fmac_f32_e32 v112, v63, v20
	;; [unrolled: 1-line block ×3, first 2 shown]
	v_fma_f32 v2, v64, v2, -v3
	v_add_f32_e32 v3, 0, v103
	v_mul_f32_e32 v116, v66, v5
	v_add_f32_e32 v3, v3, v112
	s_waitcnt vmcnt(13) lgkmcnt(9)
	v_mul_f32_e32 v117, v68, v7
	v_fmac_f32_e32 v116, v67, v4
	v_add_f32_e32 v3, v3, v114
	v_mul_f32_e32 v118, v70, v9
	v_fmac_f32_e32 v117, v69, v6
	v_add_f32_e32 v3, v3, v116
	s_waitcnt vmcnt(12) lgkmcnt(8)
	v_mul_f32_e32 v119, v72, v11
	v_fmac_f32_e32 v118, v71, v8
	v_add_f32_e32 v3, v3, v117
	v_mul_f32_e32 v120, v74, v13
	v_fmac_f32_e32 v119, v73, v10
	;; [unrolled: 7-line block ×6, first 2 shown]
	v_add_f32_e32 v3, v3, v126
	s_waitcnt vmcnt(7) lgkmcnt(3)
	v_mul_f32_e32 v129, v92, v43
	v_fmac_f32_e32 v128, v91, v40
	v_add_f32_e32 v3, v3, v127
	v_mul_f32_e32 v130, v94, v45
	v_mul_f32_e32 v19, v61, v19
	v_fmac_f32_e32 v129, v93, v42
	v_add_f32_e32 v3, v3, v128
	s_waitcnt vmcnt(6) lgkmcnt(2)
	v_mul_f32_e32 v131, v96, v51
	v_mul_f32_e32 v21, v63, v21
	v_fmac_f32_e32 v130, v95, v44
	v_fma_f32 v18, v60, v18, -v19
	v_add_f32_e32 v3, v3, v129
	v_fmac_f32_e32 v131, v97, v50
	v_fma_f32 v19, v62, v20, -v21
	v_add_f32_e32 v18, 0, v18
	v_add_f32_e32 v3, v3, v130
	;; [unrolled: 1-line block ×4, first 2 shown]
	v_mul_f32_e32 v3, v67, v5
	v_add_f32_e32 v2, v18, v2
	v_fma_f32 v3, v66, v4, -v3
	v_add_f32_e32 v2, v2, v3
	v_mul_f32_e32 v3, v69, v7
	v_fma_f32 v3, v68, v6, -v3
	v_add_f32_e32 v2, v2, v3
	v_mul_f32_e32 v3, v71, v9
	;; [unrolled: 3-line block ×15, first 2 shown]
	v_fma_f32 v3, v96, v50, -v3
	v_mul_f32_e32 v113, v98, v53
	v_add_f32_e32 v18, v2, v3
	v_mul_f32_e32 v2, v99, v53
	s_waitcnt vmcnt(5)
	v_mov_b32_e32 v14, v57
	s_waitcnt lgkmcnt(1)
	v_mul_f32_e32 v115, v104, v55
	v_fmac_f32_e32 v113, v99, v52
	v_fma_f32 v112, v98, v52, -v2
	v_mul_f32_e32 v2, v105, v55
	v_pk_mul_f32 v[14:15], v[106:107], v[14:15] op_sel:[1,0] op_sel_hi:[0,0]
	v_fmac_f32_e32 v115, v105, v54
	v_fma_f32 v114, v104, v54, -v2
	v_pk_add_f32 v[12:13], v[18:19], v[112:113]
	v_pk_fma_f32 v[16:17], v[106:107], v[56:57], v[14:15] neg_lo:[0,0,1] neg_hi:[0,0,1]
	v_pk_fma_f32 v[14:15], v[106:107], v[56:57], v[14:15] op_sel_hi:[1,0,1]
	v_pk_add_f32 v[12:13], v[12:13], v[114:115]
	v_mov_b32_e32 v17, v15
	s_waitcnt vmcnt(4) lgkmcnt(0)
	v_pk_mul_f32 v[14:15], v[108:109], v[46:47] op_sel:[1,1] op_sel_hi:[0,1]
	v_pk_add_f32 v[12:13], v[12:13], v[16:17]
	v_pk_fma_f32 v[16:17], v[108:109], v[46:47], v[14:15] neg_lo:[0,0,1] neg_hi:[0,0,1]
	v_pk_fma_f32 v[14:15], v[108:109], v[46:47], v[14:15] op_sel_hi:[1,0,1]
	ds_read2_b64 v[2:5], v102 offset0:107 offset1:108
	ds_read2_b64 v[6:9], v102 offset0:109 offset1:110
	ds_read_b64 v[10:11], v102 offset:888
	v_mov_b32_e32 v14, v49
	v_mov_b32_e32 v17, v15
	v_pk_mul_f32 v[14:15], v[110:111], v[14:15] op_sel:[1,0] op_sel_hi:[0,0]
	v_pk_add_f32 v[12:13], v[12:13], v[16:17]
	v_pk_fma_f32 v[16:17], v[110:111], v[48:49], v[14:15] neg_lo:[0,0,1] neg_hi:[0,0,1]
	v_pk_fma_f32 v[14:15], v[110:111], v[48:49], v[14:15] op_sel_hi:[1,0,1]
	s_nop 0
	v_mov_b32_e32 v17, v15
	s_waitcnt vmcnt(3) lgkmcnt(2)
	v_pk_mul_f32 v[14:15], v[2:3], v[34:35] op_sel:[1,1] op_sel_hi:[0,1]
	v_pk_add_f32 v[12:13], v[12:13], v[16:17]
	v_pk_fma_f32 v[16:17], v[2:3], v[34:35], v[14:15] neg_lo:[0,0,1] neg_hi:[0,0,1]
	v_pk_fma_f32 v[2:3], v[2:3], v[34:35], v[14:15] op_sel_hi:[1,0,1]
	s_nop 0
	v_mov_b32_e32 v17, v3
	v_pk_add_f32 v[2:3], v[12:13], v[16:17]
	v_mov_b32_e32 v12, v37
	v_pk_mul_f32 v[12:13], v[4:5], v[12:13] op_sel:[1,0] op_sel_hi:[0,0]
	v_pk_fma_f32 v[14:15], v[4:5], v[36:37], v[12:13] neg_lo:[0,0,1] neg_hi:[0,0,1]
	v_pk_fma_f32 v[4:5], v[4:5], v[36:37], v[12:13] op_sel_hi:[1,0,1]
	s_nop 0
	v_mov_b32_e32 v15, v5
	s_waitcnt vmcnt(2) lgkmcnt(1)
	v_pk_mul_f32 v[4:5], v[6:7], v[22:23] op_sel:[1,1] op_sel_hi:[0,1]
	v_pk_fma_f32 v[12:13], v[6:7], v[22:23], v[4:5] neg_lo:[0,0,1] neg_hi:[0,0,1]
	v_pk_fma_f32 v[4:5], v[6:7], v[22:23], v[4:5] op_sel_hi:[1,0,1]
	v_pk_add_f32 v[2:3], v[2:3], v[14:15]
	v_mov_b32_e32 v4, v25
	v_mov_b32_e32 v13, v5
	v_pk_mul_f32 v[4:5], v[8:9], v[4:5] op_sel:[1,0] op_sel_hi:[0,0]
	v_pk_fma_f32 v[6:7], v[8:9], v[24:25], v[4:5] neg_lo:[0,0,1] neg_hi:[0,0,1]
	v_pk_fma_f32 v[4:5], v[8:9], v[24:25], v[4:5] op_sel_hi:[1,0,1]
	v_pk_add_f32 v[2:3], v[2:3], v[12:13]
	v_mov_b32_e32 v7, v5
	s_waitcnt vmcnt(1) lgkmcnt(0)
	v_pk_mul_f32 v[4:5], v[10:11], v[58:59] op_sel:[1,1] op_sel_hi:[0,1]
	v_pk_add_f32 v[2:3], v[2:3], v[6:7]
	v_pk_fma_f32 v[6:7], v[10:11], v[58:59], v[4:5] neg_lo:[0,0,1] neg_hi:[0,0,1]
	v_pk_fma_f32 v[4:5], v[10:11], v[58:59], v[4:5] op_sel_hi:[1,0,1]
	s_nop 0
	v_mov_b32_e32 v7, v5
	v_pk_add_f32 v[2:3], v[2:3], v[6:7]
	s_waitcnt vmcnt(0)
	v_pk_add_f32 v[2:3], v[100:101], v[2:3] neg_lo:[0,1] neg_hi:[0,1]
	scratch_store_dwordx2 off, v[2:3], off offset:208
	s_and_saveexec_b64 s[0:1], vcc
	s_cbranch_execz .LBB55_299
; %bb.298:
	scratch_load_dwordx2 v[2:3], off, off offset:200
	v_mov_b32_e32 v103, v102
	scratch_store_dwordx2 off, v[102:103], off offset:200
	s_waitcnt vmcnt(1)
	ds_write_b64 v1, v[2:3]
.LBB55_299:
	s_or_b64 exec, exec, s[0:1]
	s_waitcnt lgkmcnt(0)
	; wave barrier
	scratch_load_dwordx4 v[22:25], off, off offset:208
	scratch_load_dwordx4 v[2:5], off, off offset:224
	;; [unrolled: 1-line block ×11, first 2 shown]
	ds_read_b128 v[104:107], v102 offset:656
	ds_read_b128 v[98:101], v102 offset:672
	;; [unrolled: 1-line block ×10, first 2 shown]
	scratch_load_dwordx4 v[58:61], off, off offset:384
	scratch_load_dwordx4 v[50:53], off, off offset:400
	;; [unrolled: 1-line block ×4, first 2 shown]
	ds_read_b128 v[78:81], v102 offset:816
	ds_read_b128 v[108:111], v102 offset:832
	scratch_load_dwordx2 v[112:113], off, off offset:200
	v_cmp_lt_u32_e32 vcc, 24, v0
	s_waitcnt vmcnt(15) lgkmcnt(11)
	v_mul_f32_e32 v103, v104, v23
	v_mul_f32_e32 v114, v106, v25
	s_waitcnt vmcnt(14) lgkmcnt(10)
	v_mul_f32_e32 v116, v98, v3
	v_mul_f32_e32 v3, v99, v3
	v_fmac_f32_e32 v103, v105, v22
	v_fmac_f32_e32 v114, v107, v24
	;; [unrolled: 1-line block ×3, first 2 shown]
	v_fma_f32 v2, v98, v2, -v3
	v_add_f32_e32 v3, 0, v103
	v_mul_f32_e32 v118, v100, v5
	v_add_f32_e32 v3, v3, v114
	s_waitcnt vmcnt(13) lgkmcnt(9)
	v_mul_f32_e32 v119, v94, v7
	v_fmac_f32_e32 v118, v101, v4
	v_add_f32_e32 v3, v3, v116
	v_mul_f32_e32 v120, v96, v9
	v_fmac_f32_e32 v119, v95, v6
	v_add_f32_e32 v3, v3, v118
	s_waitcnt vmcnt(12) lgkmcnt(8)
	v_mul_f32_e32 v121, v90, v11
	v_fmac_f32_e32 v120, v97, v8
	v_add_f32_e32 v3, v3, v119
	v_mul_f32_e32 v122, v92, v13
	v_fmac_f32_e32 v121, v91, v10
	;; [unrolled: 7-line block ×7, first 2 shown]
	v_add_f32_e32 v3, v3, v130
	s_waitcnt vmcnt(6) lgkmcnt(2)
	v_mul_f32_e32 v133, v62, v47
	v_mul_f32_e32 v23, v105, v23
	v_fmac_f32_e32 v132, v69, v44
	v_add_f32_e32 v3, v3, v131
	v_mul_f32_e32 v134, v64, v49
	v_mul_f32_e32 v25, v107, v25
	v_fmac_f32_e32 v133, v63, v46
	v_fma_f32 v22, v104, v22, -v23
	v_add_f32_e32 v3, v3, v132
	v_fmac_f32_e32 v134, v65, v48
	v_fma_f32 v23, v106, v24, -v25
	v_add_f32_e32 v22, 0, v22
	v_add_f32_e32 v3, v3, v133
	;; [unrolled: 1-line block ×4, first 2 shown]
	v_mul_f32_e32 v3, v101, v5
	v_add_f32_e32 v2, v22, v2
	v_fma_f32 v3, v100, v4, -v3
	v_add_f32_e32 v2, v2, v3
	v_mul_f32_e32 v3, v95, v7
	v_fma_f32 v3, v94, v6, -v3
	v_add_f32_e32 v2, v2, v3
	v_mul_f32_e32 v3, v97, v9
	;; [unrolled: 3-line block ×16, first 2 shown]
	v_fma_f32 v3, v64, v48, -v3
	s_waitcnt vmcnt(5) lgkmcnt(1)
	v_mul_f32_e32 v115, v78, v55
	v_add_f32_e32 v22, v2, v3
	v_mul_f32_e32 v2, v79, v55
	s_waitcnt vmcnt(4) lgkmcnt(0)
	v_pk_mul_f32 v[16:17], v[108:109], v[58:59] op_sel:[1,1] op_sel_hi:[0,1]
	v_mul_f32_e32 v117, v80, v57
	v_fmac_f32_e32 v115, v79, v54
	v_fma_f32 v114, v78, v54, -v2
	v_mul_f32_e32 v2, v81, v57
	v_pk_fma_f32 v[18:19], v[108:109], v[58:59], v[16:17] neg_lo:[0,0,1] neg_hi:[0,0,1]
	v_pk_fma_f32 v[16:17], v[108:109], v[58:59], v[16:17] op_sel_hi:[1,0,1]
	v_fmac_f32_e32 v117, v81, v56
	v_fma_f32 v116, v80, v56, -v2
	ds_read_b128 v[2:5], v102 offset:848
	ds_read_b128 v[6:9], v102 offset:864
	;; [unrolled: 1-line block ×3, first 2 shown]
	v_pk_add_f32 v[14:15], v[22:23], v[114:115]
	v_mov_b32_e32 v16, v61
	v_pk_add_f32 v[14:15], v[14:15], v[116:117]
	v_mov_b32_e32 v19, v17
	v_pk_mul_f32 v[16:17], v[110:111], v[16:17] op_sel:[1,0] op_sel_hi:[0,0]
	v_pk_add_f32 v[14:15], v[14:15], v[18:19]
	v_pk_fma_f32 v[18:19], v[110:111], v[60:61], v[16:17] neg_lo:[0,0,1] neg_hi:[0,0,1]
	v_pk_fma_f32 v[16:17], v[110:111], v[60:61], v[16:17] op_sel_hi:[1,0,1]
	s_nop 0
	v_mov_b32_e32 v19, v17
	s_waitcnt vmcnt(3) lgkmcnt(2)
	v_pk_mul_f32 v[16:17], v[2:3], v[50:51] op_sel:[1,1] op_sel_hi:[0,1]
	v_pk_add_f32 v[14:15], v[14:15], v[18:19]
	v_pk_fma_f32 v[18:19], v[2:3], v[50:51], v[16:17] neg_lo:[0,0,1] neg_hi:[0,0,1]
	v_pk_fma_f32 v[2:3], v[2:3], v[50:51], v[16:17] op_sel_hi:[1,0,1]
	s_nop 0
	v_mov_b32_e32 v19, v3
	v_pk_add_f32 v[2:3], v[14:15], v[18:19]
	v_mov_b32_e32 v14, v53
	v_pk_mul_f32 v[14:15], v[4:5], v[14:15] op_sel:[1,0] op_sel_hi:[0,0]
	v_pk_fma_f32 v[16:17], v[4:5], v[52:53], v[14:15] neg_lo:[0,0,1] neg_hi:[0,0,1]
	v_pk_fma_f32 v[4:5], v[4:5], v[52:53], v[14:15] op_sel_hi:[1,0,1]
	s_nop 0
	v_mov_b32_e32 v17, v5
	s_waitcnt vmcnt(2) lgkmcnt(1)
	v_pk_mul_f32 v[4:5], v[6:7], v[38:39] op_sel:[1,1] op_sel_hi:[0,1]
	v_pk_fma_f32 v[14:15], v[6:7], v[38:39], v[4:5] neg_lo:[0,0,1] neg_hi:[0,0,1]
	v_pk_fma_f32 v[4:5], v[6:7], v[38:39], v[4:5] op_sel_hi:[1,0,1]
	v_pk_add_f32 v[2:3], v[2:3], v[16:17]
	v_mov_b32_e32 v4, v41
	v_mov_b32_e32 v15, v5
	v_pk_mul_f32 v[4:5], v[8:9], v[4:5] op_sel:[1,0] op_sel_hi:[0,0]
	v_pk_fma_f32 v[6:7], v[8:9], v[40:41], v[4:5] neg_lo:[0,0,1] neg_hi:[0,0,1]
	v_pk_fma_f32 v[4:5], v[8:9], v[40:41], v[4:5] op_sel_hi:[1,0,1]
	v_pk_add_f32 v[2:3], v[2:3], v[14:15]
	v_mov_b32_e32 v7, v5
	s_waitcnt vmcnt(1) lgkmcnt(0)
	v_pk_mul_f32 v[4:5], v[10:11], v[26:27] op_sel:[1,1] op_sel_hi:[0,1]
	v_pk_add_f32 v[2:3], v[2:3], v[6:7]
	v_pk_fma_f32 v[6:7], v[10:11], v[26:27], v[4:5] neg_lo:[0,0,1] neg_hi:[0,0,1]
	v_pk_fma_f32 v[4:5], v[10:11], v[26:27], v[4:5] op_sel_hi:[1,0,1]
	s_nop 0
	v_mov_b32_e32 v4, v29
	v_mov_b32_e32 v7, v5
	v_pk_mul_f32 v[4:5], v[12:13], v[4:5] op_sel:[1,0] op_sel_hi:[0,0]
	v_pk_add_f32 v[2:3], v[2:3], v[6:7]
	v_pk_fma_f32 v[6:7], v[12:13], v[28:29], v[4:5] neg_lo:[0,0,1] neg_hi:[0,0,1]
	v_pk_fma_f32 v[4:5], v[12:13], v[28:29], v[4:5] op_sel_hi:[1,0,1]
	s_nop 0
	v_mov_b32_e32 v7, v5
	v_pk_add_f32 v[2:3], v[2:3], v[6:7]
	s_waitcnt vmcnt(0)
	v_pk_add_f32 v[2:3], v[112:113], v[2:3] neg_lo:[0,1] neg_hi:[0,1]
	scratch_store_dwordx2 off, v[2:3], off offset:200
	s_and_saveexec_b64 s[0:1], vcc
	s_cbranch_execz .LBB55_301
; %bb.300:
	scratch_load_dwordx2 v[2:3], off, off offset:192
	v_mov_b32_e32 v4, 0
	v_mov_b32_e32 v5, v4
	scratch_store_dwordx2 off, v[4:5], off offset:192
	s_waitcnt vmcnt(1)
	ds_write_b64 v1, v[2:3]
.LBB55_301:
	s_or_b64 exec, exec, s[0:1]
	s_waitcnt lgkmcnt(0)
	; wave barrier
	scratch_load_dwordx4 v[2:5], off, off offset:200
	scratch_load_dwordx4 v[6:9], off, off offset:216
	;; [unrolled: 1-line block ×15, first 2 shown]
	scratch_load_dwordx2 v[62:63], off, off offset:440
	scratch_load_dwordx2 v[112:113], off, off offset:192
	v_mov_b32_e32 v114, 0
	ds_read2_b64 v[64:67], v114 offset0:81 offset1:82
	ds_read2_b64 v[68:71], v114 offset0:83 offset1:84
	ds_read2_b64 v[72:75], v114 offset0:85 offset1:86
	ds_read2_b64 v[76:79], v114 offset0:87 offset1:88
	ds_read2_b64 v[80:83], v114 offset0:89 offset1:90
	ds_read2_b64 v[84:87], v114 offset0:91 offset1:92
	ds_read2_b64 v[88:91], v114 offset0:93 offset1:94
	ds_read2_b64 v[92:95], v114 offset0:95 offset1:96
	ds_read2_b64 v[96:99], v114 offset0:97 offset1:98
	ds_read2_b64 v[100:103], v114 offset0:99 offset1:100
	ds_read2_b64 v[104:107], v114 offset0:101 offset1:102
	ds_read2_b64 v[108:111], v114 offset0:103 offset1:104
	v_cmp_lt_u32_e32 vcc, 23, v0
	s_waitcnt vmcnt(16) lgkmcnt(11)
	v_mul_f32_e32 v115, v64, v3
	v_mul_f32_e32 v116, v66, v5
	;; [unrolled: 1-line block ×3, first 2 shown]
	v_fmac_f32_e32 v115, v65, v2
	s_waitcnt vmcnt(15) lgkmcnt(10)
	v_mul_f32_e32 v118, v68, v7
	v_fmac_f32_e32 v116, v67, v4
	v_fma_f32 v2, v64, v2, -v3
	v_add_f32_e32 v3, 0, v115
	v_mul_f32_e32 v120, v70, v9
	v_fmac_f32_e32 v118, v69, v6
	v_add_f32_e32 v3, v3, v116
	s_waitcnt vmcnt(14) lgkmcnt(9)
	v_mul_f32_e32 v121, v72, v11
	v_fmac_f32_e32 v120, v71, v8
	v_add_f32_e32 v3, v3, v118
	v_mul_f32_e32 v122, v74, v13
	v_fmac_f32_e32 v121, v73, v10
	v_add_f32_e32 v3, v3, v120
	s_waitcnt vmcnt(13) lgkmcnt(8)
	v_mul_f32_e32 v123, v76, v15
	v_fmac_f32_e32 v122, v75, v12
	;; [unrolled: 7-line block ×9, first 2 shown]
	v_add_f32_e32 v3, v3, v135
	v_mul_f32_e32 v5, v67, v5
	v_fmac_f32_e32 v137, v105, v58
	v_add_f32_e32 v3, v3, v136
	v_add_f32_e32 v2, 0, v2
	;; [unrolled: 1-line block ×3, first 2 shown]
	v_fma_f32 v3, v66, v4, -v5
	v_add_f32_e32 v2, v2, v3
	v_mul_f32_e32 v3, v69, v7
	v_fma_f32 v3, v68, v6, -v3
	v_add_f32_e32 v2, v2, v3
	v_mul_f32_e32 v3, v71, v9
	;; [unrolled: 3-line block ×20, first 2 shown]
	v_mul_f32_e32 v117, v106, v61
	v_fma_f32 v116, v106, v60, -v2
	s_waitcnt vmcnt(5) lgkmcnt(0)
	v_mul_f32_e32 v2, v109, v55
	v_mov_b32_e32 v18, v57
	v_mul_f32_e32 v119, v108, v55
	v_fmac_f32_e32 v117, v107, v60
	v_fma_f32 v118, v108, v54, -v2
	ds_read2_b64 v[2:5], v114 offset0:105 offset1:106
	ds_read2_b64 v[6:9], v114 offset0:107 offset1:108
	;; [unrolled: 1-line block ×3, first 2 shown]
	ds_read_b64 v[14:15], v114 offset:888
	v_pk_mul_f32 v[18:19], v[110:111], v[18:19] op_sel:[1,0] op_sel_hi:[0,0]
	v_fmac_f32_e32 v119, v109, v54
	v_pk_add_f32 v[16:17], v[64:65], v[116:117]
	v_pk_fma_f32 v[20:21], v[110:111], v[56:57], v[18:19] neg_lo:[0,0,1] neg_hi:[0,0,1]
	v_pk_fma_f32 v[18:19], v[110:111], v[56:57], v[18:19] op_sel_hi:[1,0,1]
	v_pk_add_f32 v[16:17], v[16:17], v[118:119]
	v_mov_b32_e32 v21, v19
	s_waitcnt vmcnt(4) lgkmcnt(3)
	v_pk_mul_f32 v[18:19], v[2:3], v[50:51] op_sel:[1,1] op_sel_hi:[0,1]
	v_pk_add_f32 v[16:17], v[16:17], v[20:21]
	v_pk_fma_f32 v[20:21], v[2:3], v[50:51], v[18:19] neg_lo:[0,0,1] neg_hi:[0,0,1]
	v_pk_fma_f32 v[2:3], v[2:3], v[50:51], v[18:19] op_sel_hi:[1,0,1]
	s_nop 0
	v_mov_b32_e32 v21, v3
	v_pk_add_f32 v[2:3], v[16:17], v[20:21]
	v_mov_b32_e32 v16, v53
	v_pk_mul_f32 v[16:17], v[4:5], v[16:17] op_sel:[1,0] op_sel_hi:[0,0]
	v_pk_fma_f32 v[18:19], v[4:5], v[52:53], v[16:17] neg_lo:[0,0,1] neg_hi:[0,0,1]
	v_pk_fma_f32 v[4:5], v[4:5], v[52:53], v[16:17] op_sel_hi:[1,0,1]
	s_nop 0
	v_mov_b32_e32 v19, v5
	s_waitcnt vmcnt(3) lgkmcnt(2)
	v_pk_mul_f32 v[4:5], v[6:7], v[38:39] op_sel:[1,1] op_sel_hi:[0,1]
	v_pk_fma_f32 v[16:17], v[6:7], v[38:39], v[4:5] neg_lo:[0,0,1] neg_hi:[0,0,1]
	v_pk_fma_f32 v[4:5], v[6:7], v[38:39], v[4:5] op_sel_hi:[1,0,1]
	v_pk_add_f32 v[2:3], v[2:3], v[18:19]
	v_mov_b32_e32 v4, v41
	v_mov_b32_e32 v17, v5
	v_pk_mul_f32 v[4:5], v[8:9], v[4:5] op_sel:[1,0] op_sel_hi:[0,0]
	v_pk_fma_f32 v[6:7], v[8:9], v[40:41], v[4:5] neg_lo:[0,0,1] neg_hi:[0,0,1]
	v_pk_fma_f32 v[4:5], v[8:9], v[40:41], v[4:5] op_sel_hi:[1,0,1]
	v_pk_add_f32 v[2:3], v[2:3], v[16:17]
	v_mov_b32_e32 v7, v5
	s_waitcnt vmcnt(2) lgkmcnt(1)
	v_pk_mul_f32 v[4:5], v[10:11], v[26:27] op_sel:[1,1] op_sel_hi:[0,1]
	v_pk_add_f32 v[2:3], v[2:3], v[6:7]
	v_pk_fma_f32 v[6:7], v[10:11], v[26:27], v[4:5] neg_lo:[0,0,1] neg_hi:[0,0,1]
	v_pk_fma_f32 v[4:5], v[10:11], v[26:27], v[4:5] op_sel_hi:[1,0,1]
	s_nop 0
	v_mov_b32_e32 v4, v29
	v_mov_b32_e32 v7, v5
	v_pk_mul_f32 v[4:5], v[12:13], v[4:5] op_sel:[1,0] op_sel_hi:[0,0]
	v_pk_add_f32 v[2:3], v[2:3], v[6:7]
	v_pk_fma_f32 v[6:7], v[12:13], v[28:29], v[4:5] neg_lo:[0,0,1] neg_hi:[0,0,1]
	v_pk_fma_f32 v[4:5], v[12:13], v[28:29], v[4:5] op_sel_hi:[1,0,1]
	s_nop 0
	v_mov_b32_e32 v7, v5
	s_waitcnt vmcnt(1) lgkmcnt(0)
	v_pk_mul_f32 v[4:5], v[14:15], v[62:63] op_sel:[1,1] op_sel_hi:[0,1]
	v_pk_add_f32 v[2:3], v[2:3], v[6:7]
	v_pk_fma_f32 v[6:7], v[14:15], v[62:63], v[4:5] neg_lo:[0,0,1] neg_hi:[0,0,1]
	v_pk_fma_f32 v[4:5], v[14:15], v[62:63], v[4:5] op_sel_hi:[1,0,1]
	s_nop 0
	v_mov_b32_e32 v7, v5
	v_pk_add_f32 v[2:3], v[2:3], v[6:7]
	s_waitcnt vmcnt(0)
	v_pk_add_f32 v[2:3], v[112:113], v[2:3] neg_lo:[0,1] neg_hi:[0,1]
	scratch_store_dwordx2 off, v[2:3], off offset:192
	s_and_saveexec_b64 s[0:1], vcc
	s_cbranch_execz .LBB55_303
; %bb.302:
	scratch_load_dwordx2 v[2:3], off, off offset:184
	v_mov_b32_e32 v115, v114
	scratch_store_dwordx2 off, v[114:115], off offset:184
	s_waitcnt vmcnt(1)
	ds_write_b64 v1, v[2:3]
.LBB55_303:
	s_or_b64 exec, exec, s[0:1]
	s_waitcnt lgkmcnt(0)
	; wave barrier
	scratch_load_dwordx4 v[2:5], off, off offset:192
	scratch_load_dwordx4 v[6:9], off, off offset:208
	;; [unrolled: 1-line block ×12, first 2 shown]
	ds_read_b128 v[110:113], v114 offset:640
	ds_read_b128 v[106:109], v114 offset:656
	;; [unrolled: 1-line block ×12, first 2 shown]
	scratch_load_dwordx4 v[62:65], off, off offset:384
	scratch_load_dwordx4 v[54:57], off, off offset:400
	;; [unrolled: 1-line block ×4, first 2 shown]
	scratch_load_dwordx2 v[116:117], off, off offset:184
	v_cmp_lt_u32_e32 vcc, 22, v0
	s_waitcnt vmcnt(16) lgkmcnt(11)
	v_mul_f32_e32 v115, v110, v3
	v_mul_f32_e32 v118, v112, v5
	;; [unrolled: 1-line block ×3, first 2 shown]
	v_fmac_f32_e32 v115, v111, v2
	s_waitcnt vmcnt(15) lgkmcnt(10)
	v_mul_f32_e32 v120, v106, v7
	v_fmac_f32_e32 v118, v113, v4
	v_fma_f32 v2, v110, v2, -v3
	v_add_f32_e32 v3, 0, v115
	v_mul_f32_e32 v122, v108, v9
	v_fmac_f32_e32 v120, v107, v6
	v_add_f32_e32 v3, v3, v118
	s_waitcnt vmcnt(14) lgkmcnt(9)
	v_mul_f32_e32 v123, v102, v11
	v_fmac_f32_e32 v122, v109, v8
	v_add_f32_e32 v3, v3, v120
	v_mul_f32_e32 v124, v104, v13
	v_fmac_f32_e32 v123, v103, v10
	v_add_f32_e32 v3, v3, v122
	s_waitcnt vmcnt(13) lgkmcnt(8)
	v_mul_f32_e32 v125, v98, v15
	v_fmac_f32_e32 v124, v105, v12
	;; [unrolled: 7-line block ×9, first 2 shown]
	v_add_f32_e32 v3, v3, v137
	v_mul_f32_e32 v140, v72, v53
	v_fmac_f32_e32 v139, v71, v50
	v_add_f32_e32 v3, v3, v138
	v_fmac_f32_e32 v140, v73, v52
	v_add_f32_e32 v3, v3, v139
	v_add_f32_e32 v111, v3, v140
	v_mul_f32_e32 v3, v113, v5
	v_add_f32_e32 v2, 0, v2
	v_fma_f32 v3, v112, v4, -v3
	v_add_f32_e32 v2, v2, v3
	v_mul_f32_e32 v3, v107, v7
	v_fma_f32 v3, v106, v6, -v3
	v_add_f32_e32 v2, v2, v3
	v_mul_f32_e32 v3, v109, v9
	;; [unrolled: 3-line block ×20, first 2 shown]
	v_fma_f32 v3, v72, v52, -v3
	v_add_f32_e32 v110, v2, v3
	s_waitcnt vmcnt(5) lgkmcnt(0)
	v_mul_f32_e32 v2, v67, v59
	v_fma_f32 v118, v66, v58, -v2
	v_mul_f32_e32 v2, v69, v61
	v_fma_f32 v120, v68, v60, -v2
	ds_read_b128 v[2:5], v114 offset:832
	ds_read_b128 v[6:9], v114 offset:848
	;; [unrolled: 1-line block ×4, first 2 shown]
	v_mul_f32_e32 v119, v66, v59
	v_mul_f32_e32 v121, v68, v61
	v_fmac_f32_e32 v119, v67, v58
	s_waitcnt vmcnt(4) lgkmcnt(3)
	v_pk_mul_f32 v[20:21], v[2:3], v[62:63] op_sel:[1,1] op_sel_hi:[0,1]
	v_fmac_f32_e32 v121, v69, v60
	v_pk_add_f32 v[18:19], v[110:111], v[118:119]
	v_pk_fma_f32 v[22:23], v[2:3], v[62:63], v[20:21] neg_lo:[0,0,1] neg_hi:[0,0,1]
	v_pk_fma_f32 v[2:3], v[2:3], v[62:63], v[20:21] op_sel_hi:[1,0,1]
	v_pk_add_f32 v[18:19], v[18:19], v[120:121]
	v_mov_b32_e32 v23, v3
	v_pk_add_f32 v[2:3], v[18:19], v[22:23]
	v_mov_b32_e32 v18, v65
	v_pk_mul_f32 v[18:19], v[4:5], v[18:19] op_sel:[1,0] op_sel_hi:[0,0]
	v_pk_fma_f32 v[20:21], v[4:5], v[64:65], v[18:19] neg_lo:[0,0,1] neg_hi:[0,0,1]
	v_pk_fma_f32 v[4:5], v[4:5], v[64:65], v[18:19] op_sel_hi:[1,0,1]
	s_nop 0
	v_mov_b32_e32 v21, v5
	s_waitcnt vmcnt(3) lgkmcnt(2)
	v_pk_mul_f32 v[4:5], v[6:7], v[54:55] op_sel:[1,1] op_sel_hi:[0,1]
	v_pk_fma_f32 v[18:19], v[6:7], v[54:55], v[4:5] neg_lo:[0,0,1] neg_hi:[0,0,1]
	v_pk_fma_f32 v[4:5], v[6:7], v[54:55], v[4:5] op_sel_hi:[1,0,1]
	v_pk_add_f32 v[2:3], v[2:3], v[20:21]
	v_mov_b32_e32 v4, v57
	v_mov_b32_e32 v19, v5
	v_pk_mul_f32 v[4:5], v[8:9], v[4:5] op_sel:[1,0] op_sel_hi:[0,0]
	v_pk_fma_f32 v[6:7], v[8:9], v[56:57], v[4:5] neg_lo:[0,0,1] neg_hi:[0,0,1]
	v_pk_fma_f32 v[4:5], v[8:9], v[56:57], v[4:5] op_sel_hi:[1,0,1]
	v_pk_add_f32 v[2:3], v[2:3], v[18:19]
	v_mov_b32_e32 v7, v5
	s_waitcnt vmcnt(2) lgkmcnt(1)
	v_pk_mul_f32 v[4:5], v[10:11], v[42:43] op_sel:[1,1] op_sel_hi:[0,1]
	v_pk_add_f32 v[2:3], v[2:3], v[6:7]
	v_pk_fma_f32 v[6:7], v[10:11], v[42:43], v[4:5] neg_lo:[0,0,1] neg_hi:[0,0,1]
	v_pk_fma_f32 v[4:5], v[10:11], v[42:43], v[4:5] op_sel_hi:[1,0,1]
	s_nop 0
	v_mov_b32_e32 v4, v45
	v_mov_b32_e32 v7, v5
	v_pk_mul_f32 v[4:5], v[12:13], v[4:5] op_sel:[1,0] op_sel_hi:[0,0]
	v_pk_add_f32 v[2:3], v[2:3], v[6:7]
	v_pk_fma_f32 v[6:7], v[12:13], v[44:45], v[4:5] neg_lo:[0,0,1] neg_hi:[0,0,1]
	v_pk_fma_f32 v[4:5], v[12:13], v[44:45], v[4:5] op_sel_hi:[1,0,1]
	s_nop 0
	v_mov_b32_e32 v7, v5
	s_waitcnt vmcnt(1) lgkmcnt(0)
	v_pk_mul_f32 v[4:5], v[14:15], v[34:35] op_sel:[1,1] op_sel_hi:[0,1]
	v_pk_add_f32 v[2:3], v[2:3], v[6:7]
	v_pk_fma_f32 v[6:7], v[14:15], v[34:35], v[4:5] neg_lo:[0,0,1] neg_hi:[0,0,1]
	v_pk_fma_f32 v[4:5], v[14:15], v[34:35], v[4:5] op_sel_hi:[1,0,1]
	s_nop 0
	v_mov_b32_e32 v4, v37
	v_mov_b32_e32 v7, v5
	v_pk_mul_f32 v[4:5], v[16:17], v[4:5] op_sel:[1,0] op_sel_hi:[0,0]
	v_pk_add_f32 v[2:3], v[2:3], v[6:7]
	v_pk_fma_f32 v[6:7], v[16:17], v[36:37], v[4:5] neg_lo:[0,0,1] neg_hi:[0,0,1]
	v_pk_fma_f32 v[4:5], v[16:17], v[36:37], v[4:5] op_sel_hi:[1,0,1]
	s_nop 0
	v_mov_b32_e32 v7, v5
	v_pk_add_f32 v[2:3], v[2:3], v[6:7]
	s_waitcnt vmcnt(0)
	v_pk_add_f32 v[2:3], v[116:117], v[2:3] neg_lo:[0,1] neg_hi:[0,1]
	scratch_store_dwordx2 off, v[2:3], off offset:184
	s_and_saveexec_b64 s[0:1], vcc
	s_cbranch_execz .LBB55_305
; %bb.304:
	scratch_load_dwordx2 v[2:3], off, off offset:176
	v_mov_b32_e32 v4, 0
	v_mov_b32_e32 v5, v4
	scratch_store_dwordx2 off, v[4:5], off offset:176
	s_waitcnt vmcnt(1)
	ds_write_b64 v1, v[2:3]
.LBB55_305:
	s_or_b64 exec, exec, s[0:1]
	s_waitcnt lgkmcnt(0)
	; wave barrier
	scratch_load_dwordx4 v[2:5], off, off offset:184
	scratch_load_dwordx4 v[6:9], off, off offset:200
	;; [unrolled: 1-line block ×13, first 2 shown]
	v_mov_b32_e32 v106, 0
	scratch_load_dwordx2 v[124:125], off, off offset:176
	ds_read2_b64 v[54:57], v106 offset0:79 offset1:80
	ds_read2_b64 v[58:61], v106 offset0:81 offset1:82
	;; [unrolled: 1-line block ×14, first 2 shown]
	v_cmp_lt_u32_e32 vcc, 21, v0
	s_waitcnt vmcnt(13) lgkmcnt(13)
	v_mul_f32_e32 v107, v54, v3
	v_mul_f32_e32 v112, v56, v5
	v_fmac_f32_e32 v107, v55, v2
	s_waitcnt vmcnt(12) lgkmcnt(12)
	v_mul_f32_e32 v113, v58, v7
	v_fmac_f32_e32 v112, v57, v4
	v_add_f32_e32 v107, 0, v107
	v_mul_f32_e32 v114, v60, v9
	v_fmac_f32_e32 v113, v59, v6
	v_add_f32_e32 v107, v107, v112
	s_waitcnt vmcnt(11) lgkmcnt(11)
	v_mul_f32_e32 v115, v62, v11
	v_fmac_f32_e32 v114, v61, v8
	v_add_f32_e32 v107, v107, v113
	v_mul_f32_e32 v116, v64, v13
	v_fmac_f32_e32 v115, v63, v10
	v_add_f32_e32 v107, v107, v114
	s_waitcnt vmcnt(10) lgkmcnt(10)
	v_mul_f32_e32 v117, v66, v15
	v_fmac_f32_e32 v116, v65, v12
	v_add_f32_e32 v107, v107, v115
	v_mul_f32_e32 v118, v68, v17
	v_fmac_f32_e32 v117, v67, v14
	v_add_f32_e32 v107, v107, v116
	s_waitcnt vmcnt(9) lgkmcnt(9)
	v_mul_f32_e32 v119, v70, v19
	v_fmac_f32_e32 v118, v69, v16
	v_add_f32_e32 v107, v107, v117
	v_mul_f32_e32 v120, v72, v21
	v_fmac_f32_e32 v119, v71, v18
	v_add_f32_e32 v107, v107, v118
	s_waitcnt vmcnt(8) lgkmcnt(8)
	v_mul_f32_e32 v121, v74, v23
	v_fmac_f32_e32 v120, v73, v20
	v_add_f32_e32 v107, v107, v119
	v_mul_f32_e32 v122, v76, v25
	v_fmac_f32_e32 v121, v75, v22
	v_add_f32_e32 v107, v107, v120
	s_waitcnt vmcnt(7) lgkmcnt(7)
	v_mul_f32_e32 v123, v78, v27
	v_fmac_f32_e32 v122, v77, v24
	v_add_f32_e32 v107, v107, v121
	v_mul_f32_e32 v126, v80, v29
	v_fmac_f32_e32 v123, v79, v26
	v_add_f32_e32 v107, v107, v122
	s_waitcnt vmcnt(6) lgkmcnt(6)
	v_mul_f32_e32 v128, v82, v31
	v_fmac_f32_e32 v126, v81, v28
	v_add_f32_e32 v107, v107, v123
	v_mul_f32_e32 v130, v84, v33
	v_fmac_f32_e32 v128, v83, v30
	v_add_f32_e32 v107, v107, v126
	s_waitcnt vmcnt(5) lgkmcnt(5)
	v_mul_f32_e32 v131, v86, v35
	v_fmac_f32_e32 v130, v85, v32
	v_add_f32_e32 v107, v107, v128
	v_mul_f32_e32 v132, v88, v37
	v_fmac_f32_e32 v131, v87, v34
	v_add_f32_e32 v107, v107, v130
	s_waitcnt vmcnt(4) lgkmcnt(4)
	v_mul_f32_e32 v133, v90, v39
	v_fmac_f32_e32 v132, v89, v36
	v_add_f32_e32 v107, v107, v131
	v_fmac_f32_e32 v133, v91, v38
	v_add_f32_e32 v107, v107, v132
	v_add_f32_e32 v107, v107, v133
	scratch_load_dwordx4 v[112:115], off, off offset:392
	scratch_load_dwordx4 v[116:119], off, off offset:408
	;; [unrolled: 1-line block ×3, first 2 shown]
	scratch_load_dwordx2 v[132:133], off, off offset:440
	v_mul_f32_e32 v3, v55, v3
	v_fma_f32 v2, v54, v2, -v3
	v_mul_f32_e32 v3, v57, v5
	v_add_f32_e32 v2, 0, v2
	v_fma_f32 v3, v56, v4, -v3
	v_add_f32_e32 v2, v2, v3
	v_mul_f32_e32 v3, v59, v7
	v_fma_f32 v3, v58, v6, -v3
	v_add_f32_e32 v2, v2, v3
	v_mul_f32_e32 v3, v61, v9
	;; [unrolled: 3-line block ×18, first 2 shown]
	v_fma_f32 v3, v92, v40, -v3
	v_add_f32_e32 v2, v2, v3
	s_waitcnt vmcnt(7) lgkmcnt(3)
	v_mul_f32_e32 v3, v95, v43
	v_fma_f32 v3, v94, v42, -v3
	v_mul_f32_e32 v134, v92, v41
	v_add_f32_e32 v2, v2, v3
	v_mul_f32_e32 v3, v97, v45
	v_mul_f32_e32 v135, v94, v43
	v_fmac_f32_e32 v134, v93, v40
	v_fma_f32 v3, v96, v44, -v3
	v_mul_f32_e32 v136, v96, v45
	v_fmac_f32_e32 v135, v95, v42
	v_add_f32_e32 v107, v107, v134
	v_add_f32_e32 v2, v2, v3
	s_waitcnt vmcnt(6) lgkmcnt(2)
	v_mul_f32_e32 v3, v99, v47
	v_mul_f32_e32 v137, v98, v47
	v_fmac_f32_e32 v136, v97, v44
	v_add_f32_e32 v107, v107, v135
	v_fma_f32 v3, v98, v46, -v3
	v_mul_f32_e32 v127, v100, v49
	v_fmac_f32_e32 v137, v99, v46
	v_add_f32_e32 v107, v107, v136
	v_add_f32_e32 v130, v2, v3
	v_mul_f32_e32 v2, v101, v49
	s_waitcnt vmcnt(5)
	v_mov_b32_e32 v14, v53
	s_waitcnt lgkmcnt(1)
	v_mul_f32_e32 v129, v102, v51
	v_fmac_f32_e32 v127, v101, v48
	v_add_f32_e32 v131, v107, v137
	v_fma_f32 v126, v100, v48, -v2
	v_mul_f32_e32 v2, v103, v51
	v_pk_mul_f32 v[14:15], v[104:105], v[14:15] op_sel:[1,0] op_sel_hi:[0,0]
	v_fmac_f32_e32 v129, v103, v50
	v_fma_f32 v128, v102, v50, -v2
	v_pk_add_f32 v[12:13], v[130:131], v[126:127]
	v_pk_fma_f32 v[16:17], v[104:105], v[52:53], v[14:15] neg_lo:[0,0,1] neg_hi:[0,0,1]
	v_pk_fma_f32 v[14:15], v[104:105], v[52:53], v[14:15] op_sel_hi:[1,0,1]
	v_pk_add_f32 v[12:13], v[12:13], v[128:129]
	v_mov_b32_e32 v17, v15
	s_waitcnt vmcnt(3) lgkmcnt(0)
	v_pk_mul_f32 v[14:15], v[108:109], v[112:113] op_sel:[1,1] op_sel_hi:[0,1]
	v_pk_add_f32 v[12:13], v[12:13], v[16:17]
	v_pk_fma_f32 v[16:17], v[108:109], v[112:113], v[14:15] neg_lo:[0,0,1] neg_hi:[0,0,1]
	v_pk_fma_f32 v[14:15], v[108:109], v[112:113], v[14:15] op_sel_hi:[1,0,1]
	ds_read2_b64 v[2:5], v106 offset0:107 offset1:108
	ds_read2_b64 v[6:9], v106 offset0:109 offset1:110
	ds_read_b64 v[10:11], v106 offset:888
	v_mov_b32_e32 v14, v115
	v_mov_b32_e32 v17, v15
	v_pk_mul_f32 v[14:15], v[110:111], v[14:15] op_sel:[1,0] op_sel_hi:[0,0]
	v_pk_add_f32 v[12:13], v[12:13], v[16:17]
	v_pk_fma_f32 v[16:17], v[110:111], v[114:115], v[14:15] neg_lo:[0,0,1] neg_hi:[0,0,1]
	v_pk_fma_f32 v[14:15], v[110:111], v[114:115], v[14:15] op_sel_hi:[1,0,1]
	s_nop 0
	v_mov_b32_e32 v17, v15
	s_waitcnt vmcnt(2) lgkmcnt(2)
	v_pk_mul_f32 v[14:15], v[2:3], v[116:117] op_sel:[1,1] op_sel_hi:[0,1]
	v_pk_add_f32 v[12:13], v[12:13], v[16:17]
	v_pk_fma_f32 v[16:17], v[2:3], v[116:117], v[14:15] neg_lo:[0,0,1] neg_hi:[0,0,1]
	v_pk_fma_f32 v[2:3], v[2:3], v[116:117], v[14:15] op_sel_hi:[1,0,1]
	s_nop 0
	v_mov_b32_e32 v17, v3
	v_pk_add_f32 v[2:3], v[12:13], v[16:17]
	v_mov_b32_e32 v12, v119
	v_pk_mul_f32 v[12:13], v[4:5], v[12:13] op_sel:[1,0] op_sel_hi:[0,0]
	v_pk_fma_f32 v[14:15], v[4:5], v[118:119], v[12:13] neg_lo:[0,0,1] neg_hi:[0,0,1]
	v_pk_fma_f32 v[4:5], v[4:5], v[118:119], v[12:13] op_sel_hi:[1,0,1]
	s_nop 0
	v_mov_b32_e32 v15, v5
	s_waitcnt vmcnt(1) lgkmcnt(1)
	v_pk_mul_f32 v[4:5], v[6:7], v[120:121] op_sel:[1,1] op_sel_hi:[0,1]
	v_pk_fma_f32 v[12:13], v[6:7], v[120:121], v[4:5] neg_lo:[0,0,1] neg_hi:[0,0,1]
	v_pk_fma_f32 v[4:5], v[6:7], v[120:121], v[4:5] op_sel_hi:[1,0,1]
	v_pk_add_f32 v[2:3], v[2:3], v[14:15]
	v_mov_b32_e32 v4, v123
	v_mov_b32_e32 v13, v5
	v_pk_mul_f32 v[4:5], v[8:9], v[4:5] op_sel:[1,0] op_sel_hi:[0,0]
	v_pk_fma_f32 v[6:7], v[8:9], v[122:123], v[4:5] neg_lo:[0,0,1] neg_hi:[0,0,1]
	v_pk_fma_f32 v[4:5], v[8:9], v[122:123], v[4:5] op_sel_hi:[1,0,1]
	v_pk_add_f32 v[2:3], v[2:3], v[12:13]
	v_mov_b32_e32 v7, v5
	s_waitcnt vmcnt(0) lgkmcnt(0)
	v_pk_mul_f32 v[4:5], v[10:11], v[132:133] op_sel:[1,1] op_sel_hi:[0,1]
	v_pk_add_f32 v[2:3], v[2:3], v[6:7]
	v_pk_fma_f32 v[6:7], v[10:11], v[132:133], v[4:5] neg_lo:[0,0,1] neg_hi:[0,0,1]
	v_pk_fma_f32 v[4:5], v[10:11], v[132:133], v[4:5] op_sel_hi:[1,0,1]
	s_nop 0
	v_mov_b32_e32 v7, v5
	v_pk_add_f32 v[2:3], v[2:3], v[6:7]
	s_nop 0
	v_pk_add_f32 v[2:3], v[124:125], v[2:3] neg_lo:[0,1] neg_hi:[0,1]
	scratch_store_dwordx2 off, v[2:3], off offset:176
	s_and_saveexec_b64 s[0:1], vcc
	s_cbranch_execz .LBB55_307
; %bb.306:
	scratch_load_dwordx2 v[2:3], off, off offset:168
	v_mov_b32_e32 v107, v106
	scratch_store_dwordx2 off, v[106:107], off offset:168
	s_waitcnt vmcnt(1)
	ds_write_b64 v1, v[2:3]
.LBB55_307:
	s_or_b64 exec, exec, s[0:1]
	s_waitcnt lgkmcnt(0)
	; wave barrier
	scratch_load_dwordx4 v[2:5], off, off offset:176
	scratch_load_dwordx4 v[6:9], off, off offset:192
	;; [unrolled: 1-line block ×13, first 2 shown]
	ds_read_b128 v[102:105], v106 offset:624
	ds_read_b128 v[98:101], v106 offset:640
	;; [unrolled: 1-line block ×14, first 2 shown]
	scratch_load_dwordx2 v[128:129], off, off offset:168
	v_cmp_lt_u32_e32 vcc, 20, v0
	s_waitcnt vmcnt(13) lgkmcnt(13)
	v_mul_f32_e32 v107, v102, v3
	v_mul_f32_e32 v112, v104, v5
	v_fmac_f32_e32 v107, v103, v2
	s_waitcnt vmcnt(12) lgkmcnt(12)
	v_mul_f32_e32 v113, v98, v7
	v_fmac_f32_e32 v112, v105, v4
	v_add_f32_e32 v107, 0, v107
	v_mul_f32_e32 v114, v100, v9
	v_fmac_f32_e32 v113, v99, v6
	v_add_f32_e32 v107, v107, v112
	s_waitcnt vmcnt(11) lgkmcnt(11)
	v_mul_f32_e32 v115, v94, v11
	v_fmac_f32_e32 v114, v101, v8
	v_add_f32_e32 v107, v107, v113
	v_mul_f32_e32 v116, v96, v13
	v_fmac_f32_e32 v115, v95, v10
	v_add_f32_e32 v107, v107, v114
	;; [unrolled: 7-line block ×7, first 2 shown]
	s_waitcnt vmcnt(5) lgkmcnt(5)
	v_mul_f32_e32 v127, v70, v35
	v_fmac_f32_e32 v126, v77, v32
	v_add_f32_e32 v107, v107, v125
	v_fmac_f32_e32 v127, v71, v34
	v_add_f32_e32 v107, v107, v126
	v_add_f32_e32 v107, v107, v127
	scratch_load_dwordx4 v[112:115], off, off offset:384
	scratch_load_dwordx4 v[116:119], off, off offset:400
	;; [unrolled: 1-line block ×4, first 2 shown]
	v_mul_f32_e32 v3, v103, v3
	v_fma_f32 v2, v102, v2, -v3
	v_mul_f32_e32 v3, v105, v5
	v_add_f32_e32 v2, 0, v2
	v_fma_f32 v3, v104, v4, -v3
	v_add_f32_e32 v2, v2, v3
	v_mul_f32_e32 v3, v99, v7
	v_fma_f32 v3, v98, v6, -v3
	v_add_f32_e32 v2, v2, v3
	v_mul_f32_e32 v3, v101, v9
	;; [unrolled: 3-line block ×16, first 2 shown]
	v_fma_f32 v3, v72, v36, -v3
	v_add_f32_e32 v2, v2, v3
	s_waitcnt vmcnt(8) lgkmcnt(4)
	v_mul_f32_e32 v3, v67, v39
	v_fma_f32 v3, v66, v38, -v3
	v_add_f32_e32 v2, v2, v3
	v_mul_f32_e32 v3, v69, v41
	v_fma_f32 v3, v68, v40, -v3
	v_add_f32_e32 v2, v2, v3
	s_waitcnt vmcnt(7) lgkmcnt(3)
	v_mul_f32_e32 v3, v63, v43
	v_mul_f32_e32 v130, v72, v37
	v_fma_f32 v3, v62, v42, -v3
	v_mul_f32_e32 v132, v66, v39
	v_fmac_f32_e32 v130, v73, v36
	v_add_f32_e32 v2, v2, v3
	v_mul_f32_e32 v3, v65, v45
	v_mul_f32_e32 v134, v68, v41
	v_fmac_f32_e32 v132, v67, v38
	v_add_f32_e32 v107, v107, v130
	v_fma_f32 v3, v64, v44, -v3
	v_mul_f32_e32 v135, v62, v43
	v_fmac_f32_e32 v134, v69, v40
	v_add_f32_e32 v107, v107, v132
	v_add_f32_e32 v2, v2, v3
	s_waitcnt vmcnt(6) lgkmcnt(2)
	v_mul_f32_e32 v3, v59, v47
	v_mul_f32_e32 v136, v64, v45
	v_fmac_f32_e32 v135, v63, v42
	v_add_f32_e32 v107, v107, v134
	v_fma_f32 v3, v58, v46, -v3
	v_mul_f32_e32 v137, v58, v47
	v_fmac_f32_e32 v136, v65, v44
	v_add_f32_e32 v107, v107, v135
	v_add_f32_e32 v2, v2, v3
	v_mul_f32_e32 v3, v61, v49
	v_mul_f32_e32 v138, v60, v49
	v_fmac_f32_e32 v137, v59, v46
	v_add_f32_e32 v107, v107, v136
	v_fma_f32 v3, v60, v48, -v3
	s_waitcnt vmcnt(5) lgkmcnt(1)
	v_mul_f32_e32 v131, v54, v51
	v_fmac_f32_e32 v138, v61, v48
	v_add_f32_e32 v107, v107, v137
	v_add_f32_e32 v134, v2, v3
	v_mul_f32_e32 v2, v55, v51
	s_waitcnt vmcnt(3) lgkmcnt(0)
	v_pk_mul_f32 v[16:17], v[108:109], v[112:113] op_sel:[1,1] op_sel_hi:[0,1]
	v_mul_f32_e32 v133, v56, v53
	v_fmac_f32_e32 v131, v55, v50
	v_add_f32_e32 v135, v107, v138
	v_fma_f32 v130, v54, v50, -v2
	v_mul_f32_e32 v2, v57, v53
	v_pk_fma_f32 v[18:19], v[108:109], v[112:113], v[16:17] neg_lo:[0,0,1] neg_hi:[0,0,1]
	v_pk_fma_f32 v[16:17], v[108:109], v[112:113], v[16:17] op_sel_hi:[1,0,1]
	v_fmac_f32_e32 v133, v57, v52
	v_fma_f32 v132, v56, v52, -v2
	ds_read_b128 v[2:5], v106 offset:848
	ds_read_b128 v[6:9], v106 offset:864
	;; [unrolled: 1-line block ×3, first 2 shown]
	v_pk_add_f32 v[14:15], v[134:135], v[130:131]
	v_mov_b32_e32 v16, v115
	v_pk_add_f32 v[14:15], v[14:15], v[132:133]
	v_mov_b32_e32 v19, v17
	v_pk_mul_f32 v[16:17], v[110:111], v[16:17] op_sel:[1,0] op_sel_hi:[0,0]
	v_pk_add_f32 v[14:15], v[14:15], v[18:19]
	v_pk_fma_f32 v[18:19], v[110:111], v[114:115], v[16:17] neg_lo:[0,0,1] neg_hi:[0,0,1]
	v_pk_fma_f32 v[16:17], v[110:111], v[114:115], v[16:17] op_sel_hi:[1,0,1]
	s_nop 0
	v_mov_b32_e32 v19, v17
	s_waitcnt vmcnt(2) lgkmcnt(2)
	v_pk_mul_f32 v[16:17], v[2:3], v[116:117] op_sel:[1,1] op_sel_hi:[0,1]
	v_pk_add_f32 v[14:15], v[14:15], v[18:19]
	v_pk_fma_f32 v[18:19], v[2:3], v[116:117], v[16:17] neg_lo:[0,0,1] neg_hi:[0,0,1]
	v_pk_fma_f32 v[2:3], v[2:3], v[116:117], v[16:17] op_sel_hi:[1,0,1]
	s_nop 0
	v_mov_b32_e32 v19, v3
	v_pk_add_f32 v[2:3], v[14:15], v[18:19]
	v_mov_b32_e32 v14, v119
	v_pk_mul_f32 v[14:15], v[4:5], v[14:15] op_sel:[1,0] op_sel_hi:[0,0]
	v_pk_fma_f32 v[16:17], v[4:5], v[118:119], v[14:15] neg_lo:[0,0,1] neg_hi:[0,0,1]
	v_pk_fma_f32 v[4:5], v[4:5], v[118:119], v[14:15] op_sel_hi:[1,0,1]
	s_nop 0
	v_mov_b32_e32 v17, v5
	s_waitcnt vmcnt(1) lgkmcnt(1)
	v_pk_mul_f32 v[4:5], v[6:7], v[120:121] op_sel:[1,1] op_sel_hi:[0,1]
	v_pk_fma_f32 v[14:15], v[6:7], v[120:121], v[4:5] neg_lo:[0,0,1] neg_hi:[0,0,1]
	v_pk_fma_f32 v[4:5], v[6:7], v[120:121], v[4:5] op_sel_hi:[1,0,1]
	v_pk_add_f32 v[2:3], v[2:3], v[16:17]
	v_mov_b32_e32 v4, v123
	v_mov_b32_e32 v15, v5
	v_pk_mul_f32 v[4:5], v[8:9], v[4:5] op_sel:[1,0] op_sel_hi:[0,0]
	v_pk_fma_f32 v[6:7], v[8:9], v[122:123], v[4:5] neg_lo:[0,0,1] neg_hi:[0,0,1]
	v_pk_fma_f32 v[4:5], v[8:9], v[122:123], v[4:5] op_sel_hi:[1,0,1]
	v_pk_add_f32 v[2:3], v[2:3], v[14:15]
	v_mov_b32_e32 v7, v5
	s_waitcnt vmcnt(0) lgkmcnt(0)
	v_pk_mul_f32 v[4:5], v[10:11], v[124:125] op_sel:[1,1] op_sel_hi:[0,1]
	v_pk_add_f32 v[2:3], v[2:3], v[6:7]
	v_pk_fma_f32 v[6:7], v[10:11], v[124:125], v[4:5] neg_lo:[0,0,1] neg_hi:[0,0,1]
	v_pk_fma_f32 v[4:5], v[10:11], v[124:125], v[4:5] op_sel_hi:[1,0,1]
	s_nop 0
	v_mov_b32_e32 v4, v127
	v_mov_b32_e32 v7, v5
	v_pk_mul_f32 v[4:5], v[12:13], v[4:5] op_sel:[1,0] op_sel_hi:[0,0]
	v_pk_add_f32 v[2:3], v[2:3], v[6:7]
	v_pk_fma_f32 v[6:7], v[12:13], v[126:127], v[4:5] neg_lo:[0,0,1] neg_hi:[0,0,1]
	v_pk_fma_f32 v[4:5], v[12:13], v[126:127], v[4:5] op_sel_hi:[1,0,1]
	s_nop 0
	v_mov_b32_e32 v7, v5
	v_pk_add_f32 v[2:3], v[2:3], v[6:7]
	s_nop 0
	v_pk_add_f32 v[2:3], v[128:129], v[2:3] neg_lo:[0,1] neg_hi:[0,1]
	scratch_store_dwordx2 off, v[2:3], off offset:168
	s_and_saveexec_b64 s[0:1], vcc
	s_cbranch_execz .LBB55_309
; %bb.308:
	scratch_load_dwordx2 v[2:3], off, off offset:160
	v_mov_b32_e32 v4, 0
	v_mov_b32_e32 v5, v4
	scratch_store_dwordx2 off, v[4:5], off offset:160
	s_waitcnt vmcnt(1)
	ds_write_b64 v1, v[2:3]
.LBB55_309:
	s_or_b64 exec, exec, s[0:1]
	s_waitcnt lgkmcnt(0)
	; wave barrier
	scratch_load_dwordx4 v[2:5], off, off offset:168
	scratch_load_dwordx4 v[6:9], off, off offset:184
	scratch_load_dwordx4 v[10:13], off, off offset:200
	scratch_load_dwordx4 v[14:17], off, off offset:216
	scratch_load_dwordx4 v[18:21], off, off offset:232
	scratch_load_dwordx4 v[22:25], off, off offset:248
	scratch_load_dwordx4 v[26:29], off, off offset:264
	scratch_load_dwordx4 v[30:33], off, off offset:280
	scratch_load_dwordx4 v[34:37], off, off offset:296
	scratch_load_dwordx4 v[38:41], off, off offset:312
	scratch_load_dwordx4 v[42:45], off, off offset:328
	scratch_load_dwordx4 v[46:49], off, off offset:344
	scratch_load_dwordx4 v[50:53], off, off offset:360
	v_mov_b32_e32 v114, 0
	scratch_load_dwordx4 v[54:57], off, off offset:376
	scratch_load_dwordx2 v[128:129], off, off offset:160
	ds_read2_b64 v[58:61], v114 offset0:77 offset1:78
	ds_read2_b64 v[62:65], v114 offset0:79 offset1:80
	;; [unrolled: 1-line block ×14, first 2 shown]
	v_cmp_lt_u32_e32 vcc, 19, v0
	s_waitcnt vmcnt(14) lgkmcnt(13)
	v_mul_f32_e32 v115, v58, v3
	v_mul_f32_e32 v116, v60, v5
	v_fmac_f32_e32 v115, v59, v2
	s_waitcnt vmcnt(13) lgkmcnt(12)
	v_mul_f32_e32 v117, v62, v7
	v_fmac_f32_e32 v116, v61, v4
	v_add_f32_e32 v115, 0, v115
	v_mul_f32_e32 v118, v64, v9
	v_fmac_f32_e32 v117, v63, v6
	v_add_f32_e32 v115, v115, v116
	s_waitcnt vmcnt(12) lgkmcnt(11)
	v_mul_f32_e32 v119, v66, v11
	v_fmac_f32_e32 v118, v65, v8
	v_add_f32_e32 v115, v115, v117
	v_mul_f32_e32 v120, v68, v13
	v_fmac_f32_e32 v119, v67, v10
	v_add_f32_e32 v115, v115, v118
	;; [unrolled: 7-line block ×6, first 2 shown]
	s_waitcnt vmcnt(7) lgkmcnt(6)
	v_mul_f32_e32 v131, v86, v31
	v_fmac_f32_e32 v130, v85, v28
	v_add_f32_e32 v115, v115, v127
	scratch_load_dwordx4 v[116:119], off, off offset:392
	v_mul_f32_e32 v132, v88, v33
	v_fmac_f32_e32 v131, v87, v30
	v_add_f32_e32 v115, v115, v130
	s_waitcnt vmcnt(7) lgkmcnt(5)
	v_mul_f32_e32 v133, v90, v35
	v_fmac_f32_e32 v132, v89, v32
	v_add_f32_e32 v115, v115, v131
	v_mul_f32_e32 v134, v92, v37
	v_fmac_f32_e32 v133, v91, v34
	v_add_f32_e32 v115, v115, v132
	s_waitcnt vmcnt(6) lgkmcnt(4)
	v_mul_f32_e32 v135, v94, v39
	v_fmac_f32_e32 v134, v93, v36
	v_add_f32_e32 v115, v115, v133
	v_mul_f32_e32 v136, v96, v41
	v_fmac_f32_e32 v135, v95, v38
	v_add_f32_e32 v115, v115, v134
	s_waitcnt vmcnt(5) lgkmcnt(3)
	v_mul_f32_e32 v137, v98, v43
	v_fmac_f32_e32 v136, v97, v40
	v_add_f32_e32 v115, v115, v135
	v_fmac_f32_e32 v137, v99, v42
	v_add_f32_e32 v115, v115, v136
	v_add_f32_e32 v115, v115, v137
	scratch_load_dwordx4 v[120:123], off, off offset:408
	scratch_load_dwordx4 v[124:127], off, off offset:424
	scratch_load_dwordx2 v[136:137], off, off offset:440
	v_mul_f32_e32 v3, v59, v3
	v_fma_f32 v2, v58, v2, -v3
	v_mul_f32_e32 v3, v61, v5
	v_add_f32_e32 v2, 0, v2
	v_fma_f32 v3, v60, v4, -v3
	v_add_f32_e32 v2, v2, v3
	v_mul_f32_e32 v3, v63, v7
	v_fma_f32 v3, v62, v6, -v3
	v_add_f32_e32 v2, v2, v3
	v_mul_f32_e32 v3, v65, v9
	;; [unrolled: 3-line block ×20, first 2 shown]
	v_fma_f32 v3, v100, v44, -v3
	v_add_f32_e32 v2, v2, v3
	s_waitcnt vmcnt(7) lgkmcnt(2)
	v_mul_f32_e32 v3, v103, v47
	v_fma_f32 v3, v102, v46, -v3
	v_add_f32_e32 v2, v2, v3
	v_mul_f32_e32 v3, v105, v49
	v_mul_f32_e32 v138, v100, v45
	v_fma_f32 v3, v104, v48, -v3
	v_mul_f32_e32 v139, v102, v47
	v_fmac_f32_e32 v138, v101, v44
	v_add_f32_e32 v2, v2, v3
	s_waitcnt vmcnt(6) lgkmcnt(1)
	v_mul_f32_e32 v3, v107, v51
	v_mul_f32_e32 v140, v104, v49
	v_fmac_f32_e32 v139, v103, v46
	v_add_f32_e32 v115, v115, v138
	v_fma_f32 v3, v106, v50, -v3
	v_mul_f32_e32 v141, v106, v51
	v_fmac_f32_e32 v140, v105, v48
	v_add_f32_e32 v115, v115, v139
	v_add_f32_e32 v130, v2, v3
	v_mul_f32_e32 v2, v109, v53
	v_fmac_f32_e32 v141, v107, v50
	v_add_f32_e32 v115, v115, v140
	v_mul_f32_e32 v133, v108, v53
	v_fma_f32 v132, v108, v52, -v2
	s_waitcnt vmcnt(5) lgkmcnt(0)
	v_mul_f32_e32 v2, v111, v55
	v_mov_b32_e32 v18, v57
	v_add_f32_e32 v131, v115, v141
	v_fmac_f32_e32 v133, v109, v52
	v_mul_f32_e32 v135, v110, v55
	v_fma_f32 v134, v110, v54, -v2
	ds_read2_b64 v[2:5], v114 offset0:105 offset1:106
	ds_read2_b64 v[6:9], v114 offset0:107 offset1:108
	;; [unrolled: 1-line block ×3, first 2 shown]
	ds_read_b64 v[14:15], v114 offset:888
	v_pk_mul_f32 v[18:19], v[112:113], v[18:19] op_sel:[1,0] op_sel_hi:[0,0]
	v_fmac_f32_e32 v135, v111, v54
	v_pk_add_f32 v[16:17], v[130:131], v[132:133]
	v_pk_fma_f32 v[20:21], v[112:113], v[56:57], v[18:19] neg_lo:[0,0,1] neg_hi:[0,0,1]
	v_pk_fma_f32 v[18:19], v[112:113], v[56:57], v[18:19] op_sel_hi:[1,0,1]
	v_pk_add_f32 v[16:17], v[16:17], v[134:135]
	v_mov_b32_e32 v21, v19
	s_waitcnt vmcnt(3) lgkmcnt(3)
	v_pk_mul_f32 v[18:19], v[2:3], v[116:117] op_sel:[1,1] op_sel_hi:[0,1]
	v_pk_add_f32 v[16:17], v[16:17], v[20:21]
	v_pk_fma_f32 v[20:21], v[2:3], v[116:117], v[18:19] neg_lo:[0,0,1] neg_hi:[0,0,1]
	v_pk_fma_f32 v[2:3], v[2:3], v[116:117], v[18:19] op_sel_hi:[1,0,1]
	s_nop 0
	v_mov_b32_e32 v21, v3
	v_pk_add_f32 v[2:3], v[16:17], v[20:21]
	v_mov_b32_e32 v16, v119
	v_pk_mul_f32 v[16:17], v[4:5], v[16:17] op_sel:[1,0] op_sel_hi:[0,0]
	v_pk_fma_f32 v[18:19], v[4:5], v[118:119], v[16:17] neg_lo:[0,0,1] neg_hi:[0,0,1]
	v_pk_fma_f32 v[4:5], v[4:5], v[118:119], v[16:17] op_sel_hi:[1,0,1]
	s_nop 0
	v_mov_b32_e32 v19, v5
	s_waitcnt vmcnt(2) lgkmcnt(2)
	v_pk_mul_f32 v[4:5], v[6:7], v[120:121] op_sel:[1,1] op_sel_hi:[0,1]
	v_pk_fma_f32 v[16:17], v[6:7], v[120:121], v[4:5] neg_lo:[0,0,1] neg_hi:[0,0,1]
	v_pk_fma_f32 v[4:5], v[6:7], v[120:121], v[4:5] op_sel_hi:[1,0,1]
	v_pk_add_f32 v[2:3], v[2:3], v[18:19]
	v_mov_b32_e32 v4, v123
	v_mov_b32_e32 v17, v5
	v_pk_mul_f32 v[4:5], v[8:9], v[4:5] op_sel:[1,0] op_sel_hi:[0,0]
	v_pk_fma_f32 v[6:7], v[8:9], v[122:123], v[4:5] neg_lo:[0,0,1] neg_hi:[0,0,1]
	v_pk_fma_f32 v[4:5], v[8:9], v[122:123], v[4:5] op_sel_hi:[1,0,1]
	v_pk_add_f32 v[2:3], v[2:3], v[16:17]
	v_mov_b32_e32 v7, v5
	s_waitcnt vmcnt(1) lgkmcnt(1)
	v_pk_mul_f32 v[4:5], v[10:11], v[124:125] op_sel:[1,1] op_sel_hi:[0,1]
	v_pk_add_f32 v[2:3], v[2:3], v[6:7]
	v_pk_fma_f32 v[6:7], v[10:11], v[124:125], v[4:5] neg_lo:[0,0,1] neg_hi:[0,0,1]
	v_pk_fma_f32 v[4:5], v[10:11], v[124:125], v[4:5] op_sel_hi:[1,0,1]
	s_nop 0
	v_mov_b32_e32 v4, v127
	v_mov_b32_e32 v7, v5
	v_pk_mul_f32 v[4:5], v[12:13], v[4:5] op_sel:[1,0] op_sel_hi:[0,0]
	v_pk_add_f32 v[2:3], v[2:3], v[6:7]
	v_pk_fma_f32 v[6:7], v[12:13], v[126:127], v[4:5] neg_lo:[0,0,1] neg_hi:[0,0,1]
	v_pk_fma_f32 v[4:5], v[12:13], v[126:127], v[4:5] op_sel_hi:[1,0,1]
	s_nop 0
	v_mov_b32_e32 v7, v5
	s_waitcnt vmcnt(0) lgkmcnt(0)
	v_pk_mul_f32 v[4:5], v[14:15], v[136:137] op_sel:[1,1] op_sel_hi:[0,1]
	v_pk_add_f32 v[2:3], v[2:3], v[6:7]
	v_pk_fma_f32 v[6:7], v[14:15], v[136:137], v[4:5] neg_lo:[0,0,1] neg_hi:[0,0,1]
	v_pk_fma_f32 v[4:5], v[14:15], v[136:137], v[4:5] op_sel_hi:[1,0,1]
	s_nop 0
	v_mov_b32_e32 v7, v5
	v_pk_add_f32 v[2:3], v[2:3], v[6:7]
	s_nop 0
	v_pk_add_f32 v[2:3], v[128:129], v[2:3] neg_lo:[0,1] neg_hi:[0,1]
	scratch_store_dwordx2 off, v[2:3], off offset:160
	s_and_saveexec_b64 s[0:1], vcc
	s_cbranch_execz .LBB55_311
; %bb.310:
	scratch_load_dwordx2 v[2:3], off, off offset:152
	v_mov_b32_e32 v115, v114
	scratch_store_dwordx2 off, v[114:115], off offset:152
	s_waitcnt vmcnt(1)
	ds_write_b64 v1, v[2:3]
.LBB55_311:
	s_or_b64 exec, exec, s[0:1]
	s_waitcnt lgkmcnt(0)
	; wave barrier
	scratch_load_dwordx4 v[2:5], off, off offset:160
	scratch_load_dwordx4 v[6:9], off, off offset:176
	;; [unrolled: 1-line block ×13, first 2 shown]
	ds_read_b128 v[110:113], v114 offset:608
	ds_read_b128 v[106:109], v114 offset:624
	;; [unrolled: 1-line block ×14, first 2 shown]
	scratch_load_dwordx4 v[66:69], off, off offset:368
	scratch_load_dwordx2 v[132:133], off, off offset:152
	v_cmp_lt_u32_e32 vcc, 18, v0
	s_waitcnt vmcnt(14) lgkmcnt(13)
	v_mul_f32_e32 v115, v110, v3
	v_mul_f32_e32 v116, v112, v5
	v_fmac_f32_e32 v115, v111, v2
	s_waitcnt vmcnt(13) lgkmcnt(12)
	v_mul_f32_e32 v117, v106, v7
	v_fmac_f32_e32 v116, v113, v4
	v_add_f32_e32 v115, 0, v115
	v_mul_f32_e32 v118, v108, v9
	v_fmac_f32_e32 v117, v107, v6
	v_add_f32_e32 v115, v115, v116
	s_waitcnt vmcnt(12) lgkmcnt(11)
	v_mul_f32_e32 v119, v102, v11
	v_fmac_f32_e32 v118, v109, v8
	v_add_f32_e32 v115, v115, v117
	v_mul_f32_e32 v120, v104, v13
	v_fmac_f32_e32 v119, v103, v10
	v_add_f32_e32 v115, v115, v118
	;; [unrolled: 7-line block ×4, first 2 shown]
	s_waitcnt vmcnt(9) lgkmcnt(8)
	v_mul_f32_e32 v125, v90, v23
	v_fmac_f32_e32 v124, v97, v20
	v_add_f32_e32 v115, v115, v123
	scratch_load_dwordx4 v[116:119], off, off offset:384
	v_mul_f32_e32 v126, v92, v25
	v_fmac_f32_e32 v125, v91, v22
	v_add_f32_e32 v115, v115, v124
	s_waitcnt vmcnt(9) lgkmcnt(7)
	v_mul_f32_e32 v127, v86, v27
	v_fmac_f32_e32 v126, v93, v24
	v_add_f32_e32 v115, v115, v125
	v_mul_f32_e32 v128, v88, v29
	v_fmac_f32_e32 v127, v87, v26
	v_add_f32_e32 v115, v115, v126
	s_waitcnt vmcnt(8) lgkmcnt(6)
	v_mul_f32_e32 v129, v82, v31
	v_fmac_f32_e32 v128, v89, v28
	v_add_f32_e32 v115, v115, v127
	;; [unrolled: 7-line block ×3, first 2 shown]
	v_fmac_f32_e32 v131, v79, v34
	v_add_f32_e32 v115, v115, v130
	v_add_f32_e32 v115, v115, v131
	scratch_load_dwordx4 v[120:123], off, off offset:400
	scratch_load_dwordx4 v[124:127], off, off offset:416
	;; [unrolled: 1-line block ×3, first 2 shown]
	v_mul_f32_e32 v3, v111, v3
	v_fma_f32 v2, v110, v2, -v3
	v_mul_f32_e32 v3, v113, v5
	v_add_f32_e32 v2, 0, v2
	v_fma_f32 v3, v112, v4, -v3
	v_add_f32_e32 v2, v2, v3
	v_mul_f32_e32 v3, v107, v7
	v_fma_f32 v3, v106, v6, -v3
	v_add_f32_e32 v2, v2, v3
	v_mul_f32_e32 v3, v109, v9
	;; [unrolled: 3-line block ×16, first 2 shown]
	v_fma_f32 v3, v80, v36, -v3
	v_add_f32_e32 v2, v2, v3
	s_waitcnt vmcnt(9) lgkmcnt(4)
	v_mul_f32_e32 v3, v75, v39
	v_fma_f32 v3, v74, v38, -v3
	v_add_f32_e32 v2, v2, v3
	v_mul_f32_e32 v3, v77, v41
	v_fma_f32 v3, v76, v40, -v3
	v_add_f32_e32 v2, v2, v3
	s_waitcnt vmcnt(8) lgkmcnt(3)
	v_mul_f32_e32 v3, v71, v43
	v_fma_f32 v3, v70, v42, -v3
	v_add_f32_e32 v2, v2, v3
	v_mul_f32_e32 v3, v73, v45
	v_fma_f32 v3, v72, v44, -v3
	v_add_f32_e32 v2, v2, v3
	s_waitcnt vmcnt(7) lgkmcnt(2)
	v_mul_f32_e32 v3, v63, v47
	v_fma_f32 v3, v62, v46, -v3
	v_mul_f32_e32 v134, v80, v37
	v_add_f32_e32 v2, v2, v3
	v_mul_f32_e32 v3, v65, v49
	v_mul_f32_e32 v135, v74, v39
	v_fmac_f32_e32 v134, v81, v36
	v_fma_f32 v3, v64, v48, -v3
	v_mul_f32_e32 v136, v76, v41
	v_fmac_f32_e32 v135, v75, v38
	v_add_f32_e32 v115, v115, v134
	v_add_f32_e32 v2, v2, v3
	s_waitcnt vmcnt(6) lgkmcnt(1)
	v_mul_f32_e32 v3, v55, v51
	v_mul_f32_e32 v137, v70, v43
	v_fmac_f32_e32 v136, v77, v40
	v_add_f32_e32 v115, v115, v135
	v_fma_f32 v3, v54, v50, -v3
	v_mul_f32_e32 v138, v72, v45
	v_fmac_f32_e32 v137, v71, v42
	v_add_f32_e32 v115, v115, v136
	v_add_f32_e32 v2, v2, v3
	v_mul_f32_e32 v3, v57, v53
	v_mul_f32_e32 v139, v62, v47
	v_fmac_f32_e32 v138, v73, v44
	v_add_f32_e32 v115, v115, v137
	v_fma_f32 v3, v56, v52, -v3
	v_mul_f32_e32 v140, v64, v49
	v_fmac_f32_e32 v139, v63, v46
	v_add_f32_e32 v115, v115, v138
	v_add_f32_e32 v134, v2, v3
	s_waitcnt vmcnt(5) lgkmcnt(0)
	v_mul_f32_e32 v2, v59, v67
	v_mul_f32_e32 v141, v54, v51
	v_fmac_f32_e32 v140, v65, v48
	v_add_f32_e32 v115, v115, v139
	v_fma_f32 v136, v58, v66, -v2
	v_mul_f32_e32 v2, v61, v69
	v_mul_f32_e32 v142, v56, v53
	v_fmac_f32_e32 v141, v55, v50
	v_add_f32_e32 v115, v115, v140
	v_fma_f32 v138, v60, v68, -v2
	ds_read_b128 v[2:5], v114 offset:832
	ds_read_b128 v[6:9], v114 offset:848
	;; [unrolled: 1-line block ×4, first 2 shown]
	v_add_f32_e32 v115, v115, v141
	v_fmac_f32_e32 v142, v57, v52
	v_mul_f32_e32 v137, v58, v67
	v_add_f32_e32 v135, v115, v142
	v_fmac_f32_e32 v137, v59, v66
	v_mul_f32_e32 v139, v60, v69
	s_waitcnt vmcnt(3) lgkmcnt(3)
	v_pk_mul_f32 v[20:21], v[2:3], v[116:117] op_sel:[1,1] op_sel_hi:[0,1]
	v_fmac_f32_e32 v139, v61, v68
	v_pk_add_f32 v[18:19], v[134:135], v[136:137]
	v_pk_fma_f32 v[22:23], v[2:3], v[116:117], v[20:21] neg_lo:[0,0,1] neg_hi:[0,0,1]
	v_pk_fma_f32 v[2:3], v[2:3], v[116:117], v[20:21] op_sel_hi:[1,0,1]
	v_pk_add_f32 v[18:19], v[18:19], v[138:139]
	v_mov_b32_e32 v23, v3
	v_pk_add_f32 v[2:3], v[18:19], v[22:23]
	v_mov_b32_e32 v18, v119
	v_pk_mul_f32 v[18:19], v[4:5], v[18:19] op_sel:[1,0] op_sel_hi:[0,0]
	v_pk_fma_f32 v[20:21], v[4:5], v[118:119], v[18:19] neg_lo:[0,0,1] neg_hi:[0,0,1]
	v_pk_fma_f32 v[4:5], v[4:5], v[118:119], v[18:19] op_sel_hi:[1,0,1]
	s_nop 0
	v_mov_b32_e32 v21, v5
	s_waitcnt vmcnt(2) lgkmcnt(2)
	v_pk_mul_f32 v[4:5], v[6:7], v[120:121] op_sel:[1,1] op_sel_hi:[0,1]
	v_pk_fma_f32 v[18:19], v[6:7], v[120:121], v[4:5] neg_lo:[0,0,1] neg_hi:[0,0,1]
	v_pk_fma_f32 v[4:5], v[6:7], v[120:121], v[4:5] op_sel_hi:[1,0,1]
	v_pk_add_f32 v[2:3], v[2:3], v[20:21]
	v_mov_b32_e32 v4, v123
	v_mov_b32_e32 v19, v5
	v_pk_mul_f32 v[4:5], v[8:9], v[4:5] op_sel:[1,0] op_sel_hi:[0,0]
	v_pk_fma_f32 v[6:7], v[8:9], v[122:123], v[4:5] neg_lo:[0,0,1] neg_hi:[0,0,1]
	v_pk_fma_f32 v[4:5], v[8:9], v[122:123], v[4:5] op_sel_hi:[1,0,1]
	v_pk_add_f32 v[2:3], v[2:3], v[18:19]
	v_mov_b32_e32 v7, v5
	s_waitcnt vmcnt(1) lgkmcnt(1)
	v_pk_mul_f32 v[4:5], v[10:11], v[124:125] op_sel:[1,1] op_sel_hi:[0,1]
	v_pk_add_f32 v[2:3], v[2:3], v[6:7]
	v_pk_fma_f32 v[6:7], v[10:11], v[124:125], v[4:5] neg_lo:[0,0,1] neg_hi:[0,0,1]
	v_pk_fma_f32 v[4:5], v[10:11], v[124:125], v[4:5] op_sel_hi:[1,0,1]
	s_nop 0
	v_mov_b32_e32 v4, v127
	v_mov_b32_e32 v7, v5
	v_pk_mul_f32 v[4:5], v[12:13], v[4:5] op_sel:[1,0] op_sel_hi:[0,0]
	v_pk_add_f32 v[2:3], v[2:3], v[6:7]
	v_pk_fma_f32 v[6:7], v[12:13], v[126:127], v[4:5] neg_lo:[0,0,1] neg_hi:[0,0,1]
	v_pk_fma_f32 v[4:5], v[12:13], v[126:127], v[4:5] op_sel_hi:[1,0,1]
	s_nop 0
	v_mov_b32_e32 v7, v5
	s_waitcnt vmcnt(0) lgkmcnt(0)
	v_pk_mul_f32 v[4:5], v[14:15], v[128:129] op_sel:[1,1] op_sel_hi:[0,1]
	v_pk_add_f32 v[2:3], v[2:3], v[6:7]
	v_pk_fma_f32 v[6:7], v[14:15], v[128:129], v[4:5] neg_lo:[0,0,1] neg_hi:[0,0,1]
	v_pk_fma_f32 v[4:5], v[14:15], v[128:129], v[4:5] op_sel_hi:[1,0,1]
	s_nop 0
	v_mov_b32_e32 v4, v131
	v_mov_b32_e32 v7, v5
	v_pk_mul_f32 v[4:5], v[16:17], v[4:5] op_sel:[1,0] op_sel_hi:[0,0]
	v_pk_add_f32 v[2:3], v[2:3], v[6:7]
	v_pk_fma_f32 v[6:7], v[16:17], v[130:131], v[4:5] neg_lo:[0,0,1] neg_hi:[0,0,1]
	v_pk_fma_f32 v[4:5], v[16:17], v[130:131], v[4:5] op_sel_hi:[1,0,1]
	s_nop 0
	v_mov_b32_e32 v7, v5
	v_pk_add_f32 v[2:3], v[2:3], v[6:7]
	s_nop 0
	v_pk_add_f32 v[2:3], v[132:133], v[2:3] neg_lo:[0,1] neg_hi:[0,1]
	scratch_store_dwordx2 off, v[2:3], off offset:152
	s_and_saveexec_b64 s[0:1], vcc
	s_cbranch_execz .LBB55_313
; %bb.312:
	scratch_load_dwordx2 v[2:3], off, off offset:144
	v_mov_b32_e32 v4, 0
	v_mov_b32_e32 v5, v4
	scratch_store_dwordx2 off, v[4:5], off offset:144
	s_waitcnt vmcnt(1)
	ds_write_b64 v1, v[2:3]
.LBB55_313:
	s_or_b64 exec, exec, s[0:1]
	s_waitcnt lgkmcnt(0)
	; wave barrier
	scratch_load_dwordx4 v[6:9], off, off offset:152
	scratch_load_dwordx4 v[14:17], off, off offset:168
	scratch_load_dwordx4 v[22:25], off, off offset:184
	scratch_load_dwordx4 v[30:33], off, off offset:200
	scratch_load_dwordx4 v[38:41], off, off offset:216
	scratch_load_dwordx4 v[46:49], off, off offset:232
	scratch_load_dwordx4 v[54:57], off, off offset:248
	scratch_load_dwordx4 v[62:65], off, off offset:264
	scratch_load_dwordx4 v[70:73], off, off offset:280
	scratch_load_dwordx4 v[78:81], off, off offset:296
	v_mov_b32_e32 v86, 0
	ds_read2_b64 v[2:5], v86 offset0:75 offset1:76
	scratch_load_dwordx4 v[88:91], off, off offset:312
	scratch_load_dwordx4 v[96:99], off, off offset:328
	;; [unrolled: 1-line block ×5, first 2 shown]
	v_cmp_lt_u32_e32 vcc, 17, v0
	s_waitcnt vmcnt(14) lgkmcnt(0)
	v_mul_f32_e32 v10, v2, v7
	v_fmac_f32_e32 v10, v3, v6
	v_mul_f32_e32 v11, v4, v9
	v_add_f32_e32 v10, 0, v10
	v_fmac_f32_e32 v11, v5, v8
	v_add_f32_e32 v18, v10, v11
	ds_read2_b64 v[10:13], v86 offset0:77 offset1:78
	v_mul_f32_e32 v3, v3, v7
	v_fma_f32 v2, v2, v6, -v3
	v_mul_f32_e32 v3, v5, v9
	v_add_f32_e32 v2, 0, v2
	s_waitcnt vmcnt(13) lgkmcnt(0)
	v_mul_f32_e32 v19, v10, v15
	v_fmac_f32_e32 v19, v11, v14
	v_add_f32_e32 v18, v18, v19
	v_mul_f32_e32 v19, v12, v17
	v_fmac_f32_e32 v19, v13, v16
	v_add_f32_e32 v26, v18, v19
	ds_read2_b64 v[18:21], v86 offset0:79 offset1:80
	v_fma_f32 v3, v4, v8, -v3
	v_add_f32_e32 v2, v2, v3
	v_mul_f32_e32 v3, v11, v15
	v_fma_f32 v3, v10, v14, -v3
	s_waitcnt vmcnt(12) lgkmcnt(0)
	v_mul_f32_e32 v27, v18, v23
	v_fmac_f32_e32 v27, v19, v22
	v_add_f32_e32 v26, v26, v27
	v_mul_f32_e32 v27, v20, v25
	v_fmac_f32_e32 v27, v21, v24
	v_add_f32_e32 v34, v26, v27
	ds_read2_b64 v[26:29], v86 offset0:81 offset1:82
	v_add_f32_e32 v2, v2, v3
	v_mul_f32_e32 v3, v13, v17
	v_fma_f32 v3, v12, v16, -v3
	v_add_f32_e32 v2, v2, v3
	s_waitcnt vmcnt(11) lgkmcnt(0)
	v_mul_f32_e32 v35, v26, v31
	v_fmac_f32_e32 v35, v27, v30
	v_add_f32_e32 v34, v34, v35
	v_mul_f32_e32 v35, v28, v33
	v_fmac_f32_e32 v35, v29, v32
	v_add_f32_e32 v42, v34, v35
	ds_read2_b64 v[34:37], v86 offset0:83 offset1:84
	v_mul_f32_e32 v3, v19, v23
	v_fma_f32 v3, v18, v22, -v3
	v_add_f32_e32 v2, v2, v3
	v_mul_f32_e32 v3, v21, v25
	s_waitcnt vmcnt(10) lgkmcnt(0)
	v_mul_f32_e32 v43, v34, v39
	v_fmac_f32_e32 v43, v35, v38
	v_add_f32_e32 v42, v42, v43
	v_mul_f32_e32 v43, v36, v41
	v_fmac_f32_e32 v43, v37, v40
	v_add_f32_e32 v50, v42, v43
	ds_read2_b64 v[42:45], v86 offset0:85 offset1:86
	v_fma_f32 v3, v20, v24, -v3
	v_add_f32_e32 v2, v2, v3
	v_mul_f32_e32 v3, v27, v31
	v_fma_f32 v3, v26, v30, -v3
	s_waitcnt vmcnt(9) lgkmcnt(0)
	v_mul_f32_e32 v51, v42, v47
	v_fmac_f32_e32 v51, v43, v46
	v_add_f32_e32 v50, v50, v51
	v_mul_f32_e32 v51, v44, v49
	v_fmac_f32_e32 v51, v45, v48
	v_add_f32_e32 v58, v50, v51
	ds_read2_b64 v[50:53], v86 offset0:87 offset1:88
	v_add_f32_e32 v2, v2, v3
	v_mul_f32_e32 v3, v29, v33
	v_fma_f32 v3, v28, v32, -v3
	v_add_f32_e32 v2, v2, v3
	s_waitcnt vmcnt(8) lgkmcnt(0)
	v_mul_f32_e32 v59, v50, v55
	v_fmac_f32_e32 v59, v51, v54
	v_add_f32_e32 v58, v58, v59
	v_mul_f32_e32 v59, v52, v57
	v_fmac_f32_e32 v59, v53, v56
	v_add_f32_e32 v66, v58, v59
	ds_read2_b64 v[58:61], v86 offset0:89 offset1:90
	v_mul_f32_e32 v3, v35, v39
	v_fma_f32 v3, v34, v38, -v3
	v_add_f32_e32 v2, v2, v3
	v_mul_f32_e32 v3, v37, v41
	;; [unrolled: 36-line block ×4, first 2 shown]
	s_waitcnt vmcnt(1) lgkmcnt(0)
	v_mul_f32_e32 v116, v108, v113
	v_fmac_f32_e32 v116, v109, v112
	v_add_f32_e32 v137, v87, v116
	ds_read2_b64 v[116:119], v86 offset0:103 offset1:104
	scratch_load_dwordx4 v[124:127], off, off offset:392
	scratch_load_dwordx4 v[128:131], off, off offset:408
	;; [unrolled: 1-line block ×3, first 2 shown]
	scratch_load_dwordx2 v[142:143], off, off offset:440
	v_fma_f32 v3, v68, v72, -v3
	v_add_f32_e32 v2, v2, v3
	v_mul_f32_e32 v3, v75, v79
	v_fma_f32 v3, v74, v78, -v3
	v_add_f32_e32 v2, v2, v3
	v_mul_f32_e32 v3, v77, v81
	v_fma_f32 v3, v76, v80, -v3
	v_add_f32_e32 v2, v2, v3
	v_mul_f32_e32 v3, v83, v89
	v_fma_f32 v3, v82, v88, -v3
	v_add_f32_e32 v2, v2, v3
	v_mul_f32_e32 v3, v85, v91
	v_fma_f32 v3, v84, v90, -v3
	v_add_f32_e32 v2, v2, v3
	v_mul_f32_e32 v3, v93, v97
	v_fma_f32 v3, v92, v96, -v3
	v_add_f32_e32 v2, v2, v3
	v_mul_f32_e32 v3, v95, v99
	v_fma_f32 v3, v94, v98, -v3
	v_add_f32_e32 v2, v2, v3
	v_mul_f32_e32 v3, v101, v105
	v_fma_f32 v3, v100, v104, -v3
	v_add_f32_e32 v2, v2, v3
	v_mul_f32_e32 v3, v103, v107
	v_fma_f32 v3, v102, v106, -v3
	v_add_f32_e32 v2, v2, v3
	v_mul_f32_e32 v3, v109, v113
	v_fma_f32 v3, v108, v112, -v3
	v_add_f32_e32 v136, v2, v3
	v_mul_f32_e32 v2, v111, v115
	v_mul_f32_e32 v139, v110, v115
	v_fma_f32 v138, v110, v114, -v2
	s_waitcnt vmcnt(4) lgkmcnt(0)
	v_mul_f32_e32 v2, v117, v121
	v_mov_b32_e32 v18, v123
	v_fmac_f32_e32 v139, v111, v114
	v_mul_f32_e32 v141, v116, v121
	v_fma_f32 v140, v116, v120, -v2
	ds_read2_b64 v[2:5], v86 offset0:105 offset1:106
	ds_read2_b64 v[6:9], v86 offset0:107 offset1:108
	;; [unrolled: 1-line block ×3, first 2 shown]
	ds_read_b64 v[14:15], v86 offset:888
	v_pk_mul_f32 v[18:19], v[118:119], v[18:19] op_sel:[1,0] op_sel_hi:[0,0]
	v_fmac_f32_e32 v141, v117, v120
	v_pk_add_f32 v[16:17], v[136:137], v[138:139]
	v_pk_fma_f32 v[20:21], v[118:119], v[122:123], v[18:19] neg_lo:[0,0,1] neg_hi:[0,0,1]
	v_pk_fma_f32 v[18:19], v[118:119], v[122:123], v[18:19] op_sel_hi:[1,0,1]
	v_pk_add_f32 v[16:17], v[16:17], v[140:141]
	v_mov_b32_e32 v21, v19
	v_pk_add_f32 v[16:17], v[16:17], v[20:21]
	s_waitcnt vmcnt(3) lgkmcnt(3)
	v_pk_mul_f32 v[18:19], v[2:3], v[124:125] op_sel:[1,1] op_sel_hi:[0,1]
	v_pk_fma_f32 v[20:21], v[2:3], v[124:125], v[18:19] neg_lo:[0,0,1] neg_hi:[0,0,1]
	v_pk_fma_f32 v[2:3], v[2:3], v[124:125], v[18:19] op_sel_hi:[1,0,1]
	s_nop 0
	v_mov_b32_e32 v21, v3
	v_pk_add_f32 v[2:3], v[16:17], v[20:21]
	v_mov_b32_e32 v16, v127
	v_pk_mul_f32 v[16:17], v[4:5], v[16:17] op_sel:[1,0] op_sel_hi:[0,0]
	v_pk_fma_f32 v[18:19], v[4:5], v[126:127], v[16:17] neg_lo:[0,0,1] neg_hi:[0,0,1]
	v_pk_fma_f32 v[4:5], v[4:5], v[126:127], v[16:17] op_sel_hi:[1,0,1]
	s_nop 0
	v_mov_b32_e32 v19, v5
	s_waitcnt vmcnt(2) lgkmcnt(2)
	v_pk_mul_f32 v[4:5], v[6:7], v[128:129] op_sel:[1,1] op_sel_hi:[0,1]
	v_pk_fma_f32 v[16:17], v[6:7], v[128:129], v[4:5] neg_lo:[0,0,1] neg_hi:[0,0,1]
	v_pk_fma_f32 v[4:5], v[6:7], v[128:129], v[4:5] op_sel_hi:[1,0,1]
	v_pk_add_f32 v[2:3], v[2:3], v[18:19]
	v_mov_b32_e32 v4, v131
	v_mov_b32_e32 v17, v5
	v_pk_mul_f32 v[4:5], v[8:9], v[4:5] op_sel:[1,0] op_sel_hi:[0,0]
	v_pk_fma_f32 v[6:7], v[8:9], v[130:131], v[4:5] neg_lo:[0,0,1] neg_hi:[0,0,1]
	v_pk_fma_f32 v[4:5], v[8:9], v[130:131], v[4:5] op_sel_hi:[1,0,1]
	v_pk_add_f32 v[2:3], v[2:3], v[16:17]
	v_mov_b32_e32 v7, v5
	s_waitcnt vmcnt(1) lgkmcnt(1)
	v_pk_mul_f32 v[4:5], v[10:11], v[132:133] op_sel:[1,1] op_sel_hi:[0,1]
	v_pk_add_f32 v[2:3], v[2:3], v[6:7]
	v_pk_fma_f32 v[6:7], v[10:11], v[132:133], v[4:5] neg_lo:[0,0,1] neg_hi:[0,0,1]
	v_pk_fma_f32 v[4:5], v[10:11], v[132:133], v[4:5] op_sel_hi:[1,0,1]
	s_nop 0
	v_mov_b32_e32 v4, v135
	v_mov_b32_e32 v7, v5
	v_pk_mul_f32 v[4:5], v[12:13], v[4:5] op_sel:[1,0] op_sel_hi:[0,0]
	v_pk_add_f32 v[2:3], v[2:3], v[6:7]
	v_pk_fma_f32 v[6:7], v[12:13], v[134:135], v[4:5] neg_lo:[0,0,1] neg_hi:[0,0,1]
	v_pk_fma_f32 v[4:5], v[12:13], v[134:135], v[4:5] op_sel_hi:[1,0,1]
	s_nop 0
	v_mov_b32_e32 v7, v5
	s_waitcnt vmcnt(0) lgkmcnt(0)
	v_pk_mul_f32 v[4:5], v[14:15], v[142:143] op_sel:[1,1] op_sel_hi:[0,1]
	v_pk_add_f32 v[2:3], v[2:3], v[6:7]
	v_pk_fma_f32 v[6:7], v[14:15], v[142:143], v[4:5] neg_lo:[0,0,1] neg_hi:[0,0,1]
	v_pk_fma_f32 v[4:5], v[14:15], v[142:143], v[4:5] op_sel_hi:[1,0,1]
	s_nop 0
	v_mov_b32_e32 v7, v5
	scratch_load_dwordx2 v[4:5], off, off offset:144
	v_pk_add_f32 v[2:3], v[2:3], v[6:7]
	s_waitcnt vmcnt(0)
	v_pk_add_f32 v[2:3], v[4:5], v[2:3] neg_lo:[0,1] neg_hi:[0,1]
	scratch_store_dwordx2 off, v[2:3], off offset:144
	s_and_saveexec_b64 s[0:1], vcc
	s_cbranch_execz .LBB55_315
; %bb.314:
	scratch_load_dwordx2 v[2:3], off, off offset:136
	v_mov_b32_e32 v87, v86
	scratch_store_dwordx2 off, v[86:87], off offset:136
	s_waitcnt vmcnt(1)
	ds_write_b64 v1, v[2:3]
.LBB55_315:
	s_or_b64 exec, exec, s[0:1]
	s_waitcnt lgkmcnt(0)
	; wave barrier
	ds_read_b128 v[14:17], v86 offset:592
	ds_read_b128 v[10:13], v86 offset:608
	;; [unrolled: 1-line block ×4, first 2 shown]
	scratch_load_dwordx4 v[18:21], off, off offset:144
	scratch_load_dwordx4 v[38:41], off, off offset:208
	;; [unrolled: 1-line block ×9, first 2 shown]
	v_cmp_lt_u32_e32 vcc, 16, v0
	scratch_load_dwordx4 v[46:49], off, off offset:224
	scratch_load_dwordx4 v[54:57], off, off offset:240
	;; [unrolled: 1-line block ×3, first 2 shown]
	s_waitcnt vmcnt(11) lgkmcnt(3)
	v_mul_f32_e32 v22, v14, v19
	v_fmac_f32_e32 v22, v15, v18
	v_mul_f32_e32 v23, v16, v21
	v_add_f32_e32 v22, 0, v22
	v_fmac_f32_e32 v23, v17, v20
	v_add_f32_e32 v26, v22, v23
	scratch_load_dwordx4 v[22:25], off, off offset:160
	v_mul_f32_e32 v15, v15, v19
	v_fma_f32 v14, v14, v18, -v15
	v_mul_f32_e32 v15, v17, v21
	v_add_f32_e32 v14, 0, v14
	v_fma_f32 v15, v16, v20, -v15
	v_add_f32_e32 v14, v14, v15
	s_waitcnt vmcnt(0) lgkmcnt(2)
	v_mul_f32_e32 v27, v10, v23
	v_fmac_f32_e32 v27, v11, v22
	v_add_f32_e32 v26, v26, v27
	v_mul_f32_e32 v27, v12, v25
	v_fmac_f32_e32 v27, v13, v24
	v_add_f32_e32 v30, v26, v27
	scratch_load_dwordx4 v[26:29], off, off offset:176
	v_mul_f32_e32 v11, v11, v23
	v_fma_f32 v10, v10, v22, -v11
	v_mul_f32_e32 v11, v13, v25
	v_add_f32_e32 v10, v14, v10
	v_fma_f32 v11, v12, v24, -v11
	v_add_f32_e32 v10, v10, v11
	s_waitcnt vmcnt(0) lgkmcnt(1)
	v_mul_f32_e32 v31, v6, v27
	v_fmac_f32_e32 v31, v7, v26
	v_add_f32_e32 v30, v30, v31
	v_mul_f32_e32 v31, v8, v29
	;; [unrolled: 14-line block ×3, first 2 shown]
	v_fmac_f32_e32 v35, v5, v32
	v_add_f32_e32 v42, v34, v35
	ds_read_b128 v[34:37], v86 offset:656
	v_mul_f32_e32 v3, v3, v31
	v_fma_f32 v2, v2, v30, -v3
	v_mul_f32_e32 v3, v5, v33
	v_add_f32_e32 v2, v6, v2
	s_waitcnt lgkmcnt(0)
	v_mul_f32_e32 v43, v34, v39
	v_fmac_f32_e32 v43, v35, v38
	v_add_f32_e32 v42, v42, v43
	v_mul_f32_e32 v43, v36, v41
	v_fmac_f32_e32 v43, v37, v40
	v_add_f32_e32 v50, v42, v43
	ds_read_b128 v[42:45], v86 offset:672
	v_fma_f32 v3, v4, v32, -v3
	v_add_f32_e32 v2, v2, v3
	v_mul_f32_e32 v3, v35, v39
	v_fma_f32 v3, v34, v38, -v3
	s_waitcnt lgkmcnt(0)
	v_mul_f32_e32 v51, v42, v47
	v_fmac_f32_e32 v51, v43, v46
	v_add_f32_e32 v50, v50, v51
	v_mul_f32_e32 v51, v44, v49
	v_fmac_f32_e32 v51, v45, v48
	v_add_f32_e32 v58, v50, v51
	ds_read_b128 v[50:53], v86 offset:688
	v_add_f32_e32 v2, v2, v3
	v_mul_f32_e32 v3, v37, v41
	v_fma_f32 v3, v36, v40, -v3
	v_add_f32_e32 v2, v2, v3
	s_waitcnt lgkmcnt(0)
	v_mul_f32_e32 v59, v50, v55
	v_fmac_f32_e32 v59, v51, v54
	v_add_f32_e32 v58, v58, v59
	v_mul_f32_e32 v59, v52, v57
	v_fmac_f32_e32 v59, v53, v56
	v_add_f32_e32 v66, v58, v59
	ds_read_b128 v[58:61], v86 offset:704
	v_mul_f32_e32 v3, v43, v47
	v_fma_f32 v3, v42, v46, -v3
	v_add_f32_e32 v2, v2, v3
	v_mul_f32_e32 v3, v45, v49
	s_waitcnt lgkmcnt(0)
	v_mul_f32_e32 v67, v58, v63
	v_fmac_f32_e32 v67, v59, v62
	v_add_f32_e32 v66, v66, v67
	v_mul_f32_e32 v67, v60, v65
	v_fmac_f32_e32 v67, v61, v64
	v_add_f32_e32 v74, v66, v67
	ds_read_b128 v[66:69], v86 offset:720
	v_fma_f32 v3, v44, v48, -v3
	v_add_f32_e32 v2, v2, v3
	v_mul_f32_e32 v3, v51, v55
	v_fma_f32 v3, v50, v54, -v3
	s_waitcnt lgkmcnt(0)
	v_mul_f32_e32 v75, v66, v71
	v_fmac_f32_e32 v75, v67, v70
	v_add_f32_e32 v74, v74, v75
	v_mul_f32_e32 v75, v68, v73
	v_fmac_f32_e32 v75, v69, v72
	v_add_f32_e32 v82, v74, v75
	ds_read_b128 v[74:77], v86 offset:736
	v_add_f32_e32 v2, v2, v3
	v_mul_f32_e32 v3, v53, v57
	v_fma_f32 v3, v52, v56, -v3
	v_add_f32_e32 v2, v2, v3
	s_waitcnt lgkmcnt(0)
	v_mul_f32_e32 v83, v74, v79
	v_fmac_f32_e32 v83, v75, v78
	v_add_f32_e32 v82, v82, v83
	v_mul_f32_e32 v83, v76, v81
	v_fmac_f32_e32 v83, v77, v80
	v_add_f32_e32 v87, v82, v83
	ds_read_b128 v[82:85], v86 offset:752
	v_mul_f32_e32 v3, v59, v63
	v_fma_f32 v3, v58, v62, -v3
	v_add_f32_e32 v2, v2, v3
	v_mul_f32_e32 v3, v61, v65
	;; [unrolled: 36-line block ×3, first 2 shown]
	s_waitcnt lgkmcnt(0)
	v_mul_f32_e32 v116, v108, v113
	v_fmac_f32_e32 v116, v109, v112
	v_add_f32_e32 v87, v87, v116
	v_mul_f32_e32 v116, v110, v115
	v_fmac_f32_e32 v116, v111, v114
	v_add_f32_e32 v141, v87, v116
	ds_read_b128 v[116:119], v86 offset:816
	scratch_load_dwordx4 v[124:127], off, off offset:384
	scratch_load_dwordx4 v[128:131], off, off offset:400
	;; [unrolled: 1-line block ×4, first 2 shown]
	v_fma_f32 v3, v76, v80, -v3
	v_add_f32_e32 v2, v2, v3
	v_mul_f32_e32 v3, v83, v89
	v_fma_f32 v3, v82, v88, -v3
	v_add_f32_e32 v2, v2, v3
	v_mul_f32_e32 v3, v85, v91
	;; [unrolled: 3-line block ×8, first 2 shown]
	v_fma_f32 v3, v110, v114, -v3
	v_add_f32_e32 v140, v2, v3
	s_waitcnt lgkmcnt(0)
	v_mul_f32_e32 v2, v117, v121
	v_fma_f32 v142, v116, v120, -v2
	v_mul_f32_e32 v2, v119, v123
	v_fma_f32 v144, v118, v122, -v2
	ds_read_b128 v[2:5], v86 offset:832
	ds_read_b128 v[6:9], v86 offset:848
	;; [unrolled: 1-line block ×4, first 2 shown]
	v_mul_f32_e32 v143, v116, v121
	v_fmac_f32_e32 v143, v117, v120
	v_mul_f32_e32 v145, v118, v123
	v_fmac_f32_e32 v145, v119, v122
	v_pk_add_f32 v[18:19], v[140:141], v[142:143]
	s_waitcnt vmcnt(3) lgkmcnt(3)
	v_pk_mul_f32 v[20:21], v[2:3], v[124:125] op_sel:[1,1] op_sel_hi:[0,1]
	v_pk_fma_f32 v[22:23], v[2:3], v[124:125], v[20:21] neg_lo:[0,0,1] neg_hi:[0,0,1]
	v_pk_fma_f32 v[2:3], v[2:3], v[124:125], v[20:21] op_sel_hi:[1,0,1]
	v_pk_add_f32 v[18:19], v[18:19], v[144:145]
	v_mov_b32_e32 v23, v3
	v_pk_add_f32 v[2:3], v[18:19], v[22:23]
	v_mov_b32_e32 v18, v127
	v_pk_mul_f32 v[18:19], v[4:5], v[18:19] op_sel:[1,0] op_sel_hi:[0,0]
	v_pk_fma_f32 v[20:21], v[4:5], v[126:127], v[18:19] neg_lo:[0,0,1] neg_hi:[0,0,1]
	v_pk_fma_f32 v[4:5], v[4:5], v[126:127], v[18:19] op_sel_hi:[1,0,1]
	s_nop 0
	v_mov_b32_e32 v21, v5
	s_waitcnt vmcnt(2) lgkmcnt(2)
	v_pk_mul_f32 v[4:5], v[6:7], v[128:129] op_sel:[1,1] op_sel_hi:[0,1]
	v_pk_fma_f32 v[18:19], v[6:7], v[128:129], v[4:5] neg_lo:[0,0,1] neg_hi:[0,0,1]
	v_pk_fma_f32 v[4:5], v[6:7], v[128:129], v[4:5] op_sel_hi:[1,0,1]
	v_pk_add_f32 v[2:3], v[2:3], v[20:21]
	v_mov_b32_e32 v4, v131
	v_mov_b32_e32 v19, v5
	v_pk_mul_f32 v[4:5], v[8:9], v[4:5] op_sel:[1,0] op_sel_hi:[0,0]
	v_pk_fma_f32 v[6:7], v[8:9], v[130:131], v[4:5] neg_lo:[0,0,1] neg_hi:[0,0,1]
	v_pk_fma_f32 v[4:5], v[8:9], v[130:131], v[4:5] op_sel_hi:[1,0,1]
	v_pk_add_f32 v[2:3], v[2:3], v[18:19]
	v_mov_b32_e32 v7, v5
	s_waitcnt vmcnt(1) lgkmcnt(1)
	v_pk_mul_f32 v[4:5], v[10:11], v[132:133] op_sel:[1,1] op_sel_hi:[0,1]
	v_pk_add_f32 v[2:3], v[2:3], v[6:7]
	v_pk_fma_f32 v[6:7], v[10:11], v[132:133], v[4:5] neg_lo:[0,0,1] neg_hi:[0,0,1]
	v_pk_fma_f32 v[4:5], v[10:11], v[132:133], v[4:5] op_sel_hi:[1,0,1]
	s_nop 0
	v_mov_b32_e32 v4, v135
	v_mov_b32_e32 v7, v5
	v_pk_mul_f32 v[4:5], v[12:13], v[4:5] op_sel:[1,0] op_sel_hi:[0,0]
	v_pk_add_f32 v[2:3], v[2:3], v[6:7]
	v_pk_fma_f32 v[6:7], v[12:13], v[134:135], v[4:5] neg_lo:[0,0,1] neg_hi:[0,0,1]
	v_pk_fma_f32 v[4:5], v[12:13], v[134:135], v[4:5] op_sel_hi:[1,0,1]
	s_nop 0
	v_mov_b32_e32 v7, v5
	s_waitcnt vmcnt(0) lgkmcnt(0)
	v_pk_mul_f32 v[4:5], v[14:15], v[136:137] op_sel:[1,1] op_sel_hi:[0,1]
	v_pk_add_f32 v[2:3], v[2:3], v[6:7]
	v_pk_fma_f32 v[6:7], v[14:15], v[136:137], v[4:5] neg_lo:[0,0,1] neg_hi:[0,0,1]
	v_pk_fma_f32 v[4:5], v[14:15], v[136:137], v[4:5] op_sel_hi:[1,0,1]
	s_nop 0
	v_mov_b32_e32 v4, v139
	v_mov_b32_e32 v7, v5
	v_pk_mul_f32 v[4:5], v[16:17], v[4:5] op_sel:[1,0] op_sel_hi:[0,0]
	v_pk_add_f32 v[2:3], v[2:3], v[6:7]
	v_pk_fma_f32 v[6:7], v[16:17], v[138:139], v[4:5] neg_lo:[0,0,1] neg_hi:[0,0,1]
	v_pk_fma_f32 v[4:5], v[16:17], v[138:139], v[4:5] op_sel_hi:[1,0,1]
	s_nop 0
	v_mov_b32_e32 v7, v5
	scratch_load_dwordx2 v[4:5], off, off offset:136
	v_pk_add_f32 v[2:3], v[2:3], v[6:7]
	s_waitcnt vmcnt(0)
	v_pk_add_f32 v[2:3], v[4:5], v[2:3] neg_lo:[0,1] neg_hi:[0,1]
	scratch_store_dwordx2 off, v[2:3], off offset:136
	s_and_saveexec_b64 s[0:1], vcc
	s_cbranch_execz .LBB55_317
; %bb.316:
	scratch_load_dwordx2 v[2:3], off, off offset:128
	v_mov_b32_e32 v4, 0
	v_mov_b32_e32 v5, v4
	scratch_store_dwordx2 off, v[4:5], off offset:128
	s_waitcnt vmcnt(1)
	ds_write_b64 v1, v[2:3]
.LBB55_317:
	s_or_b64 exec, exec, s[0:1]
	s_waitcnt lgkmcnt(0)
	; wave barrier
	scratch_load_dwordx4 v[6:9], off, off offset:136
	scratch_load_dwordx4 v[14:17], off, off offset:152
	;; [unrolled: 1-line block ×10, first 2 shown]
	v_mov_b32_e32 v94, 0
	ds_read2_b64 v[2:5], v94 offset0:73 offset1:74
	scratch_load_dwordx4 v[86:89], off, off offset:296
	scratch_load_dwordx4 v[96:99], off, off offset:312
	;; [unrolled: 1-line block ×6, first 2 shown]
	v_cmp_lt_u32_e32 vcc, 15, v0
	s_waitcnt vmcnt(15) lgkmcnt(0)
	v_mul_f32_e32 v10, v2, v7
	v_fmac_f32_e32 v10, v3, v6
	v_mul_f32_e32 v11, v4, v9
	v_add_f32_e32 v10, 0, v10
	v_fmac_f32_e32 v11, v5, v8
	v_add_f32_e32 v18, v10, v11
	ds_read2_b64 v[10:13], v94 offset0:75 offset1:76
	v_mul_f32_e32 v3, v3, v7
	v_fma_f32 v2, v2, v6, -v3
	v_mul_f32_e32 v3, v5, v9
	v_add_f32_e32 v2, 0, v2
	s_waitcnt vmcnt(14) lgkmcnt(0)
	v_mul_f32_e32 v19, v10, v15
	v_fmac_f32_e32 v19, v11, v14
	v_add_f32_e32 v18, v18, v19
	v_mul_f32_e32 v19, v12, v17
	v_fmac_f32_e32 v19, v13, v16
	v_add_f32_e32 v26, v18, v19
	ds_read2_b64 v[18:21], v94 offset0:77 offset1:78
	v_fma_f32 v3, v4, v8, -v3
	v_add_f32_e32 v2, v2, v3
	v_mul_f32_e32 v3, v11, v15
	v_fma_f32 v3, v10, v14, -v3
	s_waitcnt vmcnt(13) lgkmcnt(0)
	v_mul_f32_e32 v27, v18, v23
	v_fmac_f32_e32 v27, v19, v22
	v_add_f32_e32 v26, v26, v27
	v_mul_f32_e32 v27, v20, v25
	v_fmac_f32_e32 v27, v21, v24
	v_add_f32_e32 v34, v26, v27
	ds_read2_b64 v[26:29], v94 offset0:79 offset1:80
	v_add_f32_e32 v2, v2, v3
	v_mul_f32_e32 v3, v13, v17
	v_fma_f32 v3, v12, v16, -v3
	v_add_f32_e32 v2, v2, v3
	s_waitcnt vmcnt(12) lgkmcnt(0)
	v_mul_f32_e32 v35, v26, v31
	v_fmac_f32_e32 v35, v27, v30
	v_add_f32_e32 v34, v34, v35
	v_mul_f32_e32 v35, v28, v33
	v_fmac_f32_e32 v35, v29, v32
	v_add_f32_e32 v42, v34, v35
	ds_read2_b64 v[34:37], v94 offset0:81 offset1:82
	v_mul_f32_e32 v3, v19, v23
	v_fma_f32 v3, v18, v22, -v3
	v_add_f32_e32 v2, v2, v3
	v_mul_f32_e32 v3, v21, v25
	s_waitcnt vmcnt(11) lgkmcnt(0)
	v_mul_f32_e32 v43, v34, v39
	v_fmac_f32_e32 v43, v35, v38
	v_add_f32_e32 v42, v42, v43
	v_mul_f32_e32 v43, v36, v41
	v_fmac_f32_e32 v43, v37, v40
	v_add_f32_e32 v50, v42, v43
	ds_read2_b64 v[42:45], v94 offset0:83 offset1:84
	v_fma_f32 v3, v20, v24, -v3
	v_add_f32_e32 v2, v2, v3
	v_mul_f32_e32 v3, v27, v31
	v_fma_f32 v3, v26, v30, -v3
	s_waitcnt vmcnt(10) lgkmcnt(0)
	v_mul_f32_e32 v51, v42, v47
	v_fmac_f32_e32 v51, v43, v46
	v_add_f32_e32 v50, v50, v51
	v_mul_f32_e32 v51, v44, v49
	v_fmac_f32_e32 v51, v45, v48
	v_add_f32_e32 v58, v50, v51
	ds_read2_b64 v[50:53], v94 offset0:85 offset1:86
	v_add_f32_e32 v2, v2, v3
	v_mul_f32_e32 v3, v29, v33
	v_fma_f32 v3, v28, v32, -v3
	v_add_f32_e32 v2, v2, v3
	s_waitcnt vmcnt(9) lgkmcnt(0)
	v_mul_f32_e32 v59, v50, v55
	v_fmac_f32_e32 v59, v51, v54
	v_add_f32_e32 v58, v58, v59
	v_mul_f32_e32 v59, v52, v57
	v_fmac_f32_e32 v59, v53, v56
	v_add_f32_e32 v66, v58, v59
	ds_read2_b64 v[58:61], v94 offset0:87 offset1:88
	v_mul_f32_e32 v3, v35, v39
	v_fma_f32 v3, v34, v38, -v3
	v_add_f32_e32 v2, v2, v3
	v_mul_f32_e32 v3, v37, v41
	;; [unrolled: 36-line block ×4, first 2 shown]
	s_waitcnt vmcnt(2) lgkmcnt(0)
	v_mul_f32_e32 v116, v108, v113
	v_fmac_f32_e32 v116, v109, v112
	v_add_f32_e32 v95, v95, v116
	v_mul_f32_e32 v116, v110, v115
	v_fmac_f32_e32 v116, v111, v114
	v_add_f32_e32 v95, v95, v116
	ds_read2_b64 v[116:119], v94 offset0:101 offset1:102
	v_fma_f32 v3, v68, v72, -v3
	v_add_f32_e32 v2, v2, v3
	v_mul_f32_e32 v3, v75, v79
	v_fma_f32 v3, v74, v78, -v3
	s_waitcnt vmcnt(1) lgkmcnt(0)
	v_mul_f32_e32 v124, v116, v121
	v_fmac_f32_e32 v124, v117, v120
	v_add_f32_e32 v145, v95, v124
	ds_read2_b64 v[124:127], v94 offset0:103 offset1:104
	scratch_load_dwordx4 v[132:135], off, off offset:392
	scratch_load_dwordx4 v[136:139], off, off offset:408
	;; [unrolled: 1-line block ×3, first 2 shown]
	scratch_load_dwordx2 v[156:157], off, off offset:440
	v_add_f32_e32 v2, v2, v3
	v_mul_f32_e32 v3, v77, v81
	v_fma_f32 v3, v76, v80, -v3
	v_add_f32_e32 v2, v2, v3
	v_mul_f32_e32 v3, v83, v87
	v_fma_f32 v3, v82, v86, -v3
	;; [unrolled: 3-line block ×10, first 2 shown]
	v_add_f32_e32 v144, v2, v3
	v_mul_f32_e32 v2, v119, v123
	v_mul_f32_e32 v147, v118, v123
	v_fma_f32 v146, v118, v122, -v2
	s_waitcnt vmcnt(4) lgkmcnt(0)
	v_mul_f32_e32 v2, v125, v129
	v_mov_b32_e32 v18, v131
	v_fmac_f32_e32 v147, v119, v122
	v_mul_f32_e32 v149, v124, v129
	v_fma_f32 v148, v124, v128, -v2
	ds_read2_b64 v[2:5], v94 offset0:105 offset1:106
	ds_read2_b64 v[6:9], v94 offset0:107 offset1:108
	ds_read2_b64 v[10:13], v94 offset0:109 offset1:110
	ds_read_b64 v[14:15], v94 offset:888
	v_pk_mul_f32 v[18:19], v[126:127], v[18:19] op_sel:[1,0] op_sel_hi:[0,0]
	v_fmac_f32_e32 v149, v125, v128
	v_pk_add_f32 v[16:17], v[144:145], v[146:147]
	v_pk_fma_f32 v[20:21], v[126:127], v[130:131], v[18:19] neg_lo:[0,0,1] neg_hi:[0,0,1]
	v_pk_fma_f32 v[18:19], v[126:127], v[130:131], v[18:19] op_sel_hi:[1,0,1]
	v_pk_add_f32 v[16:17], v[16:17], v[148:149]
	v_mov_b32_e32 v21, v19
	v_pk_add_f32 v[16:17], v[16:17], v[20:21]
	s_waitcnt vmcnt(3) lgkmcnt(3)
	v_pk_mul_f32 v[18:19], v[2:3], v[132:133] op_sel:[1,1] op_sel_hi:[0,1]
	v_pk_fma_f32 v[20:21], v[2:3], v[132:133], v[18:19] neg_lo:[0,0,1] neg_hi:[0,0,1]
	v_pk_fma_f32 v[2:3], v[2:3], v[132:133], v[18:19] op_sel_hi:[1,0,1]
	s_nop 0
	v_mov_b32_e32 v21, v3
	v_pk_add_f32 v[2:3], v[16:17], v[20:21]
	v_mov_b32_e32 v16, v135
	v_pk_mul_f32 v[16:17], v[4:5], v[16:17] op_sel:[1,0] op_sel_hi:[0,0]
	v_pk_fma_f32 v[18:19], v[4:5], v[134:135], v[16:17] neg_lo:[0,0,1] neg_hi:[0,0,1]
	v_pk_fma_f32 v[4:5], v[4:5], v[134:135], v[16:17] op_sel_hi:[1,0,1]
	s_nop 0
	v_mov_b32_e32 v19, v5
	s_waitcnt vmcnt(2) lgkmcnt(2)
	v_pk_mul_f32 v[4:5], v[6:7], v[136:137] op_sel:[1,1] op_sel_hi:[0,1]
	v_pk_fma_f32 v[16:17], v[6:7], v[136:137], v[4:5] neg_lo:[0,0,1] neg_hi:[0,0,1]
	v_pk_fma_f32 v[4:5], v[6:7], v[136:137], v[4:5] op_sel_hi:[1,0,1]
	v_pk_add_f32 v[2:3], v[2:3], v[18:19]
	v_mov_b32_e32 v4, v139
	v_mov_b32_e32 v17, v5
	v_pk_mul_f32 v[4:5], v[8:9], v[4:5] op_sel:[1,0] op_sel_hi:[0,0]
	v_pk_fma_f32 v[6:7], v[8:9], v[138:139], v[4:5] neg_lo:[0,0,1] neg_hi:[0,0,1]
	v_pk_fma_f32 v[4:5], v[8:9], v[138:139], v[4:5] op_sel_hi:[1,0,1]
	v_pk_add_f32 v[2:3], v[2:3], v[16:17]
	v_mov_b32_e32 v7, v5
	s_waitcnt vmcnt(1) lgkmcnt(1)
	v_pk_mul_f32 v[4:5], v[10:11], v[140:141] op_sel:[1,1] op_sel_hi:[0,1]
	v_pk_add_f32 v[2:3], v[2:3], v[6:7]
	v_pk_fma_f32 v[6:7], v[10:11], v[140:141], v[4:5] neg_lo:[0,0,1] neg_hi:[0,0,1]
	v_pk_fma_f32 v[4:5], v[10:11], v[140:141], v[4:5] op_sel_hi:[1,0,1]
	s_nop 0
	v_mov_b32_e32 v4, v143
	v_mov_b32_e32 v7, v5
	v_pk_mul_f32 v[4:5], v[12:13], v[4:5] op_sel:[1,0] op_sel_hi:[0,0]
	v_pk_add_f32 v[2:3], v[2:3], v[6:7]
	v_pk_fma_f32 v[6:7], v[12:13], v[142:143], v[4:5] neg_lo:[0,0,1] neg_hi:[0,0,1]
	v_pk_fma_f32 v[4:5], v[12:13], v[142:143], v[4:5] op_sel_hi:[1,0,1]
	s_nop 0
	v_mov_b32_e32 v7, v5
	s_waitcnt vmcnt(0) lgkmcnt(0)
	v_pk_mul_f32 v[4:5], v[14:15], v[156:157] op_sel:[1,1] op_sel_hi:[0,1]
	v_pk_add_f32 v[2:3], v[2:3], v[6:7]
	v_pk_fma_f32 v[6:7], v[14:15], v[156:157], v[4:5] neg_lo:[0,0,1] neg_hi:[0,0,1]
	v_pk_fma_f32 v[4:5], v[14:15], v[156:157], v[4:5] op_sel_hi:[1,0,1]
	s_nop 0
	v_mov_b32_e32 v7, v5
	scratch_load_dwordx2 v[4:5], off, off offset:128
	v_pk_add_f32 v[2:3], v[2:3], v[6:7]
	s_waitcnt vmcnt(0)
	v_pk_add_f32 v[2:3], v[4:5], v[2:3] neg_lo:[0,1] neg_hi:[0,1]
	scratch_store_dwordx2 off, v[2:3], off offset:128
	s_and_saveexec_b64 s[0:1], vcc
	s_cbranch_execz .LBB55_319
; %bb.318:
	scratch_load_dwordx2 v[2:3], off, off offset:120
	v_mov_b32_e32 v95, v94
	scratch_store_dwordx2 off, v[94:95], off offset:120
	s_waitcnt vmcnt(1)
	ds_write_b64 v1, v[2:3]
.LBB55_319:
	s_or_b64 exec, exec, s[0:1]
	s_waitcnt lgkmcnt(0)
	; wave barrier
	ds_read_b128 v[14:17], v94 offset:576
	ds_read_b128 v[10:13], v94 offset:592
	;; [unrolled: 1-line block ×4, first 2 shown]
	scratch_load_dwordx4 v[18:21], off, off offset:128
	scratch_load_dwordx4 v[38:41], off, off offset:192
	;; [unrolled: 1-line block ×10, first 2 shown]
	v_cmp_lt_u32_e32 vcc, 14, v0
	scratch_load_dwordx4 v[46:49], off, off offset:208
	scratch_load_dwordx4 v[54:57], off, off offset:224
	;; [unrolled: 1-line block ×3, first 2 shown]
	s_waitcnt vmcnt(12) lgkmcnt(3)
	v_mul_f32_e32 v22, v14, v19
	v_fmac_f32_e32 v22, v15, v18
	v_mul_f32_e32 v23, v16, v21
	v_add_f32_e32 v22, 0, v22
	v_fmac_f32_e32 v23, v17, v20
	v_add_f32_e32 v26, v22, v23
	scratch_load_dwordx4 v[22:25], off, off offset:144
	v_mul_f32_e32 v15, v15, v19
	v_fma_f32 v14, v14, v18, -v15
	v_mul_f32_e32 v15, v17, v21
	v_add_f32_e32 v14, 0, v14
	v_fma_f32 v15, v16, v20, -v15
	v_add_f32_e32 v14, v14, v15
	s_waitcnt vmcnt(0) lgkmcnt(2)
	v_mul_f32_e32 v27, v10, v23
	v_fmac_f32_e32 v27, v11, v22
	v_add_f32_e32 v26, v26, v27
	v_mul_f32_e32 v27, v12, v25
	v_fmac_f32_e32 v27, v13, v24
	v_add_f32_e32 v30, v26, v27
	scratch_load_dwordx4 v[26:29], off, off offset:160
	v_mul_f32_e32 v11, v11, v23
	v_fma_f32 v10, v10, v22, -v11
	v_mul_f32_e32 v11, v13, v25
	v_add_f32_e32 v10, v14, v10
	v_fma_f32 v11, v12, v24, -v11
	v_add_f32_e32 v10, v10, v11
	s_waitcnt vmcnt(0) lgkmcnt(1)
	v_mul_f32_e32 v31, v6, v27
	v_fmac_f32_e32 v31, v7, v26
	v_add_f32_e32 v30, v30, v31
	v_mul_f32_e32 v31, v8, v29
	;; [unrolled: 14-line block ×3, first 2 shown]
	v_fmac_f32_e32 v35, v5, v32
	v_add_f32_e32 v42, v34, v35
	ds_read_b128 v[34:37], v94 offset:640
	v_mul_f32_e32 v3, v3, v31
	v_fma_f32 v2, v2, v30, -v3
	v_mul_f32_e32 v3, v5, v33
	v_add_f32_e32 v2, v6, v2
	s_waitcnt lgkmcnt(0)
	v_mul_f32_e32 v43, v34, v39
	v_fmac_f32_e32 v43, v35, v38
	v_add_f32_e32 v42, v42, v43
	v_mul_f32_e32 v43, v36, v41
	v_fmac_f32_e32 v43, v37, v40
	v_add_f32_e32 v50, v42, v43
	ds_read_b128 v[42:45], v94 offset:656
	v_fma_f32 v3, v4, v32, -v3
	v_add_f32_e32 v2, v2, v3
	v_mul_f32_e32 v3, v35, v39
	v_fma_f32 v3, v34, v38, -v3
	s_waitcnt lgkmcnt(0)
	v_mul_f32_e32 v51, v42, v47
	v_fmac_f32_e32 v51, v43, v46
	v_add_f32_e32 v50, v50, v51
	v_mul_f32_e32 v51, v44, v49
	v_fmac_f32_e32 v51, v45, v48
	v_add_f32_e32 v58, v50, v51
	ds_read_b128 v[50:53], v94 offset:672
	v_add_f32_e32 v2, v2, v3
	v_mul_f32_e32 v3, v37, v41
	v_fma_f32 v3, v36, v40, -v3
	v_add_f32_e32 v2, v2, v3
	s_waitcnt lgkmcnt(0)
	v_mul_f32_e32 v59, v50, v55
	v_fmac_f32_e32 v59, v51, v54
	v_add_f32_e32 v58, v58, v59
	v_mul_f32_e32 v59, v52, v57
	v_fmac_f32_e32 v59, v53, v56
	v_add_f32_e32 v66, v58, v59
	ds_read_b128 v[58:61], v94 offset:688
	v_mul_f32_e32 v3, v43, v47
	v_fma_f32 v3, v42, v46, -v3
	v_add_f32_e32 v2, v2, v3
	v_mul_f32_e32 v3, v45, v49
	s_waitcnt lgkmcnt(0)
	v_mul_f32_e32 v67, v58, v63
	v_fmac_f32_e32 v67, v59, v62
	v_add_f32_e32 v66, v66, v67
	v_mul_f32_e32 v67, v60, v65
	v_fmac_f32_e32 v67, v61, v64
	v_add_f32_e32 v74, v66, v67
	ds_read_b128 v[66:69], v94 offset:704
	v_fma_f32 v3, v44, v48, -v3
	v_add_f32_e32 v2, v2, v3
	v_mul_f32_e32 v3, v51, v55
	v_fma_f32 v3, v50, v54, -v3
	s_waitcnt lgkmcnt(0)
	v_mul_f32_e32 v75, v66, v71
	v_fmac_f32_e32 v75, v67, v70
	v_add_f32_e32 v74, v74, v75
	v_mul_f32_e32 v75, v68, v73
	v_fmac_f32_e32 v75, v69, v72
	v_add_f32_e32 v82, v74, v75
	ds_read_b128 v[74:77], v94 offset:720
	v_add_f32_e32 v2, v2, v3
	v_mul_f32_e32 v3, v53, v57
	v_fma_f32 v3, v52, v56, -v3
	v_add_f32_e32 v2, v2, v3
	s_waitcnt lgkmcnt(0)
	v_mul_f32_e32 v83, v74, v79
	v_fmac_f32_e32 v83, v75, v78
	v_add_f32_e32 v82, v82, v83
	v_mul_f32_e32 v83, v76, v81
	v_fmac_f32_e32 v83, v77, v80
	v_add_f32_e32 v90, v82, v83
	ds_read_b128 v[82:85], v94 offset:736
	v_mul_f32_e32 v3, v59, v63
	v_fma_f32 v3, v58, v62, -v3
	v_add_f32_e32 v2, v2, v3
	v_mul_f32_e32 v3, v61, v65
	;; [unrolled: 36-line block ×3, first 2 shown]
	s_waitcnt lgkmcnt(0)
	v_mul_f32_e32 v116, v108, v113
	v_fmac_f32_e32 v116, v109, v112
	v_add_f32_e32 v95, v95, v116
	v_mul_f32_e32 v116, v110, v115
	v_fmac_f32_e32 v116, v111, v114
	v_add_f32_e32 v95, v95, v116
	ds_read_b128 v[116:119], v94 offset:800
	v_fma_f32 v3, v76, v80, -v3
	v_add_f32_e32 v2, v2, v3
	v_mul_f32_e32 v3, v83, v87
	v_fma_f32 v3, v82, v86, -v3
	s_waitcnt lgkmcnt(0)
	v_mul_f32_e32 v124, v116, v121
	v_fmac_f32_e32 v124, v117, v120
	v_add_f32_e32 v95, v95, v124
	v_mul_f32_e32 v124, v118, v123
	v_fmac_f32_e32 v124, v119, v122
	v_add_f32_e32 v149, v95, v124
	ds_read_b128 v[124:127], v94 offset:816
	scratch_load_dwordx4 v[132:135], off, off offset:384
	scratch_load_dwordx4 v[136:139], off, off offset:400
	;; [unrolled: 1-line block ×4, first 2 shown]
	v_add_f32_e32 v2, v2, v3
	v_mul_f32_e32 v3, v85, v89
	v_fma_f32 v3, v84, v88, -v3
	v_add_f32_e32 v2, v2, v3
	v_mul_f32_e32 v3, v91, v97
	v_fma_f32 v3, v90, v96, -v3
	;; [unrolled: 3-line block ×9, first 2 shown]
	v_add_f32_e32 v148, v2, v3
	s_waitcnt lgkmcnt(0)
	v_mul_f32_e32 v2, v125, v129
	v_fma_f32 v156, v124, v128, -v2
	v_mul_f32_e32 v2, v127, v131
	v_fma_f32 v158, v126, v130, -v2
	ds_read_b128 v[2:5], v94 offset:832
	ds_read_b128 v[6:9], v94 offset:848
	;; [unrolled: 1-line block ×4, first 2 shown]
	v_mul_f32_e32 v157, v124, v129
	v_fmac_f32_e32 v157, v125, v128
	v_mul_f32_e32 v159, v126, v131
	v_fmac_f32_e32 v159, v127, v130
	v_pk_add_f32 v[18:19], v[148:149], v[156:157]
	s_waitcnt vmcnt(3) lgkmcnt(3)
	v_pk_mul_f32 v[20:21], v[2:3], v[132:133] op_sel:[1,1] op_sel_hi:[0,1]
	v_pk_fma_f32 v[22:23], v[2:3], v[132:133], v[20:21] neg_lo:[0,0,1] neg_hi:[0,0,1]
	v_pk_fma_f32 v[2:3], v[2:3], v[132:133], v[20:21] op_sel_hi:[1,0,1]
	v_pk_add_f32 v[18:19], v[18:19], v[158:159]
	v_mov_b32_e32 v23, v3
	v_pk_add_f32 v[2:3], v[18:19], v[22:23]
	v_mov_b32_e32 v18, v135
	v_pk_mul_f32 v[18:19], v[4:5], v[18:19] op_sel:[1,0] op_sel_hi:[0,0]
	v_pk_fma_f32 v[20:21], v[4:5], v[134:135], v[18:19] neg_lo:[0,0,1] neg_hi:[0,0,1]
	v_pk_fma_f32 v[4:5], v[4:5], v[134:135], v[18:19] op_sel_hi:[1,0,1]
	s_nop 0
	v_mov_b32_e32 v21, v5
	s_waitcnt vmcnt(2) lgkmcnt(2)
	v_pk_mul_f32 v[4:5], v[6:7], v[136:137] op_sel:[1,1] op_sel_hi:[0,1]
	v_pk_fma_f32 v[18:19], v[6:7], v[136:137], v[4:5] neg_lo:[0,0,1] neg_hi:[0,0,1]
	v_pk_fma_f32 v[4:5], v[6:7], v[136:137], v[4:5] op_sel_hi:[1,0,1]
	v_pk_add_f32 v[2:3], v[2:3], v[20:21]
	v_mov_b32_e32 v4, v139
	v_mov_b32_e32 v19, v5
	v_pk_mul_f32 v[4:5], v[8:9], v[4:5] op_sel:[1,0] op_sel_hi:[0,0]
	v_pk_fma_f32 v[6:7], v[8:9], v[138:139], v[4:5] neg_lo:[0,0,1] neg_hi:[0,0,1]
	v_pk_fma_f32 v[4:5], v[8:9], v[138:139], v[4:5] op_sel_hi:[1,0,1]
	v_pk_add_f32 v[2:3], v[2:3], v[18:19]
	v_mov_b32_e32 v7, v5
	s_waitcnt vmcnt(1) lgkmcnt(1)
	v_pk_mul_f32 v[4:5], v[10:11], v[140:141] op_sel:[1,1] op_sel_hi:[0,1]
	v_pk_add_f32 v[2:3], v[2:3], v[6:7]
	v_pk_fma_f32 v[6:7], v[10:11], v[140:141], v[4:5] neg_lo:[0,0,1] neg_hi:[0,0,1]
	v_pk_fma_f32 v[4:5], v[10:11], v[140:141], v[4:5] op_sel_hi:[1,0,1]
	s_nop 0
	v_mov_b32_e32 v4, v143
	v_mov_b32_e32 v7, v5
	v_pk_mul_f32 v[4:5], v[12:13], v[4:5] op_sel:[1,0] op_sel_hi:[0,0]
	v_pk_add_f32 v[2:3], v[2:3], v[6:7]
	v_pk_fma_f32 v[6:7], v[12:13], v[142:143], v[4:5] neg_lo:[0,0,1] neg_hi:[0,0,1]
	v_pk_fma_f32 v[4:5], v[12:13], v[142:143], v[4:5] op_sel_hi:[1,0,1]
	s_nop 0
	v_mov_b32_e32 v7, v5
	s_waitcnt vmcnt(0) lgkmcnt(0)
	v_pk_mul_f32 v[4:5], v[14:15], v[144:145] op_sel:[1,1] op_sel_hi:[0,1]
	v_pk_add_f32 v[2:3], v[2:3], v[6:7]
	v_pk_fma_f32 v[6:7], v[14:15], v[144:145], v[4:5] neg_lo:[0,0,1] neg_hi:[0,0,1]
	v_pk_fma_f32 v[4:5], v[14:15], v[144:145], v[4:5] op_sel_hi:[1,0,1]
	s_nop 0
	v_mov_b32_e32 v4, v147
	v_mov_b32_e32 v7, v5
	v_pk_mul_f32 v[4:5], v[16:17], v[4:5] op_sel:[1,0] op_sel_hi:[0,0]
	v_pk_add_f32 v[2:3], v[2:3], v[6:7]
	v_pk_fma_f32 v[6:7], v[16:17], v[146:147], v[4:5] neg_lo:[0,0,1] neg_hi:[0,0,1]
	v_pk_fma_f32 v[4:5], v[16:17], v[146:147], v[4:5] op_sel_hi:[1,0,1]
	s_nop 0
	v_mov_b32_e32 v7, v5
	scratch_load_dwordx2 v[4:5], off, off offset:120
	v_pk_add_f32 v[2:3], v[2:3], v[6:7]
	s_waitcnt vmcnt(0)
	v_pk_add_f32 v[2:3], v[4:5], v[2:3] neg_lo:[0,1] neg_hi:[0,1]
	scratch_store_dwordx2 off, v[2:3], off offset:120
	s_and_saveexec_b64 s[0:1], vcc
	s_cbranch_execz .LBB55_321
; %bb.320:
	scratch_load_dwordx2 v[2:3], off, off offset:112
	v_mov_b32_e32 v4, 0
	v_mov_b32_e32 v5, v4
	scratch_store_dwordx2 off, v[4:5], off offset:112
	s_waitcnt vmcnt(1)
	ds_write_b64 v1, v[2:3]
.LBB55_321:
	s_or_b64 exec, exec, s[0:1]
	s_waitcnt lgkmcnt(0)
	; wave barrier
	scratch_load_dwordx4 v[6:9], off, off offset:120
	scratch_load_dwordx4 v[14:17], off, off offset:136
	;; [unrolled: 1-line block ×10, first 2 shown]
	v_mov_b32_e32 v102, 0
	ds_read2_b64 v[2:5], v102 offset0:71 offset1:72
	scratch_load_dwordx4 v[86:89], off, off offset:280
	scratch_load_dwordx4 v[94:97], off, off offset:296
	;; [unrolled: 1-line block ×7, first 2 shown]
	v_cmp_lt_u32_e32 vcc, 13, v0
	s_waitcnt vmcnt(16) lgkmcnt(0)
	v_mul_f32_e32 v10, v2, v7
	v_fmac_f32_e32 v10, v3, v6
	v_mul_f32_e32 v11, v4, v9
	v_add_f32_e32 v10, 0, v10
	v_fmac_f32_e32 v11, v5, v8
	v_add_f32_e32 v18, v10, v11
	ds_read2_b64 v[10:13], v102 offset0:73 offset1:74
	v_mul_f32_e32 v3, v3, v7
	v_fma_f32 v2, v2, v6, -v3
	v_mul_f32_e32 v3, v5, v9
	v_add_f32_e32 v2, 0, v2
	s_waitcnt vmcnt(15) lgkmcnt(0)
	v_mul_f32_e32 v19, v10, v15
	v_fmac_f32_e32 v19, v11, v14
	v_add_f32_e32 v18, v18, v19
	v_mul_f32_e32 v19, v12, v17
	v_fmac_f32_e32 v19, v13, v16
	v_add_f32_e32 v26, v18, v19
	ds_read2_b64 v[18:21], v102 offset0:75 offset1:76
	v_fma_f32 v3, v4, v8, -v3
	v_add_f32_e32 v2, v2, v3
	v_mul_f32_e32 v3, v11, v15
	v_fma_f32 v3, v10, v14, -v3
	s_waitcnt vmcnt(14) lgkmcnt(0)
	v_mul_f32_e32 v27, v18, v23
	v_fmac_f32_e32 v27, v19, v22
	v_add_f32_e32 v26, v26, v27
	v_mul_f32_e32 v27, v20, v25
	v_fmac_f32_e32 v27, v21, v24
	v_add_f32_e32 v34, v26, v27
	ds_read2_b64 v[26:29], v102 offset0:77 offset1:78
	v_add_f32_e32 v2, v2, v3
	v_mul_f32_e32 v3, v13, v17
	v_fma_f32 v3, v12, v16, -v3
	v_add_f32_e32 v2, v2, v3
	s_waitcnt vmcnt(13) lgkmcnt(0)
	v_mul_f32_e32 v35, v26, v31
	v_fmac_f32_e32 v35, v27, v30
	v_add_f32_e32 v34, v34, v35
	v_mul_f32_e32 v35, v28, v33
	v_fmac_f32_e32 v35, v29, v32
	v_add_f32_e32 v42, v34, v35
	ds_read2_b64 v[34:37], v102 offset0:79 offset1:80
	v_mul_f32_e32 v3, v19, v23
	v_fma_f32 v3, v18, v22, -v3
	v_add_f32_e32 v2, v2, v3
	v_mul_f32_e32 v3, v21, v25
	s_waitcnt vmcnt(12) lgkmcnt(0)
	v_mul_f32_e32 v43, v34, v39
	v_fmac_f32_e32 v43, v35, v38
	v_add_f32_e32 v42, v42, v43
	v_mul_f32_e32 v43, v36, v41
	v_fmac_f32_e32 v43, v37, v40
	v_add_f32_e32 v50, v42, v43
	ds_read2_b64 v[42:45], v102 offset0:81 offset1:82
	v_fma_f32 v3, v20, v24, -v3
	v_add_f32_e32 v2, v2, v3
	v_mul_f32_e32 v3, v27, v31
	v_fma_f32 v3, v26, v30, -v3
	s_waitcnt vmcnt(11) lgkmcnt(0)
	v_mul_f32_e32 v51, v42, v47
	v_fmac_f32_e32 v51, v43, v46
	v_add_f32_e32 v50, v50, v51
	v_mul_f32_e32 v51, v44, v49
	v_fmac_f32_e32 v51, v45, v48
	v_add_f32_e32 v58, v50, v51
	ds_read2_b64 v[50:53], v102 offset0:83 offset1:84
	v_add_f32_e32 v2, v2, v3
	v_mul_f32_e32 v3, v29, v33
	v_fma_f32 v3, v28, v32, -v3
	v_add_f32_e32 v2, v2, v3
	s_waitcnt vmcnt(10) lgkmcnt(0)
	v_mul_f32_e32 v59, v50, v55
	v_fmac_f32_e32 v59, v51, v54
	v_add_f32_e32 v58, v58, v59
	v_mul_f32_e32 v59, v52, v57
	v_fmac_f32_e32 v59, v53, v56
	v_add_f32_e32 v66, v58, v59
	ds_read2_b64 v[58:61], v102 offset0:85 offset1:86
	v_mul_f32_e32 v3, v35, v39
	v_fma_f32 v3, v34, v38, -v3
	v_add_f32_e32 v2, v2, v3
	v_mul_f32_e32 v3, v37, v41
	;; [unrolled: 36-line block ×4, first 2 shown]
	s_waitcnt vmcnt(3) lgkmcnt(0)
	v_mul_f32_e32 v116, v108, v113
	v_fmac_f32_e32 v116, v109, v112
	v_add_f32_e32 v103, v103, v116
	v_mul_f32_e32 v116, v110, v115
	v_fmac_f32_e32 v116, v111, v114
	v_add_f32_e32 v103, v103, v116
	ds_read2_b64 v[116:119], v102 offset0:99 offset1:100
	v_fma_f32 v3, v68, v72, -v3
	v_add_f32_e32 v2, v2, v3
	v_mul_f32_e32 v3, v75, v79
	v_fma_f32 v3, v74, v78, -v3
	s_waitcnt vmcnt(2) lgkmcnt(0)
	v_mul_f32_e32 v124, v116, v121
	v_fmac_f32_e32 v124, v117, v120
	v_add_f32_e32 v103, v103, v124
	v_mul_f32_e32 v124, v118, v123
	v_fmac_f32_e32 v124, v119, v122
	v_add_f32_e32 v103, v103, v124
	ds_read2_b64 v[124:127], v102 offset0:101 offset1:102
	v_add_f32_e32 v2, v2, v3
	v_mul_f32_e32 v3, v77, v81
	v_fma_f32 v3, v76, v80, -v3
	v_add_f32_e32 v2, v2, v3
	s_waitcnt vmcnt(1) lgkmcnt(0)
	v_mul_f32_e32 v132, v124, v129
	v_fmac_f32_e32 v132, v125, v128
	v_add_f32_e32 v149, v103, v132
	ds_read2_b64 v[132:135], v102 offset0:103 offset1:104
	scratch_load_dwordx4 v[140:143], off, off offset:392
	scratch_load_dwordx4 v[144:147], off, off offset:408
	;; [unrolled: 1-line block ×3, first 2 shown]
	scratch_load_dwordx2 v[164:165], off, off offset:440
	v_mul_f32_e32 v3, v83, v87
	v_fma_f32 v3, v82, v86, -v3
	v_add_f32_e32 v2, v2, v3
	v_mul_f32_e32 v3, v85, v89
	v_fma_f32 v3, v84, v88, -v3
	v_add_f32_e32 v2, v2, v3
	;; [unrolled: 3-line block ×11, first 2 shown]
	v_mul_f32_e32 v2, v127, v131
	v_mul_f32_e32 v161, v126, v131
	v_fma_f32 v160, v126, v130, -v2
	s_waitcnt vmcnt(4) lgkmcnt(0)
	v_mul_f32_e32 v2, v133, v137
	v_mov_b32_e32 v18, v139
	v_fmac_f32_e32 v161, v127, v130
	v_mul_f32_e32 v163, v132, v137
	v_fma_f32 v162, v132, v136, -v2
	ds_read2_b64 v[2:5], v102 offset0:105 offset1:106
	ds_read2_b64 v[6:9], v102 offset0:107 offset1:108
	;; [unrolled: 1-line block ×3, first 2 shown]
	ds_read_b64 v[14:15], v102 offset:888
	v_pk_mul_f32 v[18:19], v[134:135], v[18:19] op_sel:[1,0] op_sel_hi:[0,0]
	v_fmac_f32_e32 v163, v133, v136
	v_pk_add_f32 v[16:17], v[148:149], v[160:161]
	v_pk_fma_f32 v[20:21], v[134:135], v[138:139], v[18:19] neg_lo:[0,0,1] neg_hi:[0,0,1]
	v_pk_fma_f32 v[18:19], v[134:135], v[138:139], v[18:19] op_sel_hi:[1,0,1]
	v_pk_add_f32 v[16:17], v[16:17], v[162:163]
	v_mov_b32_e32 v21, v19
	v_pk_add_f32 v[16:17], v[16:17], v[20:21]
	s_waitcnt vmcnt(3) lgkmcnt(3)
	v_pk_mul_f32 v[18:19], v[2:3], v[140:141] op_sel:[1,1] op_sel_hi:[0,1]
	v_pk_fma_f32 v[20:21], v[2:3], v[140:141], v[18:19] neg_lo:[0,0,1] neg_hi:[0,0,1]
	v_pk_fma_f32 v[2:3], v[2:3], v[140:141], v[18:19] op_sel_hi:[1,0,1]
	s_nop 0
	v_mov_b32_e32 v21, v3
	v_pk_add_f32 v[2:3], v[16:17], v[20:21]
	v_mov_b32_e32 v16, v143
	v_pk_mul_f32 v[16:17], v[4:5], v[16:17] op_sel:[1,0] op_sel_hi:[0,0]
	v_pk_fma_f32 v[18:19], v[4:5], v[142:143], v[16:17] neg_lo:[0,0,1] neg_hi:[0,0,1]
	v_pk_fma_f32 v[4:5], v[4:5], v[142:143], v[16:17] op_sel_hi:[1,0,1]
	s_nop 0
	v_mov_b32_e32 v19, v5
	s_waitcnt vmcnt(2) lgkmcnt(2)
	v_pk_mul_f32 v[4:5], v[6:7], v[144:145] op_sel:[1,1] op_sel_hi:[0,1]
	v_pk_fma_f32 v[16:17], v[6:7], v[144:145], v[4:5] neg_lo:[0,0,1] neg_hi:[0,0,1]
	v_pk_fma_f32 v[4:5], v[6:7], v[144:145], v[4:5] op_sel_hi:[1,0,1]
	v_pk_add_f32 v[2:3], v[2:3], v[18:19]
	v_mov_b32_e32 v4, v147
	v_mov_b32_e32 v17, v5
	v_pk_mul_f32 v[4:5], v[8:9], v[4:5] op_sel:[1,0] op_sel_hi:[0,0]
	v_pk_fma_f32 v[6:7], v[8:9], v[146:147], v[4:5] neg_lo:[0,0,1] neg_hi:[0,0,1]
	v_pk_fma_f32 v[4:5], v[8:9], v[146:147], v[4:5] op_sel_hi:[1,0,1]
	v_pk_add_f32 v[2:3], v[2:3], v[16:17]
	v_mov_b32_e32 v7, v5
	s_waitcnt vmcnt(1) lgkmcnt(1)
	v_pk_mul_f32 v[4:5], v[10:11], v[156:157] op_sel:[1,1] op_sel_hi:[0,1]
	v_pk_add_f32 v[2:3], v[2:3], v[6:7]
	v_pk_fma_f32 v[6:7], v[10:11], v[156:157], v[4:5] neg_lo:[0,0,1] neg_hi:[0,0,1]
	v_pk_fma_f32 v[4:5], v[10:11], v[156:157], v[4:5] op_sel_hi:[1,0,1]
	s_nop 0
	v_mov_b32_e32 v4, v159
	v_mov_b32_e32 v7, v5
	v_pk_mul_f32 v[4:5], v[12:13], v[4:5] op_sel:[1,0] op_sel_hi:[0,0]
	v_pk_add_f32 v[2:3], v[2:3], v[6:7]
	v_pk_fma_f32 v[6:7], v[12:13], v[158:159], v[4:5] neg_lo:[0,0,1] neg_hi:[0,0,1]
	v_pk_fma_f32 v[4:5], v[12:13], v[158:159], v[4:5] op_sel_hi:[1,0,1]
	s_nop 0
	v_mov_b32_e32 v7, v5
	s_waitcnt vmcnt(0) lgkmcnt(0)
	v_pk_mul_f32 v[4:5], v[14:15], v[164:165] op_sel:[1,1] op_sel_hi:[0,1]
	v_pk_add_f32 v[2:3], v[2:3], v[6:7]
	v_pk_fma_f32 v[6:7], v[14:15], v[164:165], v[4:5] neg_lo:[0,0,1] neg_hi:[0,0,1]
	v_pk_fma_f32 v[4:5], v[14:15], v[164:165], v[4:5] op_sel_hi:[1,0,1]
	s_nop 0
	v_mov_b32_e32 v7, v5
	scratch_load_dwordx2 v[4:5], off, off offset:112
	v_pk_add_f32 v[2:3], v[2:3], v[6:7]
	s_waitcnt vmcnt(0)
	v_pk_add_f32 v[2:3], v[4:5], v[2:3] neg_lo:[0,1] neg_hi:[0,1]
	scratch_store_dwordx2 off, v[2:3], off offset:112
	s_and_saveexec_b64 s[0:1], vcc
	s_cbranch_execz .LBB55_323
; %bb.322:
	scratch_load_dwordx2 v[2:3], off, off offset:104
	v_mov_b32_e32 v103, v102
	scratch_store_dwordx2 off, v[102:103], off offset:104
	s_waitcnt vmcnt(1)
	ds_write_b64 v1, v[2:3]
.LBB55_323:
	s_or_b64 exec, exec, s[0:1]
	s_waitcnt lgkmcnt(0)
	; wave barrier
	ds_read_b128 v[14:17], v102 offset:560
	ds_read_b128 v[10:13], v102 offset:576
	;; [unrolled: 1-line block ×4, first 2 shown]
	scratch_load_dwordx4 v[18:21], off, off offset:112
	scratch_load_dwordx4 v[38:41], off, off offset:176
	;; [unrolled: 1-line block ×11, first 2 shown]
	v_cmp_lt_u32_e32 vcc, 12, v0
	scratch_load_dwordx4 v[46:49], off, off offset:192
	scratch_load_dwordx4 v[54:57], off, off offset:208
	;; [unrolled: 1-line block ×3, first 2 shown]
	s_waitcnt vmcnt(13) lgkmcnt(3)
	v_mul_f32_e32 v22, v14, v19
	v_fmac_f32_e32 v22, v15, v18
	v_mul_f32_e32 v23, v16, v21
	v_add_f32_e32 v22, 0, v22
	v_fmac_f32_e32 v23, v17, v20
	v_add_f32_e32 v26, v22, v23
	scratch_load_dwordx4 v[22:25], off, off offset:128
	v_mul_f32_e32 v15, v15, v19
	v_fma_f32 v14, v14, v18, -v15
	v_mul_f32_e32 v15, v17, v21
	v_add_f32_e32 v14, 0, v14
	v_fma_f32 v15, v16, v20, -v15
	v_add_f32_e32 v14, v14, v15
	s_waitcnt vmcnt(0) lgkmcnt(2)
	v_mul_f32_e32 v27, v10, v23
	v_fmac_f32_e32 v27, v11, v22
	v_add_f32_e32 v26, v26, v27
	v_mul_f32_e32 v27, v12, v25
	v_fmac_f32_e32 v27, v13, v24
	v_add_f32_e32 v30, v26, v27
	scratch_load_dwordx4 v[26:29], off, off offset:144
	v_mul_f32_e32 v11, v11, v23
	v_fma_f32 v10, v10, v22, -v11
	v_mul_f32_e32 v11, v13, v25
	v_add_f32_e32 v10, v14, v10
	v_fma_f32 v11, v12, v24, -v11
	v_add_f32_e32 v10, v10, v11
	s_waitcnt vmcnt(0) lgkmcnt(1)
	v_mul_f32_e32 v31, v6, v27
	v_fmac_f32_e32 v31, v7, v26
	v_add_f32_e32 v30, v30, v31
	v_mul_f32_e32 v31, v8, v29
	;; [unrolled: 14-line block ×3, first 2 shown]
	v_fmac_f32_e32 v35, v5, v32
	v_add_f32_e32 v42, v34, v35
	ds_read_b128 v[34:37], v102 offset:624
	v_mul_f32_e32 v3, v3, v31
	v_fma_f32 v2, v2, v30, -v3
	v_mul_f32_e32 v3, v5, v33
	v_add_f32_e32 v2, v6, v2
	s_waitcnt lgkmcnt(0)
	v_mul_f32_e32 v43, v34, v39
	v_fmac_f32_e32 v43, v35, v38
	v_add_f32_e32 v42, v42, v43
	v_mul_f32_e32 v43, v36, v41
	v_fmac_f32_e32 v43, v37, v40
	v_add_f32_e32 v50, v42, v43
	ds_read_b128 v[42:45], v102 offset:640
	v_fma_f32 v3, v4, v32, -v3
	v_add_f32_e32 v2, v2, v3
	v_mul_f32_e32 v3, v35, v39
	v_fma_f32 v3, v34, v38, -v3
	s_waitcnt lgkmcnt(0)
	v_mul_f32_e32 v51, v42, v47
	v_fmac_f32_e32 v51, v43, v46
	v_add_f32_e32 v50, v50, v51
	v_mul_f32_e32 v51, v44, v49
	v_fmac_f32_e32 v51, v45, v48
	v_add_f32_e32 v58, v50, v51
	ds_read_b128 v[50:53], v102 offset:656
	v_add_f32_e32 v2, v2, v3
	v_mul_f32_e32 v3, v37, v41
	v_fma_f32 v3, v36, v40, -v3
	v_add_f32_e32 v2, v2, v3
	s_waitcnt lgkmcnt(0)
	v_mul_f32_e32 v59, v50, v55
	v_fmac_f32_e32 v59, v51, v54
	v_add_f32_e32 v58, v58, v59
	v_mul_f32_e32 v59, v52, v57
	v_fmac_f32_e32 v59, v53, v56
	v_add_f32_e32 v66, v58, v59
	ds_read_b128 v[58:61], v102 offset:672
	v_mul_f32_e32 v3, v43, v47
	v_fma_f32 v3, v42, v46, -v3
	v_add_f32_e32 v2, v2, v3
	v_mul_f32_e32 v3, v45, v49
	s_waitcnt lgkmcnt(0)
	v_mul_f32_e32 v67, v58, v63
	v_fmac_f32_e32 v67, v59, v62
	v_add_f32_e32 v66, v66, v67
	v_mul_f32_e32 v67, v60, v65
	v_fmac_f32_e32 v67, v61, v64
	v_add_f32_e32 v74, v66, v67
	ds_read_b128 v[66:69], v102 offset:688
	v_fma_f32 v3, v44, v48, -v3
	v_add_f32_e32 v2, v2, v3
	v_mul_f32_e32 v3, v51, v55
	v_fma_f32 v3, v50, v54, -v3
	s_waitcnt lgkmcnt(0)
	v_mul_f32_e32 v75, v66, v71
	v_fmac_f32_e32 v75, v67, v70
	v_add_f32_e32 v74, v74, v75
	v_mul_f32_e32 v75, v68, v73
	v_fmac_f32_e32 v75, v69, v72
	v_add_f32_e32 v82, v74, v75
	ds_read_b128 v[74:77], v102 offset:704
	v_add_f32_e32 v2, v2, v3
	v_mul_f32_e32 v3, v53, v57
	v_fma_f32 v3, v52, v56, -v3
	v_add_f32_e32 v2, v2, v3
	s_waitcnt lgkmcnt(0)
	v_mul_f32_e32 v83, v74, v79
	v_fmac_f32_e32 v83, v75, v78
	v_add_f32_e32 v82, v82, v83
	v_mul_f32_e32 v83, v76, v81
	v_fmac_f32_e32 v83, v77, v80
	v_add_f32_e32 v90, v82, v83
	ds_read_b128 v[82:85], v102 offset:720
	v_mul_f32_e32 v3, v59, v63
	v_fma_f32 v3, v58, v62, -v3
	v_add_f32_e32 v2, v2, v3
	v_mul_f32_e32 v3, v61, v65
	;; [unrolled: 36-line block ×3, first 2 shown]
	s_waitcnt lgkmcnt(0)
	v_mul_f32_e32 v116, v108, v113
	v_fmac_f32_e32 v116, v109, v112
	v_add_f32_e32 v103, v103, v116
	v_mul_f32_e32 v116, v110, v115
	v_fmac_f32_e32 v116, v111, v114
	v_add_f32_e32 v103, v103, v116
	ds_read_b128 v[116:119], v102 offset:784
	v_fma_f32 v3, v76, v80, -v3
	v_add_f32_e32 v2, v2, v3
	v_mul_f32_e32 v3, v83, v87
	v_fma_f32 v3, v82, v86, -v3
	s_waitcnt lgkmcnt(0)
	v_mul_f32_e32 v124, v116, v121
	v_fmac_f32_e32 v124, v117, v120
	v_add_f32_e32 v103, v103, v124
	v_mul_f32_e32 v124, v118, v123
	v_fmac_f32_e32 v124, v119, v122
	v_add_f32_e32 v103, v103, v124
	ds_read_b128 v[124:127], v102 offset:800
	v_add_f32_e32 v2, v2, v3
	v_mul_f32_e32 v3, v85, v89
	v_fma_f32 v3, v84, v88, -v3
	v_add_f32_e32 v2, v2, v3
	s_waitcnt lgkmcnt(0)
	v_mul_f32_e32 v132, v124, v129
	v_fmac_f32_e32 v132, v125, v128
	v_add_f32_e32 v103, v103, v132
	v_mul_f32_e32 v132, v126, v131
	v_fmac_f32_e32 v132, v127, v130
	v_add_f32_e32 v149, v103, v132
	ds_read_b128 v[132:135], v102 offset:816
	scratch_load_dwordx4 v[140:143], off, off offset:384
	scratch_load_dwordx4 v[144:147], off, off offset:400
	;; [unrolled: 1-line block ×4, first 2 shown]
	v_mul_f32_e32 v3, v91, v95
	v_fma_f32 v3, v90, v94, -v3
	v_add_f32_e32 v2, v2, v3
	v_mul_f32_e32 v3, v93, v97
	v_fma_f32 v3, v92, v96, -v3
	v_add_f32_e32 v2, v2, v3
	;; [unrolled: 3-line block ×10, first 2 shown]
	s_waitcnt lgkmcnt(0)
	v_mul_f32_e32 v2, v133, v137
	v_fma_f32 v164, v132, v136, -v2
	v_mul_f32_e32 v2, v135, v139
	v_fma_f32 v166, v134, v138, -v2
	ds_read_b128 v[2:5], v102 offset:832
	ds_read_b128 v[6:9], v102 offset:848
	;; [unrolled: 1-line block ×4, first 2 shown]
	v_mul_f32_e32 v165, v132, v137
	v_fmac_f32_e32 v165, v133, v136
	v_mul_f32_e32 v167, v134, v139
	v_fmac_f32_e32 v167, v135, v138
	v_pk_add_f32 v[18:19], v[148:149], v[164:165]
	s_waitcnt vmcnt(3) lgkmcnt(3)
	v_pk_mul_f32 v[20:21], v[2:3], v[140:141] op_sel:[1,1] op_sel_hi:[0,1]
	v_pk_fma_f32 v[22:23], v[2:3], v[140:141], v[20:21] neg_lo:[0,0,1] neg_hi:[0,0,1]
	v_pk_fma_f32 v[2:3], v[2:3], v[140:141], v[20:21] op_sel_hi:[1,0,1]
	v_pk_add_f32 v[18:19], v[18:19], v[166:167]
	v_mov_b32_e32 v23, v3
	v_pk_add_f32 v[2:3], v[18:19], v[22:23]
	v_mov_b32_e32 v18, v143
	v_pk_mul_f32 v[18:19], v[4:5], v[18:19] op_sel:[1,0] op_sel_hi:[0,0]
	v_pk_fma_f32 v[20:21], v[4:5], v[142:143], v[18:19] neg_lo:[0,0,1] neg_hi:[0,0,1]
	v_pk_fma_f32 v[4:5], v[4:5], v[142:143], v[18:19] op_sel_hi:[1,0,1]
	s_nop 0
	v_mov_b32_e32 v21, v5
	s_waitcnt vmcnt(2) lgkmcnt(2)
	v_pk_mul_f32 v[4:5], v[6:7], v[144:145] op_sel:[1,1] op_sel_hi:[0,1]
	v_pk_fma_f32 v[18:19], v[6:7], v[144:145], v[4:5] neg_lo:[0,0,1] neg_hi:[0,0,1]
	v_pk_fma_f32 v[4:5], v[6:7], v[144:145], v[4:5] op_sel_hi:[1,0,1]
	v_pk_add_f32 v[2:3], v[2:3], v[20:21]
	v_mov_b32_e32 v4, v147
	v_mov_b32_e32 v19, v5
	v_pk_mul_f32 v[4:5], v[8:9], v[4:5] op_sel:[1,0] op_sel_hi:[0,0]
	v_pk_fma_f32 v[6:7], v[8:9], v[146:147], v[4:5] neg_lo:[0,0,1] neg_hi:[0,0,1]
	v_pk_fma_f32 v[4:5], v[8:9], v[146:147], v[4:5] op_sel_hi:[1,0,1]
	v_pk_add_f32 v[2:3], v[2:3], v[18:19]
	v_mov_b32_e32 v7, v5
	s_waitcnt vmcnt(1) lgkmcnt(1)
	v_pk_mul_f32 v[4:5], v[10:11], v[156:157] op_sel:[1,1] op_sel_hi:[0,1]
	v_pk_add_f32 v[2:3], v[2:3], v[6:7]
	v_pk_fma_f32 v[6:7], v[10:11], v[156:157], v[4:5] neg_lo:[0,0,1] neg_hi:[0,0,1]
	v_pk_fma_f32 v[4:5], v[10:11], v[156:157], v[4:5] op_sel_hi:[1,0,1]
	s_nop 0
	v_mov_b32_e32 v4, v159
	v_mov_b32_e32 v7, v5
	v_pk_mul_f32 v[4:5], v[12:13], v[4:5] op_sel:[1,0] op_sel_hi:[0,0]
	v_pk_add_f32 v[2:3], v[2:3], v[6:7]
	v_pk_fma_f32 v[6:7], v[12:13], v[158:159], v[4:5] neg_lo:[0,0,1] neg_hi:[0,0,1]
	v_pk_fma_f32 v[4:5], v[12:13], v[158:159], v[4:5] op_sel_hi:[1,0,1]
	s_nop 0
	v_mov_b32_e32 v7, v5
	s_waitcnt vmcnt(0) lgkmcnt(0)
	v_pk_mul_f32 v[4:5], v[14:15], v[160:161] op_sel:[1,1] op_sel_hi:[0,1]
	v_pk_add_f32 v[2:3], v[2:3], v[6:7]
	v_pk_fma_f32 v[6:7], v[14:15], v[160:161], v[4:5] neg_lo:[0,0,1] neg_hi:[0,0,1]
	v_pk_fma_f32 v[4:5], v[14:15], v[160:161], v[4:5] op_sel_hi:[1,0,1]
	s_nop 0
	v_mov_b32_e32 v4, v163
	v_mov_b32_e32 v7, v5
	v_pk_mul_f32 v[4:5], v[16:17], v[4:5] op_sel:[1,0] op_sel_hi:[0,0]
	v_pk_add_f32 v[2:3], v[2:3], v[6:7]
	v_pk_fma_f32 v[6:7], v[16:17], v[162:163], v[4:5] neg_lo:[0,0,1] neg_hi:[0,0,1]
	v_pk_fma_f32 v[4:5], v[16:17], v[162:163], v[4:5] op_sel_hi:[1,0,1]
	s_nop 0
	v_mov_b32_e32 v7, v5
	scratch_load_dwordx2 v[4:5], off, off offset:104
	v_pk_add_f32 v[2:3], v[2:3], v[6:7]
	s_waitcnt vmcnt(0)
	v_pk_add_f32 v[2:3], v[4:5], v[2:3] neg_lo:[0,1] neg_hi:[0,1]
	scratch_store_dwordx2 off, v[2:3], off offset:104
	s_and_saveexec_b64 s[0:1], vcc
	s_cbranch_execz .LBB55_325
; %bb.324:
	scratch_load_dwordx2 v[2:3], off, off offset:96
	v_mov_b32_e32 v4, 0
	v_mov_b32_e32 v5, v4
	scratch_store_dwordx2 off, v[4:5], off offset:96
	s_waitcnt vmcnt(1)
	ds_write_b64 v1, v[2:3]
.LBB55_325:
	s_or_b64 exec, exec, s[0:1]
	s_waitcnt lgkmcnt(0)
	; wave barrier
	scratch_load_dwordx4 v[6:9], off, off offset:104
	scratch_load_dwordx4 v[14:17], off, off offset:120
	;; [unrolled: 1-line block ×10, first 2 shown]
	v_mov_b32_e32 v102, 0
	ds_read2_b64 v[2:5], v102 offset0:69 offset1:70
	scratch_load_dwordx4 v[86:89], off, off offset:264
	scratch_load_dwordx4 v[94:97], off, off offset:280
	;; [unrolled: 1-line block ×8, first 2 shown]
	v_cmp_lt_u32_e32 vcc, 11, v0
	s_waitcnt vmcnt(17) lgkmcnt(0)
	v_mul_f32_e32 v10, v2, v7
	v_fmac_f32_e32 v10, v3, v6
	v_mul_f32_e32 v11, v4, v9
	v_add_f32_e32 v10, 0, v10
	v_fmac_f32_e32 v11, v5, v8
	v_add_f32_e32 v18, v10, v11
	ds_read2_b64 v[10:13], v102 offset0:71 offset1:72
	v_mul_f32_e32 v3, v3, v7
	v_fma_f32 v2, v2, v6, -v3
	v_mul_f32_e32 v3, v5, v9
	v_add_f32_e32 v2, 0, v2
	s_waitcnt vmcnt(16) lgkmcnt(0)
	v_mul_f32_e32 v19, v10, v15
	v_fmac_f32_e32 v19, v11, v14
	v_add_f32_e32 v18, v18, v19
	v_mul_f32_e32 v19, v12, v17
	v_fmac_f32_e32 v19, v13, v16
	v_add_f32_e32 v26, v18, v19
	ds_read2_b64 v[18:21], v102 offset0:73 offset1:74
	v_fma_f32 v3, v4, v8, -v3
	v_add_f32_e32 v2, v2, v3
	v_mul_f32_e32 v3, v11, v15
	v_fma_f32 v3, v10, v14, -v3
	s_waitcnt vmcnt(15) lgkmcnt(0)
	v_mul_f32_e32 v27, v18, v23
	v_fmac_f32_e32 v27, v19, v22
	v_add_f32_e32 v26, v26, v27
	v_mul_f32_e32 v27, v20, v25
	v_fmac_f32_e32 v27, v21, v24
	v_add_f32_e32 v34, v26, v27
	ds_read2_b64 v[26:29], v102 offset0:75 offset1:76
	v_add_f32_e32 v2, v2, v3
	v_mul_f32_e32 v3, v13, v17
	v_fma_f32 v3, v12, v16, -v3
	v_add_f32_e32 v2, v2, v3
	s_waitcnt vmcnt(14) lgkmcnt(0)
	v_mul_f32_e32 v35, v26, v31
	v_fmac_f32_e32 v35, v27, v30
	v_add_f32_e32 v34, v34, v35
	v_mul_f32_e32 v35, v28, v33
	v_fmac_f32_e32 v35, v29, v32
	v_add_f32_e32 v42, v34, v35
	ds_read2_b64 v[34:37], v102 offset0:77 offset1:78
	v_mul_f32_e32 v3, v19, v23
	v_fma_f32 v3, v18, v22, -v3
	v_add_f32_e32 v2, v2, v3
	v_mul_f32_e32 v3, v21, v25
	s_waitcnt vmcnt(13) lgkmcnt(0)
	v_mul_f32_e32 v43, v34, v39
	v_fmac_f32_e32 v43, v35, v38
	v_add_f32_e32 v42, v42, v43
	v_mul_f32_e32 v43, v36, v41
	v_fmac_f32_e32 v43, v37, v40
	v_add_f32_e32 v50, v42, v43
	ds_read2_b64 v[42:45], v102 offset0:79 offset1:80
	v_fma_f32 v3, v20, v24, -v3
	v_add_f32_e32 v2, v2, v3
	v_mul_f32_e32 v3, v27, v31
	v_fma_f32 v3, v26, v30, -v3
	s_waitcnt vmcnt(12) lgkmcnt(0)
	v_mul_f32_e32 v51, v42, v47
	v_fmac_f32_e32 v51, v43, v46
	v_add_f32_e32 v50, v50, v51
	v_mul_f32_e32 v51, v44, v49
	v_fmac_f32_e32 v51, v45, v48
	v_add_f32_e32 v58, v50, v51
	ds_read2_b64 v[50:53], v102 offset0:81 offset1:82
	v_add_f32_e32 v2, v2, v3
	v_mul_f32_e32 v3, v29, v33
	v_fma_f32 v3, v28, v32, -v3
	v_add_f32_e32 v2, v2, v3
	s_waitcnt vmcnt(11) lgkmcnt(0)
	v_mul_f32_e32 v59, v50, v55
	v_fmac_f32_e32 v59, v51, v54
	v_add_f32_e32 v58, v58, v59
	v_mul_f32_e32 v59, v52, v57
	v_fmac_f32_e32 v59, v53, v56
	v_add_f32_e32 v66, v58, v59
	ds_read2_b64 v[58:61], v102 offset0:83 offset1:84
	v_mul_f32_e32 v3, v35, v39
	v_fma_f32 v3, v34, v38, -v3
	v_add_f32_e32 v2, v2, v3
	v_mul_f32_e32 v3, v37, v41
	;; [unrolled: 36-line block ×5, first 2 shown]
	s_waitcnt vmcnt(1) lgkmcnt(0)
	v_mul_f32_e32 v140, v132, v137
	v_fmac_f32_e32 v140, v133, v136
	v_add_f32_e32 v149, v103, v140
	ds_read2_b64 v[140:143], v102 offset0:103 offset1:104
	scratch_load_dwordx4 v[156:159], off, off offset:392
	scratch_load_dwordx4 v[160:163], off, off offset:408
	;; [unrolled: 1-line block ×3, first 2 shown]
	scratch_load_dwordx2 v[172:173], off, off offset:440
	v_fma_f32 v3, v84, v88, -v3
	v_add_f32_e32 v2, v2, v3
	v_mul_f32_e32 v3, v91, v95
	v_fma_f32 v3, v90, v94, -v3
	v_add_f32_e32 v2, v2, v3
	v_mul_f32_e32 v3, v93, v97
	;; [unrolled: 3-line block ×12, first 2 shown]
	v_mul_f32_e32 v169, v134, v139
	v_fma_f32 v168, v134, v138, -v2
	s_waitcnt vmcnt(4) lgkmcnt(0)
	v_mul_f32_e32 v2, v141, v145
	v_mov_b32_e32 v18, v147
	v_fmac_f32_e32 v169, v135, v138
	v_mul_f32_e32 v171, v140, v145
	v_fma_f32 v170, v140, v144, -v2
	ds_read2_b64 v[2:5], v102 offset0:105 offset1:106
	ds_read2_b64 v[6:9], v102 offset0:107 offset1:108
	;; [unrolled: 1-line block ×3, first 2 shown]
	ds_read_b64 v[14:15], v102 offset:888
	v_pk_mul_f32 v[18:19], v[142:143], v[18:19] op_sel:[1,0] op_sel_hi:[0,0]
	v_fmac_f32_e32 v171, v141, v144
	v_pk_add_f32 v[16:17], v[148:149], v[168:169]
	v_pk_fma_f32 v[20:21], v[142:143], v[146:147], v[18:19] neg_lo:[0,0,1] neg_hi:[0,0,1]
	v_pk_fma_f32 v[18:19], v[142:143], v[146:147], v[18:19] op_sel_hi:[1,0,1]
	v_pk_add_f32 v[16:17], v[16:17], v[170:171]
	v_mov_b32_e32 v21, v19
	v_pk_add_f32 v[16:17], v[16:17], v[20:21]
	s_waitcnt vmcnt(3) lgkmcnt(3)
	v_pk_mul_f32 v[18:19], v[2:3], v[156:157] op_sel:[1,1] op_sel_hi:[0,1]
	v_pk_fma_f32 v[20:21], v[2:3], v[156:157], v[18:19] neg_lo:[0,0,1] neg_hi:[0,0,1]
	v_pk_fma_f32 v[2:3], v[2:3], v[156:157], v[18:19] op_sel_hi:[1,0,1]
	s_nop 0
	v_mov_b32_e32 v21, v3
	v_pk_add_f32 v[2:3], v[16:17], v[20:21]
	v_mov_b32_e32 v16, v159
	v_pk_mul_f32 v[16:17], v[4:5], v[16:17] op_sel:[1,0] op_sel_hi:[0,0]
	v_pk_fma_f32 v[18:19], v[4:5], v[158:159], v[16:17] neg_lo:[0,0,1] neg_hi:[0,0,1]
	v_pk_fma_f32 v[4:5], v[4:5], v[158:159], v[16:17] op_sel_hi:[1,0,1]
	s_nop 0
	v_mov_b32_e32 v19, v5
	s_waitcnt vmcnt(2) lgkmcnt(2)
	v_pk_mul_f32 v[4:5], v[6:7], v[160:161] op_sel:[1,1] op_sel_hi:[0,1]
	v_pk_fma_f32 v[16:17], v[6:7], v[160:161], v[4:5] neg_lo:[0,0,1] neg_hi:[0,0,1]
	v_pk_fma_f32 v[4:5], v[6:7], v[160:161], v[4:5] op_sel_hi:[1,0,1]
	v_pk_add_f32 v[2:3], v[2:3], v[18:19]
	v_mov_b32_e32 v4, v163
	v_mov_b32_e32 v17, v5
	v_pk_mul_f32 v[4:5], v[8:9], v[4:5] op_sel:[1,0] op_sel_hi:[0,0]
	v_pk_fma_f32 v[6:7], v[8:9], v[162:163], v[4:5] neg_lo:[0,0,1] neg_hi:[0,0,1]
	v_pk_fma_f32 v[4:5], v[8:9], v[162:163], v[4:5] op_sel_hi:[1,0,1]
	v_pk_add_f32 v[2:3], v[2:3], v[16:17]
	v_mov_b32_e32 v7, v5
	s_waitcnt vmcnt(1) lgkmcnt(1)
	v_pk_mul_f32 v[4:5], v[10:11], v[164:165] op_sel:[1,1] op_sel_hi:[0,1]
	v_pk_add_f32 v[2:3], v[2:3], v[6:7]
	v_pk_fma_f32 v[6:7], v[10:11], v[164:165], v[4:5] neg_lo:[0,0,1] neg_hi:[0,0,1]
	v_pk_fma_f32 v[4:5], v[10:11], v[164:165], v[4:5] op_sel_hi:[1,0,1]
	s_nop 0
	v_mov_b32_e32 v4, v167
	v_mov_b32_e32 v7, v5
	v_pk_mul_f32 v[4:5], v[12:13], v[4:5] op_sel:[1,0] op_sel_hi:[0,0]
	v_pk_add_f32 v[2:3], v[2:3], v[6:7]
	v_pk_fma_f32 v[6:7], v[12:13], v[166:167], v[4:5] neg_lo:[0,0,1] neg_hi:[0,0,1]
	v_pk_fma_f32 v[4:5], v[12:13], v[166:167], v[4:5] op_sel_hi:[1,0,1]
	s_nop 0
	v_mov_b32_e32 v7, v5
	s_waitcnt vmcnt(0) lgkmcnt(0)
	v_pk_mul_f32 v[4:5], v[14:15], v[172:173] op_sel:[1,1] op_sel_hi:[0,1]
	v_pk_add_f32 v[2:3], v[2:3], v[6:7]
	v_pk_fma_f32 v[6:7], v[14:15], v[172:173], v[4:5] neg_lo:[0,0,1] neg_hi:[0,0,1]
	v_pk_fma_f32 v[4:5], v[14:15], v[172:173], v[4:5] op_sel_hi:[1,0,1]
	s_nop 0
	v_mov_b32_e32 v7, v5
	scratch_load_dwordx2 v[4:5], off, off offset:96
	v_pk_add_f32 v[2:3], v[2:3], v[6:7]
	s_waitcnt vmcnt(0)
	v_pk_add_f32 v[2:3], v[4:5], v[2:3] neg_lo:[0,1] neg_hi:[0,1]
	scratch_store_dwordx2 off, v[2:3], off offset:96
	s_and_saveexec_b64 s[0:1], vcc
	s_cbranch_execz .LBB55_327
; %bb.326:
	scratch_load_dwordx2 v[2:3], off, off offset:88
	v_mov_b32_e32 v103, v102
	scratch_store_dwordx2 off, v[102:103], off offset:88
	s_waitcnt vmcnt(1)
	ds_write_b64 v1, v[2:3]
.LBB55_327:
	s_or_b64 exec, exec, s[0:1]
	s_waitcnt lgkmcnt(0)
	; wave barrier
	ds_read_b128 v[14:17], v102 offset:544
	ds_read_b128 v[10:13], v102 offset:560
	;; [unrolled: 1-line block ×4, first 2 shown]
	scratch_load_dwordx4 v[18:21], off, off offset:96
	scratch_load_dwordx4 v[38:41], off, off offset:160
	;; [unrolled: 1-line block ×12, first 2 shown]
	v_cmp_lt_u32_e32 vcc, 10, v0
	scratch_load_dwordx4 v[46:49], off, off offset:176
	scratch_load_dwordx4 v[54:57], off, off offset:192
	;; [unrolled: 1-line block ×3, first 2 shown]
	s_waitcnt vmcnt(14) lgkmcnt(3)
	v_mul_f32_e32 v22, v14, v19
	v_fmac_f32_e32 v22, v15, v18
	v_mul_f32_e32 v23, v16, v21
	v_add_f32_e32 v22, 0, v22
	v_fmac_f32_e32 v23, v17, v20
	v_add_f32_e32 v26, v22, v23
	scratch_load_dwordx4 v[22:25], off, off offset:112
	v_mul_f32_e32 v15, v15, v19
	v_fma_f32 v14, v14, v18, -v15
	v_mul_f32_e32 v15, v17, v21
	v_add_f32_e32 v14, 0, v14
	v_fma_f32 v15, v16, v20, -v15
	v_add_f32_e32 v14, v14, v15
	s_waitcnt vmcnt(0) lgkmcnt(2)
	v_mul_f32_e32 v27, v10, v23
	v_fmac_f32_e32 v27, v11, v22
	v_add_f32_e32 v26, v26, v27
	v_mul_f32_e32 v27, v12, v25
	v_fmac_f32_e32 v27, v13, v24
	v_add_f32_e32 v30, v26, v27
	scratch_load_dwordx4 v[26:29], off, off offset:128
	v_mul_f32_e32 v11, v11, v23
	v_fma_f32 v10, v10, v22, -v11
	v_mul_f32_e32 v11, v13, v25
	v_add_f32_e32 v10, v14, v10
	v_fma_f32 v11, v12, v24, -v11
	v_add_f32_e32 v10, v10, v11
	s_waitcnt vmcnt(0) lgkmcnt(1)
	v_mul_f32_e32 v31, v6, v27
	v_fmac_f32_e32 v31, v7, v26
	v_add_f32_e32 v30, v30, v31
	v_mul_f32_e32 v31, v8, v29
	;; [unrolled: 14-line block ×3, first 2 shown]
	v_fmac_f32_e32 v35, v5, v32
	v_add_f32_e32 v42, v34, v35
	ds_read_b128 v[34:37], v102 offset:608
	v_mul_f32_e32 v3, v3, v31
	v_fma_f32 v2, v2, v30, -v3
	v_mul_f32_e32 v3, v5, v33
	v_add_f32_e32 v2, v6, v2
	s_waitcnt lgkmcnt(0)
	v_mul_f32_e32 v43, v34, v39
	v_fmac_f32_e32 v43, v35, v38
	v_add_f32_e32 v42, v42, v43
	v_mul_f32_e32 v43, v36, v41
	v_fmac_f32_e32 v43, v37, v40
	v_add_f32_e32 v50, v42, v43
	ds_read_b128 v[42:45], v102 offset:624
	v_fma_f32 v3, v4, v32, -v3
	v_add_f32_e32 v2, v2, v3
	v_mul_f32_e32 v3, v35, v39
	v_fma_f32 v3, v34, v38, -v3
	s_waitcnt lgkmcnt(0)
	v_mul_f32_e32 v51, v42, v47
	v_fmac_f32_e32 v51, v43, v46
	v_add_f32_e32 v50, v50, v51
	v_mul_f32_e32 v51, v44, v49
	v_fmac_f32_e32 v51, v45, v48
	v_add_f32_e32 v58, v50, v51
	ds_read_b128 v[50:53], v102 offset:640
	v_add_f32_e32 v2, v2, v3
	v_mul_f32_e32 v3, v37, v41
	v_fma_f32 v3, v36, v40, -v3
	v_add_f32_e32 v2, v2, v3
	s_waitcnt lgkmcnt(0)
	v_mul_f32_e32 v59, v50, v55
	v_fmac_f32_e32 v59, v51, v54
	v_add_f32_e32 v58, v58, v59
	v_mul_f32_e32 v59, v52, v57
	v_fmac_f32_e32 v59, v53, v56
	v_add_f32_e32 v66, v58, v59
	ds_read_b128 v[58:61], v102 offset:656
	v_mul_f32_e32 v3, v43, v47
	v_fma_f32 v3, v42, v46, -v3
	v_add_f32_e32 v2, v2, v3
	v_mul_f32_e32 v3, v45, v49
	s_waitcnt lgkmcnt(0)
	v_mul_f32_e32 v67, v58, v63
	v_fmac_f32_e32 v67, v59, v62
	v_add_f32_e32 v66, v66, v67
	v_mul_f32_e32 v67, v60, v65
	v_fmac_f32_e32 v67, v61, v64
	v_add_f32_e32 v74, v66, v67
	ds_read_b128 v[66:69], v102 offset:672
	v_fma_f32 v3, v44, v48, -v3
	v_add_f32_e32 v2, v2, v3
	v_mul_f32_e32 v3, v51, v55
	v_fma_f32 v3, v50, v54, -v3
	s_waitcnt lgkmcnt(0)
	v_mul_f32_e32 v75, v66, v71
	v_fmac_f32_e32 v75, v67, v70
	v_add_f32_e32 v74, v74, v75
	v_mul_f32_e32 v75, v68, v73
	v_fmac_f32_e32 v75, v69, v72
	v_add_f32_e32 v82, v74, v75
	ds_read_b128 v[74:77], v102 offset:688
	v_add_f32_e32 v2, v2, v3
	v_mul_f32_e32 v3, v53, v57
	v_fma_f32 v3, v52, v56, -v3
	v_add_f32_e32 v2, v2, v3
	s_waitcnt lgkmcnt(0)
	v_mul_f32_e32 v83, v74, v79
	v_fmac_f32_e32 v83, v75, v78
	v_add_f32_e32 v82, v82, v83
	v_mul_f32_e32 v83, v76, v81
	v_fmac_f32_e32 v83, v77, v80
	v_add_f32_e32 v90, v82, v83
	ds_read_b128 v[82:85], v102 offset:704
	v_mul_f32_e32 v3, v59, v63
	v_fma_f32 v3, v58, v62, -v3
	v_add_f32_e32 v2, v2, v3
	v_mul_f32_e32 v3, v61, v65
	;; [unrolled: 36-line block ×4, first 2 shown]
	s_waitcnt lgkmcnt(0)
	v_mul_f32_e32 v140, v132, v137
	v_fmac_f32_e32 v140, v133, v136
	v_add_f32_e32 v103, v103, v140
	v_mul_f32_e32 v140, v134, v139
	v_fmac_f32_e32 v140, v135, v138
	v_add_f32_e32 v149, v103, v140
	ds_read_b128 v[140:143], v102 offset:816
	scratch_load_dwordx4 v[156:159], off, off offset:384
	scratch_load_dwordx4 v[160:163], off, off offset:400
	;; [unrolled: 1-line block ×4, first 2 shown]
	v_fma_f32 v3, v92, v96, -v3
	v_add_f32_e32 v2, v2, v3
	v_mul_f32_e32 v3, v99, v105
	v_fma_f32 v3, v98, v104, -v3
	v_add_f32_e32 v2, v2, v3
	v_mul_f32_e32 v3, v101, v107
	;; [unrolled: 3-line block ×10, first 2 shown]
	v_fma_f32 v3, v134, v138, -v3
	v_add_f32_e32 v148, v2, v3
	s_waitcnt lgkmcnt(0)
	v_mul_f32_e32 v2, v141, v145
	v_fma_f32 v172, v140, v144, -v2
	v_mul_f32_e32 v2, v143, v147
	v_fma_f32 v174, v142, v146, -v2
	ds_read_b128 v[2:5], v102 offset:832
	ds_read_b128 v[6:9], v102 offset:848
	;; [unrolled: 1-line block ×4, first 2 shown]
	v_mul_f32_e32 v173, v140, v145
	v_fmac_f32_e32 v173, v141, v144
	v_mul_f32_e32 v175, v142, v147
	v_fmac_f32_e32 v175, v143, v146
	v_pk_add_f32 v[18:19], v[148:149], v[172:173]
	s_waitcnt vmcnt(3) lgkmcnt(3)
	v_pk_mul_f32 v[20:21], v[2:3], v[156:157] op_sel:[1,1] op_sel_hi:[0,1]
	v_pk_fma_f32 v[22:23], v[2:3], v[156:157], v[20:21] neg_lo:[0,0,1] neg_hi:[0,0,1]
	v_pk_fma_f32 v[2:3], v[2:3], v[156:157], v[20:21] op_sel_hi:[1,0,1]
	v_pk_add_f32 v[18:19], v[18:19], v[174:175]
	v_mov_b32_e32 v23, v3
	v_pk_add_f32 v[2:3], v[18:19], v[22:23]
	v_mov_b32_e32 v18, v159
	v_pk_mul_f32 v[18:19], v[4:5], v[18:19] op_sel:[1,0] op_sel_hi:[0,0]
	v_pk_fma_f32 v[20:21], v[4:5], v[158:159], v[18:19] neg_lo:[0,0,1] neg_hi:[0,0,1]
	v_pk_fma_f32 v[4:5], v[4:5], v[158:159], v[18:19] op_sel_hi:[1,0,1]
	s_nop 0
	v_mov_b32_e32 v21, v5
	s_waitcnt vmcnt(2) lgkmcnt(2)
	v_pk_mul_f32 v[4:5], v[6:7], v[160:161] op_sel:[1,1] op_sel_hi:[0,1]
	v_pk_fma_f32 v[18:19], v[6:7], v[160:161], v[4:5] neg_lo:[0,0,1] neg_hi:[0,0,1]
	v_pk_fma_f32 v[4:5], v[6:7], v[160:161], v[4:5] op_sel_hi:[1,0,1]
	v_pk_add_f32 v[2:3], v[2:3], v[20:21]
	v_mov_b32_e32 v4, v163
	v_mov_b32_e32 v19, v5
	v_pk_mul_f32 v[4:5], v[8:9], v[4:5] op_sel:[1,0] op_sel_hi:[0,0]
	v_pk_fma_f32 v[6:7], v[8:9], v[162:163], v[4:5] neg_lo:[0,0,1] neg_hi:[0,0,1]
	v_pk_fma_f32 v[4:5], v[8:9], v[162:163], v[4:5] op_sel_hi:[1,0,1]
	v_pk_add_f32 v[2:3], v[2:3], v[18:19]
	v_mov_b32_e32 v7, v5
	s_waitcnt vmcnt(1) lgkmcnt(1)
	v_pk_mul_f32 v[4:5], v[10:11], v[164:165] op_sel:[1,1] op_sel_hi:[0,1]
	v_pk_add_f32 v[2:3], v[2:3], v[6:7]
	v_pk_fma_f32 v[6:7], v[10:11], v[164:165], v[4:5] neg_lo:[0,0,1] neg_hi:[0,0,1]
	v_pk_fma_f32 v[4:5], v[10:11], v[164:165], v[4:5] op_sel_hi:[1,0,1]
	s_nop 0
	v_mov_b32_e32 v4, v167
	v_mov_b32_e32 v7, v5
	v_pk_mul_f32 v[4:5], v[12:13], v[4:5] op_sel:[1,0] op_sel_hi:[0,0]
	v_pk_add_f32 v[2:3], v[2:3], v[6:7]
	v_pk_fma_f32 v[6:7], v[12:13], v[166:167], v[4:5] neg_lo:[0,0,1] neg_hi:[0,0,1]
	v_pk_fma_f32 v[4:5], v[12:13], v[166:167], v[4:5] op_sel_hi:[1,0,1]
	s_nop 0
	v_mov_b32_e32 v7, v5
	s_waitcnt vmcnt(0) lgkmcnt(0)
	v_pk_mul_f32 v[4:5], v[14:15], v[168:169] op_sel:[1,1] op_sel_hi:[0,1]
	v_pk_add_f32 v[2:3], v[2:3], v[6:7]
	v_pk_fma_f32 v[6:7], v[14:15], v[168:169], v[4:5] neg_lo:[0,0,1] neg_hi:[0,0,1]
	v_pk_fma_f32 v[4:5], v[14:15], v[168:169], v[4:5] op_sel_hi:[1,0,1]
	s_nop 0
	v_mov_b32_e32 v4, v171
	v_mov_b32_e32 v7, v5
	v_pk_mul_f32 v[4:5], v[16:17], v[4:5] op_sel:[1,0] op_sel_hi:[0,0]
	v_pk_add_f32 v[2:3], v[2:3], v[6:7]
	v_pk_fma_f32 v[6:7], v[16:17], v[170:171], v[4:5] neg_lo:[0,0,1] neg_hi:[0,0,1]
	v_pk_fma_f32 v[4:5], v[16:17], v[170:171], v[4:5] op_sel_hi:[1,0,1]
	s_nop 0
	v_mov_b32_e32 v7, v5
	scratch_load_dwordx2 v[4:5], off, off offset:88
	v_pk_add_f32 v[2:3], v[2:3], v[6:7]
	s_waitcnt vmcnt(0)
	v_pk_add_f32 v[2:3], v[4:5], v[2:3] neg_lo:[0,1] neg_hi:[0,1]
	scratch_store_dwordx2 off, v[2:3], off offset:88
	s_and_saveexec_b64 s[0:1], vcc
	s_cbranch_execz .LBB55_329
; %bb.328:
	scratch_load_dwordx2 v[2:3], off, off offset:80
	v_mov_b32_e32 v4, 0
	v_mov_b32_e32 v5, v4
	scratch_store_dwordx2 off, v[4:5], off offset:80
	s_waitcnt vmcnt(1)
	ds_write_b64 v1, v[2:3]
.LBB55_329:
	s_or_b64 exec, exec, s[0:1]
	s_waitcnt lgkmcnt(0)
	; wave barrier
	scratch_load_dwordx4 v[6:9], off, off offset:88
	scratch_load_dwordx4 v[14:17], off, off offset:104
	;; [unrolled: 1-line block ×10, first 2 shown]
	v_mov_b32_e32 v110, 0
	ds_read2_b64 v[2:5], v110 offset0:67 offset1:68
	ds_read2_b64 v[156:159], v110 offset0:103 offset1:104
	scratch_load_dwordx4 v[86:89], off, off offset:248
	scratch_load_dwordx4 v[94:97], off, off offset:264
	;; [unrolled: 1-line block ×9, first 2 shown]
	v_cmp_lt_u32_e32 vcc, 9, v0
	s_waitcnt vmcnt(18) lgkmcnt(1)
	v_mul_f32_e32 v10, v2, v7
	v_fmac_f32_e32 v10, v3, v6
	v_mul_f32_e32 v11, v4, v9
	v_add_f32_e32 v10, 0, v10
	v_fmac_f32_e32 v11, v5, v8
	v_add_f32_e32 v18, v10, v11
	ds_read2_b64 v[10:13], v110 offset0:69 offset1:70
	v_mul_f32_e32 v3, v3, v7
	v_fma_f32 v2, v2, v6, -v3
	v_mul_f32_e32 v3, v5, v9
	v_add_f32_e32 v2, 0, v2
	s_waitcnt vmcnt(17) lgkmcnt(0)
	v_mul_f32_e32 v19, v10, v15
	v_fmac_f32_e32 v19, v11, v14
	v_add_f32_e32 v18, v18, v19
	v_mul_f32_e32 v19, v12, v17
	v_fmac_f32_e32 v19, v13, v16
	v_add_f32_e32 v26, v18, v19
	ds_read2_b64 v[18:21], v110 offset0:71 offset1:72
	v_fma_f32 v3, v4, v8, -v3
	v_add_f32_e32 v2, v2, v3
	v_mul_f32_e32 v3, v11, v15
	v_fma_f32 v3, v10, v14, -v3
	s_waitcnt vmcnt(16) lgkmcnt(0)
	v_mul_f32_e32 v27, v18, v23
	v_fmac_f32_e32 v27, v19, v22
	v_add_f32_e32 v26, v26, v27
	v_mul_f32_e32 v27, v20, v25
	v_fmac_f32_e32 v27, v21, v24
	v_add_f32_e32 v34, v26, v27
	ds_read2_b64 v[26:29], v110 offset0:73 offset1:74
	v_add_f32_e32 v2, v2, v3
	v_mul_f32_e32 v3, v13, v17
	v_fma_f32 v3, v12, v16, -v3
	v_add_f32_e32 v2, v2, v3
	s_waitcnt vmcnt(15) lgkmcnt(0)
	v_mul_f32_e32 v35, v26, v31
	v_fmac_f32_e32 v35, v27, v30
	v_add_f32_e32 v34, v34, v35
	v_mul_f32_e32 v35, v28, v33
	v_fmac_f32_e32 v35, v29, v32
	v_add_f32_e32 v42, v34, v35
	ds_read2_b64 v[34:37], v110 offset0:75 offset1:76
	v_mul_f32_e32 v3, v19, v23
	v_fma_f32 v3, v18, v22, -v3
	v_add_f32_e32 v2, v2, v3
	v_mul_f32_e32 v3, v21, v25
	s_waitcnt vmcnt(14) lgkmcnt(0)
	v_mul_f32_e32 v43, v34, v39
	v_fmac_f32_e32 v43, v35, v38
	v_add_f32_e32 v42, v42, v43
	v_mul_f32_e32 v43, v36, v41
	v_fmac_f32_e32 v43, v37, v40
	v_add_f32_e32 v50, v42, v43
	ds_read2_b64 v[42:45], v110 offset0:77 offset1:78
	v_fma_f32 v3, v20, v24, -v3
	v_add_f32_e32 v2, v2, v3
	v_mul_f32_e32 v3, v27, v31
	v_fma_f32 v3, v26, v30, -v3
	s_waitcnt vmcnt(13) lgkmcnt(0)
	v_mul_f32_e32 v51, v42, v47
	v_fmac_f32_e32 v51, v43, v46
	v_add_f32_e32 v50, v50, v51
	v_mul_f32_e32 v51, v44, v49
	v_fmac_f32_e32 v51, v45, v48
	v_add_f32_e32 v58, v50, v51
	ds_read2_b64 v[50:53], v110 offset0:79 offset1:80
	v_add_f32_e32 v2, v2, v3
	v_mul_f32_e32 v3, v29, v33
	v_fma_f32 v3, v28, v32, -v3
	v_add_f32_e32 v2, v2, v3
	s_waitcnt vmcnt(12) lgkmcnt(0)
	v_mul_f32_e32 v59, v50, v55
	v_fmac_f32_e32 v59, v51, v54
	v_add_f32_e32 v58, v58, v59
	v_mul_f32_e32 v59, v52, v57
	v_fmac_f32_e32 v59, v53, v56
	v_add_f32_e32 v66, v58, v59
	ds_read2_b64 v[58:61], v110 offset0:81 offset1:82
	v_mul_f32_e32 v3, v35, v39
	v_fma_f32 v3, v34, v38, -v3
	v_add_f32_e32 v2, v2, v3
	v_mul_f32_e32 v3, v37, v41
	;; [unrolled: 36-line block ×5, first 2 shown]
	s_waitcnt vmcnt(2) lgkmcnt(0)
	v_mul_f32_e32 v140, v132, v137
	v_fmac_f32_e32 v140, v133, v136
	v_add_f32_e32 v111, v111, v140
	v_mul_f32_e32 v140, v134, v139
	v_fmac_f32_e32 v140, v135, v138
	v_add_f32_e32 v111, v111, v140
	ds_read2_b64 v[140:143], v110 offset0:101 offset1:102
	scratch_load_dwordx4 v[164:167], off, off offset:392
	scratch_load_dwordx4 v[168:171], off, off offset:408
	;; [unrolled: 1-line block ×3, first 2 shown]
	scratch_load_dwordx2 v[180:181], off, off offset:440
	v_fma_f32 v3, v84, v88, -v3
	v_add_f32_e32 v2, v2, v3
	v_mul_f32_e32 v3, v91, v95
	v_fma_f32 v3, v90, v94, -v3
	v_add_f32_e32 v2, v2, v3
	v_mul_f32_e32 v3, v93, v97
	;; [unrolled: 3-line block ×12, first 2 shown]
	v_fma_f32 v3, v134, v138, -v3
	s_waitcnt vmcnt(5) lgkmcnt(0)
	v_mul_f32_e32 v148, v140, v145
	v_add_f32_e32 v2, v2, v3
	v_mul_f32_e32 v3, v141, v145
	v_fmac_f32_e32 v148, v141, v144
	v_fma_f32 v3, v140, v144, -v3
	v_add_f32_e32 v149, v111, v148
	v_add_f32_e32 v148, v2, v3
	v_mul_f32_e32 v2, v143, v147
	v_mul_f32_e32 v177, v142, v147
	v_fma_f32 v176, v142, v146, -v2
	s_waitcnt vmcnt(4)
	v_mul_f32_e32 v2, v157, v161
	v_mov_b32_e32 v18, v163
	v_fmac_f32_e32 v177, v143, v146
	v_mul_f32_e32 v179, v156, v161
	v_fma_f32 v178, v156, v160, -v2
	ds_read2_b64 v[2:5], v110 offset0:105 offset1:106
	ds_read2_b64 v[6:9], v110 offset0:107 offset1:108
	;; [unrolled: 1-line block ×3, first 2 shown]
	ds_read_b64 v[14:15], v110 offset:888
	v_pk_mul_f32 v[18:19], v[158:159], v[18:19] op_sel:[1,0] op_sel_hi:[0,0]
	v_fmac_f32_e32 v179, v157, v160
	v_pk_add_f32 v[16:17], v[148:149], v[176:177]
	v_pk_fma_f32 v[20:21], v[158:159], v[162:163], v[18:19] neg_lo:[0,0,1] neg_hi:[0,0,1]
	v_pk_fma_f32 v[18:19], v[158:159], v[162:163], v[18:19] op_sel_hi:[1,0,1]
	v_pk_add_f32 v[16:17], v[16:17], v[178:179]
	v_mov_b32_e32 v21, v19
	v_pk_add_f32 v[16:17], v[16:17], v[20:21]
	s_waitcnt vmcnt(3) lgkmcnt(3)
	v_pk_mul_f32 v[18:19], v[2:3], v[164:165] op_sel:[1,1] op_sel_hi:[0,1]
	v_pk_fma_f32 v[20:21], v[2:3], v[164:165], v[18:19] neg_lo:[0,0,1] neg_hi:[0,0,1]
	v_pk_fma_f32 v[2:3], v[2:3], v[164:165], v[18:19] op_sel_hi:[1,0,1]
	s_nop 0
	v_mov_b32_e32 v21, v3
	v_pk_add_f32 v[2:3], v[16:17], v[20:21]
	v_mov_b32_e32 v16, v167
	v_pk_mul_f32 v[16:17], v[4:5], v[16:17] op_sel:[1,0] op_sel_hi:[0,0]
	v_pk_fma_f32 v[18:19], v[4:5], v[166:167], v[16:17] neg_lo:[0,0,1] neg_hi:[0,0,1]
	v_pk_fma_f32 v[4:5], v[4:5], v[166:167], v[16:17] op_sel_hi:[1,0,1]
	s_nop 0
	v_mov_b32_e32 v19, v5
	s_waitcnt vmcnt(2) lgkmcnt(2)
	v_pk_mul_f32 v[4:5], v[6:7], v[168:169] op_sel:[1,1] op_sel_hi:[0,1]
	v_pk_fma_f32 v[16:17], v[6:7], v[168:169], v[4:5] neg_lo:[0,0,1] neg_hi:[0,0,1]
	v_pk_fma_f32 v[4:5], v[6:7], v[168:169], v[4:5] op_sel_hi:[1,0,1]
	v_pk_add_f32 v[2:3], v[2:3], v[18:19]
	v_mov_b32_e32 v4, v171
	v_mov_b32_e32 v17, v5
	v_pk_mul_f32 v[4:5], v[8:9], v[4:5] op_sel:[1,0] op_sel_hi:[0,0]
	v_pk_fma_f32 v[6:7], v[8:9], v[170:171], v[4:5] neg_lo:[0,0,1] neg_hi:[0,0,1]
	v_pk_fma_f32 v[4:5], v[8:9], v[170:171], v[4:5] op_sel_hi:[1,0,1]
	v_pk_add_f32 v[2:3], v[2:3], v[16:17]
	v_mov_b32_e32 v7, v5
	s_waitcnt vmcnt(1) lgkmcnt(1)
	v_pk_mul_f32 v[4:5], v[10:11], v[172:173] op_sel:[1,1] op_sel_hi:[0,1]
	v_pk_add_f32 v[2:3], v[2:3], v[6:7]
	v_pk_fma_f32 v[6:7], v[10:11], v[172:173], v[4:5] neg_lo:[0,0,1] neg_hi:[0,0,1]
	v_pk_fma_f32 v[4:5], v[10:11], v[172:173], v[4:5] op_sel_hi:[1,0,1]
	s_nop 0
	v_mov_b32_e32 v4, v175
	v_mov_b32_e32 v7, v5
	v_pk_mul_f32 v[4:5], v[12:13], v[4:5] op_sel:[1,0] op_sel_hi:[0,0]
	v_pk_add_f32 v[2:3], v[2:3], v[6:7]
	v_pk_fma_f32 v[6:7], v[12:13], v[174:175], v[4:5] neg_lo:[0,0,1] neg_hi:[0,0,1]
	v_pk_fma_f32 v[4:5], v[12:13], v[174:175], v[4:5] op_sel_hi:[1,0,1]
	s_nop 0
	v_mov_b32_e32 v7, v5
	s_waitcnt vmcnt(0) lgkmcnt(0)
	v_pk_mul_f32 v[4:5], v[14:15], v[180:181] op_sel:[1,1] op_sel_hi:[0,1]
	v_pk_add_f32 v[2:3], v[2:3], v[6:7]
	v_pk_fma_f32 v[6:7], v[14:15], v[180:181], v[4:5] neg_lo:[0,0,1] neg_hi:[0,0,1]
	v_pk_fma_f32 v[4:5], v[14:15], v[180:181], v[4:5] op_sel_hi:[1,0,1]
	s_nop 0
	v_mov_b32_e32 v7, v5
	scratch_load_dwordx2 v[4:5], off, off offset:80
	v_pk_add_f32 v[2:3], v[2:3], v[6:7]
	s_waitcnt vmcnt(0)
	v_pk_add_f32 v[2:3], v[4:5], v[2:3] neg_lo:[0,1] neg_hi:[0,1]
	scratch_store_dwordx2 off, v[2:3], off offset:80
	s_and_saveexec_b64 s[0:1], vcc
	s_cbranch_execz .LBB55_331
; %bb.330:
	scratch_load_dwordx2 v[2:3], off, off offset:72
	v_mov_b32_e32 v111, v110
	scratch_store_dwordx2 off, v[110:111], off offset:72
	s_waitcnt vmcnt(1)
	ds_write_b64 v1, v[2:3]
.LBB55_331:
	s_or_b64 exec, exec, s[0:1]
	s_waitcnt lgkmcnt(0)
	; wave barrier
	ds_read_b128 v[14:17], v110 offset:528
	ds_read_b128 v[10:13], v110 offset:544
	;; [unrolled: 1-line block ×4, first 2 shown]
	scratch_load_dwordx4 v[18:21], off, off offset:80
	scratch_load_dwordx4 v[38:41], off, off offset:144
	;; [unrolled: 1-line block ×13, first 2 shown]
	v_cmp_lt_u32_e32 vcc, 8, v0
	scratch_load_dwordx4 v[46:49], off, off offset:160
	scratch_load_dwordx4 v[54:57], off, off offset:176
	;; [unrolled: 1-line block ×3, first 2 shown]
	ds_read_b128 v[156:159], v110 offset:816
	s_waitcnt vmcnt(15) lgkmcnt(4)
	v_mul_f32_e32 v22, v14, v19
	v_fmac_f32_e32 v22, v15, v18
	v_mul_f32_e32 v23, v16, v21
	v_add_f32_e32 v22, 0, v22
	v_fmac_f32_e32 v23, v17, v20
	v_add_f32_e32 v26, v22, v23
	scratch_load_dwordx4 v[22:25], off, off offset:96
	v_mul_f32_e32 v15, v15, v19
	v_fma_f32 v14, v14, v18, -v15
	v_mul_f32_e32 v15, v17, v21
	v_add_f32_e32 v14, 0, v14
	v_fma_f32 v15, v16, v20, -v15
	v_add_f32_e32 v14, v14, v15
	s_waitcnt vmcnt(4) lgkmcnt(0)
	v_mul_f32_e32 v181, v156, v161
	v_mul_f32_e32 v183, v158, v163
	v_fmac_f32_e32 v181, v157, v160
	v_fmac_f32_e32 v183, v159, v162
	s_waitcnt vmcnt(0)
	v_mul_f32_e32 v27, v10, v23
	v_fmac_f32_e32 v27, v11, v22
	v_add_f32_e32 v26, v26, v27
	v_mul_f32_e32 v27, v12, v25
	v_fmac_f32_e32 v27, v13, v24
	v_add_f32_e32 v30, v26, v27
	scratch_load_dwordx4 v[26:29], off, off offset:112
	v_mul_f32_e32 v11, v11, v23
	v_fma_f32 v10, v10, v22, -v11
	v_mul_f32_e32 v11, v13, v25
	v_add_f32_e32 v10, v14, v10
	v_fma_f32 v11, v12, v24, -v11
	v_add_f32_e32 v10, v10, v11
	s_waitcnt vmcnt(0)
	v_mul_f32_e32 v31, v6, v27
	v_fmac_f32_e32 v31, v7, v26
	v_add_f32_e32 v30, v30, v31
	v_mul_f32_e32 v31, v8, v29
	v_fmac_f32_e32 v31, v9, v28
	v_add_f32_e32 v34, v30, v31
	scratch_load_dwordx4 v[30:33], off, off offset:128
	v_mul_f32_e32 v7, v7, v27
	v_fma_f32 v6, v6, v26, -v7
	v_mul_f32_e32 v7, v9, v29
	v_add_f32_e32 v6, v10, v6
	v_fma_f32 v7, v8, v28, -v7
	v_add_f32_e32 v6, v6, v7
	s_waitcnt vmcnt(0)
	v_mul_f32_e32 v35, v2, v31
	v_fmac_f32_e32 v35, v3, v30
	v_add_f32_e32 v34, v34, v35
	v_mul_f32_e32 v35, v4, v33
	v_fmac_f32_e32 v35, v5, v32
	v_add_f32_e32 v42, v34, v35
	ds_read_b128 v[34:37], v110 offset:592
	v_mul_f32_e32 v3, v3, v31
	v_fma_f32 v2, v2, v30, -v3
	v_mul_f32_e32 v3, v5, v33
	v_add_f32_e32 v2, v6, v2
	s_waitcnt lgkmcnt(0)
	v_mul_f32_e32 v43, v34, v39
	v_fmac_f32_e32 v43, v35, v38
	v_add_f32_e32 v42, v42, v43
	v_mul_f32_e32 v43, v36, v41
	v_fmac_f32_e32 v43, v37, v40
	v_add_f32_e32 v50, v42, v43
	ds_read_b128 v[42:45], v110 offset:608
	v_fma_f32 v3, v4, v32, -v3
	v_add_f32_e32 v2, v2, v3
	v_mul_f32_e32 v3, v35, v39
	v_fma_f32 v3, v34, v38, -v3
	s_waitcnt lgkmcnt(0)
	v_mul_f32_e32 v51, v42, v47
	v_fmac_f32_e32 v51, v43, v46
	v_add_f32_e32 v50, v50, v51
	v_mul_f32_e32 v51, v44, v49
	v_fmac_f32_e32 v51, v45, v48
	v_add_f32_e32 v58, v50, v51
	ds_read_b128 v[50:53], v110 offset:624
	v_add_f32_e32 v2, v2, v3
	v_mul_f32_e32 v3, v37, v41
	v_fma_f32 v3, v36, v40, -v3
	v_add_f32_e32 v2, v2, v3
	s_waitcnt lgkmcnt(0)
	v_mul_f32_e32 v59, v50, v55
	v_fmac_f32_e32 v59, v51, v54
	v_add_f32_e32 v58, v58, v59
	v_mul_f32_e32 v59, v52, v57
	v_fmac_f32_e32 v59, v53, v56
	v_add_f32_e32 v66, v58, v59
	ds_read_b128 v[58:61], v110 offset:640
	v_mul_f32_e32 v3, v43, v47
	v_fma_f32 v3, v42, v46, -v3
	v_add_f32_e32 v2, v2, v3
	v_mul_f32_e32 v3, v45, v49
	s_waitcnt lgkmcnt(0)
	v_mul_f32_e32 v67, v58, v63
	v_fmac_f32_e32 v67, v59, v62
	v_add_f32_e32 v66, v66, v67
	v_mul_f32_e32 v67, v60, v65
	v_fmac_f32_e32 v67, v61, v64
	v_add_f32_e32 v74, v66, v67
	ds_read_b128 v[66:69], v110 offset:656
	v_fma_f32 v3, v44, v48, -v3
	v_add_f32_e32 v2, v2, v3
	v_mul_f32_e32 v3, v51, v55
	v_fma_f32 v3, v50, v54, -v3
	s_waitcnt lgkmcnt(0)
	v_mul_f32_e32 v75, v66, v71
	v_fmac_f32_e32 v75, v67, v70
	v_add_f32_e32 v74, v74, v75
	v_mul_f32_e32 v75, v68, v73
	v_fmac_f32_e32 v75, v69, v72
	v_add_f32_e32 v82, v74, v75
	ds_read_b128 v[74:77], v110 offset:672
	v_add_f32_e32 v2, v2, v3
	v_mul_f32_e32 v3, v53, v57
	v_fma_f32 v3, v52, v56, -v3
	v_add_f32_e32 v2, v2, v3
	s_waitcnt lgkmcnt(0)
	v_mul_f32_e32 v83, v74, v79
	v_fmac_f32_e32 v83, v75, v78
	v_add_f32_e32 v82, v82, v83
	v_mul_f32_e32 v83, v76, v81
	v_fmac_f32_e32 v83, v77, v80
	v_add_f32_e32 v90, v82, v83
	ds_read_b128 v[82:85], v110 offset:688
	v_mul_f32_e32 v3, v59, v63
	v_fma_f32 v3, v58, v62, -v3
	v_add_f32_e32 v2, v2, v3
	v_mul_f32_e32 v3, v61, v65
	;; [unrolled: 36-line block ×4, first 2 shown]
	s_waitcnt lgkmcnt(0)
	v_mul_f32_e32 v140, v132, v137
	v_fmac_f32_e32 v140, v133, v136
	v_add_f32_e32 v111, v111, v140
	v_mul_f32_e32 v140, v134, v139
	v_fmac_f32_e32 v140, v135, v138
	v_add_f32_e32 v111, v111, v140
	ds_read_b128 v[140:143], v110 offset:800
	scratch_load_dwordx4 v[164:167], off, off offset:384
	scratch_load_dwordx4 v[168:171], off, off offset:400
	;; [unrolled: 1-line block ×4, first 2 shown]
	v_fma_f32 v3, v92, v96, -v3
	v_add_f32_e32 v2, v2, v3
	v_mul_f32_e32 v3, v99, v103
	v_fma_f32 v3, v98, v102, -v3
	v_add_f32_e32 v2, v2, v3
	v_mul_f32_e32 v3, v101, v105
	;; [unrolled: 3-line block ×10, first 2 shown]
	v_fma_f32 v3, v134, v138, -v3
	s_waitcnt lgkmcnt(0)
	v_mul_f32_e32 v148, v140, v145
	v_add_f32_e32 v2, v2, v3
	v_mul_f32_e32 v3, v141, v145
	v_fmac_f32_e32 v148, v141, v144
	v_fma_f32 v3, v140, v144, -v3
	v_add_f32_e32 v111, v111, v148
	v_mul_f32_e32 v148, v142, v147
	v_add_f32_e32 v2, v2, v3
	v_mul_f32_e32 v3, v143, v147
	v_fmac_f32_e32 v148, v143, v146
	v_fma_f32 v3, v142, v146, -v3
	v_add_f32_e32 v149, v111, v148
	v_add_f32_e32 v148, v2, v3
	v_mul_f32_e32 v2, v157, v161
	v_fma_f32 v180, v156, v160, -v2
	v_mul_f32_e32 v2, v159, v163
	v_fma_f32 v182, v158, v162, -v2
	ds_read_b128 v[2:5], v110 offset:832
	ds_read_b128 v[6:9], v110 offset:848
	;; [unrolled: 1-line block ×4, first 2 shown]
	v_pk_add_f32 v[18:19], v[148:149], v[180:181]
	s_waitcnt vmcnt(3) lgkmcnt(3)
	v_pk_mul_f32 v[20:21], v[2:3], v[164:165] op_sel:[1,1] op_sel_hi:[0,1]
	v_pk_fma_f32 v[22:23], v[2:3], v[164:165], v[20:21] neg_lo:[0,0,1] neg_hi:[0,0,1]
	v_pk_fma_f32 v[2:3], v[2:3], v[164:165], v[20:21] op_sel_hi:[1,0,1]
	v_pk_add_f32 v[18:19], v[18:19], v[182:183]
	v_mov_b32_e32 v23, v3
	v_pk_add_f32 v[2:3], v[18:19], v[22:23]
	v_mov_b32_e32 v18, v167
	v_pk_mul_f32 v[18:19], v[4:5], v[18:19] op_sel:[1,0] op_sel_hi:[0,0]
	v_pk_fma_f32 v[20:21], v[4:5], v[166:167], v[18:19] neg_lo:[0,0,1] neg_hi:[0,0,1]
	v_pk_fma_f32 v[4:5], v[4:5], v[166:167], v[18:19] op_sel_hi:[1,0,1]
	s_nop 0
	v_mov_b32_e32 v21, v5
	s_waitcnt vmcnt(2) lgkmcnt(2)
	v_pk_mul_f32 v[4:5], v[6:7], v[168:169] op_sel:[1,1] op_sel_hi:[0,1]
	v_pk_fma_f32 v[18:19], v[6:7], v[168:169], v[4:5] neg_lo:[0,0,1] neg_hi:[0,0,1]
	v_pk_fma_f32 v[4:5], v[6:7], v[168:169], v[4:5] op_sel_hi:[1,0,1]
	v_pk_add_f32 v[2:3], v[2:3], v[20:21]
	v_mov_b32_e32 v4, v171
	v_mov_b32_e32 v19, v5
	v_pk_mul_f32 v[4:5], v[8:9], v[4:5] op_sel:[1,0] op_sel_hi:[0,0]
	v_pk_fma_f32 v[6:7], v[8:9], v[170:171], v[4:5] neg_lo:[0,0,1] neg_hi:[0,0,1]
	v_pk_fma_f32 v[4:5], v[8:9], v[170:171], v[4:5] op_sel_hi:[1,0,1]
	v_pk_add_f32 v[2:3], v[2:3], v[18:19]
	v_mov_b32_e32 v7, v5
	s_waitcnt vmcnt(1) lgkmcnt(1)
	v_pk_mul_f32 v[4:5], v[10:11], v[172:173] op_sel:[1,1] op_sel_hi:[0,1]
	v_pk_add_f32 v[2:3], v[2:3], v[6:7]
	v_pk_fma_f32 v[6:7], v[10:11], v[172:173], v[4:5] neg_lo:[0,0,1] neg_hi:[0,0,1]
	v_pk_fma_f32 v[4:5], v[10:11], v[172:173], v[4:5] op_sel_hi:[1,0,1]
	s_nop 0
	v_mov_b32_e32 v4, v175
	v_mov_b32_e32 v7, v5
	v_pk_mul_f32 v[4:5], v[12:13], v[4:5] op_sel:[1,0] op_sel_hi:[0,0]
	v_pk_add_f32 v[2:3], v[2:3], v[6:7]
	v_pk_fma_f32 v[6:7], v[12:13], v[174:175], v[4:5] neg_lo:[0,0,1] neg_hi:[0,0,1]
	v_pk_fma_f32 v[4:5], v[12:13], v[174:175], v[4:5] op_sel_hi:[1,0,1]
	s_nop 0
	v_mov_b32_e32 v7, v5
	s_waitcnt vmcnt(0) lgkmcnt(0)
	v_pk_mul_f32 v[4:5], v[14:15], v[176:177] op_sel:[1,1] op_sel_hi:[0,1]
	v_pk_add_f32 v[2:3], v[2:3], v[6:7]
	v_pk_fma_f32 v[6:7], v[14:15], v[176:177], v[4:5] neg_lo:[0,0,1] neg_hi:[0,0,1]
	v_pk_fma_f32 v[4:5], v[14:15], v[176:177], v[4:5] op_sel_hi:[1,0,1]
	s_nop 0
	v_mov_b32_e32 v4, v179
	v_mov_b32_e32 v7, v5
	v_pk_mul_f32 v[4:5], v[16:17], v[4:5] op_sel:[1,0] op_sel_hi:[0,0]
	v_pk_add_f32 v[2:3], v[2:3], v[6:7]
	v_pk_fma_f32 v[6:7], v[16:17], v[178:179], v[4:5] neg_lo:[0,0,1] neg_hi:[0,0,1]
	v_pk_fma_f32 v[4:5], v[16:17], v[178:179], v[4:5] op_sel_hi:[1,0,1]
	s_nop 0
	v_mov_b32_e32 v7, v5
	scratch_load_dwordx2 v[4:5], off, off offset:72
	v_pk_add_f32 v[2:3], v[2:3], v[6:7]
	s_waitcnt vmcnt(0)
	v_pk_add_f32 v[2:3], v[4:5], v[2:3] neg_lo:[0,1] neg_hi:[0,1]
	scratch_store_dwordx2 off, v[2:3], off offset:72
	s_and_saveexec_b64 s[0:1], vcc
	s_cbranch_execz .LBB55_333
; %bb.332:
	scratch_load_dwordx2 v[2:3], off, off offset:64
	v_mov_b32_e32 v4, 0
	v_mov_b32_e32 v5, v4
	scratch_store_dwordx2 off, v[4:5], off offset:64
	s_waitcnt vmcnt(1)
	ds_write_b64 v1, v[2:3]
.LBB55_333:
	s_or_b64 exec, exec, s[0:1]
	s_waitcnt lgkmcnt(0)
	; wave barrier
	scratch_load_dwordx4 v[6:9], off, off offset:72
	scratch_load_dwordx4 v[14:17], off, off offset:88
	;; [unrolled: 1-line block ×10, first 2 shown]
	v_mov_b32_e32 v118, 0
	ds_read2_b64 v[2:5], v118 offset0:65 offset1:66
	ds_read2_b64 v[156:159], v118 offset0:101 offset1:102
	scratch_load_dwordx4 v[86:89], off, off offset:232
	scratch_load_dwordx4 v[94:97], off, off offset:248
	;; [unrolled: 1-line block ×10, first 2 shown]
	v_cmp_lt_u32_e32 vcc, 7, v0
	ds_read2_b64 v[164:167], v118 offset0:103 offset1:104
	s_waitcnt vmcnt(19) lgkmcnt(2)
	v_mul_f32_e32 v10, v2, v7
	v_fmac_f32_e32 v10, v3, v6
	v_mul_f32_e32 v11, v4, v9
	v_add_f32_e32 v10, 0, v10
	v_fmac_f32_e32 v11, v5, v8
	v_add_f32_e32 v18, v10, v11
	ds_read2_b64 v[10:13], v118 offset0:67 offset1:68
	v_mul_f32_e32 v3, v3, v7
	v_fma_f32 v2, v2, v6, -v3
	v_mul_f32_e32 v3, v5, v9
	v_add_f32_e32 v2, 0, v2
	s_waitcnt vmcnt(18) lgkmcnt(0)
	v_mul_f32_e32 v19, v10, v15
	v_fmac_f32_e32 v19, v11, v14
	v_add_f32_e32 v18, v18, v19
	v_mul_f32_e32 v19, v12, v17
	v_fmac_f32_e32 v19, v13, v16
	v_add_f32_e32 v26, v18, v19
	ds_read2_b64 v[18:21], v118 offset0:69 offset1:70
	v_fma_f32 v3, v4, v8, -v3
	v_add_f32_e32 v2, v2, v3
	v_mul_f32_e32 v3, v11, v15
	v_fma_f32 v3, v10, v14, -v3
	s_waitcnt vmcnt(17) lgkmcnt(0)
	v_mul_f32_e32 v27, v18, v23
	v_fmac_f32_e32 v27, v19, v22
	v_add_f32_e32 v26, v26, v27
	v_mul_f32_e32 v27, v20, v25
	v_fmac_f32_e32 v27, v21, v24
	v_add_f32_e32 v34, v26, v27
	ds_read2_b64 v[26:29], v118 offset0:71 offset1:72
	v_add_f32_e32 v2, v2, v3
	v_mul_f32_e32 v3, v13, v17
	v_fma_f32 v3, v12, v16, -v3
	v_add_f32_e32 v2, v2, v3
	s_waitcnt vmcnt(16) lgkmcnt(0)
	v_mul_f32_e32 v35, v26, v31
	v_fmac_f32_e32 v35, v27, v30
	v_add_f32_e32 v34, v34, v35
	v_mul_f32_e32 v35, v28, v33
	v_fmac_f32_e32 v35, v29, v32
	v_add_f32_e32 v42, v34, v35
	ds_read2_b64 v[34:37], v118 offset0:73 offset1:74
	v_mul_f32_e32 v3, v19, v23
	v_fma_f32 v3, v18, v22, -v3
	v_add_f32_e32 v2, v2, v3
	v_mul_f32_e32 v3, v21, v25
	s_waitcnt vmcnt(15) lgkmcnt(0)
	v_mul_f32_e32 v43, v34, v39
	v_fmac_f32_e32 v43, v35, v38
	v_add_f32_e32 v42, v42, v43
	v_mul_f32_e32 v43, v36, v41
	v_fmac_f32_e32 v43, v37, v40
	v_add_f32_e32 v50, v42, v43
	ds_read2_b64 v[42:45], v118 offset0:75 offset1:76
	v_fma_f32 v3, v20, v24, -v3
	v_add_f32_e32 v2, v2, v3
	v_mul_f32_e32 v3, v27, v31
	v_fma_f32 v3, v26, v30, -v3
	s_waitcnt vmcnt(14) lgkmcnt(0)
	v_mul_f32_e32 v51, v42, v47
	v_fmac_f32_e32 v51, v43, v46
	v_add_f32_e32 v50, v50, v51
	v_mul_f32_e32 v51, v44, v49
	v_fmac_f32_e32 v51, v45, v48
	v_add_f32_e32 v58, v50, v51
	ds_read2_b64 v[50:53], v118 offset0:77 offset1:78
	v_add_f32_e32 v2, v2, v3
	v_mul_f32_e32 v3, v29, v33
	v_fma_f32 v3, v28, v32, -v3
	v_add_f32_e32 v2, v2, v3
	s_waitcnt vmcnt(13) lgkmcnt(0)
	v_mul_f32_e32 v59, v50, v55
	v_fmac_f32_e32 v59, v51, v54
	v_add_f32_e32 v58, v58, v59
	v_mul_f32_e32 v59, v52, v57
	v_fmac_f32_e32 v59, v53, v56
	v_add_f32_e32 v66, v58, v59
	ds_read2_b64 v[58:61], v118 offset0:79 offset1:80
	v_mul_f32_e32 v3, v35, v39
	v_fma_f32 v3, v34, v38, -v3
	v_add_f32_e32 v2, v2, v3
	v_mul_f32_e32 v3, v37, v41
	;; [unrolled: 36-line block ×5, first 2 shown]
	s_waitcnt vmcnt(3) lgkmcnt(0)
	v_mul_f32_e32 v140, v132, v137
	v_fmac_f32_e32 v140, v133, v136
	v_add_f32_e32 v119, v119, v140
	v_mul_f32_e32 v140, v134, v139
	v_fmac_f32_e32 v140, v135, v138
	v_add_f32_e32 v119, v119, v140
	ds_read2_b64 v[140:143], v118 offset0:99 offset1:100
	scratch_load_dwordx4 v[172:175], off, off offset:392
	scratch_load_dwordx4 v[176:179], off, off offset:408
	;; [unrolled: 1-line block ×3, first 2 shown]
	scratch_load_dwordx2 v[188:189], off, off offset:440
	v_fma_f32 v3, v84, v88, -v3
	v_add_f32_e32 v2, v2, v3
	v_mul_f32_e32 v3, v91, v95
	v_fma_f32 v3, v90, v94, -v3
	v_add_f32_e32 v2, v2, v3
	v_mul_f32_e32 v3, v93, v97
	;; [unrolled: 3-line block ×12, first 2 shown]
	v_fma_f32 v3, v134, v138, -v3
	s_waitcnt vmcnt(6) lgkmcnt(0)
	v_mul_f32_e32 v148, v140, v145
	v_add_f32_e32 v2, v2, v3
	v_mul_f32_e32 v3, v141, v145
	v_fmac_f32_e32 v148, v141, v144
	v_fma_f32 v3, v140, v144, -v3
	v_add_f32_e32 v119, v119, v148
	v_mul_f32_e32 v148, v142, v147
	v_add_f32_e32 v2, v2, v3
	v_mul_f32_e32 v3, v143, v147
	v_fmac_f32_e32 v148, v143, v146
	v_fma_f32 v3, v142, v146, -v3
	v_add_f32_e32 v119, v119, v148
	s_waitcnt vmcnt(5)
	v_mul_f32_e32 v148, v156, v161
	v_add_f32_e32 v2, v2, v3
	v_mul_f32_e32 v3, v157, v161
	v_fmac_f32_e32 v148, v157, v160
	v_fma_f32 v3, v156, v160, -v3
	v_add_f32_e32 v149, v119, v148
	v_add_f32_e32 v148, v2, v3
	v_mul_f32_e32 v2, v159, v163
	v_mul_f32_e32 v185, v158, v163
	v_fma_f32 v184, v158, v162, -v2
	s_waitcnt vmcnt(4)
	v_mul_f32_e32 v2, v165, v169
	v_mov_b32_e32 v18, v171
	v_fmac_f32_e32 v185, v159, v162
	v_mul_f32_e32 v187, v164, v169
	v_fma_f32 v186, v164, v168, -v2
	ds_read2_b64 v[2:5], v118 offset0:105 offset1:106
	ds_read2_b64 v[6:9], v118 offset0:107 offset1:108
	;; [unrolled: 1-line block ×3, first 2 shown]
	ds_read_b64 v[14:15], v118 offset:888
	v_pk_mul_f32 v[18:19], v[166:167], v[18:19] op_sel:[1,0] op_sel_hi:[0,0]
	v_fmac_f32_e32 v187, v165, v168
	v_pk_add_f32 v[16:17], v[148:149], v[184:185]
	v_pk_fma_f32 v[20:21], v[166:167], v[170:171], v[18:19] neg_lo:[0,0,1] neg_hi:[0,0,1]
	v_pk_fma_f32 v[18:19], v[166:167], v[170:171], v[18:19] op_sel_hi:[1,0,1]
	v_pk_add_f32 v[16:17], v[16:17], v[186:187]
	v_mov_b32_e32 v21, v19
	v_pk_add_f32 v[16:17], v[16:17], v[20:21]
	s_waitcnt vmcnt(3) lgkmcnt(3)
	v_pk_mul_f32 v[18:19], v[2:3], v[172:173] op_sel:[1,1] op_sel_hi:[0,1]
	v_pk_fma_f32 v[20:21], v[2:3], v[172:173], v[18:19] neg_lo:[0,0,1] neg_hi:[0,0,1]
	v_pk_fma_f32 v[2:3], v[2:3], v[172:173], v[18:19] op_sel_hi:[1,0,1]
	s_nop 0
	v_mov_b32_e32 v21, v3
	v_pk_add_f32 v[2:3], v[16:17], v[20:21]
	v_mov_b32_e32 v16, v175
	v_pk_mul_f32 v[16:17], v[4:5], v[16:17] op_sel:[1,0] op_sel_hi:[0,0]
	v_pk_fma_f32 v[18:19], v[4:5], v[174:175], v[16:17] neg_lo:[0,0,1] neg_hi:[0,0,1]
	v_pk_fma_f32 v[4:5], v[4:5], v[174:175], v[16:17] op_sel_hi:[1,0,1]
	s_nop 0
	v_mov_b32_e32 v19, v5
	s_waitcnt vmcnt(2) lgkmcnt(2)
	v_pk_mul_f32 v[4:5], v[6:7], v[176:177] op_sel:[1,1] op_sel_hi:[0,1]
	v_pk_fma_f32 v[16:17], v[6:7], v[176:177], v[4:5] neg_lo:[0,0,1] neg_hi:[0,0,1]
	v_pk_fma_f32 v[4:5], v[6:7], v[176:177], v[4:5] op_sel_hi:[1,0,1]
	v_pk_add_f32 v[2:3], v[2:3], v[18:19]
	v_mov_b32_e32 v4, v179
	v_mov_b32_e32 v17, v5
	v_pk_mul_f32 v[4:5], v[8:9], v[4:5] op_sel:[1,0] op_sel_hi:[0,0]
	v_pk_fma_f32 v[6:7], v[8:9], v[178:179], v[4:5] neg_lo:[0,0,1] neg_hi:[0,0,1]
	v_pk_fma_f32 v[4:5], v[8:9], v[178:179], v[4:5] op_sel_hi:[1,0,1]
	v_pk_add_f32 v[2:3], v[2:3], v[16:17]
	v_mov_b32_e32 v7, v5
	s_waitcnt vmcnt(1) lgkmcnt(1)
	v_pk_mul_f32 v[4:5], v[10:11], v[180:181] op_sel:[1,1] op_sel_hi:[0,1]
	v_pk_add_f32 v[2:3], v[2:3], v[6:7]
	v_pk_fma_f32 v[6:7], v[10:11], v[180:181], v[4:5] neg_lo:[0,0,1] neg_hi:[0,0,1]
	v_pk_fma_f32 v[4:5], v[10:11], v[180:181], v[4:5] op_sel_hi:[1,0,1]
	s_nop 0
	v_mov_b32_e32 v4, v183
	v_mov_b32_e32 v7, v5
	v_pk_mul_f32 v[4:5], v[12:13], v[4:5] op_sel:[1,0] op_sel_hi:[0,0]
	v_pk_add_f32 v[2:3], v[2:3], v[6:7]
	v_pk_fma_f32 v[6:7], v[12:13], v[182:183], v[4:5] neg_lo:[0,0,1] neg_hi:[0,0,1]
	v_pk_fma_f32 v[4:5], v[12:13], v[182:183], v[4:5] op_sel_hi:[1,0,1]
	s_nop 0
	v_mov_b32_e32 v7, v5
	s_waitcnt vmcnt(0) lgkmcnt(0)
	v_pk_mul_f32 v[4:5], v[14:15], v[188:189] op_sel:[1,1] op_sel_hi:[0,1]
	v_pk_add_f32 v[2:3], v[2:3], v[6:7]
	v_pk_fma_f32 v[6:7], v[14:15], v[188:189], v[4:5] neg_lo:[0,0,1] neg_hi:[0,0,1]
	v_pk_fma_f32 v[4:5], v[14:15], v[188:189], v[4:5] op_sel_hi:[1,0,1]
	s_nop 0
	v_mov_b32_e32 v7, v5
	scratch_load_dwordx2 v[4:5], off, off offset:64
	v_pk_add_f32 v[2:3], v[2:3], v[6:7]
	s_waitcnt vmcnt(0)
	v_pk_add_f32 v[2:3], v[4:5], v[2:3] neg_lo:[0,1] neg_hi:[0,1]
	scratch_store_dwordx2 off, v[2:3], off offset:64
	s_and_saveexec_b64 s[0:1], vcc
	s_cbranch_execz .LBB55_335
; %bb.334:
	scratch_load_dwordx2 v[2:3], off, off offset:56
	v_mov_b32_e32 v119, v118
	scratch_store_dwordx2 off, v[118:119], off offset:56
	s_waitcnt vmcnt(1)
	ds_write_b64 v1, v[2:3]
.LBB55_335:
	s_or_b64 exec, exec, s[0:1]
	s_waitcnt lgkmcnt(0)
	; wave barrier
	ds_read_b128 v[14:17], v118 offset:512
	ds_read_b128 v[10:13], v118 offset:528
	;; [unrolled: 1-line block ×4, first 2 shown]
	scratch_load_dwordx4 v[18:21], off, off offset:64
	scratch_load_dwordx4 v[38:41], off, off offset:128
	;; [unrolled: 1-line block ×14, first 2 shown]
	v_cmp_lt_u32_e32 vcc, 6, v0
	scratch_load_dwordx4 v[46:49], off, off offset:144
	scratch_load_dwordx4 v[54:57], off, off offset:160
	;; [unrolled: 1-line block ×3, first 2 shown]
	ds_read_b128 v[156:159], v118 offset:800
	ds_read_b128 v[164:167], v118 offset:816
	s_waitcnt vmcnt(16) lgkmcnt(5)
	v_mul_f32_e32 v22, v14, v19
	v_fmac_f32_e32 v22, v15, v18
	v_mul_f32_e32 v23, v16, v21
	v_add_f32_e32 v22, 0, v22
	v_fmac_f32_e32 v23, v17, v20
	v_add_f32_e32 v26, v22, v23
	scratch_load_dwordx4 v[22:25], off, off offset:80
	v_mul_f32_e32 v15, v15, v19
	v_fma_f32 v14, v14, v18, -v15
	v_mul_f32_e32 v15, v17, v21
	v_add_f32_e32 v14, 0, v14
	v_fma_f32 v15, v16, v20, -v15
	v_add_f32_e32 v14, v14, v15
	s_waitcnt vmcnt(4) lgkmcnt(0)
	v_mul_f32_e32 v189, v164, v169
	v_mul_f32_e32 v191, v166, v171
	v_fmac_f32_e32 v189, v165, v168
	v_fmac_f32_e32 v191, v167, v170
	s_waitcnt vmcnt(0)
	v_mul_f32_e32 v27, v10, v23
	v_fmac_f32_e32 v27, v11, v22
	v_add_f32_e32 v26, v26, v27
	v_mul_f32_e32 v27, v12, v25
	v_fmac_f32_e32 v27, v13, v24
	v_add_f32_e32 v30, v26, v27
	scratch_load_dwordx4 v[26:29], off, off offset:96
	v_mul_f32_e32 v11, v11, v23
	v_fma_f32 v10, v10, v22, -v11
	v_mul_f32_e32 v11, v13, v25
	v_add_f32_e32 v10, v14, v10
	v_fma_f32 v11, v12, v24, -v11
	v_add_f32_e32 v10, v10, v11
	s_waitcnt vmcnt(0)
	v_mul_f32_e32 v31, v6, v27
	v_fmac_f32_e32 v31, v7, v26
	v_add_f32_e32 v30, v30, v31
	v_mul_f32_e32 v31, v8, v29
	v_fmac_f32_e32 v31, v9, v28
	v_add_f32_e32 v34, v30, v31
	scratch_load_dwordx4 v[30:33], off, off offset:112
	v_mul_f32_e32 v7, v7, v27
	v_fma_f32 v6, v6, v26, -v7
	v_mul_f32_e32 v7, v9, v29
	v_add_f32_e32 v6, v10, v6
	v_fma_f32 v7, v8, v28, -v7
	v_add_f32_e32 v6, v6, v7
	s_waitcnt vmcnt(0)
	v_mul_f32_e32 v35, v2, v31
	v_fmac_f32_e32 v35, v3, v30
	v_add_f32_e32 v34, v34, v35
	v_mul_f32_e32 v35, v4, v33
	v_fmac_f32_e32 v35, v5, v32
	v_add_f32_e32 v42, v34, v35
	ds_read_b128 v[34:37], v118 offset:576
	v_mul_f32_e32 v3, v3, v31
	v_fma_f32 v2, v2, v30, -v3
	v_mul_f32_e32 v3, v5, v33
	v_add_f32_e32 v2, v6, v2
	s_waitcnt lgkmcnt(0)
	v_mul_f32_e32 v43, v34, v39
	v_fmac_f32_e32 v43, v35, v38
	v_add_f32_e32 v42, v42, v43
	v_mul_f32_e32 v43, v36, v41
	v_fmac_f32_e32 v43, v37, v40
	v_add_f32_e32 v50, v42, v43
	ds_read_b128 v[42:45], v118 offset:592
	v_fma_f32 v3, v4, v32, -v3
	v_add_f32_e32 v2, v2, v3
	v_mul_f32_e32 v3, v35, v39
	v_fma_f32 v3, v34, v38, -v3
	s_waitcnt lgkmcnt(0)
	v_mul_f32_e32 v51, v42, v47
	v_fmac_f32_e32 v51, v43, v46
	v_add_f32_e32 v50, v50, v51
	v_mul_f32_e32 v51, v44, v49
	v_fmac_f32_e32 v51, v45, v48
	v_add_f32_e32 v58, v50, v51
	ds_read_b128 v[50:53], v118 offset:608
	v_add_f32_e32 v2, v2, v3
	v_mul_f32_e32 v3, v37, v41
	v_fma_f32 v3, v36, v40, -v3
	v_add_f32_e32 v2, v2, v3
	s_waitcnt lgkmcnt(0)
	v_mul_f32_e32 v59, v50, v55
	v_fmac_f32_e32 v59, v51, v54
	v_add_f32_e32 v58, v58, v59
	v_mul_f32_e32 v59, v52, v57
	v_fmac_f32_e32 v59, v53, v56
	v_add_f32_e32 v66, v58, v59
	ds_read_b128 v[58:61], v118 offset:624
	v_mul_f32_e32 v3, v43, v47
	v_fma_f32 v3, v42, v46, -v3
	v_add_f32_e32 v2, v2, v3
	v_mul_f32_e32 v3, v45, v49
	s_waitcnt lgkmcnt(0)
	v_mul_f32_e32 v67, v58, v63
	v_fmac_f32_e32 v67, v59, v62
	v_add_f32_e32 v66, v66, v67
	v_mul_f32_e32 v67, v60, v65
	v_fmac_f32_e32 v67, v61, v64
	v_add_f32_e32 v74, v66, v67
	ds_read_b128 v[66:69], v118 offset:640
	v_fma_f32 v3, v44, v48, -v3
	v_add_f32_e32 v2, v2, v3
	v_mul_f32_e32 v3, v51, v55
	v_fma_f32 v3, v50, v54, -v3
	s_waitcnt lgkmcnt(0)
	v_mul_f32_e32 v75, v66, v71
	v_fmac_f32_e32 v75, v67, v70
	v_add_f32_e32 v74, v74, v75
	v_mul_f32_e32 v75, v68, v73
	v_fmac_f32_e32 v75, v69, v72
	v_add_f32_e32 v82, v74, v75
	ds_read_b128 v[74:77], v118 offset:656
	v_add_f32_e32 v2, v2, v3
	v_mul_f32_e32 v3, v53, v57
	v_fma_f32 v3, v52, v56, -v3
	v_add_f32_e32 v2, v2, v3
	s_waitcnt lgkmcnt(0)
	v_mul_f32_e32 v83, v74, v79
	v_fmac_f32_e32 v83, v75, v78
	v_add_f32_e32 v82, v82, v83
	v_mul_f32_e32 v83, v76, v81
	v_fmac_f32_e32 v83, v77, v80
	v_add_f32_e32 v90, v82, v83
	ds_read_b128 v[82:85], v118 offset:672
	v_mul_f32_e32 v3, v59, v63
	v_fma_f32 v3, v58, v62, -v3
	v_add_f32_e32 v2, v2, v3
	v_mul_f32_e32 v3, v61, v65
	;; [unrolled: 36-line block ×4, first 2 shown]
	s_waitcnt lgkmcnt(0)
	v_mul_f32_e32 v140, v132, v137
	v_fmac_f32_e32 v140, v133, v136
	v_add_f32_e32 v119, v119, v140
	v_mul_f32_e32 v140, v134, v139
	v_fmac_f32_e32 v140, v135, v138
	v_add_f32_e32 v119, v119, v140
	ds_read_b128 v[140:143], v118 offset:784
	scratch_load_dwordx4 v[172:175], off, off offset:384
	scratch_load_dwordx4 v[176:179], off, off offset:400
	;; [unrolled: 1-line block ×4, first 2 shown]
	v_fma_f32 v3, v92, v96, -v3
	v_add_f32_e32 v2, v2, v3
	v_mul_f32_e32 v3, v99, v103
	v_fma_f32 v3, v98, v102, -v3
	v_add_f32_e32 v2, v2, v3
	v_mul_f32_e32 v3, v101, v105
	v_fma_f32 v3, v100, v104, -v3
	v_add_f32_e32 v2, v2, v3
	v_mul_f32_e32 v3, v107, v111
	v_fma_f32 v3, v106, v110, -v3
	v_add_f32_e32 v2, v2, v3
	v_mul_f32_e32 v3, v109, v113
	v_fma_f32 v3, v108, v112, -v3
	v_add_f32_e32 v2, v2, v3
	v_mul_f32_e32 v3, v115, v121
	v_fma_f32 v3, v114, v120, -v3
	v_add_f32_e32 v2, v2, v3
	v_mul_f32_e32 v3, v117, v123
	v_fma_f32 v3, v116, v122, -v3
	v_add_f32_e32 v2, v2, v3
	v_mul_f32_e32 v3, v125, v129
	v_fma_f32 v3, v124, v128, -v3
	v_add_f32_e32 v2, v2, v3
	v_mul_f32_e32 v3, v127, v131
	v_fma_f32 v3, v126, v130, -v3
	v_add_f32_e32 v2, v2, v3
	v_mul_f32_e32 v3, v133, v137
	v_fma_f32 v3, v132, v136, -v3
	v_add_f32_e32 v2, v2, v3
	v_mul_f32_e32 v3, v135, v139
	v_fma_f32 v3, v134, v138, -v3
	s_waitcnt lgkmcnt(0)
	v_mul_f32_e32 v148, v140, v145
	v_add_f32_e32 v2, v2, v3
	v_mul_f32_e32 v3, v141, v145
	v_fmac_f32_e32 v148, v141, v144
	v_fma_f32 v3, v140, v144, -v3
	v_add_f32_e32 v119, v119, v148
	v_mul_f32_e32 v148, v142, v147
	v_add_f32_e32 v2, v2, v3
	v_mul_f32_e32 v3, v143, v147
	v_fmac_f32_e32 v148, v143, v146
	v_fma_f32 v3, v142, v146, -v3
	v_add_f32_e32 v119, v119, v148
	;; [unrolled: 6-line block ×4, first 2 shown]
	v_add_f32_e32 v148, v2, v3
	v_mul_f32_e32 v2, v165, v169
	v_fma_f32 v188, v164, v168, -v2
	v_mul_f32_e32 v2, v167, v171
	v_fma_f32 v190, v166, v170, -v2
	ds_read_b128 v[2:5], v118 offset:832
	ds_read_b128 v[6:9], v118 offset:848
	;; [unrolled: 1-line block ×4, first 2 shown]
	v_pk_add_f32 v[18:19], v[148:149], v[188:189]
	s_waitcnt vmcnt(3) lgkmcnt(3)
	v_pk_mul_f32 v[20:21], v[2:3], v[172:173] op_sel:[1,1] op_sel_hi:[0,1]
	v_pk_fma_f32 v[22:23], v[2:3], v[172:173], v[20:21] neg_lo:[0,0,1] neg_hi:[0,0,1]
	v_pk_fma_f32 v[2:3], v[2:3], v[172:173], v[20:21] op_sel_hi:[1,0,1]
	v_pk_add_f32 v[18:19], v[18:19], v[190:191]
	v_mov_b32_e32 v23, v3
	v_pk_add_f32 v[2:3], v[18:19], v[22:23]
	v_mov_b32_e32 v18, v175
	v_pk_mul_f32 v[18:19], v[4:5], v[18:19] op_sel:[1,0] op_sel_hi:[0,0]
	v_pk_fma_f32 v[20:21], v[4:5], v[174:175], v[18:19] neg_lo:[0,0,1] neg_hi:[0,0,1]
	v_pk_fma_f32 v[4:5], v[4:5], v[174:175], v[18:19] op_sel_hi:[1,0,1]
	s_nop 0
	v_mov_b32_e32 v21, v5
	s_waitcnt vmcnt(2) lgkmcnt(2)
	v_pk_mul_f32 v[4:5], v[6:7], v[176:177] op_sel:[1,1] op_sel_hi:[0,1]
	v_pk_fma_f32 v[18:19], v[6:7], v[176:177], v[4:5] neg_lo:[0,0,1] neg_hi:[0,0,1]
	v_pk_fma_f32 v[4:5], v[6:7], v[176:177], v[4:5] op_sel_hi:[1,0,1]
	v_pk_add_f32 v[2:3], v[2:3], v[20:21]
	v_mov_b32_e32 v4, v179
	v_mov_b32_e32 v19, v5
	v_pk_mul_f32 v[4:5], v[8:9], v[4:5] op_sel:[1,0] op_sel_hi:[0,0]
	v_pk_fma_f32 v[6:7], v[8:9], v[178:179], v[4:5] neg_lo:[0,0,1] neg_hi:[0,0,1]
	v_pk_fma_f32 v[4:5], v[8:9], v[178:179], v[4:5] op_sel_hi:[1,0,1]
	v_pk_add_f32 v[2:3], v[2:3], v[18:19]
	v_mov_b32_e32 v7, v5
	s_waitcnt vmcnt(1) lgkmcnt(1)
	v_pk_mul_f32 v[4:5], v[10:11], v[180:181] op_sel:[1,1] op_sel_hi:[0,1]
	v_pk_add_f32 v[2:3], v[2:3], v[6:7]
	v_pk_fma_f32 v[6:7], v[10:11], v[180:181], v[4:5] neg_lo:[0,0,1] neg_hi:[0,0,1]
	v_pk_fma_f32 v[4:5], v[10:11], v[180:181], v[4:5] op_sel_hi:[1,0,1]
	s_nop 0
	v_mov_b32_e32 v4, v183
	v_mov_b32_e32 v7, v5
	v_pk_mul_f32 v[4:5], v[12:13], v[4:5] op_sel:[1,0] op_sel_hi:[0,0]
	v_pk_add_f32 v[2:3], v[2:3], v[6:7]
	v_pk_fma_f32 v[6:7], v[12:13], v[182:183], v[4:5] neg_lo:[0,0,1] neg_hi:[0,0,1]
	v_pk_fma_f32 v[4:5], v[12:13], v[182:183], v[4:5] op_sel_hi:[1,0,1]
	s_nop 0
	v_mov_b32_e32 v7, v5
	s_waitcnt vmcnt(0) lgkmcnt(0)
	v_pk_mul_f32 v[4:5], v[14:15], v[184:185] op_sel:[1,1] op_sel_hi:[0,1]
	v_pk_add_f32 v[2:3], v[2:3], v[6:7]
	v_pk_fma_f32 v[6:7], v[14:15], v[184:185], v[4:5] neg_lo:[0,0,1] neg_hi:[0,0,1]
	v_pk_fma_f32 v[4:5], v[14:15], v[184:185], v[4:5] op_sel_hi:[1,0,1]
	s_nop 0
	v_mov_b32_e32 v4, v187
	v_mov_b32_e32 v7, v5
	v_pk_mul_f32 v[4:5], v[16:17], v[4:5] op_sel:[1,0] op_sel_hi:[0,0]
	v_pk_add_f32 v[2:3], v[2:3], v[6:7]
	v_pk_fma_f32 v[6:7], v[16:17], v[186:187], v[4:5] neg_lo:[0,0,1] neg_hi:[0,0,1]
	v_pk_fma_f32 v[4:5], v[16:17], v[186:187], v[4:5] op_sel_hi:[1,0,1]
	s_nop 0
	v_mov_b32_e32 v7, v5
	scratch_load_dwordx2 v[4:5], off, off offset:56
	v_pk_add_f32 v[2:3], v[2:3], v[6:7]
	s_waitcnt vmcnt(0)
	v_pk_add_f32 v[2:3], v[4:5], v[2:3] neg_lo:[0,1] neg_hi:[0,1]
	scratch_store_dwordx2 off, v[2:3], off offset:56
	s_and_saveexec_b64 s[0:1], vcc
	s_cbranch_execz .LBB55_337
; %bb.336:
	scratch_load_dwordx2 v[2:3], off, off offset:48
	v_mov_b32_e32 v4, 0
	v_mov_b32_e32 v5, v4
	scratch_store_dwordx2 off, v[4:5], off offset:48
	s_waitcnt vmcnt(1)
	ds_write_b64 v1, v[2:3]
.LBB55_337:
	s_or_b64 exec, exec, s[0:1]
	s_waitcnt lgkmcnt(0)
	; wave barrier
	scratch_load_dwordx4 v[6:9], off, off offset:56
	scratch_load_dwordx4 v[14:17], off, off offset:72
	;; [unrolled: 1-line block ×10, first 2 shown]
	v_mov_b32_e32 v134, 0
	ds_read2_b64 v[2:5], v134 offset0:63 offset1:64
	ds_read2_b64 v[156:159], v134 offset0:99 offset1:100
	scratch_load_dwordx4 v[86:89], off, off offset:216
	scratch_load_dwordx4 v[94:97], off, off offset:232
	;; [unrolled: 1-line block ×11, first 2 shown]
	v_cmp_lt_u32_e32 vcc, 5, v0
	ds_read2_b64 v[164:167], v134 offset0:101 offset1:102
	ds_read2_b64 v[172:175], v134 offset0:103 offset1:104
	s_waitcnt vmcnt(20) lgkmcnt(3)
	v_mul_f32_e32 v10, v2, v7
	v_fmac_f32_e32 v10, v3, v6
	v_mul_f32_e32 v11, v4, v9
	v_add_f32_e32 v10, 0, v10
	v_fmac_f32_e32 v11, v5, v8
	v_add_f32_e32 v18, v10, v11
	ds_read2_b64 v[10:13], v134 offset0:65 offset1:66
	v_mul_f32_e32 v3, v3, v7
	v_fma_f32 v2, v2, v6, -v3
	v_mul_f32_e32 v3, v5, v9
	v_add_f32_e32 v2, 0, v2
	s_waitcnt vmcnt(19) lgkmcnt(0)
	v_mul_f32_e32 v19, v10, v15
	v_fmac_f32_e32 v19, v11, v14
	v_add_f32_e32 v18, v18, v19
	v_mul_f32_e32 v19, v12, v17
	v_fmac_f32_e32 v19, v13, v16
	v_add_f32_e32 v26, v18, v19
	ds_read2_b64 v[18:21], v134 offset0:67 offset1:68
	v_fma_f32 v3, v4, v8, -v3
	v_add_f32_e32 v2, v2, v3
	v_mul_f32_e32 v3, v11, v15
	v_fma_f32 v3, v10, v14, -v3
	s_waitcnt vmcnt(18) lgkmcnt(0)
	v_mul_f32_e32 v27, v18, v23
	v_fmac_f32_e32 v27, v19, v22
	v_add_f32_e32 v26, v26, v27
	v_mul_f32_e32 v27, v20, v25
	v_fmac_f32_e32 v27, v21, v24
	v_add_f32_e32 v34, v26, v27
	ds_read2_b64 v[26:29], v134 offset0:69 offset1:70
	v_add_f32_e32 v2, v2, v3
	v_mul_f32_e32 v3, v13, v17
	v_fma_f32 v3, v12, v16, -v3
	v_add_f32_e32 v2, v2, v3
	s_waitcnt vmcnt(17) lgkmcnt(0)
	v_mul_f32_e32 v35, v26, v31
	v_fmac_f32_e32 v35, v27, v30
	v_add_f32_e32 v34, v34, v35
	v_mul_f32_e32 v35, v28, v33
	v_fmac_f32_e32 v35, v29, v32
	v_add_f32_e32 v42, v34, v35
	ds_read2_b64 v[34:37], v134 offset0:71 offset1:72
	v_mul_f32_e32 v3, v19, v23
	v_fma_f32 v3, v18, v22, -v3
	v_add_f32_e32 v2, v2, v3
	v_mul_f32_e32 v3, v21, v25
	s_waitcnt vmcnt(16) lgkmcnt(0)
	v_mul_f32_e32 v43, v34, v39
	v_fmac_f32_e32 v43, v35, v38
	v_add_f32_e32 v42, v42, v43
	v_mul_f32_e32 v43, v36, v41
	v_fmac_f32_e32 v43, v37, v40
	v_add_f32_e32 v50, v42, v43
	ds_read2_b64 v[42:45], v134 offset0:73 offset1:74
	v_fma_f32 v3, v20, v24, -v3
	v_add_f32_e32 v2, v2, v3
	v_mul_f32_e32 v3, v27, v31
	v_fma_f32 v3, v26, v30, -v3
	s_waitcnt vmcnt(15) lgkmcnt(0)
	v_mul_f32_e32 v51, v42, v47
	v_fmac_f32_e32 v51, v43, v46
	v_add_f32_e32 v50, v50, v51
	v_mul_f32_e32 v51, v44, v49
	v_fmac_f32_e32 v51, v45, v48
	v_add_f32_e32 v58, v50, v51
	ds_read2_b64 v[50:53], v134 offset0:75 offset1:76
	v_add_f32_e32 v2, v2, v3
	v_mul_f32_e32 v3, v29, v33
	v_fma_f32 v3, v28, v32, -v3
	v_add_f32_e32 v2, v2, v3
	s_waitcnt vmcnt(14) lgkmcnt(0)
	v_mul_f32_e32 v59, v50, v55
	v_fmac_f32_e32 v59, v51, v54
	v_add_f32_e32 v58, v58, v59
	v_mul_f32_e32 v59, v52, v57
	v_fmac_f32_e32 v59, v53, v56
	v_add_f32_e32 v66, v58, v59
	ds_read2_b64 v[58:61], v134 offset0:77 offset1:78
	v_mul_f32_e32 v3, v35, v39
	v_fma_f32 v3, v34, v38, -v3
	v_add_f32_e32 v2, v2, v3
	v_mul_f32_e32 v3, v37, v41
	;; [unrolled: 36-line block ×5, first 2 shown]
	s_waitcnt vmcnt(4) lgkmcnt(0)
	v_mul_f32_e32 v140, v130, v137
	v_fmac_f32_e32 v140, v131, v136
	v_add_f32_e32 v135, v135, v140
	v_mul_f32_e32 v140, v132, v139
	v_fmac_f32_e32 v140, v133, v138
	v_add_f32_e32 v135, v135, v140
	ds_read2_b64 v[140:143], v134 offset0:97 offset1:98
	scratch_load_dwordx4 v[180:183], off, off offset:392
	scratch_load_dwordx4 v[184:187], off, off offset:408
	scratch_load_dwordx4 v[188:191], off, off offset:424
	scratch_load_dwordx2 v[196:197], off, off offset:440
	v_fma_f32 v3, v84, v88, -v3
	v_add_f32_e32 v2, v2, v3
	v_mul_f32_e32 v3, v91, v95
	v_fma_f32 v3, v90, v94, -v3
	v_add_f32_e32 v2, v2, v3
	v_mul_f32_e32 v3, v93, v97
	;; [unrolled: 3-line block ×12, first 2 shown]
	v_fma_f32 v3, v132, v138, -v3
	s_waitcnt vmcnt(7) lgkmcnt(0)
	v_mul_f32_e32 v148, v140, v145
	v_add_f32_e32 v2, v2, v3
	v_mul_f32_e32 v3, v141, v145
	v_fmac_f32_e32 v148, v141, v144
	v_fma_f32 v3, v140, v144, -v3
	v_add_f32_e32 v135, v135, v148
	v_mul_f32_e32 v148, v142, v147
	v_add_f32_e32 v2, v2, v3
	v_mul_f32_e32 v3, v143, v147
	v_fmac_f32_e32 v148, v143, v146
	v_fma_f32 v3, v142, v146, -v3
	v_add_f32_e32 v135, v135, v148
	s_waitcnt vmcnt(6)
	v_mul_f32_e32 v148, v156, v161
	v_add_f32_e32 v2, v2, v3
	v_mul_f32_e32 v3, v157, v161
	v_fmac_f32_e32 v148, v157, v160
	v_fma_f32 v3, v156, v160, -v3
	v_add_f32_e32 v135, v135, v148
	v_mul_f32_e32 v148, v158, v163
	v_add_f32_e32 v2, v2, v3
	v_mul_f32_e32 v3, v159, v163
	v_fmac_f32_e32 v148, v159, v162
	v_fma_f32 v3, v158, v162, -v3
	v_add_f32_e32 v135, v135, v148
	s_waitcnt vmcnt(5)
	v_mul_f32_e32 v148, v164, v169
	v_add_f32_e32 v2, v2, v3
	v_mul_f32_e32 v3, v165, v169
	v_fmac_f32_e32 v148, v165, v168
	v_fma_f32 v3, v164, v168, -v3
	v_add_f32_e32 v149, v135, v148
	v_add_f32_e32 v148, v2, v3
	v_mul_f32_e32 v2, v167, v171
	v_mul_f32_e32 v193, v166, v171
	v_fma_f32 v192, v166, v170, -v2
	s_waitcnt vmcnt(4)
	v_mul_f32_e32 v2, v173, v177
	v_mov_b32_e32 v18, v179
	v_fmac_f32_e32 v193, v167, v170
	v_mul_f32_e32 v195, v172, v177
	v_fma_f32 v194, v172, v176, -v2
	ds_read2_b64 v[2:5], v134 offset0:105 offset1:106
	ds_read2_b64 v[6:9], v134 offset0:107 offset1:108
	;; [unrolled: 1-line block ×3, first 2 shown]
	ds_read_b64 v[14:15], v134 offset:888
	v_pk_mul_f32 v[18:19], v[174:175], v[18:19] op_sel:[1,0] op_sel_hi:[0,0]
	v_fmac_f32_e32 v195, v173, v176
	v_pk_add_f32 v[16:17], v[148:149], v[192:193]
	v_pk_fma_f32 v[20:21], v[174:175], v[178:179], v[18:19] neg_lo:[0,0,1] neg_hi:[0,0,1]
	v_pk_fma_f32 v[18:19], v[174:175], v[178:179], v[18:19] op_sel_hi:[1,0,1]
	v_pk_add_f32 v[16:17], v[16:17], v[194:195]
	v_mov_b32_e32 v21, v19
	s_waitcnt vmcnt(3) lgkmcnt(3)
	v_pk_mul_f32 v[18:19], v[2:3], v[180:181] op_sel:[1,1] op_sel_hi:[0,1]
	v_pk_add_f32 v[16:17], v[16:17], v[20:21]
	v_pk_fma_f32 v[20:21], v[2:3], v[180:181], v[18:19] neg_lo:[0,0,1] neg_hi:[0,0,1]
	v_pk_fma_f32 v[2:3], v[2:3], v[180:181], v[18:19] op_sel_hi:[1,0,1]
	s_nop 0
	v_mov_b32_e32 v21, v3
	v_pk_add_f32 v[2:3], v[16:17], v[20:21]
	v_mov_b32_e32 v16, v183
	v_pk_mul_f32 v[16:17], v[4:5], v[16:17] op_sel:[1,0] op_sel_hi:[0,0]
	v_pk_fma_f32 v[18:19], v[4:5], v[182:183], v[16:17] neg_lo:[0,0,1] neg_hi:[0,0,1]
	v_pk_fma_f32 v[4:5], v[4:5], v[182:183], v[16:17] op_sel_hi:[1,0,1]
	s_nop 0
	v_mov_b32_e32 v19, v5
	s_waitcnt vmcnt(2) lgkmcnt(2)
	v_pk_mul_f32 v[4:5], v[6:7], v[184:185] op_sel:[1,1] op_sel_hi:[0,1]
	v_pk_fma_f32 v[16:17], v[6:7], v[184:185], v[4:5] neg_lo:[0,0,1] neg_hi:[0,0,1]
	v_pk_fma_f32 v[4:5], v[6:7], v[184:185], v[4:5] op_sel_hi:[1,0,1]
	v_pk_add_f32 v[2:3], v[2:3], v[18:19]
	v_mov_b32_e32 v4, v187
	v_mov_b32_e32 v17, v5
	v_pk_mul_f32 v[4:5], v[8:9], v[4:5] op_sel:[1,0] op_sel_hi:[0,0]
	v_pk_fma_f32 v[6:7], v[8:9], v[186:187], v[4:5] neg_lo:[0,0,1] neg_hi:[0,0,1]
	v_pk_fma_f32 v[4:5], v[8:9], v[186:187], v[4:5] op_sel_hi:[1,0,1]
	v_pk_add_f32 v[2:3], v[2:3], v[16:17]
	v_mov_b32_e32 v7, v5
	s_waitcnt vmcnt(1) lgkmcnt(1)
	v_pk_mul_f32 v[4:5], v[10:11], v[188:189] op_sel:[1,1] op_sel_hi:[0,1]
	v_pk_add_f32 v[2:3], v[2:3], v[6:7]
	v_pk_fma_f32 v[6:7], v[10:11], v[188:189], v[4:5] neg_lo:[0,0,1] neg_hi:[0,0,1]
	v_pk_fma_f32 v[4:5], v[10:11], v[188:189], v[4:5] op_sel_hi:[1,0,1]
	s_nop 0
	v_mov_b32_e32 v4, v191
	v_mov_b32_e32 v7, v5
	v_pk_mul_f32 v[4:5], v[12:13], v[4:5] op_sel:[1,0] op_sel_hi:[0,0]
	v_pk_add_f32 v[2:3], v[2:3], v[6:7]
	v_pk_fma_f32 v[6:7], v[12:13], v[190:191], v[4:5] neg_lo:[0,0,1] neg_hi:[0,0,1]
	v_pk_fma_f32 v[4:5], v[12:13], v[190:191], v[4:5] op_sel_hi:[1,0,1]
	s_nop 0
	v_mov_b32_e32 v7, v5
	s_waitcnt vmcnt(0) lgkmcnt(0)
	v_pk_mul_f32 v[4:5], v[14:15], v[196:197] op_sel:[1,1] op_sel_hi:[0,1]
	v_pk_add_f32 v[2:3], v[2:3], v[6:7]
	v_pk_fma_f32 v[6:7], v[14:15], v[196:197], v[4:5] neg_lo:[0,0,1] neg_hi:[0,0,1]
	v_pk_fma_f32 v[4:5], v[14:15], v[196:197], v[4:5] op_sel_hi:[1,0,1]
	s_nop 0
	v_mov_b32_e32 v7, v5
	scratch_load_dwordx2 v[4:5], off, off offset:48
	v_pk_add_f32 v[2:3], v[2:3], v[6:7]
	s_waitcnt vmcnt(0)
	v_pk_add_f32 v[2:3], v[4:5], v[2:3] neg_lo:[0,1] neg_hi:[0,1]
	scratch_store_dwordx2 off, v[2:3], off offset:48
	s_and_saveexec_b64 s[0:1], vcc
	s_cbranch_execz .LBB55_339
; %bb.338:
	scratch_load_dwordx2 v[2:3], off, off offset:40
	v_mov_b32_e32 v135, v134
	scratch_store_dwordx2 off, v[134:135], off offset:40
	s_waitcnt vmcnt(1)
	ds_write_b64 v1, v[2:3]
.LBB55_339:
	s_or_b64 exec, exec, s[0:1]
	s_waitcnt lgkmcnt(0)
	; wave barrier
	ds_read_b128 v[14:17], v134 offset:496
	ds_read_b128 v[10:13], v134 offset:512
	;; [unrolled: 1-line block ×4, first 2 shown]
	scratch_load_dwordx4 v[18:21], off, off offset:48
	scratch_load_dwordx4 v[38:41], off, off offset:112
	;; [unrolled: 1-line block ×15, first 2 shown]
	v_cmp_lt_u32_e32 vcc, 4, v0
	scratch_load_dwordx4 v[46:49], off, off offset:128
	scratch_load_dwordx4 v[54:57], off, off offset:144
	;; [unrolled: 1-line block ×3, first 2 shown]
	ds_read_b128 v[156:159], v134 offset:784
	ds_read_b128 v[164:167], v134 offset:800
	;; [unrolled: 1-line block ×3, first 2 shown]
	s_waitcnt vmcnt(17) lgkmcnt(6)
	v_mul_f32_e32 v22, v14, v19
	v_fmac_f32_e32 v22, v15, v18
	v_mul_f32_e32 v23, v16, v21
	v_add_f32_e32 v22, 0, v22
	v_fmac_f32_e32 v23, v17, v20
	v_add_f32_e32 v26, v22, v23
	scratch_load_dwordx4 v[22:25], off, off offset:64
	v_mul_f32_e32 v15, v15, v19
	v_fma_f32 v14, v14, v18, -v15
	v_mul_f32_e32 v15, v17, v21
	v_add_f32_e32 v14, 0, v14
	v_fma_f32 v15, v16, v20, -v15
	v_add_f32_e32 v14, v14, v15
	s_waitcnt vmcnt(4) lgkmcnt(0)
	v_mul_f32_e32 v197, v172, v177
	v_mul_f32_e32 v199, v174, v179
	v_fmac_f32_e32 v197, v173, v176
	v_fmac_f32_e32 v199, v175, v178
	s_waitcnt vmcnt(0)
	v_mul_f32_e32 v27, v10, v23
	v_fmac_f32_e32 v27, v11, v22
	v_add_f32_e32 v26, v26, v27
	v_mul_f32_e32 v27, v12, v25
	v_fmac_f32_e32 v27, v13, v24
	v_add_f32_e32 v30, v26, v27
	scratch_load_dwordx4 v[26:29], off, off offset:80
	v_mul_f32_e32 v11, v11, v23
	v_fma_f32 v10, v10, v22, -v11
	v_mul_f32_e32 v11, v13, v25
	v_add_f32_e32 v10, v14, v10
	v_fma_f32 v11, v12, v24, -v11
	v_add_f32_e32 v10, v10, v11
	s_waitcnt vmcnt(0)
	v_mul_f32_e32 v31, v6, v27
	v_fmac_f32_e32 v31, v7, v26
	v_add_f32_e32 v30, v30, v31
	v_mul_f32_e32 v31, v8, v29
	v_fmac_f32_e32 v31, v9, v28
	v_add_f32_e32 v34, v30, v31
	scratch_load_dwordx4 v[30:33], off, off offset:96
	v_mul_f32_e32 v7, v7, v27
	v_fma_f32 v6, v6, v26, -v7
	v_mul_f32_e32 v7, v9, v29
	v_add_f32_e32 v6, v10, v6
	v_fma_f32 v7, v8, v28, -v7
	v_add_f32_e32 v6, v6, v7
	s_waitcnt vmcnt(0)
	v_mul_f32_e32 v35, v2, v31
	v_fmac_f32_e32 v35, v3, v30
	v_add_f32_e32 v34, v34, v35
	v_mul_f32_e32 v35, v4, v33
	v_fmac_f32_e32 v35, v5, v32
	v_add_f32_e32 v42, v34, v35
	ds_read_b128 v[34:37], v134 offset:560
	v_mul_f32_e32 v3, v3, v31
	v_fma_f32 v2, v2, v30, -v3
	v_mul_f32_e32 v3, v5, v33
	v_add_f32_e32 v2, v6, v2
	s_waitcnt lgkmcnt(0)
	v_mul_f32_e32 v43, v34, v39
	v_fmac_f32_e32 v43, v35, v38
	v_add_f32_e32 v42, v42, v43
	v_mul_f32_e32 v43, v36, v41
	v_fmac_f32_e32 v43, v37, v40
	v_add_f32_e32 v50, v42, v43
	ds_read_b128 v[42:45], v134 offset:576
	v_fma_f32 v3, v4, v32, -v3
	v_add_f32_e32 v2, v2, v3
	v_mul_f32_e32 v3, v35, v39
	v_fma_f32 v3, v34, v38, -v3
	s_waitcnt lgkmcnt(0)
	v_mul_f32_e32 v51, v42, v47
	v_fmac_f32_e32 v51, v43, v46
	v_add_f32_e32 v50, v50, v51
	v_mul_f32_e32 v51, v44, v49
	v_fmac_f32_e32 v51, v45, v48
	v_add_f32_e32 v58, v50, v51
	ds_read_b128 v[50:53], v134 offset:592
	v_add_f32_e32 v2, v2, v3
	v_mul_f32_e32 v3, v37, v41
	v_fma_f32 v3, v36, v40, -v3
	v_add_f32_e32 v2, v2, v3
	s_waitcnt lgkmcnt(0)
	v_mul_f32_e32 v59, v50, v55
	v_fmac_f32_e32 v59, v51, v54
	v_add_f32_e32 v58, v58, v59
	v_mul_f32_e32 v59, v52, v57
	v_fmac_f32_e32 v59, v53, v56
	v_add_f32_e32 v66, v58, v59
	ds_read_b128 v[58:61], v134 offset:608
	v_mul_f32_e32 v3, v43, v47
	v_fma_f32 v3, v42, v46, -v3
	v_add_f32_e32 v2, v2, v3
	v_mul_f32_e32 v3, v45, v49
	s_waitcnt lgkmcnt(0)
	v_mul_f32_e32 v67, v58, v63
	v_fmac_f32_e32 v67, v59, v62
	v_add_f32_e32 v66, v66, v67
	v_mul_f32_e32 v67, v60, v65
	v_fmac_f32_e32 v67, v61, v64
	v_add_f32_e32 v74, v66, v67
	ds_read_b128 v[66:69], v134 offset:624
	v_fma_f32 v3, v44, v48, -v3
	v_add_f32_e32 v2, v2, v3
	v_mul_f32_e32 v3, v51, v55
	v_fma_f32 v3, v50, v54, -v3
	s_waitcnt lgkmcnt(0)
	v_mul_f32_e32 v75, v66, v71
	v_fmac_f32_e32 v75, v67, v70
	v_add_f32_e32 v74, v74, v75
	v_mul_f32_e32 v75, v68, v73
	v_fmac_f32_e32 v75, v69, v72
	v_add_f32_e32 v82, v74, v75
	ds_read_b128 v[74:77], v134 offset:640
	v_add_f32_e32 v2, v2, v3
	v_mul_f32_e32 v3, v53, v57
	v_fma_f32 v3, v52, v56, -v3
	v_add_f32_e32 v2, v2, v3
	s_waitcnt lgkmcnt(0)
	v_mul_f32_e32 v83, v74, v79
	v_fmac_f32_e32 v83, v75, v78
	v_add_f32_e32 v82, v82, v83
	v_mul_f32_e32 v83, v76, v81
	v_fmac_f32_e32 v83, v77, v80
	v_add_f32_e32 v90, v82, v83
	ds_read_b128 v[82:85], v134 offset:656
	v_mul_f32_e32 v3, v59, v63
	v_fma_f32 v3, v58, v62, -v3
	v_add_f32_e32 v2, v2, v3
	v_mul_f32_e32 v3, v61, v65
	;; [unrolled: 36-line block ×4, first 2 shown]
	s_waitcnt lgkmcnt(0)
	v_mul_f32_e32 v140, v130, v137
	v_fmac_f32_e32 v140, v131, v136
	v_add_f32_e32 v135, v135, v140
	v_mul_f32_e32 v140, v132, v139
	v_fmac_f32_e32 v140, v133, v138
	v_add_f32_e32 v135, v135, v140
	ds_read_b128 v[140:143], v134 offset:768
	scratch_load_dwordx4 v[180:183], off, off offset:384
	scratch_load_dwordx4 v[184:187], off, off offset:400
	scratch_load_dwordx4 v[188:191], off, off offset:416
	scratch_load_dwordx4 v[192:195], off, off offset:432
	v_fma_f32 v3, v92, v96, -v3
	v_add_f32_e32 v2, v2, v3
	v_mul_f32_e32 v3, v99, v103
	v_fma_f32 v3, v98, v102, -v3
	v_add_f32_e32 v2, v2, v3
	v_mul_f32_e32 v3, v101, v105
	v_fma_f32 v3, v100, v104, -v3
	v_add_f32_e32 v2, v2, v3
	v_mul_f32_e32 v3, v107, v111
	v_fma_f32 v3, v106, v110, -v3
	v_add_f32_e32 v2, v2, v3
	v_mul_f32_e32 v3, v109, v113
	v_fma_f32 v3, v108, v112, -v3
	v_add_f32_e32 v2, v2, v3
	v_mul_f32_e32 v3, v115, v119
	v_fma_f32 v3, v114, v118, -v3
	v_add_f32_e32 v2, v2, v3
	v_mul_f32_e32 v3, v117, v121
	v_fma_f32 v3, v116, v120, -v3
	v_add_f32_e32 v2, v2, v3
	v_mul_f32_e32 v3, v123, v127
	v_fma_f32 v3, v122, v126, -v3
	v_add_f32_e32 v2, v2, v3
	v_mul_f32_e32 v3, v125, v129
	v_fma_f32 v3, v124, v128, -v3
	v_add_f32_e32 v2, v2, v3
	v_mul_f32_e32 v3, v131, v137
	v_fma_f32 v3, v130, v136, -v3
	v_add_f32_e32 v2, v2, v3
	v_mul_f32_e32 v3, v133, v139
	v_fma_f32 v3, v132, v138, -v3
	s_waitcnt lgkmcnt(0)
	v_mul_f32_e32 v148, v140, v145
	v_add_f32_e32 v2, v2, v3
	v_mul_f32_e32 v3, v141, v145
	v_fmac_f32_e32 v148, v141, v144
	v_fma_f32 v3, v140, v144, -v3
	v_add_f32_e32 v135, v135, v148
	v_mul_f32_e32 v148, v142, v147
	v_add_f32_e32 v2, v2, v3
	v_mul_f32_e32 v3, v143, v147
	v_fmac_f32_e32 v148, v143, v146
	v_fma_f32 v3, v142, v146, -v3
	v_add_f32_e32 v135, v135, v148
	;; [unrolled: 6-line block ×6, first 2 shown]
	v_add_f32_e32 v148, v2, v3
	v_mul_f32_e32 v2, v173, v177
	v_fma_f32 v196, v172, v176, -v2
	v_mul_f32_e32 v2, v175, v179
	v_fma_f32 v198, v174, v178, -v2
	ds_read_b128 v[2:5], v134 offset:832
	ds_read_b128 v[6:9], v134 offset:848
	;; [unrolled: 1-line block ×4, first 2 shown]
	v_pk_add_f32 v[18:19], v[148:149], v[196:197]
	s_waitcnt vmcnt(3) lgkmcnt(3)
	v_pk_mul_f32 v[20:21], v[2:3], v[180:181] op_sel:[1,1] op_sel_hi:[0,1]
	v_pk_fma_f32 v[22:23], v[2:3], v[180:181], v[20:21] neg_lo:[0,0,1] neg_hi:[0,0,1]
	v_pk_fma_f32 v[2:3], v[2:3], v[180:181], v[20:21] op_sel_hi:[1,0,1]
	v_pk_add_f32 v[18:19], v[18:19], v[198:199]
	v_mov_b32_e32 v23, v3
	v_pk_add_f32 v[2:3], v[18:19], v[22:23]
	v_mov_b32_e32 v18, v183
	v_pk_mul_f32 v[18:19], v[4:5], v[18:19] op_sel:[1,0] op_sel_hi:[0,0]
	v_pk_fma_f32 v[20:21], v[4:5], v[182:183], v[18:19] neg_lo:[0,0,1] neg_hi:[0,0,1]
	v_pk_fma_f32 v[4:5], v[4:5], v[182:183], v[18:19] op_sel_hi:[1,0,1]
	s_nop 0
	v_mov_b32_e32 v21, v5
	s_waitcnt vmcnt(2) lgkmcnt(2)
	v_pk_mul_f32 v[4:5], v[6:7], v[184:185] op_sel:[1,1] op_sel_hi:[0,1]
	v_pk_fma_f32 v[18:19], v[6:7], v[184:185], v[4:5] neg_lo:[0,0,1] neg_hi:[0,0,1]
	v_pk_fma_f32 v[4:5], v[6:7], v[184:185], v[4:5] op_sel_hi:[1,0,1]
	v_pk_add_f32 v[2:3], v[2:3], v[20:21]
	v_mov_b32_e32 v4, v187
	v_mov_b32_e32 v19, v5
	v_pk_mul_f32 v[4:5], v[8:9], v[4:5] op_sel:[1,0] op_sel_hi:[0,0]
	v_pk_fma_f32 v[6:7], v[8:9], v[186:187], v[4:5] neg_lo:[0,0,1] neg_hi:[0,0,1]
	v_pk_fma_f32 v[4:5], v[8:9], v[186:187], v[4:5] op_sel_hi:[1,0,1]
	v_pk_add_f32 v[2:3], v[2:3], v[18:19]
	v_mov_b32_e32 v7, v5
	s_waitcnt vmcnt(1) lgkmcnt(1)
	v_pk_mul_f32 v[4:5], v[10:11], v[188:189] op_sel:[1,1] op_sel_hi:[0,1]
	v_pk_add_f32 v[2:3], v[2:3], v[6:7]
	v_pk_fma_f32 v[6:7], v[10:11], v[188:189], v[4:5] neg_lo:[0,0,1] neg_hi:[0,0,1]
	v_pk_fma_f32 v[4:5], v[10:11], v[188:189], v[4:5] op_sel_hi:[1,0,1]
	s_nop 0
	v_mov_b32_e32 v4, v191
	v_mov_b32_e32 v7, v5
	v_pk_mul_f32 v[4:5], v[12:13], v[4:5] op_sel:[1,0] op_sel_hi:[0,0]
	v_pk_add_f32 v[2:3], v[2:3], v[6:7]
	v_pk_fma_f32 v[6:7], v[12:13], v[190:191], v[4:5] neg_lo:[0,0,1] neg_hi:[0,0,1]
	v_pk_fma_f32 v[4:5], v[12:13], v[190:191], v[4:5] op_sel_hi:[1,0,1]
	s_nop 0
	v_mov_b32_e32 v7, v5
	s_waitcnt vmcnt(0) lgkmcnt(0)
	v_pk_mul_f32 v[4:5], v[14:15], v[192:193] op_sel:[1,1] op_sel_hi:[0,1]
	v_pk_add_f32 v[2:3], v[2:3], v[6:7]
	v_pk_fma_f32 v[6:7], v[14:15], v[192:193], v[4:5] neg_lo:[0,0,1] neg_hi:[0,0,1]
	v_pk_fma_f32 v[4:5], v[14:15], v[192:193], v[4:5] op_sel_hi:[1,0,1]
	s_nop 0
	v_mov_b32_e32 v4, v195
	v_mov_b32_e32 v7, v5
	v_pk_mul_f32 v[4:5], v[16:17], v[4:5] op_sel:[1,0] op_sel_hi:[0,0]
	v_pk_add_f32 v[2:3], v[2:3], v[6:7]
	v_pk_fma_f32 v[6:7], v[16:17], v[194:195], v[4:5] neg_lo:[0,0,1] neg_hi:[0,0,1]
	v_pk_fma_f32 v[4:5], v[16:17], v[194:195], v[4:5] op_sel_hi:[1,0,1]
	s_nop 0
	v_mov_b32_e32 v7, v5
	scratch_load_dwordx2 v[4:5], off, off offset:40
	v_pk_add_f32 v[2:3], v[2:3], v[6:7]
	s_waitcnt vmcnt(0)
	v_pk_add_f32 v[2:3], v[4:5], v[2:3] neg_lo:[0,1] neg_hi:[0,1]
	scratch_store_dwordx2 off, v[2:3], off offset:40
	s_and_saveexec_b64 s[0:1], vcc
	s_cbranch_execz .LBB55_341
; %bb.340:
	scratch_load_dwordx2 v[2:3], off, off offset:32
	v_mov_b32_e32 v4, 0
	v_mov_b32_e32 v5, v4
	scratch_store_dwordx2 off, v[4:5], off offset:32
	s_waitcnt vmcnt(1)
	ds_write_b64 v1, v[2:3]
.LBB55_341:
	s_or_b64 exec, exec, s[0:1]
	s_waitcnt lgkmcnt(0)
	; wave barrier
	scratch_load_dwordx4 v[6:9], off, off offset:40
	scratch_load_dwordx4 v[14:17], off, off offset:56
	;; [unrolled: 1-line block ×10, first 2 shown]
	v_mov_b32_e32 v142, 0
	ds_read2_b64 v[2:5], v142 offset0:61 offset1:62
	ds_read2_b64 v[156:159], v142 offset0:97 offset1:98
	scratch_load_dwordx4 v[86:89], off, off offset:200
	scratch_load_dwordx4 v[94:97], off, off offset:216
	;; [unrolled: 1-line block ×12, first 2 shown]
	v_cmp_lt_u32_e32 vcc, 3, v0
	ds_read2_b64 v[164:167], v142 offset0:99 offset1:100
	ds_read2_b64 v[172:175], v142 offset0:101 offset1:102
	;; [unrolled: 1-line block ×3, first 2 shown]
	s_waitcnt vmcnt(21) lgkmcnt(4)
	v_mul_f32_e32 v10, v2, v7
	v_fmac_f32_e32 v10, v3, v6
	v_mul_f32_e32 v11, v4, v9
	v_add_f32_e32 v10, 0, v10
	v_fmac_f32_e32 v11, v5, v8
	v_add_f32_e32 v18, v10, v11
	ds_read2_b64 v[10:13], v142 offset0:63 offset1:64
	v_mul_f32_e32 v3, v3, v7
	v_fma_f32 v2, v2, v6, -v3
	v_mul_f32_e32 v3, v5, v9
	v_add_f32_e32 v2, 0, v2
	s_waitcnt vmcnt(20) lgkmcnt(0)
	v_mul_f32_e32 v19, v10, v15
	v_fmac_f32_e32 v19, v11, v14
	v_add_f32_e32 v18, v18, v19
	v_mul_f32_e32 v19, v12, v17
	v_fmac_f32_e32 v19, v13, v16
	v_add_f32_e32 v26, v18, v19
	ds_read2_b64 v[18:21], v142 offset0:65 offset1:66
	v_fma_f32 v3, v4, v8, -v3
	v_add_f32_e32 v2, v2, v3
	v_mul_f32_e32 v3, v11, v15
	v_fma_f32 v3, v10, v14, -v3
	s_waitcnt vmcnt(19) lgkmcnt(0)
	v_mul_f32_e32 v27, v18, v23
	v_fmac_f32_e32 v27, v19, v22
	v_add_f32_e32 v26, v26, v27
	v_mul_f32_e32 v27, v20, v25
	v_fmac_f32_e32 v27, v21, v24
	v_add_f32_e32 v34, v26, v27
	ds_read2_b64 v[26:29], v142 offset0:67 offset1:68
	v_add_f32_e32 v2, v2, v3
	v_mul_f32_e32 v3, v13, v17
	v_fma_f32 v3, v12, v16, -v3
	v_add_f32_e32 v2, v2, v3
	s_waitcnt vmcnt(18) lgkmcnt(0)
	v_mul_f32_e32 v35, v26, v31
	v_fmac_f32_e32 v35, v27, v30
	v_add_f32_e32 v34, v34, v35
	v_mul_f32_e32 v35, v28, v33
	v_fmac_f32_e32 v35, v29, v32
	v_add_f32_e32 v42, v34, v35
	ds_read2_b64 v[34:37], v142 offset0:69 offset1:70
	v_mul_f32_e32 v3, v19, v23
	v_fma_f32 v3, v18, v22, -v3
	v_add_f32_e32 v2, v2, v3
	v_mul_f32_e32 v3, v21, v25
	s_waitcnt vmcnt(17) lgkmcnt(0)
	v_mul_f32_e32 v43, v34, v39
	v_fmac_f32_e32 v43, v35, v38
	v_add_f32_e32 v42, v42, v43
	v_mul_f32_e32 v43, v36, v41
	v_fmac_f32_e32 v43, v37, v40
	v_add_f32_e32 v50, v42, v43
	ds_read2_b64 v[42:45], v142 offset0:71 offset1:72
	v_fma_f32 v3, v20, v24, -v3
	v_add_f32_e32 v2, v2, v3
	v_mul_f32_e32 v3, v27, v31
	v_fma_f32 v3, v26, v30, -v3
	s_waitcnt vmcnt(16) lgkmcnt(0)
	v_mul_f32_e32 v51, v42, v47
	v_fmac_f32_e32 v51, v43, v46
	v_add_f32_e32 v50, v50, v51
	v_mul_f32_e32 v51, v44, v49
	v_fmac_f32_e32 v51, v45, v48
	v_add_f32_e32 v58, v50, v51
	ds_read2_b64 v[50:53], v142 offset0:73 offset1:74
	v_add_f32_e32 v2, v2, v3
	v_mul_f32_e32 v3, v29, v33
	v_fma_f32 v3, v28, v32, -v3
	v_add_f32_e32 v2, v2, v3
	s_waitcnt vmcnt(15) lgkmcnt(0)
	v_mul_f32_e32 v59, v50, v55
	v_fmac_f32_e32 v59, v51, v54
	v_add_f32_e32 v58, v58, v59
	v_mul_f32_e32 v59, v52, v57
	v_fmac_f32_e32 v59, v53, v56
	v_add_f32_e32 v66, v58, v59
	ds_read2_b64 v[58:61], v142 offset0:75 offset1:76
	v_mul_f32_e32 v3, v35, v39
	v_fma_f32 v3, v34, v38, -v3
	v_add_f32_e32 v2, v2, v3
	v_mul_f32_e32 v3, v37, v41
	;; [unrolled: 36-line block ×5, first 2 shown]
	s_waitcnt vmcnt(5) lgkmcnt(0)
	v_mul_f32_e32 v139, v130, v135
	v_fmac_f32_e32 v139, v131, v134
	v_add_f32_e32 v138, v138, v139
	v_mul_f32_e32 v139, v132, v137
	v_fmac_f32_e32 v139, v133, v136
	v_add_f32_e32 v143, v138, v139
	ds_read2_b64 v[138:141], v142 offset0:95 offset1:96
	scratch_load_dwordx4 v[188:191], off, off offset:392
	scratch_load_dwordx4 v[192:195], off, off offset:408
	;; [unrolled: 1-line block ×3, first 2 shown]
	scratch_load_dwordx2 v[204:205], off, off offset:440
	v_fma_f32 v3, v84, v88, -v3
	v_add_f32_e32 v2, v2, v3
	v_mul_f32_e32 v3, v91, v95
	v_fma_f32 v3, v90, v94, -v3
	v_add_f32_e32 v2, v2, v3
	v_mul_f32_e32 v3, v93, v97
	;; [unrolled: 3-line block ×12, first 2 shown]
	v_fma_f32 v3, v132, v136, -v3
	s_waitcnt vmcnt(8) lgkmcnt(0)
	v_mul_f32_e32 v148, v138, v145
	v_add_f32_e32 v2, v2, v3
	v_mul_f32_e32 v3, v139, v145
	v_fmac_f32_e32 v148, v139, v144
	v_fma_f32 v3, v138, v144, -v3
	v_add_f32_e32 v143, v143, v148
	v_mul_f32_e32 v148, v140, v147
	v_add_f32_e32 v2, v2, v3
	v_mul_f32_e32 v3, v141, v147
	v_fmac_f32_e32 v148, v141, v146
	v_fma_f32 v3, v140, v146, -v3
	v_add_f32_e32 v143, v143, v148
	s_waitcnt vmcnt(7)
	v_mul_f32_e32 v148, v156, v161
	v_add_f32_e32 v2, v2, v3
	v_mul_f32_e32 v3, v157, v161
	v_fmac_f32_e32 v148, v157, v160
	v_fma_f32 v3, v156, v160, -v3
	v_add_f32_e32 v143, v143, v148
	v_mul_f32_e32 v148, v158, v163
	v_add_f32_e32 v2, v2, v3
	v_mul_f32_e32 v3, v159, v163
	v_fmac_f32_e32 v148, v159, v162
	v_fma_f32 v3, v158, v162, -v3
	v_add_f32_e32 v143, v143, v148
	s_waitcnt vmcnt(6)
	;; [unrolled: 13-line block ×3, first 2 shown]
	v_mul_f32_e32 v148, v172, v177
	v_add_f32_e32 v2, v2, v3
	v_mul_f32_e32 v3, v173, v177
	v_fmac_f32_e32 v148, v173, v176
	v_fma_f32 v3, v172, v176, -v3
	v_add_f32_e32 v149, v143, v148
	v_add_f32_e32 v148, v2, v3
	v_mul_f32_e32 v2, v175, v179
	v_mul_f32_e32 v201, v174, v179
	v_fma_f32 v200, v174, v178, -v2
	s_waitcnt vmcnt(4)
	v_mul_f32_e32 v2, v181, v185
	v_mov_b32_e32 v18, v187
	v_fmac_f32_e32 v201, v175, v178
	v_mul_f32_e32 v203, v180, v185
	v_fma_f32 v202, v180, v184, -v2
	ds_read2_b64 v[2:5], v142 offset0:105 offset1:106
	ds_read2_b64 v[6:9], v142 offset0:107 offset1:108
	;; [unrolled: 1-line block ×3, first 2 shown]
	ds_read_b64 v[14:15], v142 offset:888
	v_pk_mul_f32 v[18:19], v[182:183], v[18:19] op_sel:[1,0] op_sel_hi:[0,0]
	v_fmac_f32_e32 v203, v181, v184
	v_pk_add_f32 v[16:17], v[148:149], v[200:201]
	v_pk_fma_f32 v[20:21], v[182:183], v[186:187], v[18:19] neg_lo:[0,0,1] neg_hi:[0,0,1]
	v_pk_fma_f32 v[18:19], v[182:183], v[186:187], v[18:19] op_sel_hi:[1,0,1]
	v_pk_add_f32 v[16:17], v[16:17], v[202:203]
	v_mov_b32_e32 v21, v19
	s_waitcnt vmcnt(3) lgkmcnt(3)
	v_pk_mul_f32 v[18:19], v[2:3], v[188:189] op_sel:[1,1] op_sel_hi:[0,1]
	v_pk_add_f32 v[16:17], v[16:17], v[20:21]
	v_pk_fma_f32 v[20:21], v[2:3], v[188:189], v[18:19] neg_lo:[0,0,1] neg_hi:[0,0,1]
	v_pk_fma_f32 v[2:3], v[2:3], v[188:189], v[18:19] op_sel_hi:[1,0,1]
	s_nop 0
	v_mov_b32_e32 v21, v3
	v_pk_add_f32 v[2:3], v[16:17], v[20:21]
	v_mov_b32_e32 v16, v191
	v_pk_mul_f32 v[16:17], v[4:5], v[16:17] op_sel:[1,0] op_sel_hi:[0,0]
	v_pk_fma_f32 v[18:19], v[4:5], v[190:191], v[16:17] neg_lo:[0,0,1] neg_hi:[0,0,1]
	v_pk_fma_f32 v[4:5], v[4:5], v[190:191], v[16:17] op_sel_hi:[1,0,1]
	s_nop 0
	v_mov_b32_e32 v19, v5
	s_waitcnt vmcnt(2) lgkmcnt(2)
	v_pk_mul_f32 v[4:5], v[6:7], v[192:193] op_sel:[1,1] op_sel_hi:[0,1]
	v_pk_fma_f32 v[16:17], v[6:7], v[192:193], v[4:5] neg_lo:[0,0,1] neg_hi:[0,0,1]
	v_pk_fma_f32 v[4:5], v[6:7], v[192:193], v[4:5] op_sel_hi:[1,0,1]
	v_pk_add_f32 v[2:3], v[2:3], v[18:19]
	v_mov_b32_e32 v4, v195
	v_mov_b32_e32 v17, v5
	v_pk_mul_f32 v[4:5], v[8:9], v[4:5] op_sel:[1,0] op_sel_hi:[0,0]
	v_pk_fma_f32 v[6:7], v[8:9], v[194:195], v[4:5] neg_lo:[0,0,1] neg_hi:[0,0,1]
	v_pk_fma_f32 v[4:5], v[8:9], v[194:195], v[4:5] op_sel_hi:[1,0,1]
	v_pk_add_f32 v[2:3], v[2:3], v[16:17]
	v_mov_b32_e32 v7, v5
	s_waitcnt vmcnt(1) lgkmcnt(1)
	v_pk_mul_f32 v[4:5], v[10:11], v[196:197] op_sel:[1,1] op_sel_hi:[0,1]
	v_pk_add_f32 v[2:3], v[2:3], v[6:7]
	v_pk_fma_f32 v[6:7], v[10:11], v[196:197], v[4:5] neg_lo:[0,0,1] neg_hi:[0,0,1]
	v_pk_fma_f32 v[4:5], v[10:11], v[196:197], v[4:5] op_sel_hi:[1,0,1]
	s_nop 0
	v_mov_b32_e32 v4, v199
	v_mov_b32_e32 v7, v5
	v_pk_mul_f32 v[4:5], v[12:13], v[4:5] op_sel:[1,0] op_sel_hi:[0,0]
	v_pk_add_f32 v[2:3], v[2:3], v[6:7]
	v_pk_fma_f32 v[6:7], v[12:13], v[198:199], v[4:5] neg_lo:[0,0,1] neg_hi:[0,0,1]
	v_pk_fma_f32 v[4:5], v[12:13], v[198:199], v[4:5] op_sel_hi:[1,0,1]
	s_nop 0
	v_mov_b32_e32 v7, v5
	s_waitcnt vmcnt(0) lgkmcnt(0)
	v_pk_mul_f32 v[4:5], v[14:15], v[204:205] op_sel:[1,1] op_sel_hi:[0,1]
	v_pk_add_f32 v[2:3], v[2:3], v[6:7]
	v_pk_fma_f32 v[6:7], v[14:15], v[204:205], v[4:5] neg_lo:[0,0,1] neg_hi:[0,0,1]
	v_pk_fma_f32 v[4:5], v[14:15], v[204:205], v[4:5] op_sel_hi:[1,0,1]
	s_nop 0
	v_mov_b32_e32 v7, v5
	scratch_load_dwordx2 v[4:5], off, off offset:32
	v_pk_add_f32 v[2:3], v[2:3], v[6:7]
	s_waitcnt vmcnt(0)
	v_pk_add_f32 v[2:3], v[4:5], v[2:3] neg_lo:[0,1] neg_hi:[0,1]
	scratch_store_dwordx2 off, v[2:3], off offset:32
	s_and_saveexec_b64 s[0:1], vcc
	s_cbranch_execz .LBB55_343
; %bb.342:
	scratch_load_dwordx2 v[2:3], off, off offset:24
	v_mov_b32_e32 v143, v142
	scratch_store_dwordx2 off, v[142:143], off offset:24
	s_waitcnt vmcnt(1)
	ds_write_b64 v1, v[2:3]
.LBB55_343:
	s_or_b64 exec, exec, s[0:1]
	s_waitcnt lgkmcnt(0)
	; wave barrier
	ds_read_b128 v[14:17], v142 offset:480
	ds_read_b128 v[10:13], v142 offset:496
	ds_read_b128 v[6:9], v142 offset:512
	ds_read_b128 v[2:5], v142 offset:528
	scratch_load_dwordx4 v[18:21], off, off offset:32
	scratch_load_dwordx4 v[38:41], off, off offset:96
	;; [unrolled: 1-line block ×16, first 2 shown]
	v_cmp_lt_u32_e32 vcc, 2, v0
	scratch_load_dwordx4 v[46:49], off, off offset:112
	scratch_load_dwordx4 v[54:57], off, off offset:128
	;; [unrolled: 1-line block ×3, first 2 shown]
	ds_read_b128 v[156:159], v142 offset:768
	ds_read_b128 v[164:167], v142 offset:784
	;; [unrolled: 1-line block ×4, first 2 shown]
	s_waitcnt vmcnt(18) lgkmcnt(7)
	v_mul_f32_e32 v22, v14, v19
	v_fmac_f32_e32 v22, v15, v18
	v_mul_f32_e32 v23, v16, v21
	v_add_f32_e32 v22, 0, v22
	v_fmac_f32_e32 v23, v17, v20
	v_add_f32_e32 v26, v22, v23
	scratch_load_dwordx4 v[22:25], off, off offset:48
	v_mul_f32_e32 v15, v15, v19
	v_fma_f32 v14, v14, v18, -v15
	v_mul_f32_e32 v15, v17, v21
	v_add_f32_e32 v14, 0, v14
	v_fma_f32 v15, v16, v20, -v15
	v_add_f32_e32 v14, v14, v15
	s_waitcnt vmcnt(4) lgkmcnt(0)
	v_mul_f32_e32 v205, v180, v185
	v_mul_f32_e32 v207, v182, v187
	v_fmac_f32_e32 v205, v181, v184
	v_fmac_f32_e32 v207, v183, v186
	s_waitcnt vmcnt(0)
	v_mul_f32_e32 v27, v10, v23
	v_fmac_f32_e32 v27, v11, v22
	v_add_f32_e32 v26, v26, v27
	v_mul_f32_e32 v27, v12, v25
	v_fmac_f32_e32 v27, v13, v24
	v_add_f32_e32 v30, v26, v27
	scratch_load_dwordx4 v[26:29], off, off offset:64
	v_mul_f32_e32 v11, v11, v23
	v_fma_f32 v10, v10, v22, -v11
	v_mul_f32_e32 v11, v13, v25
	v_add_f32_e32 v10, v14, v10
	v_fma_f32 v11, v12, v24, -v11
	v_add_f32_e32 v10, v10, v11
	s_waitcnt vmcnt(0)
	v_mul_f32_e32 v31, v6, v27
	v_fmac_f32_e32 v31, v7, v26
	v_add_f32_e32 v30, v30, v31
	v_mul_f32_e32 v31, v8, v29
	v_fmac_f32_e32 v31, v9, v28
	v_add_f32_e32 v34, v30, v31
	scratch_load_dwordx4 v[30:33], off, off offset:80
	v_mul_f32_e32 v7, v7, v27
	v_fma_f32 v6, v6, v26, -v7
	v_mul_f32_e32 v7, v9, v29
	v_add_f32_e32 v6, v10, v6
	v_fma_f32 v7, v8, v28, -v7
	v_add_f32_e32 v6, v6, v7
	s_waitcnt vmcnt(0)
	v_mul_f32_e32 v35, v2, v31
	v_fmac_f32_e32 v35, v3, v30
	v_add_f32_e32 v34, v34, v35
	v_mul_f32_e32 v35, v4, v33
	v_fmac_f32_e32 v35, v5, v32
	v_add_f32_e32 v42, v34, v35
	ds_read_b128 v[34:37], v142 offset:544
	v_mul_f32_e32 v3, v3, v31
	v_fma_f32 v2, v2, v30, -v3
	v_mul_f32_e32 v3, v5, v33
	v_add_f32_e32 v2, v6, v2
	s_waitcnt lgkmcnt(0)
	v_mul_f32_e32 v43, v34, v39
	v_fmac_f32_e32 v43, v35, v38
	v_add_f32_e32 v42, v42, v43
	v_mul_f32_e32 v43, v36, v41
	v_fmac_f32_e32 v43, v37, v40
	v_add_f32_e32 v50, v42, v43
	ds_read_b128 v[42:45], v142 offset:560
	v_fma_f32 v3, v4, v32, -v3
	v_add_f32_e32 v2, v2, v3
	v_mul_f32_e32 v3, v35, v39
	v_fma_f32 v3, v34, v38, -v3
	s_waitcnt lgkmcnt(0)
	v_mul_f32_e32 v51, v42, v47
	v_fmac_f32_e32 v51, v43, v46
	v_add_f32_e32 v50, v50, v51
	v_mul_f32_e32 v51, v44, v49
	v_fmac_f32_e32 v51, v45, v48
	v_add_f32_e32 v58, v50, v51
	ds_read_b128 v[50:53], v142 offset:576
	v_add_f32_e32 v2, v2, v3
	v_mul_f32_e32 v3, v37, v41
	v_fma_f32 v3, v36, v40, -v3
	v_add_f32_e32 v2, v2, v3
	s_waitcnt lgkmcnt(0)
	v_mul_f32_e32 v59, v50, v55
	v_fmac_f32_e32 v59, v51, v54
	v_add_f32_e32 v58, v58, v59
	v_mul_f32_e32 v59, v52, v57
	v_fmac_f32_e32 v59, v53, v56
	v_add_f32_e32 v66, v58, v59
	ds_read_b128 v[58:61], v142 offset:592
	v_mul_f32_e32 v3, v43, v47
	v_fma_f32 v3, v42, v46, -v3
	v_add_f32_e32 v2, v2, v3
	v_mul_f32_e32 v3, v45, v49
	s_waitcnt lgkmcnt(0)
	v_mul_f32_e32 v67, v58, v63
	v_fmac_f32_e32 v67, v59, v62
	v_add_f32_e32 v66, v66, v67
	v_mul_f32_e32 v67, v60, v65
	v_fmac_f32_e32 v67, v61, v64
	v_add_f32_e32 v74, v66, v67
	ds_read_b128 v[66:69], v142 offset:608
	v_fma_f32 v3, v44, v48, -v3
	v_add_f32_e32 v2, v2, v3
	v_mul_f32_e32 v3, v51, v55
	v_fma_f32 v3, v50, v54, -v3
	s_waitcnt lgkmcnt(0)
	v_mul_f32_e32 v75, v66, v71
	v_fmac_f32_e32 v75, v67, v70
	v_add_f32_e32 v74, v74, v75
	v_mul_f32_e32 v75, v68, v73
	v_fmac_f32_e32 v75, v69, v72
	v_add_f32_e32 v82, v74, v75
	ds_read_b128 v[74:77], v142 offset:624
	v_add_f32_e32 v2, v2, v3
	v_mul_f32_e32 v3, v53, v57
	v_fma_f32 v3, v52, v56, -v3
	v_add_f32_e32 v2, v2, v3
	s_waitcnt lgkmcnt(0)
	v_mul_f32_e32 v83, v74, v79
	v_fmac_f32_e32 v83, v75, v78
	v_add_f32_e32 v82, v82, v83
	v_mul_f32_e32 v83, v76, v81
	v_fmac_f32_e32 v83, v77, v80
	v_add_f32_e32 v90, v82, v83
	ds_read_b128 v[82:85], v142 offset:640
	v_mul_f32_e32 v3, v59, v63
	v_fma_f32 v3, v58, v62, -v3
	v_add_f32_e32 v2, v2, v3
	v_mul_f32_e32 v3, v61, v65
	;; [unrolled: 36-line block ×4, first 2 shown]
	s_waitcnt lgkmcnt(0)
	v_mul_f32_e32 v139, v130, v135
	v_fmac_f32_e32 v139, v131, v134
	v_add_f32_e32 v138, v138, v139
	v_mul_f32_e32 v139, v132, v137
	v_fmac_f32_e32 v139, v133, v136
	v_add_f32_e32 v143, v138, v139
	ds_read_b128 v[138:141], v142 offset:752
	scratch_load_dwordx4 v[188:191], off, off offset:384
	scratch_load_dwordx4 v[192:195], off, off offset:400
	;; [unrolled: 1-line block ×4, first 2 shown]
	v_fma_f32 v3, v92, v96, -v3
	v_add_f32_e32 v2, v2, v3
	v_mul_f32_e32 v3, v99, v103
	v_fma_f32 v3, v98, v102, -v3
	v_add_f32_e32 v2, v2, v3
	v_mul_f32_e32 v3, v101, v105
	;; [unrolled: 3-line block ×10, first 2 shown]
	v_fma_f32 v3, v132, v136, -v3
	s_waitcnt lgkmcnt(0)
	v_mul_f32_e32 v148, v138, v145
	v_add_f32_e32 v2, v2, v3
	v_mul_f32_e32 v3, v139, v145
	v_fmac_f32_e32 v148, v139, v144
	v_fma_f32 v3, v138, v144, -v3
	v_add_f32_e32 v143, v143, v148
	v_mul_f32_e32 v148, v140, v147
	v_add_f32_e32 v2, v2, v3
	v_mul_f32_e32 v3, v141, v147
	v_fmac_f32_e32 v148, v141, v146
	v_fma_f32 v3, v140, v146, -v3
	v_add_f32_e32 v143, v143, v148
	;; [unrolled: 6-line block ×8, first 2 shown]
	v_add_f32_e32 v148, v2, v3
	v_mul_f32_e32 v2, v181, v185
	v_fma_f32 v204, v180, v184, -v2
	v_mul_f32_e32 v2, v183, v187
	v_fma_f32 v206, v182, v186, -v2
	ds_read_b128 v[2:5], v142 offset:832
	ds_read_b128 v[6:9], v142 offset:848
	ds_read_b128 v[10:13], v142 offset:864
	ds_read_b128 v[14:17], v142 offset:880
	v_pk_add_f32 v[18:19], v[148:149], v[204:205]
	s_waitcnt vmcnt(3) lgkmcnt(3)
	v_pk_mul_f32 v[20:21], v[2:3], v[188:189] op_sel:[1,1] op_sel_hi:[0,1]
	v_pk_fma_f32 v[22:23], v[2:3], v[188:189], v[20:21] neg_lo:[0,0,1] neg_hi:[0,0,1]
	v_pk_fma_f32 v[2:3], v[2:3], v[188:189], v[20:21] op_sel_hi:[1,0,1]
	v_pk_add_f32 v[18:19], v[18:19], v[206:207]
	v_mov_b32_e32 v23, v3
	v_pk_add_f32 v[2:3], v[18:19], v[22:23]
	v_mov_b32_e32 v18, v191
	v_pk_mul_f32 v[18:19], v[4:5], v[18:19] op_sel:[1,0] op_sel_hi:[0,0]
	v_pk_fma_f32 v[20:21], v[4:5], v[190:191], v[18:19] neg_lo:[0,0,1] neg_hi:[0,0,1]
	v_pk_fma_f32 v[4:5], v[4:5], v[190:191], v[18:19] op_sel_hi:[1,0,1]
	s_nop 0
	v_mov_b32_e32 v21, v5
	s_waitcnt vmcnt(2) lgkmcnt(2)
	v_pk_mul_f32 v[4:5], v[6:7], v[192:193] op_sel:[1,1] op_sel_hi:[0,1]
	v_pk_fma_f32 v[18:19], v[6:7], v[192:193], v[4:5] neg_lo:[0,0,1] neg_hi:[0,0,1]
	v_pk_fma_f32 v[4:5], v[6:7], v[192:193], v[4:5] op_sel_hi:[1,0,1]
	v_pk_add_f32 v[2:3], v[2:3], v[20:21]
	v_mov_b32_e32 v4, v195
	v_mov_b32_e32 v19, v5
	v_pk_mul_f32 v[4:5], v[8:9], v[4:5] op_sel:[1,0] op_sel_hi:[0,0]
	v_pk_fma_f32 v[6:7], v[8:9], v[194:195], v[4:5] neg_lo:[0,0,1] neg_hi:[0,0,1]
	v_pk_fma_f32 v[4:5], v[8:9], v[194:195], v[4:5] op_sel_hi:[1,0,1]
	v_pk_add_f32 v[2:3], v[2:3], v[18:19]
	v_mov_b32_e32 v7, v5
	s_waitcnt vmcnt(1) lgkmcnt(1)
	v_pk_mul_f32 v[4:5], v[10:11], v[196:197] op_sel:[1,1] op_sel_hi:[0,1]
	v_pk_add_f32 v[2:3], v[2:3], v[6:7]
	v_pk_fma_f32 v[6:7], v[10:11], v[196:197], v[4:5] neg_lo:[0,0,1] neg_hi:[0,0,1]
	v_pk_fma_f32 v[4:5], v[10:11], v[196:197], v[4:5] op_sel_hi:[1,0,1]
	s_nop 0
	v_mov_b32_e32 v4, v199
	v_mov_b32_e32 v7, v5
	v_pk_mul_f32 v[4:5], v[12:13], v[4:5] op_sel:[1,0] op_sel_hi:[0,0]
	v_pk_add_f32 v[2:3], v[2:3], v[6:7]
	v_pk_fma_f32 v[6:7], v[12:13], v[198:199], v[4:5] neg_lo:[0,0,1] neg_hi:[0,0,1]
	v_pk_fma_f32 v[4:5], v[12:13], v[198:199], v[4:5] op_sel_hi:[1,0,1]
	s_nop 0
	v_mov_b32_e32 v7, v5
	s_waitcnt vmcnt(0) lgkmcnt(0)
	v_pk_mul_f32 v[4:5], v[14:15], v[200:201] op_sel:[1,1] op_sel_hi:[0,1]
	v_pk_add_f32 v[2:3], v[2:3], v[6:7]
	v_pk_fma_f32 v[6:7], v[14:15], v[200:201], v[4:5] neg_lo:[0,0,1] neg_hi:[0,0,1]
	v_pk_fma_f32 v[4:5], v[14:15], v[200:201], v[4:5] op_sel_hi:[1,0,1]
	s_nop 0
	v_mov_b32_e32 v4, v203
	v_mov_b32_e32 v7, v5
	v_pk_mul_f32 v[4:5], v[16:17], v[4:5] op_sel:[1,0] op_sel_hi:[0,0]
	v_pk_add_f32 v[2:3], v[2:3], v[6:7]
	v_pk_fma_f32 v[6:7], v[16:17], v[202:203], v[4:5] neg_lo:[0,0,1] neg_hi:[0,0,1]
	v_pk_fma_f32 v[4:5], v[16:17], v[202:203], v[4:5] op_sel_hi:[1,0,1]
	s_nop 0
	v_mov_b32_e32 v7, v5
	scratch_load_dwordx2 v[4:5], off, off offset:24
	v_pk_add_f32 v[2:3], v[2:3], v[6:7]
	s_waitcnt vmcnt(0)
	v_pk_add_f32 v[2:3], v[4:5], v[2:3] neg_lo:[0,1] neg_hi:[0,1]
	scratch_store_dwordx2 off, v[2:3], off offset:24
	s_and_saveexec_b64 s[0:1], vcc
	s_cbranch_execz .LBB55_345
; %bb.344:
	scratch_load_dwordx2 v[2:3], off, off offset:16
	v_mov_b32_e32 v4, 0
	v_mov_b32_e32 v5, v4
	scratch_store_dwordx2 off, v[4:5], off offset:16
	s_waitcnt vmcnt(1)
	ds_write_b64 v1, v[2:3]
.LBB55_345:
	s_or_b64 exec, exec, s[0:1]
	s_waitcnt lgkmcnt(0)
	; wave barrier
	scratch_load_dwordx4 v[6:9], off, off offset:24
	scratch_load_dwordx4 v[14:17], off, off offset:40
	;; [unrolled: 1-line block ×10, first 2 shown]
	v_mov_b32_e32 v156, 0
	ds_read2_b64 v[2:5], v156 offset0:59 offset1:60
	scratch_load_dwordx4 v[86:89], off, off offset:184
	scratch_load_dwordx4 v[94:97], off, off offset:200
	;; [unrolled: 1-line block ×13, first 2 shown]
	v_cmp_lt_u32_e32 vcc, 1, v0
	s_waitcnt vmcnt(22) lgkmcnt(0)
	v_mul_f32_e32 v10, v2, v7
	v_fmac_f32_e32 v10, v3, v6
	v_mul_f32_e32 v11, v4, v9
	v_add_f32_e32 v10, 0, v10
	v_fmac_f32_e32 v11, v5, v8
	v_add_f32_e32 v18, v10, v11
	ds_read2_b64 v[10:13], v156 offset0:61 offset1:62
	v_mul_f32_e32 v3, v3, v7
	v_fma_f32 v2, v2, v6, -v3
	v_mul_f32_e32 v3, v5, v9
	v_add_f32_e32 v2, 0, v2
	s_waitcnt vmcnt(21) lgkmcnt(0)
	v_mul_f32_e32 v19, v10, v15
	v_fmac_f32_e32 v19, v11, v14
	v_add_f32_e32 v18, v18, v19
	v_mul_f32_e32 v19, v12, v17
	v_fmac_f32_e32 v19, v13, v16
	v_add_f32_e32 v26, v18, v19
	ds_read2_b64 v[18:21], v156 offset0:63 offset1:64
	v_fma_f32 v3, v4, v8, -v3
	v_add_f32_e32 v2, v2, v3
	v_mul_f32_e32 v3, v11, v15
	v_fma_f32 v3, v10, v14, -v3
	s_waitcnt vmcnt(20) lgkmcnt(0)
	v_mul_f32_e32 v27, v18, v23
	v_fmac_f32_e32 v27, v19, v22
	v_add_f32_e32 v26, v26, v27
	v_mul_f32_e32 v27, v20, v25
	v_fmac_f32_e32 v27, v21, v24
	v_add_f32_e32 v34, v26, v27
	ds_read2_b64 v[26:29], v156 offset0:65 offset1:66
	v_add_f32_e32 v2, v2, v3
	v_mul_f32_e32 v3, v13, v17
	v_fma_f32 v3, v12, v16, -v3
	v_add_f32_e32 v2, v2, v3
	s_waitcnt vmcnt(19) lgkmcnt(0)
	v_mul_f32_e32 v35, v26, v31
	v_fmac_f32_e32 v35, v27, v30
	v_add_f32_e32 v34, v34, v35
	v_mul_f32_e32 v35, v28, v33
	v_fmac_f32_e32 v35, v29, v32
	v_add_f32_e32 v42, v34, v35
	ds_read2_b64 v[34:37], v156 offset0:67 offset1:68
	v_mul_f32_e32 v3, v19, v23
	v_fma_f32 v3, v18, v22, -v3
	v_add_f32_e32 v2, v2, v3
	v_mul_f32_e32 v3, v21, v25
	s_waitcnt vmcnt(18) lgkmcnt(0)
	v_mul_f32_e32 v43, v34, v39
	v_fmac_f32_e32 v43, v35, v38
	v_add_f32_e32 v42, v42, v43
	v_mul_f32_e32 v43, v36, v41
	v_fmac_f32_e32 v43, v37, v40
	v_add_f32_e32 v50, v42, v43
	ds_read2_b64 v[42:45], v156 offset0:69 offset1:70
	v_fma_f32 v3, v20, v24, -v3
	v_add_f32_e32 v2, v2, v3
	v_mul_f32_e32 v3, v27, v31
	v_fma_f32 v3, v26, v30, -v3
	s_waitcnt vmcnt(17) lgkmcnt(0)
	v_mul_f32_e32 v51, v42, v47
	v_fmac_f32_e32 v51, v43, v46
	v_add_f32_e32 v50, v50, v51
	v_mul_f32_e32 v51, v44, v49
	v_fmac_f32_e32 v51, v45, v48
	v_add_f32_e32 v58, v50, v51
	ds_read2_b64 v[50:53], v156 offset0:71 offset1:72
	v_add_f32_e32 v2, v2, v3
	v_mul_f32_e32 v3, v29, v33
	v_fma_f32 v3, v28, v32, -v3
	v_add_f32_e32 v2, v2, v3
	s_waitcnt vmcnt(16) lgkmcnt(0)
	v_mul_f32_e32 v59, v50, v55
	v_fmac_f32_e32 v59, v51, v54
	v_add_f32_e32 v58, v58, v59
	v_mul_f32_e32 v59, v52, v57
	v_fmac_f32_e32 v59, v53, v56
	v_add_f32_e32 v66, v58, v59
	ds_read2_b64 v[58:61], v156 offset0:73 offset1:74
	v_mul_f32_e32 v3, v35, v39
	v_fma_f32 v3, v34, v38, -v3
	v_add_f32_e32 v2, v2, v3
	v_mul_f32_e32 v3, v37, v41
	;; [unrolled: 36-line block ×6, first 2 shown]
	s_waitcnt vmcnt(3) lgkmcnt(0)
	v_mul_f32_e32 v170, v162, v167
	v_fmac_f32_e32 v170, v163, v166
	v_add_f32_e32 v157, v157, v170
	v_mul_f32_e32 v170, v164, v169
	v_fmac_f32_e32 v170, v165, v168
	v_add_f32_e32 v157, v157, v170
	ds_read2_b64 v[170:173], v156 offset0:99 offset1:100
	v_fma_f32 v3, v100, v104, -v3
	v_add_f32_e32 v2, v2, v3
	v_mul_f32_e32 v3, v107, v111
	v_fma_f32 v3, v106, v110, -v3
	s_waitcnt vmcnt(2) lgkmcnt(0)
	v_mul_f32_e32 v178, v170, v175
	v_fmac_f32_e32 v178, v171, v174
	v_add_f32_e32 v157, v157, v178
	v_mul_f32_e32 v178, v172, v177
	v_fmac_f32_e32 v178, v173, v176
	v_add_f32_e32 v157, v157, v178
	ds_read2_b64 v[178:181], v156 offset0:101 offset1:102
	v_add_f32_e32 v2, v2, v3
	v_mul_f32_e32 v3, v109, v113
	v_fma_f32 v3, v108, v112, -v3
	v_add_f32_e32 v2, v2, v3
	s_waitcnt vmcnt(1) lgkmcnt(0)
	v_mul_f32_e32 v186, v178, v183
	v_fmac_f32_e32 v186, v179, v182
	v_add_f32_e32 v207, v157, v186
	ds_read2_b64 v[186:189], v156 offset0:103 offset1:104
	scratch_load_dwordx4 v[194:197], off, off offset:392
	scratch_load_dwordx4 v[198:201], off, off offset:408
	;; [unrolled: 1-line block ×3, first 2 shown]
	scratch_load_dwordx2 v[212:213], off, off offset:440
	v_mul_f32_e32 v3, v115, v119
	v_fma_f32 v3, v114, v118, -v3
	v_add_f32_e32 v2, v2, v3
	v_mul_f32_e32 v3, v117, v121
	v_fma_f32 v3, v116, v120, -v3
	v_add_f32_e32 v2, v2, v3
	;; [unrolled: 3-line block ×15, first 2 shown]
	v_mul_f32_e32 v2, v181, v185
	v_mul_f32_e32 v209, v180, v185
	v_fma_f32 v208, v180, v184, -v2
	s_waitcnt vmcnt(4) lgkmcnt(0)
	v_mul_f32_e32 v2, v187, v191
	v_mov_b32_e32 v18, v193
	v_fmac_f32_e32 v209, v181, v184
	v_mul_f32_e32 v211, v186, v191
	v_fma_f32 v210, v186, v190, -v2
	ds_read2_b64 v[2:5], v156 offset0:105 offset1:106
	ds_read2_b64 v[6:9], v156 offset0:107 offset1:108
	;; [unrolled: 1-line block ×3, first 2 shown]
	ds_read_b64 v[14:15], v156 offset:888
	v_pk_mul_f32 v[18:19], v[188:189], v[18:19] op_sel:[1,0] op_sel_hi:[0,0]
	v_fmac_f32_e32 v211, v187, v190
	v_pk_add_f32 v[16:17], v[206:207], v[208:209]
	v_pk_fma_f32 v[20:21], v[188:189], v[192:193], v[18:19] neg_lo:[0,0,1] neg_hi:[0,0,1]
	v_pk_fma_f32 v[18:19], v[188:189], v[192:193], v[18:19] op_sel_hi:[1,0,1]
	v_pk_add_f32 v[16:17], v[16:17], v[210:211]
	v_mov_b32_e32 v21, v19
	v_pk_add_f32 v[16:17], v[16:17], v[20:21]
	s_waitcnt vmcnt(3) lgkmcnt(3)
	v_pk_mul_f32 v[18:19], v[2:3], v[194:195] op_sel:[1,1] op_sel_hi:[0,1]
	v_pk_fma_f32 v[20:21], v[2:3], v[194:195], v[18:19] neg_lo:[0,0,1] neg_hi:[0,0,1]
	v_pk_fma_f32 v[2:3], v[2:3], v[194:195], v[18:19] op_sel_hi:[1,0,1]
	s_nop 0
	v_mov_b32_e32 v21, v3
	v_pk_add_f32 v[2:3], v[16:17], v[20:21]
	v_mov_b32_e32 v16, v197
	v_pk_mul_f32 v[16:17], v[4:5], v[16:17] op_sel:[1,0] op_sel_hi:[0,0]
	v_pk_fma_f32 v[18:19], v[4:5], v[196:197], v[16:17] neg_lo:[0,0,1] neg_hi:[0,0,1]
	v_pk_fma_f32 v[4:5], v[4:5], v[196:197], v[16:17] op_sel_hi:[1,0,1]
	s_nop 0
	v_mov_b32_e32 v19, v5
	s_waitcnt vmcnt(2) lgkmcnt(2)
	v_pk_mul_f32 v[4:5], v[6:7], v[198:199] op_sel:[1,1] op_sel_hi:[0,1]
	v_pk_fma_f32 v[16:17], v[6:7], v[198:199], v[4:5] neg_lo:[0,0,1] neg_hi:[0,0,1]
	v_pk_fma_f32 v[4:5], v[6:7], v[198:199], v[4:5] op_sel_hi:[1,0,1]
	v_pk_add_f32 v[2:3], v[2:3], v[18:19]
	v_mov_b32_e32 v4, v201
	v_mov_b32_e32 v17, v5
	v_pk_mul_f32 v[4:5], v[8:9], v[4:5] op_sel:[1,0] op_sel_hi:[0,0]
	v_pk_fma_f32 v[6:7], v[8:9], v[200:201], v[4:5] neg_lo:[0,0,1] neg_hi:[0,0,1]
	v_pk_fma_f32 v[4:5], v[8:9], v[200:201], v[4:5] op_sel_hi:[1,0,1]
	v_pk_add_f32 v[2:3], v[2:3], v[16:17]
	v_mov_b32_e32 v7, v5
	s_waitcnt vmcnt(1) lgkmcnt(1)
	v_pk_mul_f32 v[4:5], v[10:11], v[202:203] op_sel:[1,1] op_sel_hi:[0,1]
	v_pk_add_f32 v[2:3], v[2:3], v[6:7]
	v_pk_fma_f32 v[6:7], v[10:11], v[202:203], v[4:5] neg_lo:[0,0,1] neg_hi:[0,0,1]
	v_pk_fma_f32 v[4:5], v[10:11], v[202:203], v[4:5] op_sel_hi:[1,0,1]
	s_nop 0
	v_mov_b32_e32 v4, v205
	v_mov_b32_e32 v7, v5
	v_pk_mul_f32 v[4:5], v[12:13], v[4:5] op_sel:[1,0] op_sel_hi:[0,0]
	v_pk_add_f32 v[2:3], v[2:3], v[6:7]
	v_pk_fma_f32 v[6:7], v[12:13], v[204:205], v[4:5] neg_lo:[0,0,1] neg_hi:[0,0,1]
	v_pk_fma_f32 v[4:5], v[12:13], v[204:205], v[4:5] op_sel_hi:[1,0,1]
	s_nop 0
	v_mov_b32_e32 v7, v5
	s_waitcnt vmcnt(0) lgkmcnt(0)
	v_pk_mul_f32 v[4:5], v[14:15], v[212:213] op_sel:[1,1] op_sel_hi:[0,1]
	v_pk_add_f32 v[2:3], v[2:3], v[6:7]
	v_pk_fma_f32 v[6:7], v[14:15], v[212:213], v[4:5] neg_lo:[0,0,1] neg_hi:[0,0,1]
	v_pk_fma_f32 v[4:5], v[14:15], v[212:213], v[4:5] op_sel_hi:[1,0,1]
	s_nop 0
	v_mov_b32_e32 v7, v5
	scratch_load_dwordx2 v[4:5], off, off offset:16
	v_pk_add_f32 v[2:3], v[2:3], v[6:7]
	s_waitcnt vmcnt(0)
	v_pk_add_f32 v[2:3], v[4:5], v[2:3] neg_lo:[0,1] neg_hi:[0,1]
	scratch_store_dwordx2 off, v[2:3], off offset:16
	s_and_saveexec_b64 s[0:1], vcc
	s_cbranch_execz .LBB55_347
; %bb.346:
	scratch_load_dwordx2 v[2:3], off, off offset:8
	v_mov_b32_e32 v157, v156
	scratch_store_dwordx2 off, v[156:157], off offset:8
	s_waitcnt vmcnt(1)
	ds_write_b64 v1, v[2:3]
.LBB55_347:
	s_or_b64 exec, exec, s[0:1]
	s_waitcnt lgkmcnt(0)
	; wave barrier
	ds_read_b128 v[14:17], v156 offset:464
	ds_read_b128 v[10:13], v156 offset:480
	;; [unrolled: 1-line block ×4, first 2 shown]
	scratch_load_dwordx4 v[18:21], off, off offset:16
	scratch_load_dwordx4 v[38:41], off, off offset:80
	;; [unrolled: 1-line block ×17, first 2 shown]
	v_cmp_ne_u32_e32 vcc, 0, v0
	scratch_load_dwordx4 v[46:49], off, off offset:96
	scratch_load_dwordx4 v[54:57], off, off offset:112
	;; [unrolled: 1-line block ×3, first 2 shown]
	s_waitcnt vmcnt(19) lgkmcnt(3)
	v_mul_f32_e32 v22, v14, v19
	v_fmac_f32_e32 v22, v15, v18
	v_mul_f32_e32 v23, v16, v21
	v_add_f32_e32 v22, 0, v22
	v_fmac_f32_e32 v23, v17, v20
	v_add_f32_e32 v26, v22, v23
	scratch_load_dwordx4 v[22:25], off, off offset:32
	v_mul_f32_e32 v15, v15, v19
	v_fma_f32 v14, v14, v18, -v15
	v_mul_f32_e32 v15, v17, v21
	v_add_f32_e32 v14, 0, v14
	v_fma_f32 v15, v16, v20, -v15
	v_add_f32_e32 v14, v14, v15
	s_waitcnt vmcnt(0) lgkmcnt(2)
	v_mul_f32_e32 v27, v10, v23
	v_fmac_f32_e32 v27, v11, v22
	v_add_f32_e32 v26, v26, v27
	v_mul_f32_e32 v27, v12, v25
	v_fmac_f32_e32 v27, v13, v24
	v_add_f32_e32 v30, v26, v27
	scratch_load_dwordx4 v[26:29], off, off offset:48
	v_mul_f32_e32 v11, v11, v23
	v_fma_f32 v10, v10, v22, -v11
	v_mul_f32_e32 v11, v13, v25
	v_add_f32_e32 v10, v14, v10
	v_fma_f32 v11, v12, v24, -v11
	v_add_f32_e32 v10, v10, v11
	s_waitcnt vmcnt(0) lgkmcnt(1)
	v_mul_f32_e32 v31, v6, v27
	v_fmac_f32_e32 v31, v7, v26
	v_add_f32_e32 v30, v30, v31
	v_mul_f32_e32 v31, v8, v29
	;; [unrolled: 14-line block ×3, first 2 shown]
	v_fmac_f32_e32 v35, v5, v32
	v_add_f32_e32 v42, v34, v35
	ds_read_b128 v[34:37], v156 offset:528
	v_mul_f32_e32 v3, v3, v31
	v_fma_f32 v2, v2, v30, -v3
	v_mul_f32_e32 v3, v5, v33
	v_add_f32_e32 v2, v6, v2
	s_waitcnt lgkmcnt(0)
	v_mul_f32_e32 v43, v34, v39
	v_fmac_f32_e32 v43, v35, v38
	v_add_f32_e32 v42, v42, v43
	v_mul_f32_e32 v43, v36, v41
	v_fmac_f32_e32 v43, v37, v40
	v_add_f32_e32 v50, v42, v43
	ds_read_b128 v[42:45], v156 offset:544
	v_fma_f32 v3, v4, v32, -v3
	v_add_f32_e32 v2, v2, v3
	v_mul_f32_e32 v3, v35, v39
	v_fma_f32 v3, v34, v38, -v3
	s_waitcnt lgkmcnt(0)
	v_mul_f32_e32 v51, v42, v47
	v_fmac_f32_e32 v51, v43, v46
	v_add_f32_e32 v50, v50, v51
	v_mul_f32_e32 v51, v44, v49
	v_fmac_f32_e32 v51, v45, v48
	v_add_f32_e32 v58, v50, v51
	ds_read_b128 v[50:53], v156 offset:560
	v_add_f32_e32 v2, v2, v3
	v_mul_f32_e32 v3, v37, v41
	v_fma_f32 v3, v36, v40, -v3
	v_add_f32_e32 v2, v2, v3
	s_waitcnt lgkmcnt(0)
	v_mul_f32_e32 v59, v50, v55
	v_fmac_f32_e32 v59, v51, v54
	v_add_f32_e32 v58, v58, v59
	v_mul_f32_e32 v59, v52, v57
	v_fmac_f32_e32 v59, v53, v56
	v_add_f32_e32 v66, v58, v59
	ds_read_b128 v[58:61], v156 offset:576
	v_mul_f32_e32 v3, v43, v47
	v_fma_f32 v3, v42, v46, -v3
	v_add_f32_e32 v2, v2, v3
	v_mul_f32_e32 v3, v45, v49
	s_waitcnt lgkmcnt(0)
	v_mul_f32_e32 v67, v58, v63
	v_fmac_f32_e32 v67, v59, v62
	v_add_f32_e32 v66, v66, v67
	v_mul_f32_e32 v67, v60, v65
	v_fmac_f32_e32 v67, v61, v64
	v_add_f32_e32 v74, v66, v67
	ds_read_b128 v[66:69], v156 offset:592
	v_fma_f32 v3, v44, v48, -v3
	v_add_f32_e32 v2, v2, v3
	v_mul_f32_e32 v3, v51, v55
	v_fma_f32 v3, v50, v54, -v3
	s_waitcnt lgkmcnt(0)
	v_mul_f32_e32 v75, v66, v71
	v_fmac_f32_e32 v75, v67, v70
	v_add_f32_e32 v74, v74, v75
	v_mul_f32_e32 v75, v68, v73
	v_fmac_f32_e32 v75, v69, v72
	v_add_f32_e32 v82, v74, v75
	ds_read_b128 v[74:77], v156 offset:608
	v_add_f32_e32 v2, v2, v3
	v_mul_f32_e32 v3, v53, v57
	v_fma_f32 v3, v52, v56, -v3
	v_add_f32_e32 v2, v2, v3
	s_waitcnt lgkmcnt(0)
	v_mul_f32_e32 v83, v74, v79
	v_fmac_f32_e32 v83, v75, v78
	v_add_f32_e32 v82, v82, v83
	v_mul_f32_e32 v83, v76, v81
	v_fmac_f32_e32 v83, v77, v80
	v_add_f32_e32 v90, v82, v83
	ds_read_b128 v[82:85], v156 offset:624
	v_mul_f32_e32 v3, v59, v63
	v_fma_f32 v3, v58, v62, -v3
	v_add_f32_e32 v2, v2, v3
	v_mul_f32_e32 v3, v61, v65
	;; [unrolled: 36-line block ×5, first 2 shown]
	s_waitcnt lgkmcnt(0)
	v_mul_f32_e32 v170, v162, v167
	v_fmac_f32_e32 v170, v163, v166
	v_add_f32_e32 v157, v157, v170
	v_mul_f32_e32 v170, v164, v169
	v_fmac_f32_e32 v170, v165, v168
	v_add_f32_e32 v157, v157, v170
	ds_read_b128 v[170:173], v156 offset:784
	v_fma_f32 v3, v108, v112, -v3
	v_add_f32_e32 v2, v2, v3
	v_mul_f32_e32 v3, v115, v119
	v_fma_f32 v3, v114, v118, -v3
	s_waitcnt lgkmcnt(0)
	v_mul_f32_e32 v178, v170, v175
	v_fmac_f32_e32 v178, v171, v174
	v_add_f32_e32 v157, v157, v178
	v_mul_f32_e32 v178, v172, v177
	v_fmac_f32_e32 v178, v173, v176
	v_add_f32_e32 v157, v157, v178
	ds_read_b128 v[178:181], v156 offset:800
	v_add_f32_e32 v2, v2, v3
	v_mul_f32_e32 v3, v117, v121
	v_fma_f32 v3, v116, v120, -v3
	v_add_f32_e32 v2, v2, v3
	s_waitcnt lgkmcnt(0)
	v_mul_f32_e32 v186, v178, v183
	v_fmac_f32_e32 v186, v179, v182
	v_add_f32_e32 v157, v157, v186
	v_mul_f32_e32 v186, v180, v185
	v_fmac_f32_e32 v186, v181, v184
	v_add_f32_e32 v211, v157, v186
	ds_read_b128 v[186:189], v156 offset:816
	scratch_load_dwordx4 v[194:197], off, off offset:384
	scratch_load_dwordx4 v[198:201], off, off offset:400
	;; [unrolled: 1-line block ×4, first 2 shown]
	v_mul_f32_e32 v3, v123, v127
	v_fma_f32 v3, v122, v126, -v3
	v_add_f32_e32 v2, v2, v3
	v_mul_f32_e32 v3, v125, v129
	v_fma_f32 v3, v124, v128, -v3
	v_add_f32_e32 v2, v2, v3
	;; [unrolled: 3-line block ×14, first 2 shown]
	s_waitcnt lgkmcnt(0)
	v_mul_f32_e32 v2, v187, v191
	v_fma_f32 v212, v186, v190, -v2
	v_mul_f32_e32 v2, v189, v193
	v_fma_f32 v214, v188, v192, -v2
	ds_read_b128 v[2:5], v156 offset:832
	ds_read_b128 v[6:9], v156 offset:848
	;; [unrolled: 1-line block ×4, first 2 shown]
	v_mul_f32_e32 v213, v186, v191
	v_fmac_f32_e32 v213, v187, v190
	v_mul_f32_e32 v215, v188, v193
	v_fmac_f32_e32 v215, v189, v192
	v_pk_add_f32 v[18:19], v[210:211], v[212:213]
	s_waitcnt vmcnt(3) lgkmcnt(3)
	v_pk_mul_f32 v[20:21], v[2:3], v[194:195] op_sel:[1,1] op_sel_hi:[0,1]
	v_pk_fma_f32 v[22:23], v[2:3], v[194:195], v[20:21] neg_lo:[0,0,1] neg_hi:[0,0,1]
	v_pk_fma_f32 v[2:3], v[2:3], v[194:195], v[20:21] op_sel_hi:[1,0,1]
	v_pk_add_f32 v[18:19], v[18:19], v[214:215]
	v_mov_b32_e32 v23, v3
	v_pk_add_f32 v[2:3], v[18:19], v[22:23]
	v_mov_b32_e32 v18, v197
	v_pk_mul_f32 v[18:19], v[4:5], v[18:19] op_sel:[1,0] op_sel_hi:[0,0]
	v_pk_fma_f32 v[20:21], v[4:5], v[196:197], v[18:19] neg_lo:[0,0,1] neg_hi:[0,0,1]
	v_pk_fma_f32 v[4:5], v[4:5], v[196:197], v[18:19] op_sel_hi:[1,0,1]
	s_nop 0
	v_mov_b32_e32 v21, v5
	s_waitcnt vmcnt(2) lgkmcnt(2)
	v_pk_mul_f32 v[4:5], v[6:7], v[198:199] op_sel:[1,1] op_sel_hi:[0,1]
	v_pk_fma_f32 v[18:19], v[6:7], v[198:199], v[4:5] neg_lo:[0,0,1] neg_hi:[0,0,1]
	v_pk_fma_f32 v[4:5], v[6:7], v[198:199], v[4:5] op_sel_hi:[1,0,1]
	v_pk_add_f32 v[2:3], v[2:3], v[20:21]
	v_mov_b32_e32 v4, v201
	v_mov_b32_e32 v19, v5
	v_pk_mul_f32 v[4:5], v[8:9], v[4:5] op_sel:[1,0] op_sel_hi:[0,0]
	v_pk_fma_f32 v[6:7], v[8:9], v[200:201], v[4:5] neg_lo:[0,0,1] neg_hi:[0,0,1]
	v_pk_fma_f32 v[4:5], v[8:9], v[200:201], v[4:5] op_sel_hi:[1,0,1]
	v_pk_add_f32 v[2:3], v[2:3], v[18:19]
	v_mov_b32_e32 v7, v5
	s_waitcnt vmcnt(1) lgkmcnt(1)
	v_pk_mul_f32 v[4:5], v[10:11], v[202:203] op_sel:[1,1] op_sel_hi:[0,1]
	v_pk_add_f32 v[2:3], v[2:3], v[6:7]
	v_pk_fma_f32 v[6:7], v[10:11], v[202:203], v[4:5] neg_lo:[0,0,1] neg_hi:[0,0,1]
	v_pk_fma_f32 v[4:5], v[10:11], v[202:203], v[4:5] op_sel_hi:[1,0,1]
	s_nop 0
	v_mov_b32_e32 v4, v205
	v_mov_b32_e32 v7, v5
	v_pk_mul_f32 v[4:5], v[12:13], v[4:5] op_sel:[1,0] op_sel_hi:[0,0]
	v_pk_add_f32 v[2:3], v[2:3], v[6:7]
	v_pk_fma_f32 v[6:7], v[12:13], v[204:205], v[4:5] neg_lo:[0,0,1] neg_hi:[0,0,1]
	v_pk_fma_f32 v[4:5], v[12:13], v[204:205], v[4:5] op_sel_hi:[1,0,1]
	s_nop 0
	v_mov_b32_e32 v7, v5
	s_waitcnt vmcnt(0) lgkmcnt(0)
	v_pk_mul_f32 v[4:5], v[14:15], v[206:207] op_sel:[1,1] op_sel_hi:[0,1]
	v_pk_add_f32 v[2:3], v[2:3], v[6:7]
	v_pk_fma_f32 v[6:7], v[14:15], v[206:207], v[4:5] neg_lo:[0,0,1] neg_hi:[0,0,1]
	v_pk_fma_f32 v[4:5], v[14:15], v[206:207], v[4:5] op_sel_hi:[1,0,1]
	s_nop 0
	v_mov_b32_e32 v4, v209
	v_mov_b32_e32 v7, v5
	v_pk_mul_f32 v[4:5], v[16:17], v[4:5] op_sel:[1,0] op_sel_hi:[0,0]
	v_pk_add_f32 v[2:3], v[2:3], v[6:7]
	v_pk_fma_f32 v[6:7], v[16:17], v[208:209], v[4:5] neg_lo:[0,0,1] neg_hi:[0,0,1]
	v_pk_fma_f32 v[4:5], v[16:17], v[208:209], v[4:5] op_sel_hi:[1,0,1]
	s_nop 0
	v_mov_b32_e32 v7, v5
	scratch_load_dwordx2 v[4:5], off, off offset:8
	v_pk_add_f32 v[2:3], v[2:3], v[6:7]
	s_waitcnt vmcnt(0)
	v_pk_add_f32 v[2:3], v[4:5], v[2:3] neg_lo:[0,1] neg_hi:[0,1]
	scratch_store_dwordx2 off, v[2:3], off offset:8
	s_and_saveexec_b64 s[0:1], vcc
	s_cbranch_execz .LBB55_349
; %bb.348:
	scratch_load_dwordx2 v[2:3], off, off
	v_mov_b32_e32 v4, 0
	v_mov_b32_e32 v5, v4
	scratch_store_dwordx2 off, v[4:5], off
	s_waitcnt vmcnt(1)
	ds_write_b64 v1, v[2:3]
.LBB55_349:
	s_or_b64 exec, exec, s[0:1]
	s_waitcnt lgkmcnt(0)
	; wave barrier
	scratch_load_dwordx4 v[4:7], off, off offset:8
	scratch_load_dwordx4 v[12:15], off, off offset:24
	;; [unrolled: 1-line block ×10, first 2 shown]
	v_mov_b32_e32 v140, 0
	ds_read2_b64 v[0:3], v140 offset0:57 offset1:58
	scratch_load_dwordx4 v[84:87], off, off offset:168
	scratch_load_dwordx4 v[92:95], off, off offset:184
	;; [unrolled: 1-line block ×14, first 2 shown]
	s_and_b64 vcc, exec, s[18:19]
	s_waitcnt vmcnt(23) lgkmcnt(0)
	v_mul_f32_e32 v8, v0, v5
	v_fmac_f32_e32 v8, v1, v4
	v_mul_f32_e32 v9, v2, v7
	v_add_f32_e32 v8, 0, v8
	v_fmac_f32_e32 v9, v3, v6
	v_add_f32_e32 v16, v8, v9
	ds_read2_b64 v[8:11], v140 offset0:59 offset1:60
	v_mul_f32_e32 v1, v1, v5
	v_fma_f32 v0, v0, v4, -v1
	v_mul_f32_e32 v1, v3, v7
	v_add_f32_e32 v0, 0, v0
	s_waitcnt vmcnt(22) lgkmcnt(0)
	v_mul_f32_e32 v17, v8, v13
	v_fmac_f32_e32 v17, v9, v12
	v_add_f32_e32 v16, v16, v17
	v_mul_f32_e32 v17, v10, v15
	v_fmac_f32_e32 v17, v11, v14
	v_add_f32_e32 v24, v16, v17
	ds_read2_b64 v[16:19], v140 offset0:61 offset1:62
	v_fma_f32 v1, v2, v6, -v1
	v_add_f32_e32 v0, v0, v1
	v_mul_f32_e32 v1, v9, v13
	v_fma_f32 v1, v8, v12, -v1
	s_waitcnt vmcnt(21) lgkmcnt(0)
	v_mul_f32_e32 v25, v16, v21
	v_fmac_f32_e32 v25, v17, v20
	v_add_f32_e32 v24, v24, v25
	v_mul_f32_e32 v25, v18, v23
	v_fmac_f32_e32 v25, v19, v22
	v_add_f32_e32 v32, v24, v25
	ds_read2_b64 v[24:27], v140 offset0:63 offset1:64
	v_add_f32_e32 v0, v0, v1
	v_mul_f32_e32 v1, v11, v15
	v_fma_f32 v1, v10, v14, -v1
	v_add_f32_e32 v0, v0, v1
	s_waitcnt vmcnt(20) lgkmcnt(0)
	v_mul_f32_e32 v33, v24, v29
	v_fmac_f32_e32 v33, v25, v28
	v_add_f32_e32 v32, v32, v33
	v_mul_f32_e32 v33, v26, v31
	v_fmac_f32_e32 v33, v27, v30
	v_add_f32_e32 v40, v32, v33
	ds_read2_b64 v[32:35], v140 offset0:65 offset1:66
	v_mul_f32_e32 v1, v17, v21
	v_fma_f32 v1, v16, v20, -v1
	v_add_f32_e32 v0, v0, v1
	v_mul_f32_e32 v1, v19, v23
	s_waitcnt vmcnt(19) lgkmcnt(0)
	v_mul_f32_e32 v41, v32, v37
	v_fmac_f32_e32 v41, v33, v36
	v_add_f32_e32 v40, v40, v41
	v_mul_f32_e32 v41, v34, v39
	v_fmac_f32_e32 v41, v35, v38
	v_add_f32_e32 v48, v40, v41
	ds_read2_b64 v[40:43], v140 offset0:67 offset1:68
	v_fma_f32 v1, v18, v22, -v1
	v_add_f32_e32 v0, v0, v1
	v_mul_f32_e32 v1, v25, v29
	v_fma_f32 v1, v24, v28, -v1
	s_waitcnt vmcnt(18) lgkmcnt(0)
	v_mul_f32_e32 v49, v40, v45
	v_fmac_f32_e32 v49, v41, v44
	v_add_f32_e32 v48, v48, v49
	v_mul_f32_e32 v49, v42, v47
	v_fmac_f32_e32 v49, v43, v46
	v_add_f32_e32 v56, v48, v49
	ds_read2_b64 v[48:51], v140 offset0:69 offset1:70
	v_add_f32_e32 v0, v0, v1
	v_mul_f32_e32 v1, v27, v31
	v_fma_f32 v1, v26, v30, -v1
	v_add_f32_e32 v0, v0, v1
	s_waitcnt vmcnt(17) lgkmcnt(0)
	v_mul_f32_e32 v57, v48, v53
	v_fmac_f32_e32 v57, v49, v52
	v_add_f32_e32 v56, v56, v57
	v_mul_f32_e32 v57, v50, v55
	v_fmac_f32_e32 v57, v51, v54
	v_add_f32_e32 v64, v56, v57
	ds_read2_b64 v[56:59], v140 offset0:71 offset1:72
	v_mul_f32_e32 v1, v33, v37
	v_fma_f32 v1, v32, v36, -v1
	v_add_f32_e32 v0, v0, v1
	v_mul_f32_e32 v1, v35, v39
	;; [unrolled: 36-line block ×7, first 2 shown]
	s_waitcnt vmcnt(1) lgkmcnt(0)
	v_mul_f32_e32 v192, v184, v189
	v_fmac_f32_e32 v192, v185, v188
	v_add_f32_e32 v213, v141, v192
	ds_read2_b64 v[192:195], v140 offset0:103 offset1:104
	scratch_load_dwordx4 v[200:203], off, off offset:392
	scratch_load_dwordx4 v[204:207], off, off offset:408
	;; [unrolled: 1-line block ×3, first 2 shown]
	scratch_load_dwordx2 v[218:219], off, off offset:440
	v_fma_f32 v1, v114, v118, -v1
	v_add_f32_e32 v0, v0, v1
	v_mul_f32_e32 v1, v121, v125
	v_fma_f32 v1, v120, v124, -v1
	v_add_f32_e32 v0, v0, v1
	v_mul_f32_e32 v1, v123, v127
	;; [unrolled: 3-line block ×16, first 2 shown]
	v_mul_f32_e32 v215, v186, v191
	v_fma_f32 v214, v186, v190, -v0
	s_waitcnt vmcnt(4) lgkmcnt(0)
	v_mul_f32_e32 v0, v193, v197
	v_mov_b32_e32 v16, v199
	v_fmac_f32_e32 v215, v187, v190
	v_mul_f32_e32 v217, v192, v197
	v_fma_f32 v216, v192, v196, -v0
	ds_read2_b64 v[0:3], v140 offset0:105 offset1:106
	ds_read2_b64 v[4:7], v140 offset0:107 offset1:108
	;; [unrolled: 1-line block ×3, first 2 shown]
	ds_read_b64 v[12:13], v140 offset:888
	v_pk_mul_f32 v[16:17], v[194:195], v[16:17] op_sel:[1,0] op_sel_hi:[0,0]
	v_fmac_f32_e32 v217, v193, v196
	v_pk_add_f32 v[14:15], v[212:213], v[214:215]
	v_pk_fma_f32 v[18:19], v[194:195], v[198:199], v[16:17] neg_lo:[0,0,1] neg_hi:[0,0,1]
	v_pk_fma_f32 v[16:17], v[194:195], v[198:199], v[16:17] op_sel_hi:[1,0,1]
	v_pk_add_f32 v[14:15], v[14:15], v[216:217]
	v_mov_b32_e32 v19, v17
	v_pk_add_f32 v[14:15], v[14:15], v[18:19]
	s_waitcnt vmcnt(3) lgkmcnt(3)
	v_pk_mul_f32 v[16:17], v[0:1], v[200:201] op_sel:[1,1] op_sel_hi:[0,1]
	v_pk_fma_f32 v[18:19], v[0:1], v[200:201], v[16:17] neg_lo:[0,0,1] neg_hi:[0,0,1]
	v_pk_fma_f32 v[0:1], v[0:1], v[200:201], v[16:17] op_sel_hi:[1,0,1]
	s_nop 0
	v_mov_b32_e32 v19, v1
	v_pk_add_f32 v[0:1], v[14:15], v[18:19]
	v_mov_b32_e32 v14, v203
	v_pk_mul_f32 v[14:15], v[2:3], v[14:15] op_sel:[1,0] op_sel_hi:[0,0]
	v_pk_fma_f32 v[16:17], v[2:3], v[202:203], v[14:15] neg_lo:[0,0,1] neg_hi:[0,0,1]
	v_pk_fma_f32 v[2:3], v[2:3], v[202:203], v[14:15] op_sel_hi:[1,0,1]
	s_nop 0
	v_mov_b32_e32 v17, v3
	s_waitcnt vmcnt(2) lgkmcnt(2)
	v_pk_mul_f32 v[2:3], v[4:5], v[204:205] op_sel:[1,1] op_sel_hi:[0,1]
	v_pk_fma_f32 v[14:15], v[4:5], v[204:205], v[2:3] neg_lo:[0,0,1] neg_hi:[0,0,1]
	v_pk_fma_f32 v[2:3], v[4:5], v[204:205], v[2:3] op_sel_hi:[1,0,1]
	v_pk_add_f32 v[0:1], v[0:1], v[16:17]
	v_mov_b32_e32 v2, v207
	v_mov_b32_e32 v15, v3
	v_pk_mul_f32 v[2:3], v[6:7], v[2:3] op_sel:[1,0] op_sel_hi:[0,0]
	v_pk_fma_f32 v[4:5], v[6:7], v[206:207], v[2:3] neg_lo:[0,0,1] neg_hi:[0,0,1]
	v_pk_fma_f32 v[2:3], v[6:7], v[206:207], v[2:3] op_sel_hi:[1,0,1]
	v_pk_add_f32 v[0:1], v[0:1], v[14:15]
	v_mov_b32_e32 v5, v3
	s_waitcnt vmcnt(1) lgkmcnt(1)
	v_pk_mul_f32 v[2:3], v[8:9], v[208:209] op_sel:[1,1] op_sel_hi:[0,1]
	v_pk_add_f32 v[0:1], v[0:1], v[4:5]
	v_pk_fma_f32 v[4:5], v[8:9], v[208:209], v[2:3] neg_lo:[0,0,1] neg_hi:[0,0,1]
	v_pk_fma_f32 v[2:3], v[8:9], v[208:209], v[2:3] op_sel_hi:[1,0,1]
	s_nop 0
	v_mov_b32_e32 v2, v211
	v_mov_b32_e32 v5, v3
	v_pk_mul_f32 v[2:3], v[10:11], v[2:3] op_sel:[1,0] op_sel_hi:[0,0]
	v_pk_add_f32 v[0:1], v[0:1], v[4:5]
	v_pk_fma_f32 v[4:5], v[10:11], v[210:211], v[2:3] neg_lo:[0,0,1] neg_hi:[0,0,1]
	v_pk_fma_f32 v[2:3], v[10:11], v[210:211], v[2:3] op_sel_hi:[1,0,1]
	s_nop 0
	v_mov_b32_e32 v5, v3
	s_waitcnt vmcnt(0) lgkmcnt(0)
	v_pk_mul_f32 v[2:3], v[12:13], v[218:219] op_sel:[1,1] op_sel_hi:[0,1]
	v_pk_add_f32 v[0:1], v[0:1], v[4:5]
	v_pk_fma_f32 v[4:5], v[12:13], v[218:219], v[2:3] neg_lo:[0,0,1] neg_hi:[0,0,1]
	v_pk_fma_f32 v[2:3], v[12:13], v[218:219], v[2:3] op_sel_hi:[1,0,1]
	s_nop 0
	v_mov_b32_e32 v5, v3
	scratch_load_dwordx2 v[2:3], off, off
	v_pk_add_f32 v[0:1], v[0:1], v[4:5]
	s_waitcnt vmcnt(0)
	v_pk_add_f32 v[0:1], v[2:3], v[0:1] neg_lo:[0,1] neg_hi:[0,1]
	scratch_store_dwordx2 off, v[0:1], off
	s_cbranch_vccz .LBB55_460
; %bb.350:
	global_load_dword v0, v140, s[16:17] offset:216
	s_waitcnt vmcnt(0)
	v_readfirstlane_b32 s0, v0
	s_add_i32 s0, s0, -1
	s_cmp_lg_u32 s0, 54
	s_cbranch_scc0 .LBB55_352
; %bb.351:
	s_lshl_b32 s0, s0, 3
	s_nop 0
	scratch_load_dwordx2 v[0:1], off, s0
	scratch_load_dwordx2 v[2:3], off, off offset:432
	s_waitcnt vmcnt(1)
	scratch_store_dwordx2 off, v[0:1], off offset:432
	s_waitcnt vmcnt(1)
	scratch_store_dwordx2 off, v[2:3], s0
.LBB55_352:
	v_mov_b32_e32 v0, 0
	global_load_dword v1, v0, s[16:17] offset:212
	s_waitcnt vmcnt(0)
	v_readfirstlane_b32 s0, v1
	s_add_i32 s0, s0, -1
	s_cmp_eq_u32 s0, 53
	s_cbranch_scc1 .LBB55_354
; %bb.353:
	s_lshl_b32 s0, s0, 3
	s_nop 0
	scratch_load_dwordx2 v[2:3], off, s0
	scratch_load_dwordx2 v[4:5], off, off offset:424
	s_waitcnt vmcnt(1)
	scratch_store_dwordx2 off, v[2:3], off offset:424
	s_waitcnt vmcnt(1)
	scratch_store_dwordx2 off, v[4:5], s0
.LBB55_354:
	global_load_dword v0, v0, s[16:17] offset:208
	s_waitcnt vmcnt(0)
	v_readfirstlane_b32 s0, v0
	s_add_i32 s0, s0, -1
	s_cmp_eq_u32 s0, 52
	s_cbranch_scc1 .LBB55_356
; %bb.355:
	s_lshl_b32 s0, s0, 3
	s_nop 0
	scratch_load_dwordx2 v[0:1], off, s0
	scratch_load_dwordx2 v[2:3], off, off offset:416
	s_waitcnt vmcnt(1)
	scratch_store_dwordx2 off, v[0:1], off offset:416
	s_waitcnt vmcnt(1)
	scratch_store_dwordx2 off, v[2:3], s0
.LBB55_356:
	v_mov_b32_e32 v0, 0
	global_load_dword v1, v0, s[16:17] offset:204
	s_waitcnt vmcnt(0)
	v_readfirstlane_b32 s0, v1
	s_add_i32 s0, s0, -1
	s_cmp_eq_u32 s0, 51
	s_cbranch_scc1 .LBB55_358
; %bb.357:
	s_lshl_b32 s0, s0, 3
	s_nop 0
	scratch_load_dwordx2 v[2:3], off, s0
	scratch_load_dwordx2 v[4:5], off, off offset:408
	s_waitcnt vmcnt(1)
	scratch_store_dwordx2 off, v[2:3], off offset:408
	s_waitcnt vmcnt(1)
	scratch_store_dwordx2 off, v[4:5], s0
.LBB55_358:
	global_load_dword v0, v0, s[16:17] offset:200
	s_waitcnt vmcnt(0)
	v_readfirstlane_b32 s0, v0
	s_add_i32 s0, s0, -1
	s_cmp_eq_u32 s0, 50
	s_cbranch_scc1 .LBB55_360
; %bb.359:
	s_lshl_b32 s0, s0, 3
	s_nop 0
	scratch_load_dwordx2 v[0:1], off, s0
	scratch_load_dwordx2 v[2:3], off, off offset:400
	s_waitcnt vmcnt(1)
	scratch_store_dwordx2 off, v[0:1], off offset:400
	s_waitcnt vmcnt(1)
	scratch_store_dwordx2 off, v[2:3], s0
.LBB55_360:
	;; [unrolled: 33-line block ×26, first 2 shown]
	v_mov_b32_e32 v0, 0
	global_load_dword v1, v0, s[16:17] offset:4
	s_waitcnt vmcnt(0)
	v_readfirstlane_b32 s0, v1
	s_add_i32 s0, s0, -1
	s_cmp_eq_u32 s0, 1
	s_cbranch_scc1 .LBB55_458
; %bb.457:
	s_lshl_b32 s0, s0, 3
	s_nop 0
	scratch_load_dwordx2 v[2:3], off, s0
	scratch_load_dwordx2 v[4:5], off, off offset:8
	s_waitcnt vmcnt(1)
	scratch_store_dwordx2 off, v[2:3], off offset:8
	s_waitcnt vmcnt(1)
	scratch_store_dwordx2 off, v[4:5], s0
.LBB55_458:
	global_load_dword v2, v0, s[16:17]
	s_nop 0
	scratch_load_dwordx2 v[0:1], off, off
	s_waitcnt vmcnt(1)
	v_readfirstlane_b32 s0, v2
	s_add_i32 s0, s0, -1
	s_cmp_eq_u32 s0, 0
	s_cbranch_scc1 .LBB55_460
; %bb.459:
	s_lshl_b32 s0, s0, 3
	s_nop 0
	scratch_load_dwordx2 v[2:3], off, s0
	s_waitcnt vmcnt(0)
	scratch_store_dwordx2 off, v[2:3], off
	scratch_store_dwordx2 off, v[0:1], s0
	scratch_load_dwordx2 v[0:1], off, off
.LBB55_460:
	s_nop 0
	scratch_load_dwordx4 v[4:7], off, off offset:8
	scratch_load_dwordx4 v[8:11], off, off offset:24
	;; [unrolled: 1-line block ×27, first 2 shown]
	scratch_load_dwordx2 v[2:3], off, off offset:440
	v_accvgpr_read_b32 v113, a1
	v_accvgpr_read_b32 v112, a0
	s_waitcnt vmcnt(28)
	global_store_dwordx2 v[112:113], v[0:1], off
	v_accvgpr_read_b32 v0, a2
	v_accvgpr_read_b32 v1, a3
	s_waitcnt vmcnt(28)
	global_store_dwordx2 v[0:1], v[4:5], off
	v_accvgpr_read_b32 v0, a4
	v_accvgpr_read_b32 v1, a5
	global_store_dwordx2 v[0:1], v[6:7], off
	v_accvgpr_read_b32 v0, a6
	v_accvgpr_read_b32 v1, a7
	s_waitcnt vmcnt(29)
	global_store_dwordx2 v[0:1], v[8:9], off
	v_accvgpr_read_b32 v0, a8
	v_accvgpr_read_b32 v1, a9
	;; [unrolled: 7-line block ×17, first 2 shown]
	global_store_dwordx2 v[0:1], v[70:71], off
	s_waitcnt vmcnt(45)
	global_store_dwordx2 v[220:221], v[72:73], off
	global_store_dwordx2 v[222:223], v[74:75], off
	s_waitcnt vmcnt(46)
	global_store_dwordx2 v[224:225], v[76:77], off
	;; [unrolled: 3-line block ×11, first 2 shown]
	s_endpgm
	.section	.rodata,"a",@progbits
	.p2align	6, 0x0
	.amdhsa_kernel _ZN9rocsolver6v33100L18getri_kernel_smallILi56E19rocblas_complex_numIfEPS3_EEvT1_iilPiilS6_bb
		.amdhsa_group_segment_fixed_size 900
		.amdhsa_private_segment_fixed_size 464
		.amdhsa_kernarg_size 60
		.amdhsa_user_sgpr_count 2
		.amdhsa_user_sgpr_dispatch_ptr 0
		.amdhsa_user_sgpr_queue_ptr 0
		.amdhsa_user_sgpr_kernarg_segment_ptr 1
		.amdhsa_user_sgpr_dispatch_id 0
		.amdhsa_user_sgpr_kernarg_preload_length 0
		.amdhsa_user_sgpr_kernarg_preload_offset 0
		.amdhsa_user_sgpr_private_segment_size 0
		.amdhsa_uses_dynamic_stack 0
		.amdhsa_enable_private_segment 1
		.amdhsa_system_sgpr_workgroup_id_x 1
		.amdhsa_system_sgpr_workgroup_id_y 0
		.amdhsa_system_sgpr_workgroup_id_z 0
		.amdhsa_system_sgpr_workgroup_info 0
		.amdhsa_system_vgpr_workitem_id 0
		.amdhsa_next_free_vgpr 326
		.amdhsa_next_free_sgpr 20
		.amdhsa_accum_offset 256
		.amdhsa_reserve_vcc 1
		.amdhsa_float_round_mode_32 0
		.amdhsa_float_round_mode_16_64 0
		.amdhsa_float_denorm_mode_32 3
		.amdhsa_float_denorm_mode_16_64 3
		.amdhsa_dx10_clamp 1
		.amdhsa_ieee_mode 1
		.amdhsa_fp16_overflow 0
		.amdhsa_tg_split 0
		.amdhsa_exception_fp_ieee_invalid_op 0
		.amdhsa_exception_fp_denorm_src 0
		.amdhsa_exception_fp_ieee_div_zero 0
		.amdhsa_exception_fp_ieee_overflow 0
		.amdhsa_exception_fp_ieee_underflow 0
		.amdhsa_exception_fp_ieee_inexact 0
		.amdhsa_exception_int_div_zero 0
	.end_amdhsa_kernel
	.section	.text._ZN9rocsolver6v33100L18getri_kernel_smallILi56E19rocblas_complex_numIfEPS3_EEvT1_iilPiilS6_bb,"axG",@progbits,_ZN9rocsolver6v33100L18getri_kernel_smallILi56E19rocblas_complex_numIfEPS3_EEvT1_iilPiilS6_bb,comdat
.Lfunc_end55:
	.size	_ZN9rocsolver6v33100L18getri_kernel_smallILi56E19rocblas_complex_numIfEPS3_EEvT1_iilPiilS6_bb, .Lfunc_end55-_ZN9rocsolver6v33100L18getri_kernel_smallILi56E19rocblas_complex_numIfEPS3_EEvT1_iilPiilS6_bb
                                        ; -- End function
	.set _ZN9rocsolver6v33100L18getri_kernel_smallILi56E19rocblas_complex_numIfEPS3_EEvT1_iilPiilS6_bb.num_vgpr, 256
	.set _ZN9rocsolver6v33100L18getri_kernel_smallILi56E19rocblas_complex_numIfEPS3_EEvT1_iilPiilS6_bb.num_agpr, 70
	.set _ZN9rocsolver6v33100L18getri_kernel_smallILi56E19rocblas_complex_numIfEPS3_EEvT1_iilPiilS6_bb.numbered_sgpr, 20
	.set _ZN9rocsolver6v33100L18getri_kernel_smallILi56E19rocblas_complex_numIfEPS3_EEvT1_iilPiilS6_bb.num_named_barrier, 0
	.set _ZN9rocsolver6v33100L18getri_kernel_smallILi56E19rocblas_complex_numIfEPS3_EEvT1_iilPiilS6_bb.private_seg_size, 464
	.set _ZN9rocsolver6v33100L18getri_kernel_smallILi56E19rocblas_complex_numIfEPS3_EEvT1_iilPiilS6_bb.uses_vcc, 1
	.set _ZN9rocsolver6v33100L18getri_kernel_smallILi56E19rocblas_complex_numIfEPS3_EEvT1_iilPiilS6_bb.uses_flat_scratch, 0
	.set _ZN9rocsolver6v33100L18getri_kernel_smallILi56E19rocblas_complex_numIfEPS3_EEvT1_iilPiilS6_bb.has_dyn_sized_stack, 0
	.set _ZN9rocsolver6v33100L18getri_kernel_smallILi56E19rocblas_complex_numIfEPS3_EEvT1_iilPiilS6_bb.has_recursion, 0
	.set _ZN9rocsolver6v33100L18getri_kernel_smallILi56E19rocblas_complex_numIfEPS3_EEvT1_iilPiilS6_bb.has_indirect_call, 0
	.section	.AMDGPU.csdata,"",@progbits
; Kernel info:
; codeLenInByte = 89044
; TotalNumSgprs: 26
; NumVgprs: 256
; NumAgprs: 70
; TotalNumVgprs: 326
; ScratchSize: 464
; MemoryBound: 0
; FloatMode: 240
; IeeeMode: 1
; LDSByteSize: 900 bytes/workgroup (compile time only)
; SGPRBlocks: 3
; VGPRBlocks: 40
; NumSGPRsForWavesPerEU: 26
; NumVGPRsForWavesPerEU: 326
; AccumOffset: 256
; Occupancy: 1
; WaveLimiterHint : 1
; COMPUTE_PGM_RSRC2:SCRATCH_EN: 1
; COMPUTE_PGM_RSRC2:USER_SGPR: 2
; COMPUTE_PGM_RSRC2:TRAP_HANDLER: 0
; COMPUTE_PGM_RSRC2:TGID_X_EN: 1
; COMPUTE_PGM_RSRC2:TGID_Y_EN: 0
; COMPUTE_PGM_RSRC2:TGID_Z_EN: 0
; COMPUTE_PGM_RSRC2:TIDIG_COMP_CNT: 0
; COMPUTE_PGM_RSRC3_GFX90A:ACCUM_OFFSET: 63
; COMPUTE_PGM_RSRC3_GFX90A:TG_SPLIT: 0
	.section	.text._ZN9rocsolver6v33100L18getri_kernel_smallILi57E19rocblas_complex_numIfEPS3_EEvT1_iilPiilS6_bb,"axG",@progbits,_ZN9rocsolver6v33100L18getri_kernel_smallILi57E19rocblas_complex_numIfEPS3_EEvT1_iilPiilS6_bb,comdat
	.globl	_ZN9rocsolver6v33100L18getri_kernel_smallILi57E19rocblas_complex_numIfEPS3_EEvT1_iilPiilS6_bb ; -- Begin function _ZN9rocsolver6v33100L18getri_kernel_smallILi57E19rocblas_complex_numIfEPS3_EEvT1_iilPiilS6_bb
	.p2align	8
	.type	_ZN9rocsolver6v33100L18getri_kernel_smallILi57E19rocblas_complex_numIfEPS3_EEvT1_iilPiilS6_bb,@function
_ZN9rocsolver6v33100L18getri_kernel_smallILi57E19rocblas_complex_numIfEPS3_EEvT1_iilPiilS6_bb: ; @_ZN9rocsolver6v33100L18getri_kernel_smallILi57E19rocblas_complex_numIfEPS3_EEvT1_iilPiilS6_bb
; %bb.0:
	v_cmp_gt_u32_e32 vcc, 57, v0
	s_and_saveexec_b64 s[4:5], vcc
	s_cbranch_execz .LBB56_242
; %bb.1:
	s_load_dword s8, s[0:1], 0x38
	s_load_dwordx4 s[12:15], s[0:1], 0x10
	s_load_dwordx4 s[4:7], s[0:1], 0x28
                                        ; implicit-def: $sgpr16_sgpr17
	s_waitcnt lgkmcnt(0)
	s_bitcmp1_b32 s8, 8
	s_cselect_b64 s[18:19], -1, 0
	s_ashr_i32 s3, s2, 31
	s_bfe_u32 s8, s8, 0x10008
	s_cmp_eq_u32 s8, 0
	s_cbranch_scc1 .LBB56_3
; %bb.2:
	s_load_dword s8, s[0:1], 0x20
	s_mul_i32 s9, s4, s3
	s_mul_hi_u32 s10, s4, s2
	s_mul_i32 s5, s5, s2
	s_add_i32 s10, s10, s9
	s_add_i32 s5, s10, s5
	s_mul_i32 s4, s4, s2
	s_waitcnt lgkmcnt(0)
	s_ashr_i32 s9, s8, 31
	s_lshl_b64 s[4:5], s[4:5], 2
	s_add_u32 s10, s14, s4
	s_addc_u32 s11, s15, s5
	s_lshl_b64 s[4:5], s[8:9], 2
	s_add_u32 s16, s10, s4
	s_addc_u32 s17, s11, s5
.LBB56_3:
	s_load_dwordx4 s[8:11], s[0:1], 0x0
	s_load_dword s4, s[0:1], 0x38
	s_mul_i32 s5, s12, s3
	s_mul_hi_u32 s14, s12, s2
	s_add_i32 s5, s14, s5
	s_waitcnt lgkmcnt(0)
	s_ashr_i32 s1, s10, 31
	s_mov_b32 s0, s10
	s_mul_i32 s10, s13, s2
	s_add_i32 s13, s5, s10
	s_mul_i32 s12, s12, s2
	s_lshl_b64 s[12:13], s[12:13], 3
	s_add_u32 s5, s8, s12
	s_addc_u32 s8, s9, s13
	s_lshl_b64 s[0:1], s[0:1], 3
	s_add_u32 s0, s5, s0
	s_addc_u32 s1, s8, s1
	v_lshlrev_b32_e32 v2, 3, v0
	v_mov_b32_e32 v3, 0
	v_lshl_add_u64 v[6:7], s[0:1], 0, v[2:3]
	s_ashr_i32 s9, s11, 31
	s_mov_b32 s8, s11
	v_accvgpr_write_b32 a0, v6
	s_add_i32 s5, s11, s11
	v_accvgpr_write_b32 a1, v7
	v_lshl_add_u64 v[8:9], s[8:9], 3, v[6:7]
	v_add_u32_e32 v6, s5, v0
	v_ashrrev_i32_e32 v7, 31, v6
	v_lshl_add_u64 v[10:11], v[6:7], 3, s[0:1]
	v_add_u32_e32 v6, s11, v6
	v_add_u32_e32 v14, s11, v6
	v_ashrrev_i32_e32 v7, 31, v6
	v_ashrrev_i32_e32 v15, 31, v14
	v_lshl_add_u64 v[12:13], v[6:7], 3, s[0:1]
	v_lshl_add_u64 v[16:17], v[14:15], 3, s[0:1]
	v_add_u32_e32 v14, s11, v14
	v_accvgpr_write_b32 a2, v8
	v_accvgpr_write_b32 a4, v10
	;; [unrolled: 1-line block ×4, first 2 shown]
	v_ashrrev_i32_e32 v15, 31, v14
	global_load_dwordx2 v[4:5], v2, s[0:1]
	global_load_dwordx2 v[6:7], v[8:9], off
	v_accvgpr_write_b32 a3, v9
	v_accvgpr_write_b32 a5, v11
	global_load_dwordx2 v[8:9], v[10:11], off
	v_accvgpr_write_b32 a7, v13
	global_load_dwordx2 v[10:11], v[12:13], off
	;; [unrolled: 2-line block ×3, first 2 shown]
	v_lshl_add_u64 v[16:17], v[14:15], 3, s[0:1]
	v_add_u32_e32 v14, s11, v14
	v_ashrrev_i32_e32 v15, 31, v14
	v_lshl_add_u64 v[18:19], v[14:15], 3, s[0:1]
	v_add_u32_e32 v14, s11, v14
	v_add_u32_e32 v22, s11, v14
	v_ashrrev_i32_e32 v15, 31, v14
	v_ashrrev_i32_e32 v23, 31, v22
	v_lshl_add_u64 v[20:21], v[14:15], 3, s[0:1]
	v_lshl_add_u64 v[24:25], v[22:23], 3, s[0:1]
	v_add_u32_e32 v22, s11, v22
	v_accvgpr_write_b32 a10, v16
	v_accvgpr_write_b32 a12, v18
	;; [unrolled: 1-line block ×4, first 2 shown]
	v_ashrrev_i32_e32 v23, 31, v22
	v_accvgpr_write_b32 a11, v17
	global_load_dwordx2 v[14:15], v[16:17], off
	v_accvgpr_write_b32 a13, v19
	global_load_dwordx2 v[16:17], v[18:19], off
	;; [unrolled: 2-line block ×4, first 2 shown]
	v_lshl_add_u64 v[24:25], v[22:23], 3, s[0:1]
	v_add_u32_e32 v22, s11, v22
	v_ashrrev_i32_e32 v23, 31, v22
	v_lshl_add_u64 v[26:27], v[22:23], 3, s[0:1]
	v_add_u32_e32 v22, s11, v22
	v_add_u32_e32 v30, s11, v22
	v_ashrrev_i32_e32 v23, 31, v22
	v_ashrrev_i32_e32 v31, 31, v30
	v_lshl_add_u64 v[28:29], v[22:23], 3, s[0:1]
	v_lshl_add_u64 v[32:33], v[30:31], 3, s[0:1]
	v_add_u32_e32 v30, s11, v30
	v_accvgpr_write_b32 a18, v24
	v_accvgpr_write_b32 a20, v26
	;; [unrolled: 1-line block ×4, first 2 shown]
	v_ashrrev_i32_e32 v31, 31, v30
	v_accvgpr_write_b32 a19, v25
	global_load_dwordx2 v[22:23], v[24:25], off
	v_accvgpr_write_b32 a21, v27
	global_load_dwordx2 v[24:25], v[26:27], off
	;; [unrolled: 2-line block ×4, first 2 shown]
	v_lshl_add_u64 v[32:33], v[30:31], 3, s[0:1]
	v_add_u32_e32 v30, s11, v30
	v_ashrrev_i32_e32 v31, 31, v30
	v_lshl_add_u64 v[34:35], v[30:31], 3, s[0:1]
	v_add_u32_e32 v30, s11, v30
	v_add_u32_e32 v38, s11, v30
	v_ashrrev_i32_e32 v39, 31, v38
	v_lshl_add_u64 v[40:41], v[38:39], 3, s[0:1]
	v_add_u32_e32 v38, s11, v38
	v_ashrrev_i32_e32 v39, 31, v38
	v_ashrrev_i32_e32 v31, 31, v30
	v_lshl_add_u64 v[42:43], v[38:39], 3, s[0:1]
	v_add_u32_e32 v38, s11, v38
	v_lshl_add_u64 v[36:37], v[30:31], 3, s[0:1]
	v_ashrrev_i32_e32 v39, 31, v38
	v_accvgpr_write_b32 a26, v32
	v_accvgpr_write_b32 a28, v34
	;; [unrolled: 1-line block ×4, first 2 shown]
	v_lshl_add_u64 v[44:45], v[38:39], 3, s[0:1]
	v_add_u32_e32 v38, s11, v38
	v_accvgpr_write_b32 a27, v33
	global_load_dwordx2 v[30:31], v[32:33], off
	v_accvgpr_write_b32 a29, v35
	global_load_dwordx2 v[32:33], v[34:35], off
	;; [unrolled: 2-line block ×4, first 2 shown]
	v_add_u32_e32 v40, s11, v38
	v_ashrrev_i32_e32 v39, 31, v38
	v_ashrrev_i32_e32 v41, 31, v40
	v_lshl_add_u64 v[46:47], v[38:39], 3, s[0:1]
	v_lshl_add_u64 v[48:49], v[40:41], 3, s[0:1]
	v_add_u32_e32 v40, s11, v40
	v_accvgpr_write_b32 a34, v42
	v_accvgpr_write_b32 a36, v44
	;; [unrolled: 1-line block ×4, first 2 shown]
	v_ashrrev_i32_e32 v41, 31, v40
	v_accvgpr_write_b32 a35, v43
	global_load_dwordx2 v[38:39], v[42:43], off
	v_accvgpr_write_b32 a37, v45
	global_load_dwordx2 v[42:43], v[44:45], off
	;; [unrolled: 2-line block ×4, first 2 shown]
	v_lshl_add_u64 v[48:49], v[40:41], 3, s[0:1]
	v_add_u32_e32 v40, s11, v40
	v_ashrrev_i32_e32 v41, 31, v40
	v_lshl_add_u64 v[50:51], v[40:41], 3, s[0:1]
	v_add_u32_e32 v40, s11, v40
	v_ashrrev_i32_e32 v41, 31, v40
	;; [unrolled: 3-line block ×34, first 2 shown]
	v_lshl_add_u64 v[154:155], v[40:41], 3, s[0:1]
	v_add_u32_e32 v40, s11, v40
	v_accvgpr_write_b32 a42, v48
	v_accvgpr_write_b32 a44, v50
	;; [unrolled: 1-line block ×16, first 2 shown]
	v_ashrrev_i32_e32 v41, 31, v40
	v_accvgpr_write_b32 a43, v49
	global_load_dwordx2 v[48:49], v[48:49], off
	v_accvgpr_write_b32 a45, v51
	global_load_dwordx2 v[50:51], v[50:51], off
	;; [unrolled: 2-line block ×16, first 2 shown]
	s_nop 0
	global_load_dwordx2 v[80:81], v[224:225], off
	global_load_dwordx2 v[82:83], v[226:227], off
	;; [unrolled: 1-line block ×16, first 2 shown]
	v_lshl_add_u64 v[156:157], v[40:41], 3, s[0:1]
	global_load_dwordx2 v[112:113], v[150:151], off
	global_load_dwordx2 v[114:115], v[152:153], off
	;; [unrolled: 1-line block ×4, first 2 shown]
	s_bitcmp0_b32 s4, 0
	s_mov_b64 s[4:5], -1
	s_waitcnt vmcnt(55)
	scratch_store_dwordx4 off, v[4:7], off
	s_waitcnt vmcnt(54)
	scratch_store_dwordx4 off, v[8:11], off offset:16
	s_waitcnt vmcnt(53)
	scratch_store_dwordx4 off, v[12:15], off offset:32
	s_waitcnt vmcnt(52)
	scratch_store_dwordx4 off, v[16:19], off offset:48
	s_waitcnt vmcnt(51)
	scratch_store_dwordx4 off, v[20:23], off offset:64
	s_waitcnt vmcnt(50)
	scratch_store_dwordx4 off, v[24:27], off offset:80
	s_waitcnt vmcnt(49)
	scratch_store_dwordx4 off, v[28:31], off offset:96
	s_waitcnt vmcnt(48)
	scratch_store_dwordx4 off, v[32:35], off offset:112
	s_waitcnt vmcnt(47)
	scratch_store_dwordx4 off, v[36:39], off offset:128
	s_waitcnt vmcnt(46)
	scratch_store_dwordx4 off, v[42:45], off offset:144
	s_waitcnt vmcnt(45)
	scratch_store_dwordx4 off, v[46:49], off offset:160
	s_waitcnt vmcnt(44)
	scratch_store_dwordx4 off, v[50:53], off offset:176
	s_waitcnt vmcnt(43)
	scratch_store_dwordx4 off, v[54:57], off offset:192
	s_waitcnt vmcnt(42)
	scratch_store_dwordx4 off, v[58:61], off offset:208
	s_waitcnt vmcnt(41)
	scratch_store_dwordx4 off, v[62:65], off offset:224
	s_waitcnt vmcnt(40)
	scratch_store_dwordx4 off, v[66:69], off offset:240
	s_waitcnt vmcnt(39)
	scratch_store_dwordx4 off, v[70:73], off offset:256
	s_waitcnt vmcnt(38)
	scratch_store_dwordx4 off, v[74:77], off offset:272
	s_waitcnt vmcnt(37)
	scratch_store_dwordx4 off, v[78:81], off offset:288
	s_waitcnt vmcnt(36)
	scratch_store_dwordx4 off, v[82:85], off offset:304
	s_waitcnt vmcnt(35)
	scratch_store_dwordx4 off, v[86:89], off offset:320
	s_waitcnt vmcnt(34)
	scratch_store_dwordx4 off, v[90:93], off offset:336
	s_waitcnt vmcnt(33)
	scratch_store_dwordx4 off, v[94:97], off offset:352
	s_waitcnt vmcnt(32)
	scratch_store_dwordx4 off, v[98:101], off offset:368
	s_waitcnt vmcnt(31)
	scratch_store_dwordx4 off, v[102:105], off offset:384
	s_waitcnt vmcnt(30)
	scratch_store_dwordx4 off, v[106:109], off offset:400
	s_waitcnt vmcnt(29)
	scratch_store_dwordx4 off, v[110:113], off offset:416
	s_waitcnt vmcnt(28)
	scratch_store_dwordx4 off, v[114:117], off offset:432
	s_waitcnt vmcnt(28)
	scratch_store_dwordx2 off, v[40:41], off offset:448
	s_cbranch_scc1 .LBB56_240
; %bb.4:
	v_cmp_eq_u32_e64 s[0:1], 0, v0
	s_and_saveexec_b64 s[4:5], s[0:1]
; %bb.5:
	v_mov_b32_e32 v1, 0
	ds_write_b32 v1, v1 offset:456
; %bb.6:
	s_or_b64 exec, exec, s[4:5]
	s_waitcnt lgkmcnt(0)
	; wave barrier
	scratch_load_dwordx2 v[4:5], v2, off
	s_waitcnt vmcnt(0)
	v_cmp_eq_f32_e32 vcc, 0, v4
	v_cmp_eq_f32_e64 s[4:5], 0, v5
	s_and_b64 s[4:5], vcc, s[4:5]
	s_and_saveexec_b64 s[8:9], s[4:5]
	s_cbranch_execz .LBB56_10
; %bb.7:
	v_mov_b32_e32 v1, 0
	ds_read_b32 v4, v1 offset:456
	v_add_u32_e32 v3, 1, v0
	s_waitcnt lgkmcnt(0)
	v_readfirstlane_b32 s4, v4
	s_cmp_eq_u32 s4, 0
	s_cselect_b64 s[10:11], -1, 0
	v_cmp_gt_i32_e32 vcc, s4, v3
	s_or_b64 s[10:11], s[10:11], vcc
	s_and_b64 exec, exec, s[10:11]
	s_cbranch_execz .LBB56_10
; %bb.8:
	s_mov_b64 s[10:11], 0
	v_mov_b32_e32 v4, s4
.LBB56_9:                               ; =>This Inner Loop Header: Depth=1
	ds_cmpst_rtn_b32 v4, v1, v4, v3 offset:456
	s_waitcnt lgkmcnt(0)
	v_cmp_ne_u32_e32 vcc, 0, v4
	v_cmp_le_i32_e64 s[4:5], v4, v3
	s_and_b64 s[4:5], vcc, s[4:5]
	s_and_b64 s[4:5], exec, s[4:5]
	s_or_b64 s[10:11], s[4:5], s[10:11]
	s_andn2_b64 exec, exec, s[10:11]
	s_cbranch_execnz .LBB56_9
.LBB56_10:
	s_or_b64 exec, exec, s[8:9]
	v_mov_b32_e32 v3, 0
	; wave barrier
	ds_read_b32 v1, v3 offset:456
	s_and_saveexec_b64 s[4:5], s[0:1]
	s_cbranch_execz .LBB56_12
; %bb.11:
	s_lshl_b64 s[8:9], s[2:3], 2
	s_add_u32 s8, s6, s8
	s_addc_u32 s9, s7, s9
	s_waitcnt lgkmcnt(0)
	global_store_dword v3, v1, s[8:9]
.LBB56_12:
	s_or_b64 exec, exec, s[4:5]
	s_waitcnt lgkmcnt(0)
	v_cmp_ne_u32_e32 vcc, 0, v1
	s_mov_b64 s[4:5], 0
	s_cbranch_vccnz .LBB56_240
; %bb.13:
	v_mov_b32_e32 v3, v2
	scratch_load_dwordx2 v[4:5], v3, off
                                        ; implicit-def: $vgpr7
                                        ; implicit-def: $vgpr8
	s_waitcnt vmcnt(0)
	v_cmp_ngt_f32_e64 s[4:5], |v4|, |v5|
	s_and_saveexec_b64 s[8:9], s[4:5]
	s_xor_b64 s[4:5], exec, s[8:9]
	s_cbranch_execz .LBB56_15
; %bb.14:
	v_div_scale_f32 v1, s[8:9], v5, v5, v4
	v_rcp_f32_e32 v6, v1
	v_div_scale_f32 v7, vcc, v4, v5, v4
	v_fma_f32 v8, -v1, v6, 1.0
	v_fmac_f32_e32 v6, v8, v6
	v_mul_f32_e32 v8, v7, v6
	v_fma_f32 v9, -v1, v8, v7
	v_fmac_f32_e32 v8, v9, v6
	v_fma_f32 v1, -v1, v8, v7
	v_div_fmas_f32 v1, v1, v6, v8
	v_div_fixup_f32 v1, v1, v5, v4
	v_fmac_f32_e32 v5, v4, v1
	v_div_scale_f32 v4, s[8:9], v5, v5, -1.0
	v_rcp_f32_e32 v6, v4
	s_nop 0
	v_fma_f32 v7, -v4, v6, 1.0
	v_fmac_f32_e32 v6, v7, v6
	v_div_scale_f32 v7, vcc, -1.0, v5, -1.0
	v_mul_f32_e32 v8, v7, v6
	v_fma_f32 v9, -v4, v8, v7
	v_fmac_f32_e32 v8, v9, v6
	v_fma_f32 v4, -v4, v8, v7
	v_div_fmas_f32 v4, v4, v6, v8
	v_div_fixup_f32 v7, v4, v5, -1.0
	v_mul_f32_e32 v8, v1, v7
	v_xor_b32_e32 v6, 0x80000000, v8
                                        ; implicit-def: $vgpr4_vgpr5
.LBB56_15:
	s_andn2_saveexec_b64 s[4:5], s[4:5]
	s_cbranch_execz .LBB56_17
; %bb.16:
	v_div_scale_f32 v1, s[8:9], v4, v4, v5
	v_rcp_f32_e32 v6, v1
	v_div_scale_f32 v7, vcc, v5, v4, v5
	v_fma_f32 v8, -v1, v6, 1.0
	v_fmac_f32_e32 v6, v8, v6
	v_mul_f32_e32 v8, v7, v6
	v_fma_f32 v9, -v1, v8, v7
	v_fmac_f32_e32 v8, v9, v6
	v_fma_f32 v1, -v1, v8, v7
	v_div_fmas_f32 v1, v1, v6, v8
	v_div_fixup_f32 v1, v1, v4, v5
	v_fmac_f32_e32 v4, v5, v1
	v_div_scale_f32 v5, s[8:9], v4, v4, 1.0
	v_rcp_f32_e32 v6, v5
	s_nop 0
	v_fma_f32 v7, -v5, v6, 1.0
	v_fmac_f32_e32 v6, v7, v6
	v_div_scale_f32 v7, vcc, 1.0, v4, 1.0
	v_mul_f32_e32 v8, v7, v6
	v_fma_f32 v9, -v5, v8, v7
	v_fmac_f32_e32 v8, v9, v6
	v_fma_f32 v5, -v5, v8, v7
	v_div_fmas_f32 v5, v5, v6, v8
	v_div_fixup_f32 v6, v5, v4, 1.0
	v_xor_b32_e32 v8, 0x80000000, v6
	v_mul_f32_e64 v7, v1, -v6
.LBB56_17:
	s_or_b64 exec, exec, s[4:5]
	scratch_store_dwordx2 v3, v[6:7], off
	scratch_load_dwordx2 v[4:5], off, off offset:8
	v_xor_b32_e32 v9, 0x80000000, v7
	v_add_u32_e32 v1, 0x1d0, v2
	s_waitcnt vmcnt(0)
	ds_write2_b64 v2, v[8:9], v[4:5] offset1:58
	s_waitcnt lgkmcnt(0)
	; wave barrier
	s_and_saveexec_b64 s[4:5], s[0:1]
	s_cbranch_execz .LBB56_19
; %bb.18:
	scratch_load_dwordx2 v[4:5], v3, off
	ds_read_b64 v[6:7], v1
	v_mov_b32_e32 v8, 0
	ds_read_b64 v[8:9], v8 offset:8
	s_waitcnt vmcnt(0) lgkmcnt(1)
	v_pk_mul_f32 v[10:11], v[6:7], v[4:5] op_sel:[1,1] op_sel_hi:[0,1]
	v_pk_fma_f32 v[12:13], v[6:7], v[4:5], v[10:11] neg_lo:[0,0,1] neg_hi:[0,0,1]
	v_pk_fma_f32 v[4:5], v[6:7], v[4:5], v[10:11] op_sel_hi:[1,0,1]
	s_nop 0
	v_mov_b32_e32 v13, v5
	v_pk_add_f32 v[4:5], v[12:13], 0 op_sel_hi:[1,0]
	s_waitcnt lgkmcnt(0)
	v_pk_mul_f32 v[6:7], v[4:5], v[8:9] op_sel:[1,1] op_sel_hi:[0,1]
	v_pk_fma_f32 v[10:11], v[4:5], v[8:9], v[6:7] neg_lo:[0,0,1] neg_hi:[0,0,1]
	v_pk_fma_f32 v[4:5], v[4:5], v[8:9], v[6:7] op_sel_hi:[1,0,1]
	s_nop 0
	v_mov_b32_e32 v11, v5
	scratch_store_dwordx2 off, v[10:11], off offset:8
.LBB56_19:
	s_or_b64 exec, exec, s[4:5]
	; wave barrier
	scratch_load_dwordx2 v[4:5], off, off offset:16
	v_cmp_gt_u32_e32 vcc, 2, v0
	s_waitcnt vmcnt(0)
	ds_write_b64 v1, v[4:5]
	s_waitcnt lgkmcnt(0)
	; wave barrier
	s_and_saveexec_b64 s[4:5], vcc
	s_cbranch_execz .LBB56_23
; %bb.20:
	scratch_load_dwordx2 v[4:5], v3, off
	ds_read_b64 v[6:7], v1
	s_waitcnt vmcnt(0) lgkmcnt(0)
	v_pk_mul_f32 v[8:9], v[6:7], v[4:5] op_sel:[1,1] op_sel_hi:[0,1]
	v_pk_fma_f32 v[10:11], v[6:7], v[4:5], v[8:9] neg_lo:[0,0,1] neg_hi:[0,0,1]
	v_pk_fma_f32 v[4:5], v[6:7], v[4:5], v[8:9] op_sel_hi:[1,0,1]
	s_nop 0
	v_mov_b32_e32 v11, v5
	v_pk_add_f32 v[4:5], v[10:11], 0 op_sel_hi:[1,0]
	s_and_saveexec_b64 s[8:9], s[0:1]
	s_cbranch_execz .LBB56_22
; %bb.21:
	scratch_load_dwordx2 v[6:7], off, off offset:8
	v_mov_b32_e32 v3, 0
	ds_read_b64 v[8:9], v3 offset:472
	s_waitcnt vmcnt(0) lgkmcnt(0)
	v_pk_mul_f32 v[10:11], v[8:9], v[6:7] op_sel:[1,1] op_sel_hi:[0,1]
	v_pk_fma_f32 v[12:13], v[8:9], v[6:7], v[10:11] neg_lo:[0,0,1] neg_hi:[0,0,1]
	v_pk_fma_f32 v[6:7], v[8:9], v[6:7], v[10:11] op_sel_hi:[1,0,1]
	s_nop 0
	v_mov_b32_e32 v13, v7
	v_pk_add_f32 v[4:5], v[4:5], v[12:13]
.LBB56_22:
	s_or_b64 exec, exec, s[8:9]
	v_mov_b32_e32 v3, 0
	ds_read_b64 v[6:7], v3 offset:16
	s_waitcnt lgkmcnt(0)
	v_pk_mul_f32 v[8:9], v[4:5], v[6:7] op_sel:[1,1] op_sel_hi:[0,1]
	v_pk_fma_f32 v[10:11], v[4:5], v[6:7], v[8:9] neg_lo:[0,0,1] neg_hi:[0,0,1]
	v_pk_fma_f32 v[4:5], v[4:5], v[6:7], v[8:9] op_sel_hi:[1,0,1]
	s_nop 0
	v_mov_b32_e32 v11, v5
	scratch_store_dwordx2 off, v[10:11], off offset:16
.LBB56_23:
	s_or_b64 exec, exec, s[4:5]
	; wave barrier
	scratch_load_dwordx2 v[4:5], off, off offset:24
	v_cmp_gt_u32_e32 vcc, 3, v0
	v_add_u32_e32 v6, -1, v0
	s_waitcnt vmcnt(0)
	ds_write_b64 v1, v[4:5]
	s_waitcnt lgkmcnt(0)
	; wave barrier
	s_and_saveexec_b64 s[0:1], vcc
	s_cbranch_execz .LBB56_27
; %bb.24:
	v_mov_b32_e32 v4, 0
	v_add_u32_e32 v3, -1, v0
	v_add_u32_e32 v7, 0x1d0, v2
	v_mov_b32_e32 v8, v2
	s_mov_b64 s[4:5], 0
	v_mov_b32_e32 v5, v4
.LBB56_25:                              ; =>This Inner Loop Header: Depth=1
	scratch_load_dwordx2 v[10:11], v8, off
	ds_read_b64 v[12:13], v7
	v_add_u32_e32 v3, 1, v3
	v_cmp_lt_u32_e32 vcc, 1, v3
	v_add_u32_e32 v7, 8, v7
	v_add_u32_e32 v8, 8, v8
	s_or_b64 s[4:5], vcc, s[4:5]
	s_waitcnt vmcnt(0) lgkmcnt(0)
	v_pk_mul_f32 v[14:15], v[12:13], v[10:11] op_sel:[1,1] op_sel_hi:[0,1]
	v_pk_fma_f32 v[16:17], v[12:13], v[10:11], v[14:15] neg_lo:[0,0,1] neg_hi:[0,0,1]
	v_pk_fma_f32 v[10:11], v[12:13], v[10:11], v[14:15] op_sel_hi:[1,0,1]
	s_nop 0
	v_mov_b32_e32 v17, v11
	v_pk_add_f32 v[4:5], v[4:5], v[16:17]
	s_andn2_b64 exec, exec, s[4:5]
	s_cbranch_execnz .LBB56_25
; %bb.26:
	s_or_b64 exec, exec, s[4:5]
	v_mov_b32_e32 v3, 0
	ds_read_b64 v[8:9], v3 offset:24
	s_waitcnt lgkmcnt(0)
	v_pk_mul_f32 v[10:11], v[4:5], v[8:9] op_sel:[1,1] op_sel_hi:[0,1]
	v_pk_fma_f32 v[12:13], v[4:5], v[8:9], v[10:11] neg_lo:[0,0,1] neg_hi:[0,0,1]
	v_pk_fma_f32 v[4:5], v[4:5], v[8:9], v[10:11] op_sel_hi:[1,0,1]
	s_nop 0
	v_mov_b32_e32 v13, v5
	scratch_store_dwordx2 off, v[12:13], off offset:24
.LBB56_27:
	s_or_b64 exec, exec, s[0:1]
	; wave barrier
	scratch_load_dwordx2 v[4:5], off, off offset:32
	v_cmp_gt_u32_e32 vcc, 4, v0
	s_waitcnt vmcnt(0)
	ds_write_b64 v1, v[4:5]
	s_waitcnt lgkmcnt(0)
	; wave barrier
	s_and_saveexec_b64 s[0:1], vcc
	s_cbranch_execz .LBB56_31
; %bb.28:
	v_mov_b32_e32 v4, 0
	v_add_u32_e32 v3, -1, v0
	v_add_u32_e32 v7, 0x1d0, v2
	v_mov_b32_e32 v8, v2
	s_mov_b64 s[4:5], 0
	v_mov_b32_e32 v5, v4
.LBB56_29:                              ; =>This Inner Loop Header: Depth=1
	scratch_load_dwordx2 v[10:11], v8, off
	ds_read_b64 v[12:13], v7
	v_add_u32_e32 v3, 1, v3
	v_cmp_lt_u32_e32 vcc, 2, v3
	v_add_u32_e32 v7, 8, v7
	v_add_u32_e32 v8, 8, v8
	s_or_b64 s[4:5], vcc, s[4:5]
	s_waitcnt vmcnt(0) lgkmcnt(0)
	v_pk_mul_f32 v[14:15], v[12:13], v[10:11] op_sel:[1,1] op_sel_hi:[0,1]
	v_pk_fma_f32 v[16:17], v[12:13], v[10:11], v[14:15] neg_lo:[0,0,1] neg_hi:[0,0,1]
	v_pk_fma_f32 v[10:11], v[12:13], v[10:11], v[14:15] op_sel_hi:[1,0,1]
	s_nop 0
	v_mov_b32_e32 v17, v11
	v_pk_add_f32 v[4:5], v[4:5], v[16:17]
	s_andn2_b64 exec, exec, s[4:5]
	s_cbranch_execnz .LBB56_29
; %bb.30:
	s_or_b64 exec, exec, s[4:5]
	v_mov_b32_e32 v3, 0
	ds_read_b64 v[8:9], v3 offset:32
	s_waitcnt lgkmcnt(0)
	v_pk_mul_f32 v[10:11], v[4:5], v[8:9] op_sel:[1,1] op_sel_hi:[0,1]
	v_pk_fma_f32 v[12:13], v[4:5], v[8:9], v[10:11] neg_lo:[0,0,1] neg_hi:[0,0,1]
	v_pk_fma_f32 v[4:5], v[4:5], v[8:9], v[10:11] op_sel_hi:[1,0,1]
	s_nop 0
	v_mov_b32_e32 v13, v5
	scratch_store_dwordx2 off, v[12:13], off offset:32
.LBB56_31:
	s_or_b64 exec, exec, s[0:1]
	; wave barrier
	scratch_load_dwordx2 v[4:5], off, off offset:40
	v_cmp_gt_u32_e32 vcc, 5, v0
	;; [unrolled: 46-line block ×19, first 2 shown]
	s_waitcnt vmcnt(0)
	ds_write_b64 v1, v[4:5]
	s_waitcnt lgkmcnt(0)
	; wave barrier
	s_and_saveexec_b64 s[0:1], vcc
	s_cbranch_execz .LBB56_103
; %bb.100:
	v_mov_b32_e32 v4, 0
	v_add_u32_e32 v3, -1, v0
	v_add_u32_e32 v7, 0x1d0, v2
	v_mov_b32_e32 v8, v2
	s_mov_b64 s[4:5], 0
	v_mov_b32_e32 v5, v4
.LBB56_101:                             ; =>This Inner Loop Header: Depth=1
	scratch_load_dwordx2 v[10:11], v8, off
	ds_read_b64 v[12:13], v7
	v_add_u32_e32 v3, 1, v3
	v_cmp_lt_u32_e32 vcc, 20, v3
	v_add_u32_e32 v7, 8, v7
	v_add_u32_e32 v8, 8, v8
	s_or_b64 s[4:5], vcc, s[4:5]
	s_waitcnt vmcnt(0) lgkmcnt(0)
	v_pk_mul_f32 v[14:15], v[12:13], v[10:11] op_sel:[1,1] op_sel_hi:[0,1]
	v_pk_fma_f32 v[16:17], v[12:13], v[10:11], v[14:15] neg_lo:[0,0,1] neg_hi:[0,0,1]
	v_pk_fma_f32 v[10:11], v[12:13], v[10:11], v[14:15] op_sel_hi:[1,0,1]
	s_nop 0
	v_mov_b32_e32 v17, v11
	v_pk_add_f32 v[4:5], v[4:5], v[16:17]
	s_andn2_b64 exec, exec, s[4:5]
	s_cbranch_execnz .LBB56_101
; %bb.102:
	s_or_b64 exec, exec, s[4:5]
	v_mov_b32_e32 v3, 0
	ds_read_b64 v[8:9], v3 offset:176
	s_waitcnt lgkmcnt(0)
	v_pk_mul_f32 v[10:11], v[4:5], v[8:9] op_sel:[1,1] op_sel_hi:[0,1]
	v_pk_fma_f32 v[12:13], v[4:5], v[8:9], v[10:11] neg_lo:[0,0,1] neg_hi:[0,0,1]
	v_pk_fma_f32 v[4:5], v[4:5], v[8:9], v[10:11] op_sel_hi:[1,0,1]
	s_nop 0
	v_mov_b32_e32 v13, v5
	scratch_store_dwordx2 off, v[12:13], off offset:176
.LBB56_103:
	s_or_b64 exec, exec, s[0:1]
	; wave barrier
	scratch_load_dwordx2 v[4:5], off, off offset:184
	v_cmp_gt_u32_e32 vcc, 23, v0
	s_waitcnt vmcnt(0)
	ds_write_b64 v1, v[4:5]
	s_waitcnt lgkmcnt(0)
	; wave barrier
	s_and_saveexec_b64 s[0:1], vcc
	s_cbranch_execz .LBB56_107
; %bb.104:
	v_mov_b32_e32 v4, 0
	v_add_u32_e32 v3, -1, v0
	v_add_u32_e32 v7, 0x1d0, v2
	v_mov_b32_e32 v8, v2
	s_mov_b64 s[4:5], 0
	v_mov_b32_e32 v5, v4
.LBB56_105:                             ; =>This Inner Loop Header: Depth=1
	scratch_load_dwordx2 v[10:11], v8, off
	ds_read_b64 v[12:13], v7
	v_add_u32_e32 v3, 1, v3
	v_cmp_lt_u32_e32 vcc, 21, v3
	v_add_u32_e32 v7, 8, v7
	v_add_u32_e32 v8, 8, v8
	s_or_b64 s[4:5], vcc, s[4:5]
	s_waitcnt vmcnt(0) lgkmcnt(0)
	v_pk_mul_f32 v[14:15], v[12:13], v[10:11] op_sel:[1,1] op_sel_hi:[0,1]
	v_pk_fma_f32 v[16:17], v[12:13], v[10:11], v[14:15] neg_lo:[0,0,1] neg_hi:[0,0,1]
	v_pk_fma_f32 v[10:11], v[12:13], v[10:11], v[14:15] op_sel_hi:[1,0,1]
	s_nop 0
	v_mov_b32_e32 v17, v11
	v_pk_add_f32 v[4:5], v[4:5], v[16:17]
	s_andn2_b64 exec, exec, s[4:5]
	s_cbranch_execnz .LBB56_105
; %bb.106:
	s_or_b64 exec, exec, s[4:5]
	v_mov_b32_e32 v3, 0
	ds_read_b64 v[8:9], v3 offset:184
	s_waitcnt lgkmcnt(0)
	v_pk_mul_f32 v[10:11], v[4:5], v[8:9] op_sel:[1,1] op_sel_hi:[0,1]
	v_pk_fma_f32 v[12:13], v[4:5], v[8:9], v[10:11] neg_lo:[0,0,1] neg_hi:[0,0,1]
	v_pk_fma_f32 v[4:5], v[4:5], v[8:9], v[10:11] op_sel_hi:[1,0,1]
	s_nop 0
	v_mov_b32_e32 v13, v5
	scratch_store_dwordx2 off, v[12:13], off offset:184
.LBB56_107:
	s_or_b64 exec, exec, s[0:1]
	; wave barrier
	scratch_load_dwordx2 v[4:5], off, off offset:192
	v_cmp_gt_u32_e32 vcc, 24, v0
	;; [unrolled: 46-line block ×33, first 2 shown]
	s_waitcnt vmcnt(0)
	ds_write_b64 v1, v[4:5]
	s_waitcnt lgkmcnt(0)
	; wave barrier
	s_and_saveexec_b64 s[0:1], vcc
	s_cbranch_execz .LBB56_235
; %bb.232:
	v_mov_b32_e32 v4, 0
	v_add_u32_e32 v3, -1, v0
	v_add_u32_e32 v7, 0x1d0, v2
	v_mov_b32_e32 v8, v2
	s_mov_b64 s[4:5], 0
	v_mov_b32_e32 v5, v4
.LBB56_233:                             ; =>This Inner Loop Header: Depth=1
	scratch_load_dwordx2 v[10:11], v8, off
	ds_read_b64 v[12:13], v7
	v_add_u32_e32 v3, 1, v3
	v_cmp_lt_u32_e32 vcc, 53, v3
	v_add_u32_e32 v7, 8, v7
	v_add_u32_e32 v8, 8, v8
	s_or_b64 s[4:5], vcc, s[4:5]
	s_waitcnt vmcnt(0) lgkmcnt(0)
	v_pk_mul_f32 v[14:15], v[12:13], v[10:11] op_sel:[1,1] op_sel_hi:[0,1]
	v_pk_fma_f32 v[16:17], v[12:13], v[10:11], v[14:15] neg_lo:[0,0,1] neg_hi:[0,0,1]
	v_pk_fma_f32 v[10:11], v[12:13], v[10:11], v[14:15] op_sel_hi:[1,0,1]
	s_nop 0
	v_mov_b32_e32 v17, v11
	v_pk_add_f32 v[4:5], v[4:5], v[16:17]
	s_andn2_b64 exec, exec, s[4:5]
	s_cbranch_execnz .LBB56_233
; %bb.234:
	s_or_b64 exec, exec, s[4:5]
	v_mov_b32_e32 v3, 0
	ds_read_b64 v[8:9], v3 offset:440
	s_waitcnt lgkmcnt(0)
	v_pk_mul_f32 v[10:11], v[4:5], v[8:9] op_sel:[1,1] op_sel_hi:[0,1]
	v_pk_fma_f32 v[12:13], v[4:5], v[8:9], v[10:11] neg_lo:[0,0,1] neg_hi:[0,0,1]
	v_pk_fma_f32 v[4:5], v[4:5], v[8:9], v[10:11] op_sel_hi:[1,0,1]
	s_nop 0
	v_mov_b32_e32 v13, v5
	scratch_store_dwordx2 off, v[12:13], off offset:440
.LBB56_235:
	s_or_b64 exec, exec, s[0:1]
	; wave barrier
	scratch_load_dwordx2 v[4:5], off, off offset:448
	v_cmp_ne_u32_e32 vcc, 56, v0
	s_waitcnt vmcnt(0)
	ds_write_b64 v1, v[4:5]
	s_waitcnt lgkmcnt(0)
	; wave barrier
	s_and_saveexec_b64 s[0:1], vcc
	s_cbranch_execz .LBB56_239
; %bb.236:
	v_add_u32_e32 v1, 0x1d0, v2
	v_mov_b32_e32 v4, v2
	v_mov_b32_e32 v2, 0
	s_mov_b64 s[4:5], 0
	v_mov_b32_e32 v3, v2
.LBB56_237:                             ; =>This Inner Loop Header: Depth=1
	scratch_load_dwordx2 v[8:9], v4, off
	ds_read_b64 v[10:11], v1
	v_add_u32_e32 v6, 1, v6
	v_cmp_lt_u32_e32 vcc, 54, v6
	v_add_u32_e32 v1, 8, v1
	v_add_u32_e32 v4, 8, v4
	s_or_b64 s[4:5], vcc, s[4:5]
	s_waitcnt vmcnt(0) lgkmcnt(0)
	v_pk_mul_f32 v[12:13], v[10:11], v[8:9] op_sel:[1,1] op_sel_hi:[0,1]
	v_pk_fma_f32 v[14:15], v[10:11], v[8:9], v[12:13] neg_lo:[0,0,1] neg_hi:[0,0,1]
	v_pk_fma_f32 v[8:9], v[10:11], v[8:9], v[12:13] op_sel_hi:[1,0,1]
	s_nop 0
	v_mov_b32_e32 v15, v9
	v_pk_add_f32 v[2:3], v[2:3], v[14:15]
	s_andn2_b64 exec, exec, s[4:5]
	s_cbranch_execnz .LBB56_237
; %bb.238:
	s_or_b64 exec, exec, s[4:5]
	v_mov_b32_e32 v1, 0
	ds_read_b64 v[4:5], v1 offset:448
	s_waitcnt lgkmcnt(0)
	v_pk_mul_f32 v[6:7], v[2:3], v[4:5] op_sel:[1,1] op_sel_hi:[0,1]
	v_pk_fma_f32 v[8:9], v[2:3], v[4:5], v[6:7] neg_lo:[0,0,1] neg_hi:[0,0,1]
	v_pk_fma_f32 v[2:3], v[2:3], v[4:5], v[6:7] op_sel_hi:[1,0,1]
	s_nop 0
	v_mov_b32_e32 v9, v3
	scratch_store_dwordx2 off, v[8:9], off offset:448
.LBB56_239:
	s_or_b64 exec, exec, s[0:1]
	s_mov_b64 s[4:5], -1
	; wave barrier
.LBB56_240:
	s_and_b64 vcc, exec, s[4:5]
	s_cbranch_vccz .LBB56_242
; %bb.241:
	s_lshl_b64 s[0:1], s[2:3], 2
	s_add_u32 s0, s6, s0
	s_addc_u32 s1, s7, s1
	v_mov_b32_e32 v1, 0
	global_load_dword v1, v1, s[0:1]
	s_waitcnt vmcnt(0)
	v_cmp_ne_u32_e32 vcc, 0, v1
	s_cbranch_vccz .LBB56_243
.LBB56_242:
	s_endpgm
.LBB56_243:
	v_mov_b32_e32 v1, 0x1d0
	v_lshl_add_u32 v1, v0, 3, v1
	v_cmp_eq_u32_e32 vcc, 56, v0
	s_and_saveexec_b64 s[0:1], vcc
	s_cbranch_execz .LBB56_245
; %bb.244:
	scratch_load_dwordx2 v[2:3], off, off offset:440
	v_mov_b32_e32 v4, 0
	v_mov_b32_e32 v5, v4
	scratch_store_dwordx2 off, v[4:5], off offset:440
	s_waitcnt vmcnt(1)
	ds_write_b64 v1, v[2:3]
.LBB56_245:
	s_or_b64 exec, exec, s[0:1]
	s_waitcnt lgkmcnt(0)
	; wave barrier
	scratch_load_dwordx2 v[4:5], off, off offset:448
	scratch_load_dwordx2 v[6:7], off, off offset:440
	v_mov_b32_e32 v2, 0
	ds_read_b64 v[8:9], v2 offset:912
	v_cmp_lt_u32_e32 vcc, 54, v0
	s_waitcnt vmcnt(1) lgkmcnt(0)
	v_pk_mul_f32 v[10:11], v[8:9], v[4:5] op_sel:[1,1] op_sel_hi:[0,1]
	v_pk_fma_f32 v[12:13], v[8:9], v[4:5], v[10:11] neg_lo:[0,0,1] neg_hi:[0,0,1]
	v_pk_fma_f32 v[4:5], v[8:9], v[4:5], v[10:11] op_sel_hi:[1,0,1]
	s_nop 0
	v_mov_b32_e32 v13, v5
	v_pk_add_f32 v[4:5], v[12:13], 0 op_sel_hi:[1,0]
	s_waitcnt vmcnt(0)
	v_pk_add_f32 v[4:5], v[6:7], v[4:5] neg_lo:[0,1] neg_hi:[0,1]
	scratch_store_dwordx2 off, v[4:5], off offset:440
	s_and_saveexec_b64 s[0:1], vcc
	s_cbranch_execz .LBB56_247
; %bb.246:
	scratch_load_dwordx2 v[4:5], off, off offset:432
	v_mov_b32_e32 v3, v2
	scratch_store_dwordx2 off, v[2:3], off offset:432
	s_waitcnt vmcnt(1)
	ds_write_b64 v1, v[4:5]
.LBB56_247:
	s_or_b64 exec, exec, s[0:1]
	s_waitcnt lgkmcnt(0)
	; wave barrier
	scratch_load_dwordx4 v[4:7], off, off offset:440
	scratch_load_dwordx2 v[12:13], off, off offset:432
	ds_read2_b64 v[8:11], v2 offset0:113 offset1:114
	v_cmp_lt_u32_e32 vcc, 53, v0
	s_waitcnt vmcnt(1) lgkmcnt(0)
	v_pk_mul_f32 v[2:3], v[8:9], v[4:5] op_sel:[1,1] op_sel_hi:[0,1]
	v_mov_b32_e32 v14, v7
	v_pk_fma_f32 v[16:17], v[8:9], v[4:5], v[2:3] neg_lo:[0,0,1] neg_hi:[0,0,1]
	v_pk_fma_f32 v[2:3], v[8:9], v[4:5], v[2:3] op_sel_hi:[1,0,1]
	v_pk_mul_f32 v[4:5], v[10:11], v[14:15] op_sel:[1,0] op_sel_hi:[0,0]
	v_mov_b32_e32 v17, v3
	v_pk_fma_f32 v[2:3], v[10:11], v[6:7], v[4:5] neg_lo:[0,0,1] neg_hi:[0,0,1]
	v_pk_fma_f32 v[4:5], v[10:11], v[6:7], v[4:5] op_sel_hi:[1,0,1]
	v_pk_add_f32 v[6:7], v[16:17], 0 op_sel_hi:[1,0]
	v_mov_b32_e32 v3, v5
	v_pk_add_f32 v[2:3], v[6:7], v[2:3]
	s_waitcnt vmcnt(0)
	v_pk_add_f32 v[2:3], v[12:13], v[2:3] neg_lo:[0,1] neg_hi:[0,1]
	scratch_store_dwordx2 off, v[2:3], off offset:432
	s_and_saveexec_b64 s[0:1], vcc
	s_cbranch_execz .LBB56_249
; %bb.248:
	scratch_load_dwordx2 v[2:3], off, off offset:424
	v_mov_b32_e32 v4, 0
	v_mov_b32_e32 v5, v4
	scratch_store_dwordx2 off, v[4:5], off offset:424
	s_waitcnt vmcnt(1)
	ds_write_b64 v1, v[2:3]
.LBB56_249:
	s_or_b64 exec, exec, s[0:1]
	s_waitcnt lgkmcnt(0)
	; wave barrier
	scratch_load_dwordx4 v[4:7], off, off offset:432
	scratch_load_dwordx2 v[12:13], off, off offset:448
	scratch_load_dwordx2 v[14:15], off, off offset:424
	v_mov_b32_e32 v2, 0
	ds_read_b128 v[8:11], v2 offset:896
	ds_read_b64 v[16:17], v2 offset:912
	v_cmp_lt_u32_e32 vcc, 52, v0
	s_waitcnt vmcnt(2) lgkmcnt(1)
	v_pk_mul_f32 v[18:19], v[8:9], v[4:5] op_sel:[1,1] op_sel_hi:[0,1]
	v_mov_b32_e32 v20, v7
	v_pk_fma_f32 v[24:25], v[8:9], v[4:5], v[18:19] neg_lo:[0,0,1] neg_hi:[0,0,1]
	v_pk_fma_f32 v[4:5], v[8:9], v[4:5], v[18:19] op_sel_hi:[1,0,1]
	v_pk_mul_f32 v[8:9], v[10:11], v[20:21] op_sel:[1,0] op_sel_hi:[0,0]
	s_waitcnt vmcnt(1) lgkmcnt(0)
	v_pk_mul_f32 v[22:23], v[16:17], v[12:13] op_sel:[1,1] op_sel_hi:[0,1]
	v_mov_b32_e32 v25, v5
	v_pk_fma_f32 v[4:5], v[10:11], v[6:7], v[8:9] neg_lo:[0,0,1] neg_hi:[0,0,1]
	v_pk_fma_f32 v[6:7], v[10:11], v[6:7], v[8:9] op_sel_hi:[1,0,1]
	v_pk_fma_f32 v[18:19], v[16:17], v[12:13], v[22:23] neg_lo:[0,0,1] neg_hi:[0,0,1]
	v_pk_fma_f32 v[12:13], v[16:17], v[12:13], v[22:23] op_sel_hi:[1,0,1]
	v_pk_add_f32 v[8:9], v[24:25], 0 op_sel_hi:[1,0]
	v_mov_b32_e32 v5, v7
	v_mov_b32_e32 v19, v13
	v_pk_add_f32 v[4:5], v[8:9], v[4:5]
	s_nop 0
	v_pk_add_f32 v[4:5], v[4:5], v[18:19]
	s_waitcnt vmcnt(0)
	v_pk_add_f32 v[4:5], v[14:15], v[4:5] neg_lo:[0,1] neg_hi:[0,1]
	scratch_store_dwordx2 off, v[4:5], off offset:424
	s_and_saveexec_b64 s[0:1], vcc
	s_cbranch_execz .LBB56_251
; %bb.250:
	scratch_load_dwordx2 v[4:5], off, off offset:416
	v_mov_b32_e32 v3, v2
	scratch_store_dwordx2 off, v[2:3], off offset:416
	s_waitcnt vmcnt(1)
	ds_write_b64 v1, v[4:5]
.LBB56_251:
	s_or_b64 exec, exec, s[0:1]
	s_waitcnt lgkmcnt(0)
	; wave barrier
	scratch_load_dwordx4 v[4:7], off, off offset:424
	scratch_load_dwordx4 v[8:11], off, off offset:440
	scratch_load_dwordx2 v[20:21], off, off offset:416
	ds_read2_b64 v[12:15], v2 offset0:111 offset1:112
	ds_read2_b64 v[16:19], v2 offset0:113 offset1:114
	v_cmp_lt_u32_e32 vcc, 51, v0
	s_waitcnt vmcnt(2) lgkmcnt(1)
	v_pk_mul_f32 v[2:3], v[12:13], v[4:5] op_sel:[1,1] op_sel_hi:[0,1]
	v_mov_b32_e32 v22, v7
	s_waitcnt vmcnt(1) lgkmcnt(0)
	v_pk_mul_f32 v[24:25], v[16:17], v[8:9] op_sel:[1,1] op_sel_hi:[0,1]
	v_mov_b32_e32 v26, v11
	v_pk_fma_f32 v[28:29], v[12:13], v[4:5], v[2:3] neg_lo:[0,0,1] neg_hi:[0,0,1]
	v_pk_fma_f32 v[2:3], v[12:13], v[4:5], v[2:3] op_sel_hi:[1,0,1]
	v_pk_mul_f32 v[4:5], v[14:15], v[22:23] op_sel:[1,0] op_sel_hi:[0,0]
	v_pk_fma_f32 v[12:13], v[16:17], v[8:9], v[24:25] neg_lo:[0,0,1] neg_hi:[0,0,1]
	v_pk_fma_f32 v[8:9], v[16:17], v[8:9], v[24:25] op_sel_hi:[1,0,1]
	v_pk_mul_f32 v[16:17], v[18:19], v[26:27] op_sel:[1,0] op_sel_hi:[0,0]
	v_mov_b32_e32 v29, v3
	v_pk_fma_f32 v[2:3], v[14:15], v[6:7], v[4:5] neg_lo:[0,0,1] neg_hi:[0,0,1]
	v_pk_fma_f32 v[4:5], v[14:15], v[6:7], v[4:5] op_sel_hi:[1,0,1]
	v_mov_b32_e32 v13, v9
	v_pk_fma_f32 v[6:7], v[18:19], v[10:11], v[16:17] neg_lo:[0,0,1] neg_hi:[0,0,1]
	v_pk_fma_f32 v[8:9], v[18:19], v[10:11], v[16:17] op_sel_hi:[1,0,1]
	v_pk_add_f32 v[10:11], v[28:29], 0 op_sel_hi:[1,0]
	v_mov_b32_e32 v3, v5
	v_pk_add_f32 v[2:3], v[10:11], v[2:3]
	v_mov_b32_e32 v7, v9
	v_pk_add_f32 v[2:3], v[2:3], v[12:13]
	s_nop 0
	v_pk_add_f32 v[2:3], v[2:3], v[6:7]
	s_waitcnt vmcnt(0)
	v_pk_add_f32 v[2:3], v[20:21], v[2:3] neg_lo:[0,1] neg_hi:[0,1]
	scratch_store_dwordx2 off, v[2:3], off offset:416
	s_and_saveexec_b64 s[0:1], vcc
	s_cbranch_execz .LBB56_253
; %bb.252:
	scratch_load_dwordx2 v[2:3], off, off offset:408
	v_mov_b32_e32 v4, 0
	v_mov_b32_e32 v5, v4
	scratch_store_dwordx2 off, v[4:5], off offset:408
	s_waitcnt vmcnt(1)
	ds_write_b64 v1, v[2:3]
.LBB56_253:
	s_or_b64 exec, exec, s[0:1]
	s_waitcnt lgkmcnt(0)
	; wave barrier
	scratch_load_dwordx4 v[4:7], off, off offset:416
	scratch_load_dwordx4 v[8:11], off, off offset:432
	scratch_load_dwordx2 v[20:21], off, off offset:448
	scratch_load_dwordx2 v[22:23], off, off offset:408
	v_mov_b32_e32 v2, 0
	ds_read_b128 v[12:15], v2 offset:880
	ds_read_b128 v[16:19], v2 offset:896
	ds_read_b64 v[24:25], v2 offset:912
	v_cmp_lt_u32_e32 vcc, 50, v0
	s_waitcnt vmcnt(3) lgkmcnt(2)
	v_pk_mul_f32 v[26:27], v[12:13], v[4:5] op_sel:[1,1] op_sel_hi:[0,1]
	v_mov_b32_e32 v28, v7
	v_pk_fma_f32 v[36:37], v[12:13], v[4:5], v[26:27] neg_lo:[0,0,1] neg_hi:[0,0,1]
	v_pk_fma_f32 v[4:5], v[12:13], v[4:5], v[26:27] op_sel_hi:[1,0,1]
	v_pk_mul_f32 v[12:13], v[14:15], v[28:29] op_sel:[1,0] op_sel_hi:[0,0]
	s_waitcnt vmcnt(2) lgkmcnt(1)
	v_pk_mul_f32 v[30:31], v[16:17], v[8:9] op_sel:[1,1] op_sel_hi:[0,1]
	v_mov_b32_e32 v32, v11
	v_mov_b32_e32 v37, v5
	v_pk_fma_f32 v[4:5], v[14:15], v[6:7], v[12:13] neg_lo:[0,0,1] neg_hi:[0,0,1]
	v_pk_fma_f32 v[6:7], v[14:15], v[6:7], v[12:13] op_sel_hi:[1,0,1]
	v_pk_fma_f32 v[26:27], v[16:17], v[8:9], v[30:31] neg_lo:[0,0,1] neg_hi:[0,0,1]
	v_pk_fma_f32 v[8:9], v[16:17], v[8:9], v[30:31] op_sel_hi:[1,0,1]
	v_pk_mul_f32 v[16:17], v[18:19], v[32:33] op_sel:[1,0] op_sel_hi:[0,0]
	v_pk_add_f32 v[12:13], v[36:37], 0 op_sel_hi:[1,0]
	v_mov_b32_e32 v5, v7
	s_waitcnt vmcnt(1) lgkmcnt(0)
	v_pk_mul_f32 v[34:35], v[24:25], v[20:21] op_sel:[1,1] op_sel_hi:[0,1]
	v_mov_b32_e32 v27, v9
	v_pk_fma_f32 v[8:9], v[18:19], v[10:11], v[16:17] neg_lo:[0,0,1] neg_hi:[0,0,1]
	v_pk_fma_f32 v[10:11], v[18:19], v[10:11], v[16:17] op_sel_hi:[1,0,1]
	v_pk_add_f32 v[4:5], v[12:13], v[4:5]
	v_pk_fma_f32 v[28:29], v[24:25], v[20:21], v[34:35] neg_lo:[0,0,1] neg_hi:[0,0,1]
	v_pk_fma_f32 v[20:21], v[24:25], v[20:21], v[34:35] op_sel_hi:[1,0,1]
	v_mov_b32_e32 v9, v11
	v_pk_add_f32 v[4:5], v[4:5], v[26:27]
	v_mov_b32_e32 v29, v21
	v_pk_add_f32 v[4:5], v[4:5], v[8:9]
	s_nop 0
	v_pk_add_f32 v[4:5], v[4:5], v[28:29]
	s_waitcnt vmcnt(0)
	v_pk_add_f32 v[4:5], v[22:23], v[4:5] neg_lo:[0,1] neg_hi:[0,1]
	scratch_store_dwordx2 off, v[4:5], off offset:408
	s_and_saveexec_b64 s[0:1], vcc
	s_cbranch_execz .LBB56_255
; %bb.254:
	scratch_load_dwordx2 v[4:5], off, off offset:400
	v_mov_b32_e32 v3, v2
	scratch_store_dwordx2 off, v[2:3], off offset:400
	s_waitcnt vmcnt(1)
	ds_write_b64 v1, v[4:5]
.LBB56_255:
	s_or_b64 exec, exec, s[0:1]
	s_waitcnt lgkmcnt(0)
	; wave barrier
	scratch_load_dwordx4 v[4:7], off, off offset:408
	scratch_load_dwordx4 v[8:11], off, off offset:424
	scratch_load_dwordx4 v[12:15], off, off offset:440
	scratch_load_dwordx2 v[28:29], off, off offset:400
	ds_read2_b64 v[16:19], v2 offset0:109 offset1:110
	ds_read2_b64 v[20:23], v2 offset0:111 offset1:112
	;; [unrolled: 1-line block ×3, first 2 shown]
	v_cmp_lt_u32_e32 vcc, 49, v0
	s_waitcnt vmcnt(3) lgkmcnt(2)
	v_pk_mul_f32 v[2:3], v[16:17], v[4:5] op_sel:[1,1] op_sel_hi:[0,1]
	v_mov_b32_e32 v30, v7
	s_waitcnt vmcnt(2) lgkmcnt(1)
	v_pk_mul_f32 v[32:33], v[20:21], v[8:9] op_sel:[1,1] op_sel_hi:[0,1]
	v_mov_b32_e32 v34, v11
	;; [unrolled: 3-line block ×3, first 2 shown]
	v_pk_fma_f32 v[40:41], v[16:17], v[4:5], v[2:3] neg_lo:[0,0,1] neg_hi:[0,0,1]
	v_pk_fma_f32 v[2:3], v[16:17], v[4:5], v[2:3] op_sel_hi:[1,0,1]
	v_pk_mul_f32 v[4:5], v[18:19], v[30:31] op_sel:[1,0] op_sel_hi:[0,0]
	v_pk_fma_f32 v[16:17], v[20:21], v[8:9], v[32:33] neg_lo:[0,0,1] neg_hi:[0,0,1]
	v_pk_fma_f32 v[8:9], v[20:21], v[8:9], v[32:33] op_sel_hi:[1,0,1]
	v_pk_mul_f32 v[20:21], v[22:23], v[34:35] op_sel:[1,0] op_sel_hi:[0,0]
	;; [unrolled: 3-line block ×3, first 2 shown]
	v_mov_b32_e32 v41, v3
	v_pk_fma_f32 v[2:3], v[18:19], v[6:7], v[4:5] neg_lo:[0,0,1] neg_hi:[0,0,1]
	v_pk_fma_f32 v[4:5], v[18:19], v[6:7], v[4:5] op_sel_hi:[1,0,1]
	v_mov_b32_e32 v17, v9
	v_pk_fma_f32 v[6:7], v[22:23], v[10:11], v[20:21] neg_lo:[0,0,1] neg_hi:[0,0,1]
	v_pk_fma_f32 v[8:9], v[22:23], v[10:11], v[20:21] op_sel_hi:[1,0,1]
	;; [unrolled: 3-line block ×3, first 2 shown]
	v_pk_add_f32 v[14:15], v[40:41], 0 op_sel_hi:[1,0]
	v_mov_b32_e32 v3, v5
	v_pk_add_f32 v[2:3], v[14:15], v[2:3]
	v_mov_b32_e32 v7, v9
	v_pk_add_f32 v[2:3], v[2:3], v[16:17]
	;; [unrolled: 2-line block ×3, first 2 shown]
	s_nop 0
	v_pk_add_f32 v[2:3], v[2:3], v[30:31]
	s_nop 0
	v_pk_add_f32 v[2:3], v[2:3], v[10:11]
	s_waitcnt vmcnt(0)
	v_pk_add_f32 v[2:3], v[28:29], v[2:3] neg_lo:[0,1] neg_hi:[0,1]
	scratch_store_dwordx2 off, v[2:3], off offset:400
	s_and_saveexec_b64 s[0:1], vcc
	s_cbranch_execz .LBB56_257
; %bb.256:
	scratch_load_dwordx2 v[2:3], off, off offset:392
	v_mov_b32_e32 v4, 0
	v_mov_b32_e32 v5, v4
	scratch_store_dwordx2 off, v[4:5], off offset:392
	s_waitcnt vmcnt(1)
	ds_write_b64 v1, v[2:3]
.LBB56_257:
	s_or_b64 exec, exec, s[0:1]
	s_waitcnt lgkmcnt(0)
	; wave barrier
	scratch_load_dwordx4 v[4:7], off, off offset:400
	scratch_load_dwordx4 v[8:11], off, off offset:416
	;; [unrolled: 1-line block ×3, first 2 shown]
	scratch_load_dwordx2 v[28:29], off, off offset:448
	scratch_load_dwordx2 v[30:31], off, off offset:392
	v_mov_b32_e32 v2, 0
	ds_read_b128 v[16:19], v2 offset:864
	ds_read_b128 v[20:23], v2 offset:880
	ds_read_b128 v[24:27], v2 offset:896
	ds_read_b64 v[32:33], v2 offset:912
	v_cmp_lt_u32_e32 vcc, 48, v0
	s_waitcnt vmcnt(4) lgkmcnt(3)
	v_pk_mul_f32 v[34:35], v[16:17], v[4:5] op_sel:[1,1] op_sel_hi:[0,1]
	v_mov_b32_e32 v36, v7
	v_pk_fma_f32 v[48:49], v[16:17], v[4:5], v[34:35] neg_lo:[0,0,1] neg_hi:[0,0,1]
	v_pk_fma_f32 v[4:5], v[16:17], v[4:5], v[34:35] op_sel_hi:[1,0,1]
	v_pk_mul_f32 v[16:17], v[18:19], v[36:37] op_sel:[1,0] op_sel_hi:[0,0]
	s_waitcnt vmcnt(3) lgkmcnt(2)
	v_pk_mul_f32 v[38:39], v[20:21], v[8:9] op_sel:[1,1] op_sel_hi:[0,1]
	v_mov_b32_e32 v40, v11
	v_mov_b32_e32 v49, v5
	v_pk_fma_f32 v[4:5], v[18:19], v[6:7], v[16:17] neg_lo:[0,0,1] neg_hi:[0,0,1]
	v_pk_fma_f32 v[6:7], v[18:19], v[6:7], v[16:17] op_sel_hi:[1,0,1]
	v_pk_fma_f32 v[34:35], v[20:21], v[8:9], v[38:39] neg_lo:[0,0,1] neg_hi:[0,0,1]
	v_pk_fma_f32 v[8:9], v[20:21], v[8:9], v[38:39] op_sel_hi:[1,0,1]
	v_pk_mul_f32 v[20:21], v[22:23], v[40:41] op_sel:[1,0] op_sel_hi:[0,0]
	v_pk_add_f32 v[16:17], v[48:49], 0 op_sel_hi:[1,0]
	v_mov_b32_e32 v5, v7
	s_waitcnt vmcnt(2) lgkmcnt(1)
	v_pk_mul_f32 v[42:43], v[24:25], v[12:13] op_sel:[1,1] op_sel_hi:[0,1]
	v_mov_b32_e32 v44, v15
	v_mov_b32_e32 v35, v9
	v_pk_fma_f32 v[8:9], v[22:23], v[10:11], v[20:21] neg_lo:[0,0,1] neg_hi:[0,0,1]
	v_pk_fma_f32 v[10:11], v[22:23], v[10:11], v[20:21] op_sel_hi:[1,0,1]
	v_pk_add_f32 v[4:5], v[16:17], v[4:5]
	v_pk_fma_f32 v[36:37], v[24:25], v[12:13], v[42:43] neg_lo:[0,0,1] neg_hi:[0,0,1]
	v_pk_fma_f32 v[12:13], v[24:25], v[12:13], v[42:43] op_sel_hi:[1,0,1]
	v_pk_mul_f32 v[24:25], v[26:27], v[44:45] op_sel:[1,0] op_sel_hi:[0,0]
	v_mov_b32_e32 v9, v11
	v_pk_add_f32 v[4:5], v[4:5], v[34:35]
	s_waitcnt vmcnt(1) lgkmcnt(0)
	v_pk_mul_f32 v[46:47], v[32:33], v[28:29] op_sel:[1,1] op_sel_hi:[0,1]
	v_mov_b32_e32 v37, v13
	v_pk_fma_f32 v[12:13], v[26:27], v[14:15], v[24:25] neg_lo:[0,0,1] neg_hi:[0,0,1]
	v_pk_fma_f32 v[14:15], v[26:27], v[14:15], v[24:25] op_sel_hi:[1,0,1]
	v_pk_add_f32 v[4:5], v[4:5], v[8:9]
	v_pk_fma_f32 v[38:39], v[32:33], v[28:29], v[46:47] neg_lo:[0,0,1] neg_hi:[0,0,1]
	v_pk_fma_f32 v[28:29], v[32:33], v[28:29], v[46:47] op_sel_hi:[1,0,1]
	v_mov_b32_e32 v13, v15
	v_pk_add_f32 v[4:5], v[4:5], v[36:37]
	v_mov_b32_e32 v39, v29
	v_pk_add_f32 v[4:5], v[4:5], v[12:13]
	s_nop 0
	v_pk_add_f32 v[4:5], v[4:5], v[38:39]
	s_waitcnt vmcnt(0)
	v_pk_add_f32 v[4:5], v[30:31], v[4:5] neg_lo:[0,1] neg_hi:[0,1]
	scratch_store_dwordx2 off, v[4:5], off offset:392
	s_and_saveexec_b64 s[0:1], vcc
	s_cbranch_execz .LBB56_259
; %bb.258:
	scratch_load_dwordx2 v[4:5], off, off offset:384
	v_mov_b32_e32 v3, v2
	scratch_store_dwordx2 off, v[2:3], off offset:384
	s_waitcnt vmcnt(1)
	ds_write_b64 v1, v[4:5]
.LBB56_259:
	s_or_b64 exec, exec, s[0:1]
	s_waitcnt lgkmcnt(0)
	; wave barrier
	scratch_load_dwordx4 v[4:7], off, off offset:392
	scratch_load_dwordx4 v[8:11], off, off offset:408
	;; [unrolled: 1-line block ×4, first 2 shown]
	scratch_load_dwordx2 v[36:37], off, off offset:384
	ds_read2_b64 v[20:23], v2 offset0:107 offset1:108
	ds_read2_b64 v[24:27], v2 offset0:109 offset1:110
	;; [unrolled: 1-line block ×4, first 2 shown]
	v_cmp_lt_u32_e32 vcc, 47, v0
	s_waitcnt vmcnt(4) lgkmcnt(3)
	v_pk_mul_f32 v[2:3], v[20:21], v[4:5] op_sel:[1,1] op_sel_hi:[0,1]
	v_mov_b32_e32 v38, v7
	s_waitcnt vmcnt(3) lgkmcnt(2)
	v_pk_mul_f32 v[40:41], v[24:25], v[8:9] op_sel:[1,1] op_sel_hi:[0,1]
	v_mov_b32_e32 v42, v11
	;; [unrolled: 3-line block ×4, first 2 shown]
	v_pk_fma_f32 v[52:53], v[20:21], v[4:5], v[2:3] neg_lo:[0,0,1] neg_hi:[0,0,1]
	v_pk_fma_f32 v[2:3], v[20:21], v[4:5], v[2:3] op_sel_hi:[1,0,1]
	v_pk_mul_f32 v[4:5], v[22:23], v[38:39] op_sel:[1,0] op_sel_hi:[0,0]
	v_pk_fma_f32 v[20:21], v[24:25], v[8:9], v[40:41] neg_lo:[0,0,1] neg_hi:[0,0,1]
	v_pk_fma_f32 v[8:9], v[24:25], v[8:9], v[40:41] op_sel_hi:[1,0,1]
	v_pk_mul_f32 v[24:25], v[26:27], v[42:43] op_sel:[1,0] op_sel_hi:[0,0]
	;; [unrolled: 3-line block ×4, first 2 shown]
	v_mov_b32_e32 v53, v3
	v_pk_fma_f32 v[2:3], v[22:23], v[6:7], v[4:5] neg_lo:[0,0,1] neg_hi:[0,0,1]
	v_pk_fma_f32 v[4:5], v[22:23], v[6:7], v[4:5] op_sel_hi:[1,0,1]
	v_mov_b32_e32 v21, v9
	v_pk_fma_f32 v[6:7], v[26:27], v[10:11], v[24:25] neg_lo:[0,0,1] neg_hi:[0,0,1]
	v_pk_fma_f32 v[8:9], v[26:27], v[10:11], v[24:25] op_sel_hi:[1,0,1]
	;; [unrolled: 3-line block ×4, first 2 shown]
	v_pk_add_f32 v[18:19], v[52:53], 0 op_sel_hi:[1,0]
	v_mov_b32_e32 v3, v5
	v_pk_add_f32 v[2:3], v[18:19], v[2:3]
	v_mov_b32_e32 v7, v9
	v_pk_add_f32 v[2:3], v[2:3], v[20:21]
	;; [unrolled: 2-line block ×4, first 2 shown]
	s_nop 0
	v_pk_add_f32 v[2:3], v[2:3], v[10:11]
	s_nop 0
	v_pk_add_f32 v[2:3], v[2:3], v[40:41]
	;; [unrolled: 2-line block ×3, first 2 shown]
	s_waitcnt vmcnt(0)
	v_pk_add_f32 v[2:3], v[36:37], v[2:3] neg_lo:[0,1] neg_hi:[0,1]
	scratch_store_dwordx2 off, v[2:3], off offset:384
	s_and_saveexec_b64 s[0:1], vcc
	s_cbranch_execz .LBB56_261
; %bb.260:
	scratch_load_dwordx2 v[2:3], off, off offset:376
	v_mov_b32_e32 v4, 0
	v_mov_b32_e32 v5, v4
	scratch_store_dwordx2 off, v[4:5], off offset:376
	s_waitcnt vmcnt(1)
	ds_write_b64 v1, v[2:3]
.LBB56_261:
	s_or_b64 exec, exec, s[0:1]
	v_mov_b32_e32 v2, 0
	s_waitcnt lgkmcnt(0)
	; wave barrier
	ds_read_b128 v[4:7], v2 offset:848
	ds_read_b128 v[8:11], v2 offset:864
	;; [unrolled: 1-line block ×4, first 2 shown]
	scratch_load_dwordx4 v[20:23], off, off offset:384
	scratch_load_dwordx4 v[24:27], off, off offset:400
	;; [unrolled: 1-line block ×4, first 2 shown]
	scratch_load_dwordx2 v[38:39], off, off offset:448
	v_cmp_lt_u32_e32 vcc, 46, v0
	s_waitcnt vmcnt(4) lgkmcnt(3)
	v_mul_f32_e32 v37, v4, v21
	v_mul_f32_e32 v3, v5, v21
	v_fmac_f32_e32 v37, v5, v20
	v_fma_f32 v36, v4, v20, -v3
	v_pk_add_f32 v[20:21], v[36:37], 0 op_sel_hi:[1,0]
	v_mov_b32_e32 v36, v23
	v_pk_mul_f32 v[36:37], v[6:7], v[36:37] op_sel:[1,0] op_sel_hi:[0,0]
	v_pk_fma_f32 v[40:41], v[6:7], v[22:23], v[36:37] neg_lo:[0,0,1] neg_hi:[0,0,1]
	v_pk_fma_f32 v[6:7], v[6:7], v[22:23], v[36:37] op_sel_hi:[1,0,1]
	ds_read_b64 v[4:5], v2 offset:912
	v_mov_b32_e32 v41, v7
	v_pk_add_f32 v[6:7], v[20:21], v[40:41]
	s_waitcnt vmcnt(3) lgkmcnt(3)
	v_pk_mul_f32 v[20:21], v[8:9], v[24:25] op_sel:[1,1] op_sel_hi:[0,1]
	v_pk_fma_f32 v[22:23], v[8:9], v[24:25], v[20:21] neg_lo:[0,0,1] neg_hi:[0,0,1]
	v_pk_fma_f32 v[8:9], v[8:9], v[24:25], v[20:21] op_sel_hi:[1,0,1]
	s_nop 0
	v_mov_b32_e32 v8, v27
	v_mov_b32_e32 v23, v9
	v_pk_mul_f32 v[8:9], v[10:11], v[8:9] op_sel:[1,0] op_sel_hi:[0,0]
	v_pk_fma_f32 v[20:21], v[10:11], v[26:27], v[8:9] neg_lo:[0,0,1] neg_hi:[0,0,1]
	v_pk_fma_f32 v[8:9], v[10:11], v[26:27], v[8:9] op_sel_hi:[1,0,1]
	v_pk_add_f32 v[6:7], v[6:7], v[22:23]
	v_mov_b32_e32 v21, v9
	s_waitcnt vmcnt(2) lgkmcnt(2)
	v_pk_mul_f32 v[8:9], v[12:13], v[28:29] op_sel:[1,1] op_sel_hi:[0,1]
	v_pk_fma_f32 v[10:11], v[12:13], v[28:29], v[8:9] neg_lo:[0,0,1] neg_hi:[0,0,1]
	v_pk_fma_f32 v[8:9], v[12:13], v[28:29], v[8:9] op_sel_hi:[1,0,1]
	v_pk_add_f32 v[6:7], v[6:7], v[20:21]
	v_mov_b32_e32 v8, v31
	v_mov_b32_e32 v11, v9
	v_pk_mul_f32 v[8:9], v[14:15], v[8:9] op_sel:[1,0] op_sel_hi:[0,0]
	v_pk_add_f32 v[6:7], v[6:7], v[10:11]
	v_pk_fma_f32 v[10:11], v[14:15], v[30:31], v[8:9] neg_lo:[0,0,1] neg_hi:[0,0,1]
	v_pk_fma_f32 v[8:9], v[14:15], v[30:31], v[8:9] op_sel_hi:[1,0,1]
	s_nop 0
	v_mov_b32_e32 v11, v9
	s_waitcnt vmcnt(1) lgkmcnt(1)
	v_pk_mul_f32 v[8:9], v[16:17], v[32:33] op_sel:[1,1] op_sel_hi:[0,1]
	v_pk_add_f32 v[6:7], v[6:7], v[10:11]
	v_pk_fma_f32 v[10:11], v[16:17], v[32:33], v[8:9] neg_lo:[0,0,1] neg_hi:[0,0,1]
	v_pk_fma_f32 v[8:9], v[16:17], v[32:33], v[8:9] op_sel_hi:[1,0,1]
	s_nop 0
	v_mov_b32_e32 v8, v35
	v_mov_b32_e32 v11, v9
	v_pk_mul_f32 v[8:9], v[18:19], v[8:9] op_sel:[1,0] op_sel_hi:[0,0]
	v_pk_add_f32 v[6:7], v[6:7], v[10:11]
	v_pk_fma_f32 v[10:11], v[18:19], v[34:35], v[8:9] neg_lo:[0,0,1] neg_hi:[0,0,1]
	v_pk_fma_f32 v[8:9], v[18:19], v[34:35], v[8:9] op_sel_hi:[1,0,1]
	s_nop 0
	v_mov_b32_e32 v11, v9
	s_waitcnt vmcnt(0) lgkmcnt(0)
	v_pk_mul_f32 v[8:9], v[4:5], v[38:39] op_sel:[1,1] op_sel_hi:[0,1]
	v_pk_add_f32 v[6:7], v[6:7], v[10:11]
	v_pk_fma_f32 v[10:11], v[4:5], v[38:39], v[8:9] neg_lo:[0,0,1] neg_hi:[0,0,1]
	v_pk_fma_f32 v[4:5], v[4:5], v[38:39], v[8:9] op_sel_hi:[1,0,1]
	s_nop 0
	v_mov_b32_e32 v11, v5
	v_pk_add_f32 v[4:5], v[6:7], v[10:11]
	scratch_load_dwordx2 v[6:7], off, off offset:376
	s_waitcnt vmcnt(0)
	v_pk_add_f32 v[4:5], v[6:7], v[4:5] neg_lo:[0,1] neg_hi:[0,1]
	scratch_store_dwordx2 off, v[4:5], off offset:376
	s_and_saveexec_b64 s[0:1], vcc
	s_cbranch_execz .LBB56_263
; %bb.262:
	scratch_load_dwordx2 v[4:5], off, off offset:368
	v_mov_b32_e32 v3, v2
	scratch_store_dwordx2 off, v[2:3], off offset:368
	s_waitcnt vmcnt(1)
	ds_write_b64 v1, v[4:5]
.LBB56_263:
	s_or_b64 exec, exec, s[0:1]
	s_waitcnt lgkmcnt(0)
	; wave barrier
	scratch_load_dwordx4 v[8:11], off, off offset:376
	ds_read2_b64 v[4:7], v2 offset0:105 offset1:106
	scratch_load_dwordx4 v[12:15], off, off offset:392
	scratch_load_dwordx4 v[16:19], off, off offset:408
	;; [unrolled: 1-line block ×4, first 2 shown]
	v_cmp_lt_u32_e32 vcc, 45, v0
	s_waitcnt vmcnt(4) lgkmcnt(0)
	v_mul_f32_e32 v3, v5, v9
	v_mul_f32_e32 v37, v4, v9
	;; [unrolled: 1-line block ×3, first 2 shown]
	v_fma_f32 v36, v4, v8, -v3
	v_mul_f32_e32 v3, v7, v11
	v_fmac_f32_e32 v37, v5, v8
	v_fmac_f32_e32 v39, v7, v10
	v_fma_f32 v38, v6, v10, -v3
	ds_read2_b64 v[4:7], v2 offset0:107 offset1:108
	ds_read2_b64 v[8:11], v2 offset0:109 offset1:110
	;; [unrolled: 1-line block ×4, first 2 shown]
	v_pk_add_f32 v[2:3], v[36:37], 0 op_sel_hi:[1,0]
	s_waitcnt vmcnt(3) lgkmcnt(3)
	v_pk_mul_f32 v[36:37], v[4:5], v[12:13] op_sel:[1,1] op_sel_hi:[0,1]
	v_pk_add_f32 v[2:3], v[2:3], v[38:39]
	v_pk_fma_f32 v[38:39], v[4:5], v[12:13], v[36:37] neg_lo:[0,0,1] neg_hi:[0,0,1]
	v_pk_fma_f32 v[4:5], v[4:5], v[12:13], v[36:37] op_sel_hi:[1,0,1]
	s_nop 0
	v_mov_b32_e32 v4, v15
	v_mov_b32_e32 v39, v5
	v_pk_mul_f32 v[4:5], v[6:7], v[4:5] op_sel:[1,0] op_sel_hi:[0,0]
	v_pk_fma_f32 v[12:13], v[6:7], v[14:15], v[4:5] neg_lo:[0,0,1] neg_hi:[0,0,1]
	v_pk_fma_f32 v[4:5], v[6:7], v[14:15], v[4:5] op_sel_hi:[1,0,1]
	v_pk_add_f32 v[2:3], v[2:3], v[38:39]
	v_mov_b32_e32 v13, v5
	s_waitcnt vmcnt(2) lgkmcnt(2)
	v_pk_mul_f32 v[4:5], v[8:9], v[16:17] op_sel:[1,1] op_sel_hi:[0,1]
	v_pk_fma_f32 v[6:7], v[8:9], v[16:17], v[4:5] neg_lo:[0,0,1] neg_hi:[0,0,1]
	v_pk_fma_f32 v[4:5], v[8:9], v[16:17], v[4:5] op_sel_hi:[1,0,1]
	v_pk_add_f32 v[2:3], v[2:3], v[12:13]
	v_mov_b32_e32 v4, v19
	v_mov_b32_e32 v7, v5
	v_pk_mul_f32 v[4:5], v[10:11], v[4:5] op_sel:[1,0] op_sel_hi:[0,0]
	v_pk_add_f32 v[2:3], v[2:3], v[6:7]
	v_pk_fma_f32 v[6:7], v[10:11], v[18:19], v[4:5] neg_lo:[0,0,1] neg_hi:[0,0,1]
	v_pk_fma_f32 v[4:5], v[10:11], v[18:19], v[4:5] op_sel_hi:[1,0,1]
	s_nop 0
	v_mov_b32_e32 v7, v5
	s_waitcnt vmcnt(1) lgkmcnt(1)
	v_pk_mul_f32 v[4:5], v[28:29], v[20:21] op_sel:[1,1] op_sel_hi:[0,1]
	v_pk_add_f32 v[2:3], v[2:3], v[6:7]
	v_pk_fma_f32 v[6:7], v[28:29], v[20:21], v[4:5] neg_lo:[0,0,1] neg_hi:[0,0,1]
	v_pk_fma_f32 v[4:5], v[28:29], v[20:21], v[4:5] op_sel_hi:[1,0,1]
	s_nop 0
	v_mov_b32_e32 v4, v23
	v_mov_b32_e32 v7, v5
	v_pk_mul_f32 v[4:5], v[30:31], v[4:5] op_sel:[1,0] op_sel_hi:[0,0]
	v_pk_add_f32 v[2:3], v[2:3], v[6:7]
	v_pk_fma_f32 v[6:7], v[30:31], v[22:23], v[4:5] neg_lo:[0,0,1] neg_hi:[0,0,1]
	v_pk_fma_f32 v[4:5], v[30:31], v[22:23], v[4:5] op_sel_hi:[1,0,1]
	s_nop 0
	v_mov_b32_e32 v7, v5
	s_waitcnt vmcnt(0) lgkmcnt(0)
	v_pk_mul_f32 v[4:5], v[32:33], v[24:25] op_sel:[1,1] op_sel_hi:[0,1]
	v_pk_add_f32 v[2:3], v[2:3], v[6:7]
	v_pk_fma_f32 v[6:7], v[32:33], v[24:25], v[4:5] neg_lo:[0,0,1] neg_hi:[0,0,1]
	v_pk_fma_f32 v[4:5], v[32:33], v[24:25], v[4:5] op_sel_hi:[1,0,1]
	s_nop 0
	v_mov_b32_e32 v4, v27
	v_mov_b32_e32 v7, v5
	v_pk_mul_f32 v[4:5], v[34:35], v[4:5] op_sel:[1,0] op_sel_hi:[0,0]
	v_pk_add_f32 v[2:3], v[2:3], v[6:7]
	v_pk_fma_f32 v[6:7], v[34:35], v[26:27], v[4:5] neg_lo:[0,0,1] neg_hi:[0,0,1]
	v_pk_fma_f32 v[4:5], v[34:35], v[26:27], v[4:5] op_sel_hi:[1,0,1]
	s_nop 0
	v_mov_b32_e32 v7, v5
	scratch_load_dwordx2 v[4:5], off, off offset:368
	v_pk_add_f32 v[2:3], v[2:3], v[6:7]
	s_waitcnt vmcnt(0)
	v_pk_add_f32 v[2:3], v[4:5], v[2:3] neg_lo:[0,1] neg_hi:[0,1]
	scratch_store_dwordx2 off, v[2:3], off offset:368
	s_and_saveexec_b64 s[0:1], vcc
	s_cbranch_execz .LBB56_265
; %bb.264:
	scratch_load_dwordx2 v[2:3], off, off offset:360
	v_mov_b32_e32 v4, 0
	v_mov_b32_e32 v5, v4
	scratch_store_dwordx2 off, v[4:5], off offset:360
	s_waitcnt vmcnt(1)
	ds_write_b64 v1, v[2:3]
.LBB56_265:
	s_or_b64 exec, exec, s[0:1]
	v_mov_b32_e32 v2, 0
	s_waitcnt lgkmcnt(0)
	; wave barrier
	ds_read_b128 v[4:7], v2 offset:832
	ds_read_b128 v[8:11], v2 offset:848
	;; [unrolled: 1-line block ×4, first 2 shown]
	scratch_load_dwordx4 v[20:23], off, off offset:368
	scratch_load_dwordx4 v[24:27], off, off offset:384
	;; [unrolled: 1-line block ×5, first 2 shown]
	scratch_load_dwordx2 v[46:47], off, off offset:448
	v_cmp_lt_u32_e32 vcc, 44, v0
	s_waitcnt vmcnt(5) lgkmcnt(3)
	v_mul_f32_e32 v3, v4, v21
	v_fmac_f32_e32 v3, v5, v20
	v_add_f32_e32 v41, 0, v3
	v_mul_f32_e32 v3, v5, v21
	v_fma_f32 v3, v4, v20, -v3
	v_mul_f32_e32 v43, v6, v23
	v_add_f32_e32 v40, 0, v3
	v_mul_f32_e32 v3, v7, v23
	v_fmac_f32_e32 v43, v7, v22
	v_fma_f32 v42, v6, v22, -v3
	s_waitcnt vmcnt(4)
	v_mov_b32_e32 v22, v27
	s_waitcnt lgkmcnt(2)
	v_mul_f32_e32 v45, v8, v25
	v_mul_f32_e32 v3, v9, v25
	v_pk_mul_f32 v[22:23], v[10:11], v[22:23] op_sel:[1,0] op_sel_hi:[0,0]
	v_fmac_f32_e32 v45, v9, v24
	v_fma_f32 v44, v8, v24, -v3
	v_pk_add_f32 v[20:21], v[40:41], v[42:43]
	v_pk_fma_f32 v[24:25], v[10:11], v[26:27], v[22:23] neg_lo:[0,0,1] neg_hi:[0,0,1]
	v_pk_fma_f32 v[10:11], v[10:11], v[26:27], v[22:23] op_sel_hi:[1,0,1]
	v_pk_add_f32 v[20:21], v[20:21], v[44:45]
	v_mov_b32_e32 v25, v11
	v_pk_add_f32 v[10:11], v[20:21], v[24:25]
	s_waitcnt vmcnt(3) lgkmcnt(1)
	v_pk_mul_f32 v[20:21], v[12:13], v[28:29] op_sel:[1,1] op_sel_hi:[0,1]
	v_pk_fma_f32 v[22:23], v[12:13], v[28:29], v[20:21] neg_lo:[0,0,1] neg_hi:[0,0,1]
	v_pk_fma_f32 v[12:13], v[12:13], v[28:29], v[20:21] op_sel_hi:[1,0,1]
	ds_read_b128 v[4:7], v2 offset:896
	ds_read_b64 v[8:9], v2 offset:912
	v_mov_b32_e32 v12, v31
	v_mov_b32_e32 v23, v13
	v_pk_mul_f32 v[12:13], v[14:15], v[12:13] op_sel:[1,0] op_sel_hi:[0,0]
	v_pk_fma_f32 v[20:21], v[14:15], v[30:31], v[12:13] neg_lo:[0,0,1] neg_hi:[0,0,1]
	v_pk_fma_f32 v[12:13], v[14:15], v[30:31], v[12:13] op_sel_hi:[1,0,1]
	v_pk_add_f32 v[10:11], v[10:11], v[22:23]
	v_mov_b32_e32 v21, v13
	s_waitcnt vmcnt(2) lgkmcnt(2)
	v_pk_mul_f32 v[12:13], v[16:17], v[32:33] op_sel:[1,1] op_sel_hi:[0,1]
	v_pk_fma_f32 v[14:15], v[16:17], v[32:33], v[12:13] neg_lo:[0,0,1] neg_hi:[0,0,1]
	v_pk_fma_f32 v[12:13], v[16:17], v[32:33], v[12:13] op_sel_hi:[1,0,1]
	v_pk_add_f32 v[10:11], v[10:11], v[20:21]
	v_mov_b32_e32 v12, v35
	v_mov_b32_e32 v15, v13
	v_pk_mul_f32 v[12:13], v[18:19], v[12:13] op_sel:[1,0] op_sel_hi:[0,0]
	v_pk_add_f32 v[10:11], v[10:11], v[14:15]
	v_pk_fma_f32 v[14:15], v[18:19], v[34:35], v[12:13] neg_lo:[0,0,1] neg_hi:[0,0,1]
	v_pk_fma_f32 v[12:13], v[18:19], v[34:35], v[12:13] op_sel_hi:[1,0,1]
	s_nop 0
	v_mov_b32_e32 v15, v13
	s_waitcnt vmcnt(1) lgkmcnt(1)
	v_pk_mul_f32 v[12:13], v[4:5], v[36:37] op_sel:[1,1] op_sel_hi:[0,1]
	v_pk_add_f32 v[10:11], v[10:11], v[14:15]
	v_pk_fma_f32 v[14:15], v[4:5], v[36:37], v[12:13] neg_lo:[0,0,1] neg_hi:[0,0,1]
	v_pk_fma_f32 v[4:5], v[4:5], v[36:37], v[12:13] op_sel_hi:[1,0,1]
	s_nop 0
	v_mov_b32_e32 v15, v5
	v_pk_add_f32 v[4:5], v[10:11], v[14:15]
	v_mov_b32_e32 v10, v39
	v_pk_mul_f32 v[10:11], v[6:7], v[10:11] op_sel:[1,0] op_sel_hi:[0,0]
	v_pk_fma_f32 v[12:13], v[6:7], v[38:39], v[10:11] neg_lo:[0,0,1] neg_hi:[0,0,1]
	v_pk_fma_f32 v[6:7], v[6:7], v[38:39], v[10:11] op_sel_hi:[1,0,1]
	s_nop 0
	v_mov_b32_e32 v13, v7
	s_waitcnt vmcnt(0) lgkmcnt(0)
	v_pk_mul_f32 v[6:7], v[8:9], v[46:47] op_sel:[1,1] op_sel_hi:[0,1]
	v_pk_fma_f32 v[10:11], v[8:9], v[46:47], v[6:7] neg_lo:[0,0,1] neg_hi:[0,0,1]
	v_pk_fma_f32 v[6:7], v[8:9], v[46:47], v[6:7] op_sel_hi:[1,0,1]
	v_pk_add_f32 v[4:5], v[4:5], v[12:13]
	v_mov_b32_e32 v11, v7
	scratch_load_dwordx2 v[6:7], off, off offset:360
	v_pk_add_f32 v[4:5], v[4:5], v[10:11]
	s_waitcnt vmcnt(0)
	v_pk_add_f32 v[4:5], v[6:7], v[4:5] neg_lo:[0,1] neg_hi:[0,1]
	scratch_store_dwordx2 off, v[4:5], off offset:360
	s_and_saveexec_b64 s[0:1], vcc
	s_cbranch_execz .LBB56_267
; %bb.266:
	scratch_load_dwordx2 v[4:5], off, off offset:352
	v_mov_b32_e32 v3, v2
	scratch_store_dwordx2 off, v[2:3], off offset:352
	s_waitcnt vmcnt(1)
	ds_write_b64 v1, v[4:5]
.LBB56_267:
	s_or_b64 exec, exec, s[0:1]
	s_waitcnt lgkmcnt(0)
	; wave barrier
	scratch_load_dwordx4 v[8:11], off, off offset:360
	scratch_load_dwordx4 v[16:19], off, off offset:376
	ds_read2_b64 v[4:7], v2 offset0:103 offset1:104
	v_cmp_lt_u32_e32 vcc, 43, v0
	s_waitcnt vmcnt(1) lgkmcnt(0)
	v_mul_f32_e32 v3, v4, v9
	v_fmac_f32_e32 v3, v5, v8
	v_mul_f32_e32 v12, v6, v11
	v_add_f32_e32 v3, 0, v3
	v_fmac_f32_e32 v12, v7, v10
	v_add_f32_e32 v37, v3, v12
	ds_read2_b64 v[12:15], v2 offset0:105 offset1:106
	scratch_load_dwordx4 v[20:23], off, off offset:392
	scratch_load_dwordx4 v[24:27], off, off offset:408
	;; [unrolled: 1-line block ×4, first 2 shown]
	v_mul_f32_e32 v3, v5, v9
	v_fma_f32 v3, v4, v8, -v3
	v_mul_f32_e32 v4, v7, v11
	v_add_f32_e32 v3, 0, v3
	v_fma_f32 v4, v6, v10, -v4
	v_add_f32_e32 v36, v3, v4
	s_waitcnt vmcnt(4) lgkmcnt(0)
	v_mul_f32_e32 v3, v13, v17
	v_mul_f32_e32 v39, v12, v17
	;; [unrolled: 1-line block ×3, first 2 shown]
	v_fma_f32 v38, v12, v16, -v3
	v_mul_f32_e32 v3, v15, v19
	v_fmac_f32_e32 v39, v13, v16
	v_fmac_f32_e32 v41, v15, v18
	v_fma_f32 v40, v14, v18, -v3
	ds_read2_b64 v[4:7], v2 offset0:107 offset1:108
	ds_read2_b64 v[8:11], v2 offset0:109 offset1:110
	ds_read2_b64 v[12:15], v2 offset0:111 offset1:112
	ds_read2_b64 v[16:19], v2 offset0:113 offset1:114
	v_pk_add_f32 v[2:3], v[36:37], v[38:39]
	s_waitcnt vmcnt(3) lgkmcnt(3)
	v_pk_mul_f32 v[36:37], v[4:5], v[20:21] op_sel:[1,1] op_sel_hi:[0,1]
	v_pk_fma_f32 v[38:39], v[4:5], v[20:21], v[36:37] neg_lo:[0,0,1] neg_hi:[0,0,1]
	v_pk_fma_f32 v[4:5], v[4:5], v[20:21], v[36:37] op_sel_hi:[1,0,1]
	v_pk_add_f32 v[2:3], v[2:3], v[40:41]
	v_mov_b32_e32 v4, v23
	v_mov_b32_e32 v39, v5
	v_pk_mul_f32 v[4:5], v[6:7], v[4:5] op_sel:[1,0] op_sel_hi:[0,0]
	v_pk_fma_f32 v[20:21], v[6:7], v[22:23], v[4:5] neg_lo:[0,0,1] neg_hi:[0,0,1]
	v_pk_fma_f32 v[4:5], v[6:7], v[22:23], v[4:5] op_sel_hi:[1,0,1]
	v_pk_add_f32 v[2:3], v[2:3], v[38:39]
	v_mov_b32_e32 v21, v5
	s_waitcnt vmcnt(2) lgkmcnt(2)
	v_pk_mul_f32 v[4:5], v[8:9], v[24:25] op_sel:[1,1] op_sel_hi:[0,1]
	v_pk_fma_f32 v[6:7], v[8:9], v[24:25], v[4:5] neg_lo:[0,0,1] neg_hi:[0,0,1]
	v_pk_fma_f32 v[4:5], v[8:9], v[24:25], v[4:5] op_sel_hi:[1,0,1]
	v_pk_add_f32 v[2:3], v[2:3], v[20:21]
	v_mov_b32_e32 v4, v27
	v_mov_b32_e32 v7, v5
	v_pk_mul_f32 v[4:5], v[10:11], v[4:5] op_sel:[1,0] op_sel_hi:[0,0]
	v_pk_add_f32 v[2:3], v[2:3], v[6:7]
	v_pk_fma_f32 v[6:7], v[10:11], v[26:27], v[4:5] neg_lo:[0,0,1] neg_hi:[0,0,1]
	v_pk_fma_f32 v[4:5], v[10:11], v[26:27], v[4:5] op_sel_hi:[1,0,1]
	s_nop 0
	v_mov_b32_e32 v7, v5
	s_waitcnt vmcnt(1) lgkmcnt(1)
	v_pk_mul_f32 v[4:5], v[12:13], v[28:29] op_sel:[1,1] op_sel_hi:[0,1]
	v_pk_add_f32 v[2:3], v[2:3], v[6:7]
	v_pk_fma_f32 v[6:7], v[12:13], v[28:29], v[4:5] neg_lo:[0,0,1] neg_hi:[0,0,1]
	v_pk_fma_f32 v[4:5], v[12:13], v[28:29], v[4:5] op_sel_hi:[1,0,1]
	s_nop 0
	v_mov_b32_e32 v4, v31
	v_mov_b32_e32 v7, v5
	v_pk_mul_f32 v[4:5], v[14:15], v[4:5] op_sel:[1,0] op_sel_hi:[0,0]
	v_pk_add_f32 v[2:3], v[2:3], v[6:7]
	v_pk_fma_f32 v[6:7], v[14:15], v[30:31], v[4:5] neg_lo:[0,0,1] neg_hi:[0,0,1]
	v_pk_fma_f32 v[4:5], v[14:15], v[30:31], v[4:5] op_sel_hi:[1,0,1]
	s_nop 0
	v_mov_b32_e32 v7, v5
	s_waitcnt vmcnt(0) lgkmcnt(0)
	v_pk_mul_f32 v[4:5], v[16:17], v[32:33] op_sel:[1,1] op_sel_hi:[0,1]
	v_pk_add_f32 v[2:3], v[2:3], v[6:7]
	v_pk_fma_f32 v[6:7], v[16:17], v[32:33], v[4:5] neg_lo:[0,0,1] neg_hi:[0,0,1]
	v_pk_fma_f32 v[4:5], v[16:17], v[32:33], v[4:5] op_sel_hi:[1,0,1]
	s_nop 0
	v_mov_b32_e32 v4, v35
	v_mov_b32_e32 v7, v5
	v_pk_mul_f32 v[4:5], v[18:19], v[4:5] op_sel:[1,0] op_sel_hi:[0,0]
	v_pk_add_f32 v[2:3], v[2:3], v[6:7]
	v_pk_fma_f32 v[6:7], v[18:19], v[34:35], v[4:5] neg_lo:[0,0,1] neg_hi:[0,0,1]
	v_pk_fma_f32 v[4:5], v[18:19], v[34:35], v[4:5] op_sel_hi:[1,0,1]
	s_nop 0
	v_mov_b32_e32 v7, v5
	scratch_load_dwordx2 v[4:5], off, off offset:352
	v_pk_add_f32 v[2:3], v[2:3], v[6:7]
	s_waitcnt vmcnt(0)
	v_pk_add_f32 v[2:3], v[4:5], v[2:3] neg_lo:[0,1] neg_hi:[0,1]
	scratch_store_dwordx2 off, v[2:3], off offset:352
	s_and_saveexec_b64 s[0:1], vcc
	s_cbranch_execz .LBB56_269
; %bb.268:
	scratch_load_dwordx2 v[2:3], off, off offset:344
	v_mov_b32_e32 v4, 0
	v_mov_b32_e32 v5, v4
	scratch_store_dwordx2 off, v[4:5], off offset:344
	s_waitcnt vmcnt(1)
	ds_write_b64 v1, v[2:3]
.LBB56_269:
	s_or_b64 exec, exec, s[0:1]
	v_mov_b32_e32 v2, 0
	s_waitcnt lgkmcnt(0)
	; wave barrier
	ds_read_b128 v[4:7], v2 offset:816
	ds_read_b128 v[8:11], v2 offset:832
	;; [unrolled: 1-line block ×4, first 2 shown]
	scratch_load_dwordx4 v[20:23], off, off offset:352
	v_cmp_lt_u32_e32 vcc, 42, v0
	s_waitcnt vmcnt(0) lgkmcnt(3)
	v_mul_f32_e32 v3, v4, v21
	v_fmac_f32_e32 v3, v5, v20
	v_mul_f32_e32 v24, v6, v23
	v_add_f32_e32 v3, 0, v3
	v_fmac_f32_e32 v24, v7, v22
	v_add_f32_e32 v3, v3, v24
	scratch_load_dwordx4 v[24:27], off, off offset:368
	s_waitcnt vmcnt(0) lgkmcnt(2)
	v_mul_f32_e32 v28, v8, v25
	v_fmac_f32_e32 v28, v9, v24
	v_add_f32_e32 v45, v3, v28
	scratch_load_dwordx4 v[28:31], off, off offset:384
	scratch_load_dwordx4 v[32:35], off, off offset:400
	;; [unrolled: 1-line block ×4, first 2 shown]
	scratch_load_dwordx2 v[50:51], off, off offset:448
	v_mul_f32_e32 v3, v5, v21
	v_fma_f32 v3, v4, v20, -v3
	v_mul_f32_e32 v4, v7, v23
	v_add_f32_e32 v3, 0, v3
	v_fma_f32 v4, v6, v22, -v4
	v_add_f32_e32 v3, v3, v4
	v_mul_f32_e32 v4, v9, v25
	v_fma_f32 v4, v8, v24, -v4
	v_mul_f32_e32 v47, v10, v27
	v_add_f32_e32 v44, v3, v4
	v_mul_f32_e32 v3, v11, v27
	v_fmac_f32_e32 v47, v11, v26
	v_fma_f32 v46, v10, v26, -v3
	v_pk_add_f32 v[20:21], v[44:45], v[46:47]
	s_waitcnt vmcnt(4)
	v_mov_b32_e32 v22, v31
	s_waitcnt lgkmcnt(1)
	v_mul_f32_e32 v49, v12, v29
	v_mul_f32_e32 v3, v13, v29
	v_pk_mul_f32 v[22:23], v[14:15], v[22:23] op_sel:[1,0] op_sel_hi:[0,0]
	v_fmac_f32_e32 v49, v13, v28
	v_fma_f32 v48, v12, v28, -v3
	v_pk_fma_f32 v[24:25], v[14:15], v[30:31], v[22:23] neg_lo:[0,0,1] neg_hi:[0,0,1]
	v_pk_fma_f32 v[14:15], v[14:15], v[30:31], v[22:23] op_sel_hi:[1,0,1]
	v_pk_add_f32 v[20:21], v[20:21], v[48:49]
	v_mov_b32_e32 v25, v15
	v_pk_add_f32 v[14:15], v[20:21], v[24:25]
	s_waitcnt vmcnt(3) lgkmcnt(0)
	v_pk_mul_f32 v[20:21], v[16:17], v[32:33] op_sel:[1,1] op_sel_hi:[0,1]
	v_pk_fma_f32 v[22:23], v[16:17], v[32:33], v[20:21] neg_lo:[0,0,1] neg_hi:[0,0,1]
	v_pk_fma_f32 v[16:17], v[16:17], v[32:33], v[20:21] op_sel_hi:[1,0,1]
	ds_read_b128 v[4:7], v2 offset:880
	ds_read_b128 v[8:11], v2 offset:896
	ds_read_b64 v[12:13], v2 offset:912
	v_mov_b32_e32 v16, v35
	v_mov_b32_e32 v23, v17
	v_pk_mul_f32 v[16:17], v[18:19], v[16:17] op_sel:[1,0] op_sel_hi:[0,0]
	v_pk_fma_f32 v[20:21], v[18:19], v[34:35], v[16:17] neg_lo:[0,0,1] neg_hi:[0,0,1]
	v_pk_fma_f32 v[16:17], v[18:19], v[34:35], v[16:17] op_sel_hi:[1,0,1]
	v_pk_add_f32 v[14:15], v[14:15], v[22:23]
	v_mov_b32_e32 v21, v17
	s_waitcnt vmcnt(2) lgkmcnt(2)
	v_pk_mul_f32 v[16:17], v[4:5], v[36:37] op_sel:[1,1] op_sel_hi:[0,1]
	v_pk_fma_f32 v[18:19], v[4:5], v[36:37], v[16:17] neg_lo:[0,0,1] neg_hi:[0,0,1]
	v_pk_fma_f32 v[4:5], v[4:5], v[36:37], v[16:17] op_sel_hi:[1,0,1]
	v_pk_add_f32 v[14:15], v[14:15], v[20:21]
	v_mov_b32_e32 v19, v5
	v_pk_add_f32 v[4:5], v[14:15], v[18:19]
	v_mov_b32_e32 v14, v39
	v_pk_mul_f32 v[14:15], v[6:7], v[14:15] op_sel:[1,0] op_sel_hi:[0,0]
	v_pk_fma_f32 v[16:17], v[6:7], v[38:39], v[14:15] neg_lo:[0,0,1] neg_hi:[0,0,1]
	v_pk_fma_f32 v[6:7], v[6:7], v[38:39], v[14:15] op_sel_hi:[1,0,1]
	s_nop 0
	v_mov_b32_e32 v17, v7
	s_waitcnt vmcnt(1) lgkmcnt(1)
	v_pk_mul_f32 v[6:7], v[8:9], v[40:41] op_sel:[1,1] op_sel_hi:[0,1]
	v_pk_fma_f32 v[14:15], v[8:9], v[40:41], v[6:7] neg_lo:[0,0,1] neg_hi:[0,0,1]
	v_pk_fma_f32 v[6:7], v[8:9], v[40:41], v[6:7] op_sel_hi:[1,0,1]
	v_pk_add_f32 v[4:5], v[4:5], v[16:17]
	v_mov_b32_e32 v6, v43
	v_mov_b32_e32 v15, v7
	v_pk_mul_f32 v[6:7], v[10:11], v[6:7] op_sel:[1,0] op_sel_hi:[0,0]
	v_pk_fma_f32 v[8:9], v[10:11], v[42:43], v[6:7] neg_lo:[0,0,1] neg_hi:[0,0,1]
	v_pk_fma_f32 v[6:7], v[10:11], v[42:43], v[6:7] op_sel_hi:[1,0,1]
	v_pk_add_f32 v[4:5], v[4:5], v[14:15]
	v_mov_b32_e32 v9, v7
	s_waitcnt vmcnt(0) lgkmcnt(0)
	v_pk_mul_f32 v[6:7], v[12:13], v[50:51] op_sel:[1,1] op_sel_hi:[0,1]
	v_pk_add_f32 v[4:5], v[4:5], v[8:9]
	v_pk_fma_f32 v[8:9], v[12:13], v[50:51], v[6:7] neg_lo:[0,0,1] neg_hi:[0,0,1]
	v_pk_fma_f32 v[6:7], v[12:13], v[50:51], v[6:7] op_sel_hi:[1,0,1]
	s_nop 0
	v_mov_b32_e32 v9, v7
	scratch_load_dwordx2 v[6:7], off, off offset:344
	v_pk_add_f32 v[4:5], v[4:5], v[8:9]
	s_waitcnt vmcnt(0)
	v_pk_add_f32 v[4:5], v[6:7], v[4:5] neg_lo:[0,1] neg_hi:[0,1]
	scratch_store_dwordx2 off, v[4:5], off offset:344
	s_and_saveexec_b64 s[0:1], vcc
	s_cbranch_execz .LBB56_271
; %bb.270:
	scratch_load_dwordx2 v[4:5], off, off offset:336
	v_mov_b32_e32 v3, v2
	scratch_store_dwordx2 off, v[2:3], off offset:336
	s_waitcnt vmcnt(1)
	ds_write_b64 v1, v[4:5]
.LBB56_271:
	s_or_b64 exec, exec, s[0:1]
	s_waitcnt lgkmcnt(0)
	; wave barrier
	scratch_load_dwordx4 v[8:11], off, off offset:344
	scratch_load_dwordx4 v[16:19], off, off offset:360
	ds_read2_b64 v[4:7], v2 offset0:101 offset1:102
	scratch_load_dwordx4 v[24:27], off, off offset:376
	v_cmp_lt_u32_e32 vcc, 41, v0
	s_waitcnt vmcnt(2) lgkmcnt(0)
	v_mul_f32_e32 v3, v4, v9
	v_fmac_f32_e32 v3, v5, v8
	v_mul_f32_e32 v12, v6, v11
	v_add_f32_e32 v3, 0, v3
	v_fmac_f32_e32 v12, v7, v10
	v_add_f32_e32 v3, v3, v12
	ds_read2_b64 v[12:15], v2 offset0:103 offset1:104
	s_waitcnt vmcnt(1) lgkmcnt(0)
	v_mul_f32_e32 v20, v12, v17
	v_fmac_f32_e32 v20, v13, v16
	v_add_f32_e32 v3, v3, v20
	v_mul_f32_e32 v20, v14, v19
	v_fmac_f32_e32 v20, v15, v18
	v_add_f32_e32 v45, v3, v20
	ds_read2_b64 v[20:23], v2 offset0:105 offset1:106
	scratch_load_dwordx4 v[28:31], off, off offset:392
	scratch_load_dwordx4 v[32:35], off, off offset:408
	;; [unrolled: 1-line block ×4, first 2 shown]
	v_mul_f32_e32 v3, v5, v9
	v_fma_f32 v3, v4, v8, -v3
	v_mul_f32_e32 v4, v7, v11
	v_add_f32_e32 v3, 0, v3
	v_fma_f32 v4, v6, v10, -v4
	v_add_f32_e32 v3, v3, v4
	v_mul_f32_e32 v4, v13, v17
	v_fma_f32 v4, v12, v16, -v4
	v_add_f32_e32 v3, v3, v4
	v_mul_f32_e32 v4, v15, v19
	v_fma_f32 v4, v14, v18, -v4
	v_add_f32_e32 v44, v3, v4
	ds_read2_b64 v[4:7], v2 offset0:107 offset1:108
	ds_read2_b64 v[8:11], v2 offset0:109 offset1:110
	;; [unrolled: 1-line block ×4, first 2 shown]
	s_waitcnt vmcnt(4) lgkmcnt(4)
	v_mul_f32_e32 v47, v20, v25
	v_mul_f32_e32 v3, v21, v25
	v_fmac_f32_e32 v47, v21, v24
	v_mul_f32_e32 v49, v22, v27
	v_fma_f32 v46, v20, v24, -v3
	v_mul_f32_e32 v3, v23, v27
	v_fmac_f32_e32 v49, v23, v26
	v_fma_f32 v48, v22, v26, -v3
	v_pk_add_f32 v[2:3], v[44:45], v[46:47]
	s_waitcnt vmcnt(3) lgkmcnt(3)
	v_pk_mul_f32 v[20:21], v[4:5], v[28:29] op_sel:[1,1] op_sel_hi:[0,1]
	v_pk_fma_f32 v[22:23], v[4:5], v[28:29], v[20:21] neg_lo:[0,0,1] neg_hi:[0,0,1]
	v_pk_fma_f32 v[4:5], v[4:5], v[28:29], v[20:21] op_sel_hi:[1,0,1]
	v_pk_add_f32 v[2:3], v[2:3], v[48:49]
	v_mov_b32_e32 v4, v31
	v_mov_b32_e32 v23, v5
	v_pk_mul_f32 v[4:5], v[6:7], v[4:5] op_sel:[1,0] op_sel_hi:[0,0]
	v_pk_fma_f32 v[20:21], v[6:7], v[30:31], v[4:5] neg_lo:[0,0,1] neg_hi:[0,0,1]
	v_pk_fma_f32 v[4:5], v[6:7], v[30:31], v[4:5] op_sel_hi:[1,0,1]
	v_pk_add_f32 v[2:3], v[2:3], v[22:23]
	v_mov_b32_e32 v21, v5
	s_waitcnt vmcnt(2) lgkmcnt(2)
	v_pk_mul_f32 v[4:5], v[8:9], v[32:33] op_sel:[1,1] op_sel_hi:[0,1]
	v_pk_fma_f32 v[6:7], v[8:9], v[32:33], v[4:5] neg_lo:[0,0,1] neg_hi:[0,0,1]
	v_pk_fma_f32 v[4:5], v[8:9], v[32:33], v[4:5] op_sel_hi:[1,0,1]
	v_pk_add_f32 v[2:3], v[2:3], v[20:21]
	v_mov_b32_e32 v4, v35
	v_mov_b32_e32 v7, v5
	v_pk_mul_f32 v[4:5], v[10:11], v[4:5] op_sel:[1,0] op_sel_hi:[0,0]
	v_pk_add_f32 v[2:3], v[2:3], v[6:7]
	v_pk_fma_f32 v[6:7], v[10:11], v[34:35], v[4:5] neg_lo:[0,0,1] neg_hi:[0,0,1]
	v_pk_fma_f32 v[4:5], v[10:11], v[34:35], v[4:5] op_sel_hi:[1,0,1]
	s_nop 0
	v_mov_b32_e32 v7, v5
	s_waitcnt vmcnt(1) lgkmcnt(1)
	v_pk_mul_f32 v[4:5], v[12:13], v[36:37] op_sel:[1,1] op_sel_hi:[0,1]
	v_pk_add_f32 v[2:3], v[2:3], v[6:7]
	v_pk_fma_f32 v[6:7], v[12:13], v[36:37], v[4:5] neg_lo:[0,0,1] neg_hi:[0,0,1]
	v_pk_fma_f32 v[4:5], v[12:13], v[36:37], v[4:5] op_sel_hi:[1,0,1]
	s_nop 0
	v_mov_b32_e32 v4, v39
	v_mov_b32_e32 v7, v5
	v_pk_mul_f32 v[4:5], v[14:15], v[4:5] op_sel:[1,0] op_sel_hi:[0,0]
	v_pk_add_f32 v[2:3], v[2:3], v[6:7]
	v_pk_fma_f32 v[6:7], v[14:15], v[38:39], v[4:5] neg_lo:[0,0,1] neg_hi:[0,0,1]
	v_pk_fma_f32 v[4:5], v[14:15], v[38:39], v[4:5] op_sel_hi:[1,0,1]
	s_nop 0
	v_mov_b32_e32 v7, v5
	s_waitcnt vmcnt(0) lgkmcnt(0)
	v_pk_mul_f32 v[4:5], v[16:17], v[40:41] op_sel:[1,1] op_sel_hi:[0,1]
	v_pk_add_f32 v[2:3], v[2:3], v[6:7]
	v_pk_fma_f32 v[6:7], v[16:17], v[40:41], v[4:5] neg_lo:[0,0,1] neg_hi:[0,0,1]
	v_pk_fma_f32 v[4:5], v[16:17], v[40:41], v[4:5] op_sel_hi:[1,0,1]
	s_nop 0
	v_mov_b32_e32 v4, v43
	v_mov_b32_e32 v7, v5
	v_pk_mul_f32 v[4:5], v[18:19], v[4:5] op_sel:[1,0] op_sel_hi:[0,0]
	v_pk_add_f32 v[2:3], v[2:3], v[6:7]
	v_pk_fma_f32 v[6:7], v[18:19], v[42:43], v[4:5] neg_lo:[0,0,1] neg_hi:[0,0,1]
	v_pk_fma_f32 v[4:5], v[18:19], v[42:43], v[4:5] op_sel_hi:[1,0,1]
	s_nop 0
	v_mov_b32_e32 v7, v5
	scratch_load_dwordx2 v[4:5], off, off offset:336
	v_pk_add_f32 v[2:3], v[2:3], v[6:7]
	s_waitcnt vmcnt(0)
	v_pk_add_f32 v[2:3], v[4:5], v[2:3] neg_lo:[0,1] neg_hi:[0,1]
	scratch_store_dwordx2 off, v[2:3], off offset:336
	s_and_saveexec_b64 s[0:1], vcc
	s_cbranch_execz .LBB56_273
; %bb.272:
	scratch_load_dwordx2 v[2:3], off, off offset:328
	v_mov_b32_e32 v4, 0
	v_mov_b32_e32 v5, v4
	scratch_store_dwordx2 off, v[4:5], off offset:328
	s_waitcnt vmcnt(1)
	ds_write_b64 v1, v[2:3]
.LBB56_273:
	s_or_b64 exec, exec, s[0:1]
	v_mov_b32_e32 v2, 0
	s_waitcnt lgkmcnt(0)
	; wave barrier
	ds_read_b128 v[4:7], v2 offset:800
	ds_read_b128 v[8:11], v2 offset:816
	;; [unrolled: 1-line block ×4, first 2 shown]
	scratch_load_dwordx4 v[20:23], off, off offset:336
	v_cmp_lt_u32_e32 vcc, 40, v0
	s_waitcnt vmcnt(0) lgkmcnt(3)
	v_mul_f32_e32 v3, v4, v21
	v_fmac_f32_e32 v3, v5, v20
	v_mul_f32_e32 v24, v6, v23
	v_add_f32_e32 v3, 0, v3
	v_fmac_f32_e32 v24, v7, v22
	v_add_f32_e32 v3, v3, v24
	scratch_load_dwordx4 v[24:27], off, off offset:352
	s_waitcnt vmcnt(0) lgkmcnt(2)
	v_mul_f32_e32 v28, v8, v25
	v_fmac_f32_e32 v28, v9, v24
	v_add_f32_e32 v3, v3, v28
	v_mul_f32_e32 v28, v10, v27
	v_fmac_f32_e32 v28, v11, v26
	v_add_f32_e32 v3, v3, v28
	scratch_load_dwordx4 v[28:31], off, off offset:368
	s_waitcnt vmcnt(0) lgkmcnt(1)
	v_mul_f32_e32 v32, v12, v29
	v_fmac_f32_e32 v32, v13, v28
	v_add_f32_e32 v49, v3, v32
	scratch_load_dwordx4 v[32:35], off, off offset:384
	scratch_load_dwordx4 v[36:39], off, off offset:400
	;; [unrolled: 1-line block ×4, first 2 shown]
	scratch_load_dwordx2 v[54:55], off, off offset:448
	v_mul_f32_e32 v3, v5, v21
	v_fma_f32 v3, v4, v20, -v3
	v_mul_f32_e32 v4, v7, v23
	v_add_f32_e32 v3, 0, v3
	v_fma_f32 v4, v6, v22, -v4
	v_add_f32_e32 v3, v3, v4
	v_mul_f32_e32 v4, v9, v25
	v_fma_f32 v4, v8, v24, -v4
	v_add_f32_e32 v3, v3, v4
	v_mul_f32_e32 v4, v11, v27
	v_fma_f32 v4, v10, v26, -v4
	v_add_f32_e32 v3, v3, v4
	v_mul_f32_e32 v4, v13, v29
	v_fma_f32 v4, v12, v28, -v4
	v_mul_f32_e32 v51, v14, v31
	v_add_f32_e32 v48, v3, v4
	v_mul_f32_e32 v3, v15, v31
	v_fmac_f32_e32 v51, v15, v30
	v_fma_f32 v50, v14, v30, -v3
	v_pk_add_f32 v[20:21], v[48:49], v[50:51]
	s_waitcnt vmcnt(4)
	v_mov_b32_e32 v22, v35
	s_waitcnt lgkmcnt(0)
	v_mul_f32_e32 v53, v16, v33
	v_mul_f32_e32 v3, v17, v33
	v_pk_mul_f32 v[22:23], v[18:19], v[22:23] op_sel:[1,0] op_sel_hi:[0,0]
	v_fmac_f32_e32 v53, v17, v32
	v_fma_f32 v52, v16, v32, -v3
	ds_read_b128 v[4:7], v2 offset:864
	ds_read_b128 v[8:11], v2 offset:880
	;; [unrolled: 1-line block ×3, first 2 shown]
	ds_read_b64 v[16:17], v2 offset:912
	v_pk_fma_f32 v[24:25], v[18:19], v[34:35], v[22:23] neg_lo:[0,0,1] neg_hi:[0,0,1]
	v_pk_fma_f32 v[18:19], v[18:19], v[34:35], v[22:23] op_sel_hi:[1,0,1]
	v_pk_add_f32 v[20:21], v[20:21], v[52:53]
	v_mov_b32_e32 v25, v19
	v_pk_add_f32 v[18:19], v[20:21], v[24:25]
	s_waitcnt vmcnt(3) lgkmcnt(3)
	v_pk_mul_f32 v[20:21], v[4:5], v[36:37] op_sel:[1,1] op_sel_hi:[0,1]
	v_pk_fma_f32 v[22:23], v[4:5], v[36:37], v[20:21] neg_lo:[0,0,1] neg_hi:[0,0,1]
	v_pk_fma_f32 v[4:5], v[4:5], v[36:37], v[20:21] op_sel_hi:[1,0,1]
	s_nop 0
	v_mov_b32_e32 v23, v5
	v_pk_add_f32 v[4:5], v[18:19], v[22:23]
	v_mov_b32_e32 v18, v39
	v_pk_mul_f32 v[18:19], v[6:7], v[18:19] op_sel:[1,0] op_sel_hi:[0,0]
	v_pk_fma_f32 v[20:21], v[6:7], v[38:39], v[18:19] neg_lo:[0,0,1] neg_hi:[0,0,1]
	v_pk_fma_f32 v[6:7], v[6:7], v[38:39], v[18:19] op_sel_hi:[1,0,1]
	s_nop 0
	v_mov_b32_e32 v21, v7
	s_waitcnt vmcnt(2) lgkmcnt(2)
	v_pk_mul_f32 v[6:7], v[8:9], v[40:41] op_sel:[1,1] op_sel_hi:[0,1]
	v_pk_fma_f32 v[18:19], v[8:9], v[40:41], v[6:7] neg_lo:[0,0,1] neg_hi:[0,0,1]
	v_pk_fma_f32 v[6:7], v[8:9], v[40:41], v[6:7] op_sel_hi:[1,0,1]
	v_pk_add_f32 v[4:5], v[4:5], v[20:21]
	v_mov_b32_e32 v6, v43
	v_mov_b32_e32 v19, v7
	v_pk_mul_f32 v[6:7], v[10:11], v[6:7] op_sel:[1,0] op_sel_hi:[0,0]
	v_pk_fma_f32 v[8:9], v[10:11], v[42:43], v[6:7] neg_lo:[0,0,1] neg_hi:[0,0,1]
	v_pk_fma_f32 v[6:7], v[10:11], v[42:43], v[6:7] op_sel_hi:[1,0,1]
	v_pk_add_f32 v[4:5], v[4:5], v[18:19]
	v_mov_b32_e32 v9, v7
	s_waitcnt vmcnt(1) lgkmcnt(1)
	v_pk_mul_f32 v[6:7], v[12:13], v[44:45] op_sel:[1,1] op_sel_hi:[0,1]
	v_pk_add_f32 v[4:5], v[4:5], v[8:9]
	v_pk_fma_f32 v[8:9], v[12:13], v[44:45], v[6:7] neg_lo:[0,0,1] neg_hi:[0,0,1]
	v_pk_fma_f32 v[6:7], v[12:13], v[44:45], v[6:7] op_sel_hi:[1,0,1]
	s_nop 0
	v_mov_b32_e32 v6, v47
	v_mov_b32_e32 v9, v7
	v_pk_mul_f32 v[6:7], v[14:15], v[6:7] op_sel:[1,0] op_sel_hi:[0,0]
	v_pk_add_f32 v[4:5], v[4:5], v[8:9]
	v_pk_fma_f32 v[8:9], v[14:15], v[46:47], v[6:7] neg_lo:[0,0,1] neg_hi:[0,0,1]
	v_pk_fma_f32 v[6:7], v[14:15], v[46:47], v[6:7] op_sel_hi:[1,0,1]
	s_nop 0
	v_mov_b32_e32 v9, v7
	s_waitcnt vmcnt(0) lgkmcnt(0)
	v_pk_mul_f32 v[6:7], v[16:17], v[54:55] op_sel:[1,1] op_sel_hi:[0,1]
	v_pk_add_f32 v[4:5], v[4:5], v[8:9]
	v_pk_fma_f32 v[8:9], v[16:17], v[54:55], v[6:7] neg_lo:[0,0,1] neg_hi:[0,0,1]
	v_pk_fma_f32 v[6:7], v[16:17], v[54:55], v[6:7] op_sel_hi:[1,0,1]
	s_nop 0
	v_mov_b32_e32 v9, v7
	scratch_load_dwordx2 v[6:7], off, off offset:328
	v_pk_add_f32 v[4:5], v[4:5], v[8:9]
	s_waitcnt vmcnt(0)
	v_pk_add_f32 v[4:5], v[6:7], v[4:5] neg_lo:[0,1] neg_hi:[0,1]
	scratch_store_dwordx2 off, v[4:5], off offset:328
	s_and_saveexec_b64 s[0:1], vcc
	s_cbranch_execz .LBB56_275
; %bb.274:
	scratch_load_dwordx2 v[4:5], off, off offset:320
	v_mov_b32_e32 v3, v2
	scratch_store_dwordx2 off, v[2:3], off offset:320
	s_waitcnt vmcnt(1)
	ds_write_b64 v1, v[4:5]
.LBB56_275:
	s_or_b64 exec, exec, s[0:1]
	s_waitcnt lgkmcnt(0)
	; wave barrier
	scratch_load_dwordx4 v[4:7], off, off offset:328
	scratch_load_dwordx4 v[8:11], off, off offset:344
	;; [unrolled: 1-line block ×7, first 2 shown]
	ds_read2_b64 v[32:35], v2 offset0:99 offset1:100
	ds_read2_b64 v[36:39], v2 offset0:101 offset1:102
	;; [unrolled: 1-line block ×4, first 2 shown]
	scratch_load_dwordx4 v[48:51], off, off offset:440
	ds_read2_b64 v[52:55], v2 offset0:107 offset1:108
	ds_read2_b64 v[56:59], v2 offset0:109 offset1:110
	;; [unrolled: 1-line block ×4, first 2 shown]
	scratch_load_dwordx2 v[2:3], off, off offset:320
	v_cmp_lt_u32_e32 vcc, 39, v0
	s_waitcnt vmcnt(8) lgkmcnt(7)
	v_mul_f32_e32 v75, v32, v5
	v_mul_f32_e32 v79, v34, v7
	s_waitcnt vmcnt(7) lgkmcnt(6)
	v_mul_f32_e32 v83, v36, v9
	v_mul_f32_e32 v84, v38, v11
	;; [unrolled: 3-line block ×3, first 2 shown]
	v_mul_f32_e32 v5, v33, v5
	v_mul_f32_e32 v7, v35, v7
	;; [unrolled: 1-line block ×6, first 2 shown]
	s_waitcnt vmcnt(4) lgkmcnt(3)
	v_pk_mul_f32 v[72:73], v[52:53], v[20:21] op_sel:[1,1] op_sel_hi:[0,1]
	v_mov_b32_e32 v74, v23
	s_waitcnt vmcnt(3) lgkmcnt(2)
	v_pk_mul_f32 v[76:77], v[56:57], v[24:25] op_sel:[1,1] op_sel_hi:[0,1]
	v_mov_b32_e32 v78, v27
	v_fmac_f32_e32 v75, v33, v4
	v_fmac_f32_e32 v79, v35, v6
	;; [unrolled: 1-line block ×6, first 2 shown]
	v_fma_f32 v32, v32, v4, -v5
	v_fma_f32 v33, v34, v6, -v7
	;; [unrolled: 1-line block ×6, first 2 shown]
	v_pk_fma_f32 v[4:5], v[52:53], v[20:21], v[72:73] neg_lo:[0,0,1] neg_hi:[0,0,1]
	v_pk_fma_f32 v[6:7], v[52:53], v[20:21], v[72:73] op_sel_hi:[1,0,1]
	v_pk_mul_f32 v[8:9], v[54:55], v[74:75] op_sel:[1,0] op_sel_hi:[0,0]
	v_pk_fma_f32 v[10:11], v[56:57], v[24:25], v[76:77] neg_lo:[0,0,1] neg_hi:[0,0,1]
	v_pk_fma_f32 v[12:13], v[56:57], v[24:25], v[76:77] op_sel_hi:[1,0,1]
	v_pk_mul_f32 v[14:15], v[58:59], v[78:79] op_sel:[1,0] op_sel_hi:[0,0]
	v_add_f32_e32 v24, 0, v75
	v_add_f32_e32 v25, 0, v32
	v_mov_b32_e32 v5, v7
	v_pk_fma_f32 v[6:7], v[54:55], v[22:23], v[8:9] neg_lo:[0,0,1] neg_hi:[0,0,1]
	v_pk_fma_f32 v[8:9], v[54:55], v[22:23], v[8:9] op_sel_hi:[1,0,1]
	v_mov_b32_e32 v11, v13
	v_pk_fma_f32 v[12:13], v[58:59], v[26:27], v[14:15] neg_lo:[0,0,1] neg_hi:[0,0,1]
	v_pk_fma_f32 v[14:15], v[58:59], v[26:27], v[14:15] op_sel_hi:[1,0,1]
	v_add_f32_e32 v8, v24, v79
	v_add_f32_e32 v14, v25, v33
	v_mov_b32_e32 v7, v9
	v_add_f32_e32 v8, v8, v83
	v_add_f32_e32 v9, v14, v34
	;; [unrolled: 1-line block ×4, first 2 shown]
	v_mul_f32_e32 v69, v44, v17
	v_mul_f32_e32 v17, v45, v17
	v_add_f32_e32 v8, v8, v85
	v_add_f32_e32 v14, v9, v36
	v_mul_f32_e32 v71, v46, v19
	v_mul_f32_e32 v19, v47, v19
	v_fmac_f32_e32 v69, v45, v16
	v_fma_f32 v68, v44, v16, -v17
	v_add_f32_e32 v9, v8, v86
	v_add_f32_e32 v8, v14, v37
	v_fmac_f32_e32 v71, v47, v18
	v_fma_f32 v70, v46, v18, -v19
	v_pk_add_f32 v[8:9], v[8:9], v[68:69]
	s_waitcnt vmcnt(2) lgkmcnt(1)
	v_pk_mul_f32 v[80:81], v[60:61], v[28:29] op_sel:[1,1] op_sel_hi:[0,1]
	v_mov_b32_e32 v82, v31
	v_pk_add_f32 v[8:9], v[8:9], v[70:71]
	v_pk_fma_f32 v[16:17], v[60:61], v[28:29], v[80:81] neg_lo:[0,0,1] neg_hi:[0,0,1]
	v_pk_fma_f32 v[18:19], v[60:61], v[28:29], v[80:81] op_sel_hi:[1,0,1]
	v_pk_mul_f32 v[20:21], v[62:63], v[82:83] op_sel:[1,0] op_sel_hi:[0,0]
	v_pk_add_f32 v[4:5], v[8:9], v[4:5]
	v_mov_b32_e32 v17, v19
	v_pk_fma_f32 v[18:19], v[62:63], v[30:31], v[20:21] neg_lo:[0,0,1] neg_hi:[0,0,1]
	v_pk_add_f32 v[4:5], v[4:5], v[6:7]
	v_pk_fma_f32 v[6:7], v[62:63], v[30:31], v[20:21] op_sel_hi:[1,0,1]
	v_mov_b32_e32 v13, v15
	v_pk_add_f32 v[4:5], v[4:5], v[10:11]
	v_mov_b32_e32 v19, v7
	s_waitcnt vmcnt(1) lgkmcnt(0)
	v_pk_mul_f32 v[6:7], v[64:65], v[48:49] op_sel:[1,1] op_sel_hi:[0,1]
	v_pk_add_f32 v[4:5], v[4:5], v[12:13]
	v_pk_fma_f32 v[8:9], v[64:65], v[48:49], v[6:7] neg_lo:[0,0,1] neg_hi:[0,0,1]
	v_pk_fma_f32 v[6:7], v[64:65], v[48:49], v[6:7] op_sel_hi:[1,0,1]
	v_pk_add_f32 v[4:5], v[4:5], v[16:17]
	v_mov_b32_e32 v6, v51
	v_pk_add_f32 v[4:5], v[4:5], v[18:19]
	v_mov_b32_e32 v9, v7
	v_pk_mul_f32 v[6:7], v[66:67], v[6:7] op_sel:[1,0] op_sel_hi:[0,0]
	v_pk_add_f32 v[4:5], v[4:5], v[8:9]
	v_pk_fma_f32 v[8:9], v[66:67], v[50:51], v[6:7] neg_lo:[0,0,1] neg_hi:[0,0,1]
	v_pk_fma_f32 v[6:7], v[66:67], v[50:51], v[6:7] op_sel_hi:[1,0,1]
	s_nop 0
	v_mov_b32_e32 v9, v7
	v_pk_add_f32 v[4:5], v[4:5], v[8:9]
	s_waitcnt vmcnt(0)
	v_pk_add_f32 v[2:3], v[2:3], v[4:5] neg_lo:[0,1] neg_hi:[0,1]
	scratch_store_dwordx2 off, v[2:3], off offset:320
	s_and_saveexec_b64 s[0:1], vcc
	s_cbranch_execz .LBB56_277
; %bb.276:
	scratch_load_dwordx2 v[2:3], off, off offset:312
	v_mov_b32_e32 v4, 0
	v_mov_b32_e32 v5, v4
	scratch_store_dwordx2 off, v[4:5], off offset:312
	s_waitcnt vmcnt(1)
	ds_write_b64 v1, v[2:3]
.LBB56_277:
	s_or_b64 exec, exec, s[0:1]
	s_waitcnt lgkmcnt(0)
	; wave barrier
	scratch_load_dwordx4 v[4:7], off, off offset:320
	scratch_load_dwordx4 v[8:11], off, off offset:336
	;; [unrolled: 1-line block ×8, first 2 shown]
	scratch_load_dwordx2 v[68:69], off, off offset:448
	scratch_load_dwordx2 v[70:71], off, off offset:312
	v_mov_b32_e32 v2, 0
	ds_read_b128 v[36:39], v2 offset:784
	ds_read_b128 v[40:43], v2 offset:800
	ds_read_b128 v[44:47], v2 offset:816
	ds_read_b128 v[48:51], v2 offset:832
	ds_read_b128 v[52:55], v2 offset:848
	ds_read_b128 v[56:59], v2 offset:864
	ds_read_b128 v[60:63], v2 offset:880
	ds_read_b128 v[64:67], v2 offset:896
	ds_read_b64 v[72:73], v2 offset:912
	v_cmp_lt_u32_e32 vcc, 38, v0
	s_waitcnt vmcnt(9) lgkmcnt(8)
	v_mul_f32_e32 v79, v38, v7
	v_mul_f32_e32 v3, v36, v5
	s_waitcnt vmcnt(8) lgkmcnt(7)
	v_mul_f32_e32 v83, v40, v9
	s_waitcnt vmcnt(7) lgkmcnt(6)
	v_mul_f32_e32 v87, v44, v13
	v_mul_f32_e32 v5, v37, v5
	;; [unrolled: 1-line block ×5, first 2 shown]
	s_waitcnt vmcnt(5)
	v_mov_b32_e32 v78, v23
	s_waitcnt vmcnt(3) lgkmcnt(2)
	v_pk_mul_f32 v[84:85], v[60:61], v[28:29] op_sel:[1,1] op_sel_hi:[0,1]
	v_fmac_f32_e32 v79, v39, v6
	v_mul_f32_e32 v86, v42, v11
	v_mul_f32_e32 v89, v48, v17
	;; [unrolled: 1-line block ×4, first 2 shown]
	v_fmac_f32_e32 v3, v37, v4
	v_fmac_f32_e32 v87, v45, v12
	v_fma_f32 v36, v36, v4, -v5
	v_fma_f32 v37, v38, v6, -v7
	;; [unrolled: 1-line block ×4, first 2 shown]
	v_pk_mul_f32 v[4:5], v[54:55], v[78:79] op_sel:[1,0] op_sel_hi:[0,0]
	v_pk_fma_f32 v[12:13], v[60:61], v[28:29], v[84:85] neg_lo:[0,0,1] neg_hi:[0,0,1]
	v_fmac_f32_e32 v89, v49, v16
	v_fma_f32 v39, v42, v10, -v11
	v_fma_f32 v42, v48, v16, -v17
	v_add_f32_e32 v3, 0, v3
	v_add_f32_e32 v13, 0, v36
	v_pk_fma_f32 v[16:17], v[54:55], v[22:23], v[4:5] neg_lo:[0,0,1] neg_hi:[0,0,1]
	v_pk_fma_f32 v[4:5], v[54:55], v[22:23], v[4:5] op_sel_hi:[1,0,1]
	v_fmac_f32_e32 v83, v41, v8
	v_add_f32_e32 v3, v3, v79
	v_add_f32_e32 v4, v13, v37
	v_fmac_f32_e32 v86, v43, v10
	v_add_f32_e32 v3, v3, v83
	v_add_f32_e32 v4, v4, v38
	v_mul_f32_e32 v88, v46, v15
	v_mul_f32_e32 v15, v47, v15
	v_add_f32_e32 v3, v3, v86
	v_add_f32_e32 v4, v4, v39
	v_fmac_f32_e32 v88, v47, v14
	v_fma_f32 v41, v46, v14, -v15
	v_add_f32_e32 v3, v3, v87
	v_add_f32_e32 v4, v4, v40
	v_mul_f32_e32 v75, v50, v19
	v_mul_f32_e32 v19, v51, v19
	v_add_f32_e32 v3, v3, v88
	v_add_f32_e32 v4, v4, v41
	v_mul_f32_e32 v77, v52, v21
	v_mul_f32_e32 v21, v53, v21
	v_fmac_f32_e32 v75, v51, v18
	v_fma_f32 v74, v50, v18, -v19
	v_mov_b32_e32 v17, v5
	v_add_f32_e32 v5, v3, v89
	v_add_f32_e32 v4, v4, v42
	v_pk_mul_f32 v[80:81], v[56:57], v[24:25] op_sel:[1,1] op_sel_hi:[0,1]
	v_fmac_f32_e32 v77, v53, v20
	v_fma_f32 v76, v52, v20, -v21
	v_pk_add_f32 v[4:5], v[4:5], v[74:75]
	v_mov_b32_e32 v82, v27
	v_pk_fma_f32 v[6:7], v[56:57], v[24:25], v[80:81] neg_lo:[0,0,1] neg_hi:[0,0,1]
	v_pk_fma_f32 v[8:9], v[56:57], v[24:25], v[80:81] op_sel_hi:[1,0,1]
	v_pk_add_f32 v[4:5], v[4:5], v[76:77]
	v_pk_mul_f32 v[10:11], v[58:59], v[82:83] op_sel:[1,0] op_sel_hi:[0,0]
	v_mov_b32_e32 v7, v9
	v_pk_add_f32 v[4:5], v[4:5], v[16:17]
	v_pk_fma_f32 v[8:9], v[58:59], v[26:27], v[10:11] neg_lo:[0,0,1] neg_hi:[0,0,1]
	v_pk_fma_f32 v[10:11], v[58:59], v[26:27], v[10:11] op_sel_hi:[1,0,1]
	v_pk_add_f32 v[4:5], v[4:5], v[6:7]
	v_mov_b32_e32 v6, v31
	v_pk_fma_f32 v[14:15], v[60:61], v[28:29], v[84:85] op_sel_hi:[1,0,1]
	v_mov_b32_e32 v9, v11
	v_pk_mul_f32 v[6:7], v[62:63], v[6:7] op_sel:[1,0] op_sel_hi:[0,0]
	v_pk_add_f32 v[4:5], v[4:5], v[8:9]
	v_mov_b32_e32 v13, v15
	v_pk_fma_f32 v[8:9], v[62:63], v[30:31], v[6:7] neg_lo:[0,0,1] neg_hi:[0,0,1]
	v_pk_fma_f32 v[6:7], v[62:63], v[30:31], v[6:7] op_sel_hi:[1,0,1]
	v_pk_add_f32 v[4:5], v[4:5], v[12:13]
	v_mov_b32_e32 v9, v7
	s_waitcnt vmcnt(2) lgkmcnt(1)
	v_pk_mul_f32 v[6:7], v[64:65], v[32:33] op_sel:[1,1] op_sel_hi:[0,1]
	v_pk_add_f32 v[4:5], v[4:5], v[8:9]
	v_pk_fma_f32 v[8:9], v[64:65], v[32:33], v[6:7] neg_lo:[0,0,1] neg_hi:[0,0,1]
	v_pk_fma_f32 v[6:7], v[64:65], v[32:33], v[6:7] op_sel_hi:[1,0,1]
	s_nop 0
	v_mov_b32_e32 v6, v35
	v_mov_b32_e32 v9, v7
	v_pk_mul_f32 v[6:7], v[66:67], v[6:7] op_sel:[1,0] op_sel_hi:[0,0]
	v_pk_add_f32 v[4:5], v[4:5], v[8:9]
	v_pk_fma_f32 v[8:9], v[66:67], v[34:35], v[6:7] neg_lo:[0,0,1] neg_hi:[0,0,1]
	v_pk_fma_f32 v[6:7], v[66:67], v[34:35], v[6:7] op_sel_hi:[1,0,1]
	s_nop 0
	v_mov_b32_e32 v9, v7
	s_waitcnt vmcnt(1) lgkmcnt(0)
	v_pk_mul_f32 v[6:7], v[72:73], v[68:69] op_sel:[1,1] op_sel_hi:[0,1]
	v_pk_add_f32 v[4:5], v[4:5], v[8:9]
	v_pk_fma_f32 v[8:9], v[72:73], v[68:69], v[6:7] neg_lo:[0,0,1] neg_hi:[0,0,1]
	v_pk_fma_f32 v[6:7], v[72:73], v[68:69], v[6:7] op_sel_hi:[1,0,1]
	s_nop 0
	v_mov_b32_e32 v9, v7
	v_pk_add_f32 v[4:5], v[4:5], v[8:9]
	s_waitcnt vmcnt(0)
	v_pk_add_f32 v[4:5], v[70:71], v[4:5] neg_lo:[0,1] neg_hi:[0,1]
	scratch_store_dwordx2 off, v[4:5], off offset:312
	s_and_saveexec_b64 s[0:1], vcc
	s_cbranch_execz .LBB56_279
; %bb.278:
	scratch_load_dwordx2 v[4:5], off, off offset:304
	v_mov_b32_e32 v3, v2
	scratch_store_dwordx2 off, v[2:3], off offset:304
	s_waitcnt vmcnt(1)
	ds_write_b64 v1, v[4:5]
.LBB56_279:
	s_or_b64 exec, exec, s[0:1]
	s_waitcnt lgkmcnt(0)
	; wave barrier
	scratch_load_dwordx4 v[4:7], off, off offset:312
	scratch_load_dwordx4 v[8:11], off, off offset:328
	;; [unrolled: 1-line block ×7, first 2 shown]
	ds_read2_b64 v[32:35], v2 offset0:97 offset1:98
	ds_read2_b64 v[36:39], v2 offset0:99 offset1:100
	;; [unrolled: 1-line block ×4, first 2 shown]
	scratch_load_dwordx4 v[48:51], off, off offset:424
	scratch_load_dwordx4 v[52:55], off, off offset:440
	ds_read2_b64 v[56:59], v2 offset0:105 offset1:106
	ds_read2_b64 v[60:63], v2 offset0:107 offset1:108
	;; [unrolled: 1-line block ×5, first 2 shown]
	scratch_load_dwordx2 v[2:3], off, off offset:304
	v_cmp_lt_u32_e32 vcc, 37, v0
	s_waitcnt vmcnt(9) lgkmcnt(8)
	v_mul_f32_e32 v83, v32, v5
	v_mul_f32_e32 v86, v34, v7
	s_waitcnt vmcnt(8) lgkmcnt(7)
	v_mul_f32_e32 v87, v36, v9
	s_waitcnt vmcnt(7) lgkmcnt(6)
	v_mul_f32_e32 v89, v40, v13
	v_mul_f32_e32 v5, v33, v5
	;; [unrolled: 1-line block ×5, first 2 shown]
	s_waitcnt vmcnt(4) lgkmcnt(3)
	v_pk_mul_f32 v[80:81], v[60:61], v[24:25] op_sel:[1,1] op_sel_hi:[0,1]
	v_mov_b32_e32 v82, v27
	s_waitcnt vmcnt(3) lgkmcnt(2)
	v_pk_mul_f32 v[84:85], v[64:65], v[28:29] op_sel:[1,1] op_sel_hi:[0,1]
	v_fmac_f32_e32 v83, v33, v4
	v_mul_f32_e32 v90, v42, v15
	v_mul_f32_e32 v91, v44, v17
	;; [unrolled: 1-line block ×4, first 2 shown]
	v_fmac_f32_e32 v86, v35, v6
	v_fmac_f32_e32 v87, v37, v8
	;; [unrolled: 1-line block ×3, first 2 shown]
	v_fma_f32 v32, v32, v4, -v5
	v_fma_f32 v33, v34, v6, -v7
	;; [unrolled: 1-line block ×4, first 2 shown]
	v_pk_fma_f32 v[4:5], v[60:61], v[24:25], v[80:81] neg_lo:[0,0,1] neg_hi:[0,0,1]
	v_pk_fma_f32 v[6:7], v[60:61], v[24:25], v[80:81] op_sel_hi:[1,0,1]
	v_pk_mul_f32 v[8:9], v[62:63], v[82:83] op_sel:[1,0] op_sel_hi:[0,0]
	v_pk_fma_f32 v[12:13], v[64:65], v[28:29], v[84:85] op_sel_hi:[1,0,1]
	v_fmac_f32_e32 v90, v43, v14
	v_fma_f32 v14, v42, v14, -v15
	v_fma_f32 v15, v44, v16, -v17
	v_add_f32_e32 v12, 0, v83
	v_add_f32_e32 v17, 0, v32
	v_mov_b32_e32 v5, v7
	v_pk_fma_f32 v[6:7], v[62:63], v[26:27], v[8:9] neg_lo:[0,0,1] neg_hi:[0,0,1]
	v_pk_fma_f32 v[8:9], v[62:63], v[26:27], v[8:9] op_sel_hi:[1,0,1]
	v_mul_f32_e32 v88, v38, v11
	v_mul_f32_e32 v11, v39, v11
	v_add_f32_e32 v8, v12, v86
	v_add_f32_e32 v12, v17, v33
	v_fmac_f32_e32 v88, v39, v10
	v_fma_f32 v35, v38, v10, -v11
	v_mov_b32_e32 v7, v9
	v_add_f32_e32 v8, v8, v87
	v_add_f32_e32 v9, v12, v34
	;; [unrolled: 1-line block ×6, first 2 shown]
	v_mul_f32_e32 v92, v46, v19
	v_mul_f32_e32 v19, v47, v19
	v_fmac_f32_e32 v91, v45, v16
	v_add_f32_e32 v8, v8, v90
	v_add_f32_e32 v9, v9, v14
	v_mul_f32_e32 v77, v56, v21
	v_mul_f32_e32 v21, v57, v21
	v_fmac_f32_e32 v92, v47, v18
	v_fma_f32 v16, v46, v18, -v19
	v_add_f32_e32 v8, v8, v91
	v_add_f32_e32 v12, v9, v15
	v_mul_f32_e32 v79, v58, v23
	v_mul_f32_e32 v23, v59, v23
	v_fmac_f32_e32 v77, v57, v20
	v_fma_f32 v76, v56, v20, -v21
	v_add_f32_e32 v9, v8, v92
	v_add_f32_e32 v8, v12, v16
	v_fmac_f32_e32 v79, v59, v22
	v_fma_f32 v78, v58, v22, -v23
	v_pk_add_f32 v[8:9], v[8:9], v[76:77]
	v_pk_fma_f32 v[10:11], v[64:65], v[28:29], v[84:85] neg_lo:[0,0,1] neg_hi:[0,0,1]
	v_pk_add_f32 v[8:9], v[8:9], v[78:79]
	v_mov_b32_e32 v11, v13
	v_pk_add_f32 v[4:5], v[8:9], v[4:5]
	s_nop 0
	v_pk_add_f32 v[4:5], v[4:5], v[6:7]
	v_mov_b32_e32 v6, v31
	v_pk_mul_f32 v[6:7], v[66:67], v[6:7] op_sel:[1,0] op_sel_hi:[0,0]
	v_pk_fma_f32 v[8:9], v[66:67], v[30:31], v[6:7] neg_lo:[0,0,1] neg_hi:[0,0,1]
	v_pk_fma_f32 v[6:7], v[66:67], v[30:31], v[6:7] op_sel_hi:[1,0,1]
	v_pk_add_f32 v[4:5], v[4:5], v[10:11]
	v_mov_b32_e32 v9, v7
	s_waitcnt vmcnt(2) lgkmcnt(1)
	v_pk_mul_f32 v[6:7], v[68:69], v[48:49] op_sel:[1,1] op_sel_hi:[0,1]
	v_pk_add_f32 v[4:5], v[4:5], v[8:9]
	v_pk_fma_f32 v[8:9], v[68:69], v[48:49], v[6:7] neg_lo:[0,0,1] neg_hi:[0,0,1]
	v_pk_fma_f32 v[6:7], v[68:69], v[48:49], v[6:7] op_sel_hi:[1,0,1]
	s_nop 0
	v_mov_b32_e32 v6, v51
	v_mov_b32_e32 v9, v7
	v_pk_mul_f32 v[6:7], v[70:71], v[6:7] op_sel:[1,0] op_sel_hi:[0,0]
	v_pk_add_f32 v[4:5], v[4:5], v[8:9]
	v_pk_fma_f32 v[8:9], v[70:71], v[50:51], v[6:7] neg_lo:[0,0,1] neg_hi:[0,0,1]
	v_pk_fma_f32 v[6:7], v[70:71], v[50:51], v[6:7] op_sel_hi:[1,0,1]
	s_nop 0
	v_mov_b32_e32 v9, v7
	s_waitcnt vmcnt(1) lgkmcnt(0)
	v_pk_mul_f32 v[6:7], v[72:73], v[52:53] op_sel:[1,1] op_sel_hi:[0,1]
	v_pk_add_f32 v[4:5], v[4:5], v[8:9]
	v_pk_fma_f32 v[8:9], v[72:73], v[52:53], v[6:7] neg_lo:[0,0,1] neg_hi:[0,0,1]
	v_pk_fma_f32 v[6:7], v[72:73], v[52:53], v[6:7] op_sel_hi:[1,0,1]
	s_nop 0
	v_mov_b32_e32 v6, v55
	v_mov_b32_e32 v9, v7
	v_pk_mul_f32 v[6:7], v[74:75], v[6:7] op_sel:[1,0] op_sel_hi:[0,0]
	v_pk_add_f32 v[4:5], v[4:5], v[8:9]
	v_pk_fma_f32 v[8:9], v[74:75], v[54:55], v[6:7] neg_lo:[0,0,1] neg_hi:[0,0,1]
	v_pk_fma_f32 v[6:7], v[74:75], v[54:55], v[6:7] op_sel_hi:[1,0,1]
	s_nop 0
	v_mov_b32_e32 v9, v7
	v_pk_add_f32 v[4:5], v[4:5], v[8:9]
	s_waitcnt vmcnt(0)
	v_pk_add_f32 v[2:3], v[2:3], v[4:5] neg_lo:[0,1] neg_hi:[0,1]
	scratch_store_dwordx2 off, v[2:3], off offset:304
	s_and_saveexec_b64 s[0:1], vcc
	s_cbranch_execz .LBB56_281
; %bb.280:
	scratch_load_dwordx2 v[2:3], off, off offset:296
	v_mov_b32_e32 v4, 0
	v_mov_b32_e32 v5, v4
	scratch_store_dwordx2 off, v[4:5], off offset:296
	s_waitcnt vmcnt(1)
	ds_write_b64 v1, v[2:3]
.LBB56_281:
	s_or_b64 exec, exec, s[0:1]
	s_waitcnt lgkmcnt(0)
	; wave barrier
	scratch_load_dwordx4 v[4:7], off, off offset:304
	scratch_load_dwordx4 v[8:11], off, off offset:320
	;; [unrolled: 1-line block ×9, first 2 shown]
	scratch_load_dwordx2 v[76:77], off, off offset:448
	scratch_load_dwordx2 v[78:79], off, off offset:296
	v_mov_b32_e32 v2, 0
	ds_read_b128 v[40:43], v2 offset:768
	ds_read_b128 v[44:47], v2 offset:784
	;; [unrolled: 1-line block ×9, first 2 shown]
	ds_read_b64 v[80:81], v2 offset:912
	v_cmp_lt_u32_e32 vcc, 36, v0
	s_waitcnt vmcnt(10) lgkmcnt(9)
	v_mul_f32_e32 v87, v42, v7
	v_mul_f32_e32 v3, v40, v5
	;; [unrolled: 1-line block ×3, first 2 shown]
	v_fmac_f32_e32 v87, v43, v6
	s_waitcnt vmcnt(9) lgkmcnt(8)
	v_mul_f32_e32 v88, v44, v9
	s_waitcnt vmcnt(5)
	v_mov_b32_e32 v86, v27
	v_mul_f32_e32 v89, v46, v11
	s_waitcnt lgkmcnt(7)
	v_mul_f32_e32 v91, v50, v15
	v_mul_f32_e32 v7, v43, v7
	;; [unrolled: 1-line block ×5, first 2 shown]
	v_fmac_f32_e32 v3, v41, v4
	v_fma_f32 v40, v40, v4, -v5
	s_waitcnt lgkmcnt(4)
	v_pk_mul_f32 v[4:5], v[62:63], v[86:87] op_sel:[1,0] op_sel_hi:[0,0]
	v_fmac_f32_e32 v88, v45, v8
	v_fma_f32 v41, v42, v6, -v7
	v_fma_f32 v8, v44, v8, -v9
	;; [unrolled: 1-line block ×4, first 2 shown]
	v_add_f32_e32 v3, 0, v3
	v_add_f32_e32 v15, 0, v40
	v_pk_fma_f32 v[6:7], v[62:63], v[26:27], v[4:5] neg_lo:[0,0,1] neg_hi:[0,0,1]
	v_pk_fma_f32 v[4:5], v[62:63], v[26:27], v[4:5] op_sel_hi:[1,0,1]
	v_add_f32_e32 v3, v3, v87
	v_add_f32_e32 v4, v15, v41
	v_mul_f32_e32 v90, v48, v13
	v_mul_f32_e32 v13, v49, v13
	v_fmac_f32_e32 v89, v47, v10
	v_add_f32_e32 v3, v3, v88
	v_add_f32_e32 v4, v4, v8
	v_fmac_f32_e32 v90, v49, v12
	v_fma_f32 v10, v48, v12, -v13
	v_add_f32_e32 v3, v3, v89
	v_add_f32_e32 v4, v4, v9
	v_mul_f32_e32 v92, v52, v17
	v_mul_f32_e32 v17, v53, v17
	v_fmac_f32_e32 v91, v51, v14
	v_add_f32_e32 v3, v3, v90
	v_add_f32_e32 v4, v4, v10
	v_mul_f32_e32 v93, v54, v19
	v_mul_f32_e32 v19, v55, v19
	v_fmac_f32_e32 v92, v53, v16
	v_fma_f32 v12, v52, v16, -v17
	v_add_f32_e32 v3, v3, v91
	v_add_f32_e32 v4, v4, v11
	v_mul_f32_e32 v94, v56, v21
	v_mul_f32_e32 v21, v57, v21
	v_fmac_f32_e32 v93, v55, v18
	v_fma_f32 v13, v54, v18, -v19
	;; [unrolled: 6-line block ×4, first 2 shown]
	v_mov_b32_e32 v7, v5
	v_add_f32_e32 v5, v3, v94
	v_add_f32_e32 v4, v4, v14
	v_fmac_f32_e32 v85, v61, v24
	v_fma_f32 v84, v60, v24, -v25
	v_pk_add_f32 v[4:5], v[4:5], v[82:83]
	s_nop 0
	v_pk_add_f32 v[4:5], v[4:5], v[84:85]
	s_nop 0
	v_pk_add_f32 v[4:5], v[4:5], v[6:7]
	s_waitcnt vmcnt(4) lgkmcnt(3)
	v_pk_mul_f32 v[6:7], v[64:65], v[28:29] op_sel:[1,1] op_sel_hi:[0,1]
	v_pk_fma_f32 v[8:9], v[64:65], v[28:29], v[6:7] neg_lo:[0,0,1] neg_hi:[0,0,1]
	v_pk_fma_f32 v[6:7], v[64:65], v[28:29], v[6:7] op_sel_hi:[1,0,1]
	s_nop 0
	v_mov_b32_e32 v6, v31
	v_mov_b32_e32 v9, v7
	v_pk_mul_f32 v[6:7], v[66:67], v[6:7] op_sel:[1,0] op_sel_hi:[0,0]
	v_pk_add_f32 v[4:5], v[4:5], v[8:9]
	v_pk_fma_f32 v[8:9], v[66:67], v[30:31], v[6:7] neg_lo:[0,0,1] neg_hi:[0,0,1]
	v_pk_fma_f32 v[6:7], v[66:67], v[30:31], v[6:7] op_sel_hi:[1,0,1]
	s_nop 0
	v_mov_b32_e32 v9, v7
	s_waitcnt vmcnt(3) lgkmcnt(2)
	v_pk_mul_f32 v[6:7], v[68:69], v[32:33] op_sel:[1,1] op_sel_hi:[0,1]
	v_pk_add_f32 v[4:5], v[4:5], v[8:9]
	v_pk_fma_f32 v[8:9], v[68:69], v[32:33], v[6:7] neg_lo:[0,0,1] neg_hi:[0,0,1]
	v_pk_fma_f32 v[6:7], v[68:69], v[32:33], v[6:7] op_sel_hi:[1,0,1]
	s_nop 0
	v_mov_b32_e32 v6, v35
	v_mov_b32_e32 v9, v7
	v_pk_mul_f32 v[6:7], v[70:71], v[6:7] op_sel:[1,0] op_sel_hi:[0,0]
	v_pk_add_f32 v[4:5], v[4:5], v[8:9]
	v_pk_fma_f32 v[8:9], v[70:71], v[34:35], v[6:7] neg_lo:[0,0,1] neg_hi:[0,0,1]
	v_pk_fma_f32 v[6:7], v[70:71], v[34:35], v[6:7] op_sel_hi:[1,0,1]
	s_nop 0
	v_mov_b32_e32 v9, v7
	s_waitcnt vmcnt(2) lgkmcnt(1)
	v_pk_mul_f32 v[6:7], v[72:73], v[36:37] op_sel:[1,1] op_sel_hi:[0,1]
	v_pk_add_f32 v[4:5], v[4:5], v[8:9]
	;; [unrolled: 14-line block ×3, first 2 shown]
	v_pk_fma_f32 v[8:9], v[80:81], v[76:77], v[6:7] neg_lo:[0,0,1] neg_hi:[0,0,1]
	v_pk_fma_f32 v[6:7], v[80:81], v[76:77], v[6:7] op_sel_hi:[1,0,1]
	s_nop 0
	v_mov_b32_e32 v9, v7
	v_pk_add_f32 v[4:5], v[4:5], v[8:9]
	s_waitcnt vmcnt(0)
	v_pk_add_f32 v[4:5], v[78:79], v[4:5] neg_lo:[0,1] neg_hi:[0,1]
	scratch_store_dwordx2 off, v[4:5], off offset:296
	s_and_saveexec_b64 s[0:1], vcc
	s_cbranch_execz .LBB56_283
; %bb.282:
	scratch_load_dwordx2 v[4:5], off, off offset:288
	v_mov_b32_e32 v3, v2
	scratch_store_dwordx2 off, v[2:3], off offset:288
	s_waitcnt vmcnt(1)
	ds_write_b64 v1, v[4:5]
.LBB56_283:
	s_or_b64 exec, exec, s[0:1]
	s_waitcnt lgkmcnt(0)
	; wave barrier
	scratch_load_dwordx4 v[4:7], off, off offset:296
	scratch_load_dwordx4 v[8:11], off, off offset:312
	;; [unrolled: 1-line block ×7, first 2 shown]
	ds_read2_b64 v[32:35], v2 offset0:95 offset1:96
	ds_read2_b64 v[36:39], v2 offset0:97 offset1:98
	;; [unrolled: 1-line block ×6, first 2 shown]
	scratch_load_dwordx4 v[56:59], off, off offset:408
	scratch_load_dwordx4 v[60:63], off, off offset:424
	;; [unrolled: 1-line block ×3, first 2 shown]
	ds_read2_b64 v[68:71], v2 offset0:107 offset1:108
	ds_read2_b64 v[72:75], v2 offset0:109 offset1:110
	;; [unrolled: 1-line block ×4, first 2 shown]
	scratch_load_dwordx2 v[2:3], off, off offset:288
	v_cmp_lt_u32_e32 vcc, 35, v0
	s_waitcnt vmcnt(10) lgkmcnt(9)
	v_mul_f32_e32 v90, v32, v5
	v_mul_f32_e32 v5, v33, v5
	;; [unrolled: 1-line block ×3, first 2 shown]
	s_waitcnt vmcnt(9) lgkmcnt(8)
	v_mul_f32_e32 v92, v36, v9
	s_waitcnt vmcnt(8) lgkmcnt(7)
	v_mul_f32_e32 v95, v42, v15
	v_mul_f32_e32 v7, v35, v7
	;; [unrolled: 1-line block ×4, first 2 shown]
	v_fmac_f32_e32 v90, v33, v4
	v_fma_f32 v4, v32, v4, -v5
	v_fmac_f32_e32 v91, v35, v6
	v_fmac_f32_e32 v95, v43, v14
	v_fma_f32 v5, v34, v6, -v7
	v_fma_f32 v6, v36, v8, -v9
	v_fma_f32 v9, v42, v14, -v15
	v_add_f32_e32 v14, 0, v90
	v_add_f32_e32 v4, 0, v4
	v_mul_f32_e32 v93, v38, v11
	v_mul_f32_e32 v11, v39, v11
	v_fmac_f32_e32 v92, v37, v8
	v_add_f32_e32 v14, v14, v91
	v_add_f32_e32 v4, v4, v5
	v_mul_f32_e32 v94, v40, v13
	v_mul_f32_e32 v13, v41, v13
	v_fmac_f32_e32 v93, v39, v10
	v_fma_f32 v7, v38, v10, -v11
	v_add_f32_e32 v5, v14, v92
	v_add_f32_e32 v4, v4, v6
	v_fmac_f32_e32 v94, v41, v12
	v_fma_f32 v8, v40, v12, -v13
	v_add_f32_e32 v5, v5, v93
	v_add_f32_e32 v4, v4, v7
	s_waitcnt vmcnt(7) lgkmcnt(6)
	v_mul_f32_e32 v96, v44, v17
	v_mul_f32_e32 v17, v45, v17
	v_add_f32_e32 v5, v5, v94
	v_add_f32_e32 v4, v4, v8
	v_mul_f32_e32 v97, v46, v19
	v_mul_f32_e32 v19, v47, v19
	v_fmac_f32_e32 v96, v45, v16
	v_fma_f32 v10, v44, v16, -v17
	v_add_f32_e32 v5, v5, v95
	v_add_f32_e32 v4, v4, v9
	s_waitcnt vmcnt(6) lgkmcnt(5)
	v_mul_f32_e32 v98, v48, v21
	v_mul_f32_e32 v21, v49, v21
	v_fmac_f32_e32 v97, v47, v18
	v_fma_f32 v11, v46, v18, -v19
	v_add_f32_e32 v5, v5, v96
	v_add_f32_e32 v4, v4, v10
	v_mul_f32_e32 v99, v50, v23
	v_mul_f32_e32 v23, v51, v23
	v_fmac_f32_e32 v98, v49, v20
	v_fma_f32 v12, v48, v20, -v21
	v_add_f32_e32 v5, v5, v97
	v_add_f32_e32 v4, v4, v11
	s_waitcnt vmcnt(5) lgkmcnt(4)
	v_mul_f32_e32 v85, v52, v25
	v_mul_f32_e32 v25, v53, v25
	v_fmac_f32_e32 v99, v51, v22
	v_fma_f32 v13, v50, v22, -v23
	v_add_f32_e32 v5, v5, v98
	v_add_f32_e32 v4, v4, v12
	v_mul_f32_e32 v87, v54, v27
	v_mul_f32_e32 v27, v55, v27
	s_waitcnt vmcnt(4) lgkmcnt(3)
	v_pk_mul_f32 v[88:89], v[68:69], v[28:29] op_sel:[1,1] op_sel_hi:[0,1]
	v_fmac_f32_e32 v85, v53, v24
	v_fma_f32 v84, v52, v24, -v25
	v_add_f32_e32 v5, v5, v99
	v_add_f32_e32 v4, v4, v13
	v_fmac_f32_e32 v87, v55, v26
	v_fma_f32 v86, v54, v26, -v27
	v_pk_add_f32 v[4:5], v[4:5], v[84:85]
	v_pk_fma_f32 v[6:7], v[68:69], v[28:29], v[88:89] neg_lo:[0,0,1] neg_hi:[0,0,1]
	v_pk_fma_f32 v[8:9], v[68:69], v[28:29], v[88:89] op_sel_hi:[1,0,1]
	v_pk_add_f32 v[4:5], v[4:5], v[86:87]
	v_mov_b32_e32 v7, v9
	v_pk_add_f32 v[4:5], v[4:5], v[6:7]
	v_mov_b32_e32 v6, v31
	v_pk_mul_f32 v[6:7], v[70:71], v[6:7] op_sel:[1,0] op_sel_hi:[0,0]
	v_pk_fma_f32 v[8:9], v[70:71], v[30:31], v[6:7] neg_lo:[0,0,1] neg_hi:[0,0,1]
	v_pk_fma_f32 v[6:7], v[70:71], v[30:31], v[6:7] op_sel_hi:[1,0,1]
	s_nop 0
	v_mov_b32_e32 v9, v7
	s_waitcnt vmcnt(3) lgkmcnt(2)
	v_pk_mul_f32 v[6:7], v[72:73], v[56:57] op_sel:[1,1] op_sel_hi:[0,1]
	v_pk_add_f32 v[4:5], v[4:5], v[8:9]
	v_pk_fma_f32 v[8:9], v[72:73], v[56:57], v[6:7] neg_lo:[0,0,1] neg_hi:[0,0,1]
	v_pk_fma_f32 v[6:7], v[72:73], v[56:57], v[6:7] op_sel_hi:[1,0,1]
	s_nop 0
	v_mov_b32_e32 v6, v59
	v_mov_b32_e32 v9, v7
	v_pk_mul_f32 v[6:7], v[74:75], v[6:7] op_sel:[1,0] op_sel_hi:[0,0]
	v_pk_add_f32 v[4:5], v[4:5], v[8:9]
	v_pk_fma_f32 v[8:9], v[74:75], v[58:59], v[6:7] neg_lo:[0,0,1] neg_hi:[0,0,1]
	v_pk_fma_f32 v[6:7], v[74:75], v[58:59], v[6:7] op_sel_hi:[1,0,1]
	s_nop 0
	v_mov_b32_e32 v9, v7
	s_waitcnt vmcnt(2) lgkmcnt(1)
	v_pk_mul_f32 v[6:7], v[76:77], v[60:61] op_sel:[1,1] op_sel_hi:[0,1]
	v_pk_add_f32 v[4:5], v[4:5], v[8:9]
	v_pk_fma_f32 v[8:9], v[76:77], v[60:61], v[6:7] neg_lo:[0,0,1] neg_hi:[0,0,1]
	v_pk_fma_f32 v[6:7], v[76:77], v[60:61], v[6:7] op_sel_hi:[1,0,1]
	s_nop 0
	v_mov_b32_e32 v6, v63
	v_mov_b32_e32 v9, v7
	v_pk_mul_f32 v[6:7], v[78:79], v[6:7] op_sel:[1,0] op_sel_hi:[0,0]
	v_pk_add_f32 v[4:5], v[4:5], v[8:9]
	;; [unrolled: 14-line block ×3, first 2 shown]
	v_pk_fma_f32 v[8:9], v[82:83], v[66:67], v[6:7] neg_lo:[0,0,1] neg_hi:[0,0,1]
	v_pk_fma_f32 v[6:7], v[82:83], v[66:67], v[6:7] op_sel_hi:[1,0,1]
	s_nop 0
	v_mov_b32_e32 v9, v7
	v_pk_add_f32 v[4:5], v[4:5], v[8:9]
	s_waitcnt vmcnt(0)
	v_pk_add_f32 v[2:3], v[2:3], v[4:5] neg_lo:[0,1] neg_hi:[0,1]
	scratch_store_dwordx2 off, v[2:3], off offset:288
	s_and_saveexec_b64 s[0:1], vcc
	s_cbranch_execz .LBB56_285
; %bb.284:
	scratch_load_dwordx2 v[2:3], off, off offset:280
	v_mov_b32_e32 v4, 0
	v_mov_b32_e32 v5, v4
	scratch_store_dwordx2 off, v[4:5], off offset:280
	s_waitcnt vmcnt(1)
	ds_write_b64 v1, v[2:3]
.LBB56_285:
	s_or_b64 exec, exec, s[0:1]
	s_waitcnt lgkmcnt(0)
	; wave barrier
	scratch_load_dwordx4 v[2:5], off, off offset:288
	scratch_load_dwordx4 v[6:9], off, off offset:304
	;; [unrolled: 1-line block ×10, first 2 shown]
	scratch_load_dwordx2 v[76:77], off, off offset:448
	scratch_load_dwordx2 v[78:79], off, off offset:280
	v_mov_b32_e32 v10, 0
	ds_read_b128 v[44:47], v10 offset:752
	ds_read_b128 v[48:51], v10 offset:768
	;; [unrolled: 1-line block ×8, first 2 shown]
	v_cmp_lt_u32_e32 vcc, 34, v0
	s_waitcnt vmcnt(11) lgkmcnt(7)
	v_mul_f32_e32 v11, v44, v3
	v_mul_f32_e32 v3, v45, v3
	;; [unrolled: 1-line block ×4, first 2 shown]
	v_fmac_f32_e32 v11, v45, v2
	v_fma_f32 v2, v44, v2, -v3
	s_waitcnt vmcnt(10) lgkmcnt(6)
	v_mul_f32_e32 v82, v48, v7
	v_mul_f32_e32 v7, v49, v7
	v_fma_f32 v3, v46, v4, -v5
	v_add_f32_e32 v2, 0, v2
	v_mul_f32_e32 v84, v50, v9
	v_mul_f32_e32 v9, v51, v9
	v_fmac_f32_e32 v80, v47, v4
	v_fma_f32 v4, v48, v6, -v7
	v_add_f32_e32 v11, 0, v11
	v_add_f32_e32 v2, v2, v3
	s_waitcnt vmcnt(9) lgkmcnt(5)
	v_mul_f32_e32 v85, v52, v13
	v_mul_f32_e32 v13, v53, v13
	v_fmac_f32_e32 v82, v49, v6
	v_fma_f32 v5, v50, v8, -v9
	v_add_f32_e32 v11, v11, v80
	v_add_f32_e32 v2, v2, v4
	v_mul_f32_e32 v86, v54, v15
	v_mul_f32_e32 v15, v55, v15
	v_fmac_f32_e32 v84, v51, v8
	v_fma_f32 v6, v52, v12, -v13
	v_add_f32_e32 v3, v11, v82
	v_add_f32_e32 v2, v2, v5
	s_waitcnt vmcnt(8) lgkmcnt(4)
	v_mul_f32_e32 v87, v56, v17
	v_mul_f32_e32 v17, v57, v17
	v_fmac_f32_e32 v85, v53, v12
	v_fma_f32 v7, v54, v14, -v15
	v_add_f32_e32 v3, v3, v84
	;; [unrolled: 13-line block ×4, first 2 shown]
	v_add_f32_e32 v2, v2, v12
	v_fmac_f32_e32 v90, v63, v22
	v_fma_f32 v14, v64, v24, -v25
	v_add_f32_e32 v3, v3, v89
	v_add_f32_e32 v2, v2, v13
	v_mul_f32_e32 v81, v66, v27
	v_fmac_f32_e32 v91, v65, v24
	v_add_f32_e32 v3, v3, v90
	v_add_f32_e32 v12, v2, v14
	v_mul_f32_e32 v2, v67, v27
	s_waitcnt vmcnt(5)
	v_mov_b32_e32 v16, v31
	s_waitcnt lgkmcnt(1)
	v_mul_f32_e32 v83, v68, v29
	v_fmac_f32_e32 v81, v67, v26
	v_add_f32_e32 v13, v3, v91
	v_fma_f32 v80, v66, v26, -v2
	v_mul_f32_e32 v2, v69, v29
	v_pk_mul_f32 v[16:17], v[70:71], v[16:17] op_sel:[1,0] op_sel_hi:[0,0]
	v_fmac_f32_e32 v83, v69, v28
	v_fma_f32 v82, v68, v28, -v2
	v_pk_add_f32 v[12:13], v[12:13], v[80:81]
	v_pk_fma_f32 v[18:19], v[70:71], v[30:31], v[16:17] neg_lo:[0,0,1] neg_hi:[0,0,1]
	v_pk_fma_f32 v[16:17], v[70:71], v[30:31], v[16:17] op_sel_hi:[1,0,1]
	v_pk_add_f32 v[12:13], v[12:13], v[82:83]
	v_mov_b32_e32 v19, v17
	s_waitcnt vmcnt(4) lgkmcnt(0)
	v_pk_mul_f32 v[16:17], v[72:73], v[32:33] op_sel:[1,1] op_sel_hi:[0,1]
	v_pk_add_f32 v[12:13], v[12:13], v[18:19]
	v_pk_fma_f32 v[18:19], v[72:73], v[32:33], v[16:17] neg_lo:[0,0,1] neg_hi:[0,0,1]
	v_pk_fma_f32 v[16:17], v[72:73], v[32:33], v[16:17] op_sel_hi:[1,0,1]
	ds_read_b128 v[2:5], v10 offset:880
	ds_read_b128 v[6:9], v10 offset:896
	ds_read_b64 v[14:15], v10 offset:912
	v_mov_b32_e32 v16, v35
	v_mov_b32_e32 v19, v17
	v_pk_mul_f32 v[16:17], v[74:75], v[16:17] op_sel:[1,0] op_sel_hi:[0,0]
	v_pk_add_f32 v[12:13], v[12:13], v[18:19]
	v_pk_fma_f32 v[18:19], v[74:75], v[34:35], v[16:17] neg_lo:[0,0,1] neg_hi:[0,0,1]
	v_pk_fma_f32 v[16:17], v[74:75], v[34:35], v[16:17] op_sel_hi:[1,0,1]
	s_nop 0
	v_mov_b32_e32 v19, v17
	s_waitcnt vmcnt(3) lgkmcnt(2)
	v_pk_mul_f32 v[16:17], v[2:3], v[36:37] op_sel:[1,1] op_sel_hi:[0,1]
	v_pk_add_f32 v[12:13], v[12:13], v[18:19]
	v_pk_fma_f32 v[18:19], v[2:3], v[36:37], v[16:17] neg_lo:[0,0,1] neg_hi:[0,0,1]
	v_pk_fma_f32 v[2:3], v[2:3], v[36:37], v[16:17] op_sel_hi:[1,0,1]
	s_nop 0
	v_mov_b32_e32 v19, v3
	v_pk_add_f32 v[2:3], v[12:13], v[18:19]
	v_mov_b32_e32 v12, v39
	v_pk_mul_f32 v[12:13], v[4:5], v[12:13] op_sel:[1,0] op_sel_hi:[0,0]
	v_pk_fma_f32 v[16:17], v[4:5], v[38:39], v[12:13] neg_lo:[0,0,1] neg_hi:[0,0,1]
	v_pk_fma_f32 v[4:5], v[4:5], v[38:39], v[12:13] op_sel_hi:[1,0,1]
	s_nop 0
	v_mov_b32_e32 v17, v5
	s_waitcnt vmcnt(2) lgkmcnt(1)
	v_pk_mul_f32 v[4:5], v[6:7], v[40:41] op_sel:[1,1] op_sel_hi:[0,1]
	v_pk_fma_f32 v[12:13], v[6:7], v[40:41], v[4:5] neg_lo:[0,0,1] neg_hi:[0,0,1]
	v_pk_fma_f32 v[4:5], v[6:7], v[40:41], v[4:5] op_sel_hi:[1,0,1]
	v_pk_add_f32 v[2:3], v[2:3], v[16:17]
	v_mov_b32_e32 v4, v43
	v_mov_b32_e32 v13, v5
	v_pk_mul_f32 v[4:5], v[8:9], v[4:5] op_sel:[1,0] op_sel_hi:[0,0]
	v_pk_fma_f32 v[6:7], v[8:9], v[42:43], v[4:5] neg_lo:[0,0,1] neg_hi:[0,0,1]
	v_pk_fma_f32 v[4:5], v[8:9], v[42:43], v[4:5] op_sel_hi:[1,0,1]
	v_pk_add_f32 v[2:3], v[2:3], v[12:13]
	v_mov_b32_e32 v7, v5
	s_waitcnt vmcnt(1) lgkmcnt(0)
	v_pk_mul_f32 v[4:5], v[14:15], v[76:77] op_sel:[1,1] op_sel_hi:[0,1]
	v_pk_add_f32 v[2:3], v[2:3], v[6:7]
	v_pk_fma_f32 v[6:7], v[14:15], v[76:77], v[4:5] neg_lo:[0,0,1] neg_hi:[0,0,1]
	v_pk_fma_f32 v[4:5], v[14:15], v[76:77], v[4:5] op_sel_hi:[1,0,1]
	s_nop 0
	v_mov_b32_e32 v7, v5
	v_pk_add_f32 v[2:3], v[2:3], v[6:7]
	s_waitcnt vmcnt(0)
	v_pk_add_f32 v[2:3], v[78:79], v[2:3] neg_lo:[0,1] neg_hi:[0,1]
	scratch_store_dwordx2 off, v[2:3], off offset:280
	s_and_saveexec_b64 s[0:1], vcc
	s_cbranch_execz .LBB56_287
; %bb.286:
	scratch_load_dwordx2 v[2:3], off, off offset:272
	v_mov_b32_e32 v11, v10
	scratch_store_dwordx2 off, v[10:11], off offset:272
	s_waitcnt vmcnt(1)
	ds_write_b64 v1, v[2:3]
.LBB56_287:
	s_or_b64 exec, exec, s[0:1]
	s_waitcnt lgkmcnt(0)
	; wave barrier
	scratch_load_dwordx4 v[6:9], off, off offset:280
	scratch_load_dwordx4 v[12:15], off, off offset:296
	;; [unrolled: 1-line block ×7, first 2 shown]
	ds_read2_b64 v[36:39], v10 offset0:93 offset1:94
	ds_read2_b64 v[40:43], v10 offset0:95 offset1:96
	ds_read2_b64 v[44:47], v10 offset0:97 offset1:98
	ds_read2_b64 v[48:51], v10 offset0:99 offset1:100
	ds_read2_b64 v[52:55], v10 offset0:101 offset1:102
	ds_read2_b64 v[56:59], v10 offset0:103 offset1:104
	scratch_load_dwordx4 v[60:63], off, off offset:392
	scratch_load_dwordx4 v[64:67], off, off offset:408
	;; [unrolled: 1-line block ×4, first 2 shown]
	ds_read2_b64 v[72:75], v10 offset0:105 offset1:106
	ds_read2_b64 v[76:79], v10 offset0:107 offset1:108
	scratch_load_dwordx2 v[80:81], off, off offset:272
	v_cmp_lt_u32_e32 vcc, 33, v0
	s_waitcnt vmcnt(11) lgkmcnt(7)
	v_mul_f32_e32 v11, v36, v7
	v_mul_f32_e32 v82, v38, v9
	;; [unrolled: 1-line block ×3, first 2 shown]
	v_fmac_f32_e32 v11, v37, v6
	s_waitcnt vmcnt(10) lgkmcnt(6)
	v_mul_f32_e32 v84, v40, v13
	v_mul_f32_e32 v9, v39, v9
	v_fmac_f32_e32 v82, v39, v8
	v_fma_f32 v6, v36, v6, -v7
	v_add_f32_e32 v11, 0, v11
	v_mul_f32_e32 v86, v42, v15
	v_fmac_f32_e32 v84, v41, v12
	v_fma_f32 v7, v38, v8, -v9
	v_add_f32_e32 v6, 0, v6
	v_add_f32_e32 v11, v11, v82
	s_waitcnt vmcnt(9) lgkmcnt(5)
	v_mul_f32_e32 v87, v44, v17
	v_mul_f32_e32 v13, v41, v13
	v_fmac_f32_e32 v86, v43, v14
	v_add_f32_e32 v6, v6, v7
	v_add_f32_e32 v7, v11, v84
	v_mul_f32_e32 v88, v46, v19
	v_mul_f32_e32 v15, v43, v15
	v_fmac_f32_e32 v87, v45, v16
	v_fma_f32 v8, v40, v12, -v13
	v_add_f32_e32 v7, v7, v86
	s_waitcnt vmcnt(8) lgkmcnt(4)
	v_mul_f32_e32 v89, v48, v21
	v_mul_f32_e32 v17, v45, v17
	v_fmac_f32_e32 v88, v47, v18
	v_fma_f32 v9, v42, v14, -v15
	v_add_f32_e32 v6, v6, v8
	v_add_f32_e32 v7, v7, v87
	v_mul_f32_e32 v90, v50, v23
	v_mul_f32_e32 v19, v47, v19
	v_fmac_f32_e32 v89, v49, v20
	v_fma_f32 v12, v44, v16, -v17
	v_add_f32_e32 v6, v6, v9
	v_add_f32_e32 v7, v7, v88
	s_waitcnt vmcnt(7) lgkmcnt(3)
	v_mul_f32_e32 v91, v52, v25
	v_mul_f32_e32 v21, v49, v21
	v_fmac_f32_e32 v90, v51, v22
	v_fma_f32 v13, v46, v18, -v19
	v_add_f32_e32 v6, v6, v12
	v_add_f32_e32 v7, v7, v89
	v_mul_f32_e32 v92, v54, v27
	v_mul_f32_e32 v23, v51, v23
	v_fmac_f32_e32 v91, v53, v24
	v_fma_f32 v14, v48, v20, -v21
	v_add_f32_e32 v6, v6, v13
	;; [unrolled: 13-line block ×3, first 2 shown]
	v_add_f32_e32 v7, v7, v92
	v_mul_f32_e32 v29, v57, v29
	v_fmac_f32_e32 v94, v59, v30
	v_fma_f32 v17, v54, v26, -v27
	v_add_f32_e32 v6, v6, v16
	v_add_f32_e32 v7, v7, v93
	v_fma_f32 v18, v56, v28, -v29
	v_add_f32_e32 v6, v6, v17
	v_add_f32_e32 v21, v7, v94
	v_mul_f32_e32 v7, v59, v31
	v_add_f32_e32 v6, v6, v18
	v_fma_f32 v7, v58, v30, -v7
	s_waitcnt vmcnt(5) lgkmcnt(1)
	v_mul_f32_e32 v83, v72, v33
	v_add_f32_e32 v20, v6, v7
	v_mul_f32_e32 v6, v73, v33
	v_fmac_f32_e32 v83, v73, v32
	v_fma_f32 v82, v72, v32, -v6
	v_mul_f32_e32 v6, v75, v35
	v_fma_f32 v84, v74, v34, -v6
	ds_read2_b64 v[6:9], v10 offset0:109 offset1:110
	ds_read2_b64 v[12:15], v10 offset0:111 offset1:112
	;; [unrolled: 1-line block ×3, first 2 shown]
	v_pk_add_f32 v[10:11], v[20:21], v[82:83]
	s_waitcnt vmcnt(4) lgkmcnt(3)
	v_pk_mul_f32 v[20:21], v[76:77], v[60:61] op_sel:[1,1] op_sel_hi:[0,1]
	v_mul_f32_e32 v85, v74, v35
	v_pk_fma_f32 v[22:23], v[76:77], v[60:61], v[20:21] neg_lo:[0,0,1] neg_hi:[0,0,1]
	v_pk_fma_f32 v[20:21], v[76:77], v[60:61], v[20:21] op_sel_hi:[1,0,1]
	v_fmac_f32_e32 v85, v75, v34
	v_mov_b32_e32 v20, v63
	v_pk_add_f32 v[10:11], v[10:11], v[84:85]
	v_mov_b32_e32 v23, v21
	v_pk_mul_f32 v[20:21], v[78:79], v[20:21] op_sel:[1,0] op_sel_hi:[0,0]
	v_pk_add_f32 v[10:11], v[10:11], v[22:23]
	v_pk_fma_f32 v[22:23], v[78:79], v[62:63], v[20:21] neg_lo:[0,0,1] neg_hi:[0,0,1]
	v_pk_fma_f32 v[20:21], v[78:79], v[62:63], v[20:21] op_sel_hi:[1,0,1]
	s_nop 0
	v_mov_b32_e32 v23, v21
	s_waitcnt vmcnt(3) lgkmcnt(2)
	v_pk_mul_f32 v[20:21], v[6:7], v[64:65] op_sel:[1,1] op_sel_hi:[0,1]
	v_pk_add_f32 v[10:11], v[10:11], v[22:23]
	v_pk_fma_f32 v[22:23], v[6:7], v[64:65], v[20:21] neg_lo:[0,0,1] neg_hi:[0,0,1]
	v_pk_fma_f32 v[6:7], v[6:7], v[64:65], v[20:21] op_sel_hi:[1,0,1]
	s_nop 0
	v_mov_b32_e32 v23, v7
	v_pk_add_f32 v[6:7], v[10:11], v[22:23]
	v_mov_b32_e32 v10, v67
	v_pk_mul_f32 v[10:11], v[8:9], v[10:11] op_sel:[1,0] op_sel_hi:[0,0]
	v_pk_fma_f32 v[20:21], v[8:9], v[66:67], v[10:11] neg_lo:[0,0,1] neg_hi:[0,0,1]
	v_pk_fma_f32 v[8:9], v[8:9], v[66:67], v[10:11] op_sel_hi:[1,0,1]
	s_nop 0
	v_mov_b32_e32 v21, v9
	s_waitcnt vmcnt(2) lgkmcnt(1)
	v_pk_mul_f32 v[8:9], v[12:13], v[68:69] op_sel:[1,1] op_sel_hi:[0,1]
	v_pk_fma_f32 v[10:11], v[12:13], v[68:69], v[8:9] neg_lo:[0,0,1] neg_hi:[0,0,1]
	v_pk_fma_f32 v[8:9], v[12:13], v[68:69], v[8:9] op_sel_hi:[1,0,1]
	v_pk_add_f32 v[6:7], v[6:7], v[20:21]
	v_mov_b32_e32 v8, v71
	v_mov_b32_e32 v11, v9
	v_pk_mul_f32 v[8:9], v[14:15], v[8:9] op_sel:[1,0] op_sel_hi:[0,0]
	v_pk_add_f32 v[6:7], v[6:7], v[10:11]
	v_pk_fma_f32 v[10:11], v[14:15], v[70:71], v[8:9] neg_lo:[0,0,1] neg_hi:[0,0,1]
	v_pk_fma_f32 v[8:9], v[14:15], v[70:71], v[8:9] op_sel_hi:[1,0,1]
	s_nop 0
	v_mov_b32_e32 v11, v9
	s_waitcnt vmcnt(1) lgkmcnt(0)
	v_pk_mul_f32 v[8:9], v[16:17], v[2:3] op_sel:[1,1] op_sel_hi:[0,1]
	v_pk_add_f32 v[6:7], v[6:7], v[10:11]
	v_pk_fma_f32 v[10:11], v[16:17], v[2:3], v[8:9] neg_lo:[0,0,1] neg_hi:[0,0,1]
	v_pk_fma_f32 v[2:3], v[16:17], v[2:3], v[8:9] op_sel_hi:[1,0,1]
	s_nop 0
	v_mov_b32_e32 v11, v3
	v_pk_add_f32 v[2:3], v[6:7], v[10:11]
	v_mov_b32_e32 v6, v5
	v_pk_mul_f32 v[6:7], v[18:19], v[6:7] op_sel:[1,0] op_sel_hi:[0,0]
	v_pk_fma_f32 v[8:9], v[18:19], v[4:5], v[6:7] neg_lo:[0,0,1] neg_hi:[0,0,1]
	v_pk_fma_f32 v[4:5], v[18:19], v[4:5], v[6:7] op_sel_hi:[1,0,1]
	s_nop 0
	v_mov_b32_e32 v9, v5
	v_pk_add_f32 v[2:3], v[2:3], v[8:9]
	s_waitcnt vmcnt(0)
	v_pk_add_f32 v[2:3], v[80:81], v[2:3] neg_lo:[0,1] neg_hi:[0,1]
	scratch_store_dwordx2 off, v[2:3], off offset:272
	s_and_saveexec_b64 s[0:1], vcc
	s_cbranch_execz .LBB56_289
; %bb.288:
	scratch_load_dwordx2 v[2:3], off, off offset:264
	v_mov_b32_e32 v4, 0
	v_mov_b32_e32 v5, v4
	scratch_store_dwordx2 off, v[4:5], off offset:264
	s_waitcnt vmcnt(1)
	ds_write_b64 v1, v[2:3]
.LBB56_289:
	s_or_b64 exec, exec, s[0:1]
	s_waitcnt lgkmcnt(0)
	; wave barrier
	scratch_load_dwordx4 v[6:9], off, off offset:272
	scratch_load_dwordx4 v[14:17], off, off offset:288
	scratch_load_dwordx4 v[24:27], off, off offset:304
	scratch_load_dwordx4 v[28:31], off, off offset:320
	scratch_load_dwordx4 v[18:21], off, off offset:336
	scratch_load_dwordx4 v[32:35], off, off offset:352
	scratch_load_dwordx4 v[40:43], off, off offset:368
	scratch_load_dwordx4 v[44:47], off, off offset:384
	scratch_load_dwordx4 v[48:51], off, off offset:400
	scratch_load_dwordx4 v[10:13], off, off offset:416
	scratch_load_dwordx4 v[2:5], off, off offset:432
	scratch_load_dwordx2 v[22:23], off, off offset:448
	scratch_load_dwordx2 v[36:37], off, off offset:264
	v_mov_b32_e32 v38, 0
	ds_read_b128 v[52:55], v38 offset:736
	ds_read_b128 v[56:59], v38 offset:752
	ds_read_b128 v[60:63], v38 offset:768
	ds_read_b128 v[64:67], v38 offset:784
	ds_read_b128 v[68:71], v38 offset:800
	ds_read_b128 v[72:75], v38 offset:816
	ds_read_b128 v[76:79], v38 offset:832
	ds_read_b128 v[80:83], v38 offset:848
	v_cmp_lt_u32_e32 vcc, 32, v0
	s_waitcnt vmcnt(12) lgkmcnt(7)
	v_mul_f32_e32 v39, v52, v7
	v_mul_f32_e32 v84, v54, v9
	;; [unrolled: 1-line block ×3, first 2 shown]
	v_fmac_f32_e32 v39, v53, v6
	s_waitcnt vmcnt(8) lgkmcnt(3)
	v_mul_f32_e32 v93, v68, v19
	v_mul_f32_e32 v19, v69, v19
	;; [unrolled: 1-line block ×4, first 2 shown]
	v_fmac_f32_e32 v84, v55, v8
	v_fmac_f32_e32 v93, v69, v18
	v_fma_f32 v6, v52, v6, -v7
	v_fma_f32 v18, v68, v18, -v19
	v_add_f32_e32 v19, 0, v39
	v_mul_f32_e32 v88, v58, v17
	v_fmac_f32_e32 v86, v57, v14
	v_fma_f32 v7, v54, v8, -v9
	v_add_f32_e32 v6, 0, v6
	v_add_f32_e32 v19, v19, v84
	v_mul_f32_e32 v89, v60, v25
	v_fmac_f32_e32 v88, v59, v16
	v_add_f32_e32 v6, v6, v7
	v_add_f32_e32 v7, v19, v86
	v_mul_f32_e32 v90, v62, v27
	v_fmac_f32_e32 v89, v61, v24
	v_add_f32_e32 v7, v7, v88
	v_mul_f32_e32 v91, v64, v29
	v_mul_f32_e32 v15, v57, v15
	v_fmac_f32_e32 v90, v63, v26
	v_add_f32_e32 v7, v7, v89
	v_mul_f32_e32 v92, v66, v31
	v_mul_f32_e32 v17, v59, v17
	v_fmac_f32_e32 v91, v65, v28
	v_fma_f32 v8, v56, v14, -v15
	v_add_f32_e32 v7, v7, v90
	v_mul_f32_e32 v25, v61, v25
	v_fmac_f32_e32 v92, v67, v30
	v_fma_f32 v9, v58, v16, -v17
	v_add_f32_e32 v6, v6, v8
	v_add_f32_e32 v7, v7, v91
	v_mul_f32_e32 v94, v70, v21
	v_mul_f32_e32 v27, v63, v27
	v_fma_f32 v14, v60, v24, -v25
	v_add_f32_e32 v6, v6, v9
	v_add_f32_e32 v7, v7, v92
	s_waitcnt vmcnt(7) lgkmcnt(2)
	v_mul_f32_e32 v95, v72, v33
	v_mul_f32_e32 v29, v65, v29
	v_fmac_f32_e32 v94, v71, v20
	v_fma_f32 v15, v62, v26, -v27
	v_add_f32_e32 v6, v6, v14
	v_add_f32_e32 v7, v7, v93
	v_mul_f32_e32 v96, v74, v35
	v_mul_f32_e32 v31, v67, v31
	v_fmac_f32_e32 v95, v73, v32
	v_fma_f32 v16, v64, v28, -v29
	v_add_f32_e32 v6, v6, v15
	v_add_f32_e32 v7, v7, v94
	s_waitcnt vmcnt(6) lgkmcnt(1)
	v_mul_f32_e32 v97, v76, v41
	v_fmac_f32_e32 v96, v75, v34
	v_fma_f32 v17, v66, v30, -v31
	v_add_f32_e32 v6, v6, v16
	v_add_f32_e32 v7, v7, v95
	v_mul_f32_e32 v21, v71, v21
	v_fmac_f32_e32 v97, v77, v40
	v_add_f32_e32 v6, v6, v17
	v_add_f32_e32 v7, v7, v96
	;; [unrolled: 1-line block ×4, first 2 shown]
	v_fma_f32 v7, v70, v20, -v21
	v_add_f32_e32 v6, v6, v7
	v_mul_f32_e32 v7, v73, v33
	v_fma_f32 v7, v72, v32, -v7
	v_add_f32_e32 v6, v6, v7
	v_mul_f32_e32 v7, v75, v35
	;; [unrolled: 3-line block ×4, first 2 shown]
	v_mul_f32_e32 v85, v78, v43
	v_fma_f32 v84, v78, v42, -v6
	s_waitcnt vmcnt(5) lgkmcnt(0)
	v_mul_f32_e32 v6, v81, v45
	v_mov_b32_e32 v28, v47
	v_mul_f32_e32 v87, v80, v45
	v_fmac_f32_e32 v85, v79, v42
	v_fma_f32 v86, v80, v44, -v6
	ds_read_b128 v[6:9], v38 offset:864
	ds_read_b128 v[14:17], v38 offset:880
	;; [unrolled: 1-line block ×3, first 2 shown]
	ds_read_b64 v[26:27], v38 offset:912
	v_pk_mul_f32 v[28:29], v[82:83], v[28:29] op_sel:[1,0] op_sel_hi:[0,0]
	v_fmac_f32_e32 v87, v81, v44
	v_pk_add_f32 v[24:25], v[24:25], v[84:85]
	v_pk_fma_f32 v[30:31], v[82:83], v[46:47], v[28:29] neg_lo:[0,0,1] neg_hi:[0,0,1]
	v_pk_fma_f32 v[28:29], v[82:83], v[46:47], v[28:29] op_sel_hi:[1,0,1]
	v_pk_add_f32 v[24:25], v[24:25], v[86:87]
	v_mov_b32_e32 v31, v29
	s_waitcnt vmcnt(4) lgkmcnt(3)
	v_pk_mul_f32 v[28:29], v[6:7], v[48:49] op_sel:[1,1] op_sel_hi:[0,1]
	v_pk_add_f32 v[24:25], v[24:25], v[30:31]
	v_pk_fma_f32 v[30:31], v[6:7], v[48:49], v[28:29] neg_lo:[0,0,1] neg_hi:[0,0,1]
	v_pk_fma_f32 v[6:7], v[6:7], v[48:49], v[28:29] op_sel_hi:[1,0,1]
	s_nop 0
	v_mov_b32_e32 v31, v7
	v_pk_add_f32 v[6:7], v[24:25], v[30:31]
	v_mov_b32_e32 v24, v51
	v_pk_mul_f32 v[24:25], v[8:9], v[24:25] op_sel:[1,0] op_sel_hi:[0,0]
	v_pk_fma_f32 v[28:29], v[8:9], v[50:51], v[24:25] neg_lo:[0,0,1] neg_hi:[0,0,1]
	v_pk_fma_f32 v[8:9], v[8:9], v[50:51], v[24:25] op_sel_hi:[1,0,1]
	s_nop 0
	v_mov_b32_e32 v29, v9
	s_waitcnt vmcnt(3) lgkmcnt(2)
	v_pk_mul_f32 v[8:9], v[14:15], v[10:11] op_sel:[1,1] op_sel_hi:[0,1]
	v_pk_fma_f32 v[24:25], v[14:15], v[10:11], v[8:9] neg_lo:[0,0,1] neg_hi:[0,0,1]
	v_pk_fma_f32 v[8:9], v[14:15], v[10:11], v[8:9] op_sel_hi:[1,0,1]
	v_pk_add_f32 v[6:7], v[6:7], v[28:29]
	v_mov_b32_e32 v8, v13
	v_mov_b32_e32 v25, v9
	v_pk_mul_f32 v[8:9], v[16:17], v[8:9] op_sel:[1,0] op_sel_hi:[0,0]
	v_pk_fma_f32 v[10:11], v[16:17], v[12:13], v[8:9] neg_lo:[0,0,1] neg_hi:[0,0,1]
	v_pk_fma_f32 v[8:9], v[16:17], v[12:13], v[8:9] op_sel_hi:[1,0,1]
	v_pk_add_f32 v[6:7], v[6:7], v[24:25]
	v_mov_b32_e32 v11, v9
	s_waitcnt vmcnt(2) lgkmcnt(1)
	v_pk_mul_f32 v[8:9], v[18:19], v[2:3] op_sel:[1,1] op_sel_hi:[0,1]
	v_pk_add_f32 v[6:7], v[6:7], v[10:11]
	v_pk_fma_f32 v[10:11], v[18:19], v[2:3], v[8:9] neg_lo:[0,0,1] neg_hi:[0,0,1]
	v_pk_fma_f32 v[2:3], v[18:19], v[2:3], v[8:9] op_sel_hi:[1,0,1]
	s_nop 0
	v_mov_b32_e32 v11, v3
	v_pk_add_f32 v[2:3], v[6:7], v[10:11]
	v_mov_b32_e32 v6, v5
	v_pk_mul_f32 v[6:7], v[20:21], v[6:7] op_sel:[1,0] op_sel_hi:[0,0]
	v_pk_fma_f32 v[8:9], v[20:21], v[4:5], v[6:7] neg_lo:[0,0,1] neg_hi:[0,0,1]
	v_pk_fma_f32 v[4:5], v[20:21], v[4:5], v[6:7] op_sel_hi:[1,0,1]
	s_nop 0
	v_mov_b32_e32 v9, v5
	s_waitcnt vmcnt(1) lgkmcnt(0)
	v_pk_mul_f32 v[4:5], v[26:27], v[22:23] op_sel:[1,1] op_sel_hi:[0,1]
	v_pk_fma_f32 v[6:7], v[26:27], v[22:23], v[4:5] neg_lo:[0,0,1] neg_hi:[0,0,1]
	v_pk_fma_f32 v[4:5], v[26:27], v[22:23], v[4:5] op_sel_hi:[1,0,1]
	v_pk_add_f32 v[2:3], v[2:3], v[8:9]
	v_mov_b32_e32 v7, v5
	v_pk_add_f32 v[2:3], v[2:3], v[6:7]
	s_waitcnt vmcnt(0)
	v_pk_add_f32 v[2:3], v[36:37], v[2:3] neg_lo:[0,1] neg_hi:[0,1]
	scratch_store_dwordx2 off, v[2:3], off offset:264
	s_and_saveexec_b64 s[0:1], vcc
	s_cbranch_execz .LBB56_291
; %bb.290:
	scratch_load_dwordx2 v[2:3], off, off offset:256
	v_mov_b32_e32 v39, v38
	scratch_store_dwordx2 off, v[38:39], off offset:256
	s_waitcnt vmcnt(1)
	ds_write_b64 v1, v[2:3]
.LBB56_291:
	s_or_b64 exec, exec, s[0:1]
	s_waitcnt lgkmcnt(0)
	; wave barrier
	scratch_load_dwordx4 v[2:5], off, off offset:264
	scratch_load_dwordx4 v[14:17], off, off offset:280
	;; [unrolled: 1-line block ×8, first 2 shown]
	ds_read2_b64 v[48:51], v38 offset0:91 offset1:92
	ds_read2_b64 v[52:55], v38 offset0:93 offset1:94
	;; [unrolled: 1-line block ×8, first 2 shown]
	scratch_load_dwordx4 v[80:83], off, off offset:392
	scratch_load_dwordx4 v[26:29], off, off offset:408
	;; [unrolled: 1-line block ×4, first 2 shown]
	scratch_load_dwordx2 v[84:85], off, off offset:256
	v_cmp_lt_u32_e32 vcc, 31, v0
	s_waitcnt vmcnt(12) lgkmcnt(7)
	v_mul_f32_e32 v39, v48, v3
	v_mul_f32_e32 v86, v50, v5
	;; [unrolled: 1-line block ×3, first 2 shown]
	v_fmac_f32_e32 v39, v49, v2
	s_waitcnt vmcnt(8) lgkmcnt(3)
	v_mul_f32_e32 v95, v64, v19
	v_mul_f32_e32 v19, v65, v19
	;; [unrolled: 1-line block ×4, first 2 shown]
	v_fmac_f32_e32 v86, v51, v4
	v_fmac_f32_e32 v95, v65, v18
	v_fma_f32 v2, v48, v2, -v3
	v_fma_f32 v18, v64, v18, -v19
	v_add_f32_e32 v19, 0, v39
	v_mul_f32_e32 v90, v54, v17
	v_fmac_f32_e32 v88, v53, v14
	v_fma_f32 v3, v50, v4, -v5
	v_add_f32_e32 v2, 0, v2
	v_add_f32_e32 v19, v19, v86
	v_mul_f32_e32 v91, v56, v31
	v_fmac_f32_e32 v90, v55, v16
	v_add_f32_e32 v2, v2, v3
	v_add_f32_e32 v3, v19, v88
	v_mul_f32_e32 v92, v58, v33
	v_fmac_f32_e32 v91, v57, v30
	v_add_f32_e32 v3, v3, v90
	v_mul_f32_e32 v93, v60, v41
	v_fmac_f32_e32 v92, v59, v32
	;; [unrolled: 3-line block ×4, first 2 shown]
	v_add_f32_e32 v3, v3, v93
	v_mul_f32_e32 v96, v66, v21
	v_mul_f32_e32 v17, v55, v17
	v_fma_f32 v4, v52, v14, -v15
	v_add_f32_e32 v3, v3, v94
	s_waitcnt vmcnt(7) lgkmcnt(2)
	v_mul_f32_e32 v97, v68, v23
	v_mul_f32_e32 v31, v57, v31
	v_fmac_f32_e32 v96, v67, v20
	v_fma_f32 v5, v54, v16, -v17
	v_add_f32_e32 v2, v2, v4
	v_add_f32_e32 v3, v3, v95
	v_mul_f32_e32 v98, v70, v25
	v_mul_f32_e32 v33, v59, v33
	v_fmac_f32_e32 v97, v69, v22
	v_fma_f32 v14, v56, v30, -v31
	v_add_f32_e32 v2, v2, v5
	v_add_f32_e32 v3, v3, v96
	s_waitcnt vmcnt(6) lgkmcnt(1)
	v_mul_f32_e32 v99, v72, v35
	v_mul_f32_e32 v41, v61, v41
	v_fmac_f32_e32 v98, v71, v24
	v_fma_f32 v15, v58, v32, -v33
	v_add_f32_e32 v2, v2, v14
	v_add_f32_e32 v3, v3, v97
	v_mul_f32_e32 v100, v74, v37
	v_mul_f32_e32 v43, v63, v43
	v_fmac_f32_e32 v99, v73, v34
	v_fma_f32 v16, v60, v40, -v41
	v_add_f32_e32 v2, v2, v15
	v_add_f32_e32 v3, v3, v98
	v_fmac_f32_e32 v100, v75, v36
	v_fma_f32 v17, v62, v42, -v43
	v_add_f32_e32 v2, v2, v16
	v_add_f32_e32 v3, v3, v99
	;; [unrolled: 1-line block ×4, first 2 shown]
	v_mul_f32_e32 v3, v67, v21
	v_add_f32_e32 v2, v2, v18
	v_fma_f32 v3, v66, v20, -v3
	v_add_f32_e32 v2, v2, v3
	v_mul_f32_e32 v3, v69, v23
	v_fma_f32 v3, v68, v22, -v3
	v_add_f32_e32 v2, v2, v3
	v_mul_f32_e32 v3, v71, v25
	;; [unrolled: 3-line block ×4, first 2 shown]
	v_fma_f32 v3, v74, v36, -v3
	v_add_f32_e32 v30, v2, v3
	s_waitcnt vmcnt(5) lgkmcnt(0)
	v_mul_f32_e32 v2, v77, v45
	v_fma_f32 v86, v76, v44, -v2
	v_mul_f32_e32 v2, v79, v47
	v_fma_f32 v88, v78, v46, -v2
	ds_read2_b64 v[2:5], v38 offset0:107 offset1:108
	ds_read2_b64 v[14:17], v38 offset0:109 offset1:110
	;; [unrolled: 1-line block ×4, first 2 shown]
	v_mul_f32_e32 v87, v76, v45
	v_mul_f32_e32 v89, v78, v47
	v_fmac_f32_e32 v87, v77, v44
	s_waitcnt vmcnt(4) lgkmcnt(3)
	v_pk_mul_f32 v[32:33], v[2:3], v[80:81] op_sel:[1,1] op_sel_hi:[0,1]
	v_fmac_f32_e32 v89, v79, v46
	v_pk_add_f32 v[30:31], v[30:31], v[86:87]
	v_pk_fma_f32 v[34:35], v[2:3], v[80:81], v[32:33] neg_lo:[0,0,1] neg_hi:[0,0,1]
	v_pk_fma_f32 v[2:3], v[2:3], v[80:81], v[32:33] op_sel_hi:[1,0,1]
	v_pk_add_f32 v[30:31], v[30:31], v[88:89]
	v_mov_b32_e32 v35, v3
	v_pk_add_f32 v[2:3], v[30:31], v[34:35]
	v_mov_b32_e32 v30, v83
	v_pk_mul_f32 v[30:31], v[4:5], v[30:31] op_sel:[1,0] op_sel_hi:[0,0]
	v_pk_fma_f32 v[32:33], v[4:5], v[82:83], v[30:31] neg_lo:[0,0,1] neg_hi:[0,0,1]
	v_pk_fma_f32 v[4:5], v[4:5], v[82:83], v[30:31] op_sel_hi:[1,0,1]
	s_nop 0
	v_mov_b32_e32 v33, v5
	s_waitcnt vmcnt(3) lgkmcnt(2)
	v_pk_mul_f32 v[4:5], v[14:15], v[26:27] op_sel:[1,1] op_sel_hi:[0,1]
	v_pk_fma_f32 v[30:31], v[14:15], v[26:27], v[4:5] neg_lo:[0,0,1] neg_hi:[0,0,1]
	v_pk_fma_f32 v[4:5], v[14:15], v[26:27], v[4:5] op_sel_hi:[1,0,1]
	v_pk_add_f32 v[2:3], v[2:3], v[32:33]
	v_mov_b32_e32 v4, v29
	v_mov_b32_e32 v31, v5
	v_pk_mul_f32 v[4:5], v[16:17], v[4:5] op_sel:[1,0] op_sel_hi:[0,0]
	v_pk_fma_f32 v[14:15], v[16:17], v[28:29], v[4:5] neg_lo:[0,0,1] neg_hi:[0,0,1]
	v_pk_fma_f32 v[4:5], v[16:17], v[28:29], v[4:5] op_sel_hi:[1,0,1]
	v_pk_add_f32 v[2:3], v[2:3], v[30:31]
	v_mov_b32_e32 v15, v5
	s_waitcnt vmcnt(2) lgkmcnt(1)
	v_pk_mul_f32 v[4:5], v[18:19], v[10:11] op_sel:[1,1] op_sel_hi:[0,1]
	v_pk_add_f32 v[2:3], v[2:3], v[14:15]
	v_pk_fma_f32 v[14:15], v[18:19], v[10:11], v[4:5] neg_lo:[0,0,1] neg_hi:[0,0,1]
	v_pk_fma_f32 v[4:5], v[18:19], v[10:11], v[4:5] op_sel_hi:[1,0,1]
	s_nop 0
	v_mov_b32_e32 v4, v13
	v_mov_b32_e32 v15, v5
	v_pk_mul_f32 v[4:5], v[20:21], v[4:5] op_sel:[1,0] op_sel_hi:[0,0]
	v_pk_fma_f32 v[10:11], v[20:21], v[12:13], v[4:5] neg_lo:[0,0,1] neg_hi:[0,0,1]
	v_pk_fma_f32 v[4:5], v[20:21], v[12:13], v[4:5] op_sel_hi:[1,0,1]
	v_pk_add_f32 v[2:3], v[2:3], v[14:15]
	v_mov_b32_e32 v11, v5
	s_waitcnt vmcnt(1) lgkmcnt(0)
	v_pk_mul_f32 v[4:5], v[22:23], v[6:7] op_sel:[1,1] op_sel_hi:[0,1]
	v_pk_add_f32 v[2:3], v[2:3], v[10:11]
	v_pk_fma_f32 v[10:11], v[22:23], v[6:7], v[4:5] neg_lo:[0,0,1] neg_hi:[0,0,1]
	v_pk_fma_f32 v[4:5], v[22:23], v[6:7], v[4:5] op_sel_hi:[1,0,1]
	s_nop 0
	v_mov_b32_e32 v4, v9
	v_mov_b32_e32 v11, v5
	v_pk_mul_f32 v[4:5], v[24:25], v[4:5] op_sel:[1,0] op_sel_hi:[0,0]
	v_pk_fma_f32 v[6:7], v[24:25], v[8:9], v[4:5] neg_lo:[0,0,1] neg_hi:[0,0,1]
	v_pk_fma_f32 v[4:5], v[24:25], v[8:9], v[4:5] op_sel_hi:[1,0,1]
	v_pk_add_f32 v[2:3], v[2:3], v[10:11]
	v_mov_b32_e32 v7, v5
	v_pk_add_f32 v[2:3], v[2:3], v[6:7]
	s_waitcnt vmcnt(0)
	v_pk_add_f32 v[2:3], v[84:85], v[2:3] neg_lo:[0,1] neg_hi:[0,1]
	scratch_store_dwordx2 off, v[2:3], off offset:256
	s_and_saveexec_b64 s[0:1], vcc
	s_cbranch_execz .LBB56_293
; %bb.292:
	scratch_load_dwordx2 v[2:3], off, off offset:248
	v_mov_b32_e32 v4, 0
	v_mov_b32_e32 v5, v4
	scratch_store_dwordx2 off, v[4:5], off offset:248
	s_waitcnt vmcnt(1)
	ds_write_b64 v1, v[2:3]
.LBB56_293:
	s_or_b64 exec, exec, s[0:1]
	s_waitcnt lgkmcnt(0)
	; wave barrier
	scratch_load_dwordx4 v[10:13], off, off offset:256
	scratch_load_dwordx4 v[26:29], off, off offset:272
	;; [unrolled: 1-line block ×12, first 2 shown]
	scratch_load_dwordx2 v[50:51], off, off offset:448
	scratch_load_dwordx2 v[56:57], off, off offset:248
	v_mov_b32_e32 v58, 0
	ds_read_b128 v[52:55], v58 offset:720
	ds_read_b128 v[60:63], v58 offset:736
	;; [unrolled: 1-line block ×10, first 2 shown]
	v_cmp_lt_u32_e32 vcc, 30, v0
	s_waitcnt vmcnt(13) lgkmcnt(9)
	v_mul_f32_e32 v59, v52, v11
	v_mul_f32_e32 v96, v54, v13
	v_fmac_f32_e32 v59, v53, v10
	s_waitcnt vmcnt(10) lgkmcnt(6)
	v_mul_f32_e32 v103, v68, v7
	v_mul_f32_e32 v7, v69, v7
	;; [unrolled: 1-line block ×3, first 2 shown]
	v_fmac_f32_e32 v96, v55, v12
	v_fmac_f32_e32 v103, v69, v6
	v_fma_f32 v6, v68, v6, -v7
	v_add_f32_e32 v7, 0, v59
	v_mul_f32_e32 v100, v62, v29
	v_fmac_f32_e32 v98, v61, v26
	v_add_f32_e32 v7, v7, v96
	v_mul_f32_e32 v101, v64, v39
	v_fmac_f32_e32 v100, v63, v28
	;; [unrolled: 3-line block ×3, first 2 shown]
	v_add_f32_e32 v7, v7, v100
	v_fmac_f32_e32 v102, v67, v40
	v_add_f32_e32 v7, v7, v101
	v_mul_f32_e32 v104, v70, v9
	v_add_f32_e32 v7, v7, v102
	s_waitcnt vmcnt(9) lgkmcnt(5)
	v_mul_f32_e32 v105, v72, v15
	v_fmac_f32_e32 v104, v71, v8
	v_add_f32_e32 v7, v7, v103
	v_mul_f32_e32 v106, v74, v17
	v_mul_f32_e32 v11, v53, v11
	v_fmac_f32_e32 v105, v73, v14
	v_add_f32_e32 v7, v7, v104
	s_waitcnt vmcnt(8) lgkmcnt(4)
	v_mul_f32_e32 v107, v76, v23
	v_mul_f32_e32 v13, v55, v13
	v_fmac_f32_e32 v106, v75, v16
	v_fma_f32 v10, v52, v10, -v11
	v_add_f32_e32 v7, v7, v105
	v_mul_f32_e32 v108, v78, v25
	v_mul_f32_e32 v27, v61, v27
	v_fmac_f32_e32 v107, v77, v22
	v_fma_f32 v11, v54, v12, -v13
	v_add_f32_e32 v10, 0, v10
	v_add_f32_e32 v7, v7, v106
	s_waitcnt vmcnt(7) lgkmcnt(3)
	v_mul_f32_e32 v109, v80, v31
	v_mul_f32_e32 v29, v63, v29
	v_fmac_f32_e32 v108, v79, v24
	v_fma_f32 v12, v60, v26, -v27
	v_add_f32_e32 v10, v10, v11
	v_add_f32_e32 v7, v7, v107
	v_mul_f32_e32 v110, v82, v33
	v_mul_f32_e32 v39, v65, v39
	v_fmac_f32_e32 v109, v81, v30
	v_fma_f32 v13, v62, v28, -v29
	v_add_f32_e32 v10, v10, v12
	v_add_f32_e32 v7, v7, v108
	s_waitcnt vmcnt(6) lgkmcnt(2)
	v_mul_f32_e32 v111, v84, v43
	v_mul_f32_e32 v41, v67, v41
	v_fmac_f32_e32 v110, v83, v32
	v_fma_f32 v26, v64, v38, -v39
	v_add_f32_e32 v10, v10, v13
	v_add_f32_e32 v7, v7, v109
	v_fmac_f32_e32 v111, v85, v42
	v_fma_f32 v27, v66, v40, -v41
	v_add_f32_e32 v10, v10, v26
	v_add_f32_e32 v7, v7, v110
	;; [unrolled: 1-line block ×4, first 2 shown]
	v_mul_f32_e32 v7, v71, v9
	v_add_f32_e32 v6, v10, v6
	v_fma_f32 v7, v70, v8, -v7
	v_add_f32_e32 v6, v6, v7
	v_mul_f32_e32 v7, v73, v15
	v_fma_f32 v7, v72, v14, -v7
	v_add_f32_e32 v6, v6, v7
	v_mul_f32_e32 v7, v75, v17
	;; [unrolled: 3-line block ×7, first 2 shown]
	v_fma_f32 v7, v84, v42, -v7
	v_mul_f32_e32 v97, v86, v45
	v_add_f32_e32 v26, v6, v7
	v_mul_f32_e32 v6, v87, v45
	s_waitcnt vmcnt(5)
	v_mov_b32_e32 v22, v49
	s_waitcnt lgkmcnt(1)
	v_mul_f32_e32 v99, v88, v47
	v_fmac_f32_e32 v97, v87, v44
	v_fma_f32 v96, v86, v44, -v6
	v_mul_f32_e32 v6, v89, v47
	v_pk_mul_f32 v[22:23], v[90:91], v[22:23] op_sel:[1,0] op_sel_hi:[0,0]
	v_fmac_f32_e32 v99, v89, v46
	v_fma_f32 v98, v88, v46, -v6
	v_pk_add_f32 v[16:17], v[26:27], v[96:97]
	v_pk_fma_f32 v[24:25], v[90:91], v[48:49], v[22:23] neg_lo:[0,0,1] neg_hi:[0,0,1]
	v_pk_fma_f32 v[22:23], v[90:91], v[48:49], v[22:23] op_sel_hi:[1,0,1]
	v_pk_add_f32 v[16:17], v[16:17], v[98:99]
	v_mov_b32_e32 v25, v23
	s_waitcnt vmcnt(4) lgkmcnt(0)
	v_pk_mul_f32 v[22:23], v[92:93], v[34:35] op_sel:[1,1] op_sel_hi:[0,1]
	v_pk_add_f32 v[16:17], v[16:17], v[24:25]
	v_pk_fma_f32 v[24:25], v[92:93], v[34:35], v[22:23] neg_lo:[0,0,1] neg_hi:[0,0,1]
	v_pk_fma_f32 v[22:23], v[92:93], v[34:35], v[22:23] op_sel_hi:[1,0,1]
	ds_read_b128 v[6:9], v58 offset:880
	ds_read_b128 v[10:13], v58 offset:896
	ds_read_b64 v[14:15], v58 offset:912
	v_mov_b32_e32 v22, v37
	v_mov_b32_e32 v25, v23
	v_pk_mul_f32 v[22:23], v[94:95], v[22:23] op_sel:[1,0] op_sel_hi:[0,0]
	v_pk_add_f32 v[16:17], v[16:17], v[24:25]
	v_pk_fma_f32 v[24:25], v[94:95], v[36:37], v[22:23] neg_lo:[0,0,1] neg_hi:[0,0,1]
	v_pk_fma_f32 v[22:23], v[94:95], v[36:37], v[22:23] op_sel_hi:[1,0,1]
	s_nop 0
	v_mov_b32_e32 v25, v23
	s_waitcnt vmcnt(3) lgkmcnt(2)
	v_pk_mul_f32 v[22:23], v[6:7], v[18:19] op_sel:[1,1] op_sel_hi:[0,1]
	v_pk_add_f32 v[16:17], v[16:17], v[24:25]
	v_pk_fma_f32 v[24:25], v[6:7], v[18:19], v[22:23] neg_lo:[0,0,1] neg_hi:[0,0,1]
	v_pk_fma_f32 v[6:7], v[6:7], v[18:19], v[22:23] op_sel_hi:[1,0,1]
	s_nop 0
	v_mov_b32_e32 v25, v7
	v_pk_add_f32 v[6:7], v[16:17], v[24:25]
	v_mov_b32_e32 v16, v21
	v_pk_mul_f32 v[16:17], v[8:9], v[16:17] op_sel:[1,0] op_sel_hi:[0,0]
	v_pk_fma_f32 v[18:19], v[8:9], v[20:21], v[16:17] neg_lo:[0,0,1] neg_hi:[0,0,1]
	v_pk_fma_f32 v[8:9], v[8:9], v[20:21], v[16:17] op_sel_hi:[1,0,1]
	s_nop 0
	v_mov_b32_e32 v19, v9
	s_waitcnt vmcnt(2) lgkmcnt(1)
	v_pk_mul_f32 v[8:9], v[10:11], v[2:3] op_sel:[1,1] op_sel_hi:[0,1]
	v_pk_fma_f32 v[16:17], v[10:11], v[2:3], v[8:9] neg_lo:[0,0,1] neg_hi:[0,0,1]
	v_pk_fma_f32 v[2:3], v[10:11], v[2:3], v[8:9] op_sel_hi:[1,0,1]
	v_pk_add_f32 v[6:7], v[6:7], v[18:19]
	v_mov_b32_e32 v17, v3
	v_pk_add_f32 v[2:3], v[6:7], v[16:17]
	v_mov_b32_e32 v6, v5
	v_pk_mul_f32 v[6:7], v[12:13], v[6:7] op_sel:[1,0] op_sel_hi:[0,0]
	v_pk_fma_f32 v[8:9], v[12:13], v[4:5], v[6:7] neg_lo:[0,0,1] neg_hi:[0,0,1]
	v_pk_fma_f32 v[4:5], v[12:13], v[4:5], v[6:7] op_sel_hi:[1,0,1]
	s_nop 0
	v_mov_b32_e32 v9, v5
	s_waitcnt vmcnt(1) lgkmcnt(0)
	v_pk_mul_f32 v[4:5], v[14:15], v[50:51] op_sel:[1,1] op_sel_hi:[0,1]
	v_pk_fma_f32 v[6:7], v[14:15], v[50:51], v[4:5] neg_lo:[0,0,1] neg_hi:[0,0,1]
	v_pk_fma_f32 v[4:5], v[14:15], v[50:51], v[4:5] op_sel_hi:[1,0,1]
	v_pk_add_f32 v[2:3], v[2:3], v[8:9]
	v_mov_b32_e32 v7, v5
	v_pk_add_f32 v[2:3], v[2:3], v[6:7]
	s_waitcnt vmcnt(0)
	v_pk_add_f32 v[2:3], v[56:57], v[2:3] neg_lo:[0,1] neg_hi:[0,1]
	scratch_store_dwordx2 off, v[2:3], off offset:248
	s_and_saveexec_b64 s[0:1], vcc
	s_cbranch_execz .LBB56_295
; %bb.294:
	scratch_load_dwordx2 v[2:3], off, off offset:240
	v_mov_b32_e32 v59, v58
	scratch_store_dwordx2 off, v[58:59], off offset:240
	s_waitcnt vmcnt(1)
	ds_write_b64 v1, v[2:3]
.LBB56_295:
	s_or_b64 exec, exec, s[0:1]
	s_waitcnt lgkmcnt(0)
	; wave barrier
	scratch_load_dwordx4 v[2:5], off, off offset:248
	scratch_load_dwordx4 v[18:21], off, off offset:264
	;; [unrolled: 1-line block ×9, first 2 shown]
	ds_read2_b64 v[60:63], v58 offset0:89 offset1:90
	ds_read2_b64 v[64:67], v58 offset0:91 offset1:92
	;; [unrolled: 1-line block ×8, first 2 shown]
	scratch_load_dwordx4 v[50:53], off, off offset:392
	scratch_load_dwordx4 v[34:37], off, off offset:408
	;; [unrolled: 1-line block ×4, first 2 shown]
	ds_read2_b64 v[88:91], v58 offset0:105 offset1:106
	ds_read2_b64 v[92:95], v58 offset0:107 offset1:108
	scratch_load_dwordx2 v[96:97], off, off offset:240
	v_cmp_lt_u32_e32 vcc, 29, v0
	s_waitcnt vmcnt(13) lgkmcnt(9)
	v_mul_f32_e32 v59, v60, v3
	v_mul_f32_e32 v98, v62, v5
	;; [unrolled: 1-line block ×3, first 2 shown]
	s_waitcnt vmcnt(10) lgkmcnt(6)
	v_mul_f32_e32 v105, v72, v7
	v_mul_f32_e32 v7, v73, v7
	v_fmac_f32_e32 v59, v61, v2
	v_mul_f32_e32 v100, v64, v19
	v_mul_f32_e32 v5, v63, v5
	v_fmac_f32_e32 v98, v63, v4
	v_fmac_f32_e32 v105, v73, v6
	v_fma_f32 v2, v60, v2, -v3
	v_fma_f32 v6, v72, v6, -v7
	v_add_f32_e32 v7, 0, v59
	v_mul_f32_e32 v102, v66, v21
	v_fmac_f32_e32 v100, v65, v18
	v_fma_f32 v3, v62, v4, -v5
	v_add_f32_e32 v2, 0, v2
	v_add_f32_e32 v7, v7, v98
	v_mul_f32_e32 v103, v68, v39
	v_fmac_f32_e32 v102, v67, v20
	v_add_f32_e32 v2, v2, v3
	v_add_f32_e32 v3, v7, v100
	v_mul_f32_e32 v104, v70, v41
	v_fmac_f32_e32 v103, v69, v38
	v_add_f32_e32 v3, v3, v102
	v_fmac_f32_e32 v104, v71, v40
	v_add_f32_e32 v3, v3, v103
	v_mul_f32_e32 v106, v74, v9
	v_add_f32_e32 v3, v3, v104
	s_waitcnt vmcnt(9) lgkmcnt(5)
	v_mul_f32_e32 v107, v76, v15
	v_fmac_f32_e32 v106, v75, v8
	v_add_f32_e32 v3, v3, v105
	v_mul_f32_e32 v108, v78, v17
	v_fmac_f32_e32 v107, v77, v14
	v_add_f32_e32 v3, v3, v106
	s_waitcnt vmcnt(8) lgkmcnt(4)
	v_mul_f32_e32 v109, v80, v23
	v_fmac_f32_e32 v108, v79, v16
	v_add_f32_e32 v3, v3, v107
	v_mul_f32_e32 v110, v82, v25
	v_fmac_f32_e32 v109, v81, v22
	v_add_f32_e32 v3, v3, v108
	s_waitcnt vmcnt(7) lgkmcnt(3)
	v_mul_f32_e32 v111, v84, v31
	v_mul_f32_e32 v19, v65, v19
	v_fmac_f32_e32 v110, v83, v24
	v_add_f32_e32 v3, v3, v109
	v_mul_f32_e32 v112, v86, v33
	v_mul_f32_e32 v21, v67, v21
	v_fmac_f32_e32 v111, v85, v30
	v_fma_f32 v4, v64, v18, -v19
	v_add_f32_e32 v3, v3, v110
	s_waitcnt vmcnt(6) lgkmcnt(2)
	v_mul_f32_e32 v113, v54, v43
	v_mul_f32_e32 v39, v69, v39
	v_fmac_f32_e32 v112, v87, v32
	v_fma_f32 v5, v66, v20, -v21
	v_add_f32_e32 v2, v2, v4
	v_add_f32_e32 v3, v3, v111
	v_mul_f32_e32 v114, v56, v45
	v_mul_f32_e32 v41, v71, v41
	v_fmac_f32_e32 v113, v55, v42
	v_fma_f32 v18, v68, v38, -v39
	v_add_f32_e32 v2, v2, v5
	v_add_f32_e32 v3, v3, v112
	v_fmac_f32_e32 v114, v57, v44
	v_fma_f32 v19, v70, v40, -v41
	v_add_f32_e32 v2, v2, v18
	v_add_f32_e32 v3, v3, v113
	;; [unrolled: 1-line block ×4, first 2 shown]
	v_mul_f32_e32 v3, v75, v9
	v_add_f32_e32 v2, v2, v6
	v_fma_f32 v3, v74, v8, -v3
	v_add_f32_e32 v2, v2, v3
	v_mul_f32_e32 v3, v77, v15
	v_fma_f32 v3, v76, v14, -v3
	v_add_f32_e32 v2, v2, v3
	v_mul_f32_e32 v3, v79, v17
	;; [unrolled: 3-line block ×8, first 2 shown]
	v_fma_f32 v3, v56, v44, -v3
	s_waitcnt vmcnt(5) lgkmcnt(1)
	v_mul_f32_e32 v99, v88, v47
	v_add_f32_e32 v18, v2, v3
	v_mul_f32_e32 v2, v89, v47
	s_waitcnt vmcnt(4) lgkmcnt(0)
	v_pk_mul_f32 v[20:21], v[92:93], v[50:51] op_sel:[1,1] op_sel_hi:[0,1]
	v_mul_f32_e32 v101, v90, v49
	v_fmac_f32_e32 v99, v89, v46
	v_fma_f32 v98, v88, v46, -v2
	v_mul_f32_e32 v2, v91, v49
	v_pk_fma_f32 v[22:23], v[92:93], v[50:51], v[20:21] neg_lo:[0,0,1] neg_hi:[0,0,1]
	v_pk_fma_f32 v[20:21], v[92:93], v[50:51], v[20:21] op_sel_hi:[1,0,1]
	v_fmac_f32_e32 v101, v91, v48
	v_fma_f32 v100, v90, v48, -v2
	ds_read2_b64 v[2:5], v58 offset0:109 offset1:110
	ds_read2_b64 v[6:9], v58 offset0:111 offset1:112
	ds_read2_b64 v[14:17], v58 offset0:113 offset1:114
	v_pk_add_f32 v[18:19], v[18:19], v[98:99]
	v_mov_b32_e32 v20, v53
	v_pk_add_f32 v[18:19], v[18:19], v[100:101]
	v_mov_b32_e32 v23, v21
	v_pk_mul_f32 v[20:21], v[94:95], v[20:21] op_sel:[1,0] op_sel_hi:[0,0]
	v_pk_add_f32 v[18:19], v[18:19], v[22:23]
	v_pk_fma_f32 v[22:23], v[94:95], v[52:53], v[20:21] neg_lo:[0,0,1] neg_hi:[0,0,1]
	v_pk_fma_f32 v[20:21], v[94:95], v[52:53], v[20:21] op_sel_hi:[1,0,1]
	s_nop 0
	v_mov_b32_e32 v23, v21
	s_waitcnt vmcnt(3) lgkmcnt(2)
	v_pk_mul_f32 v[20:21], v[2:3], v[34:35] op_sel:[1,1] op_sel_hi:[0,1]
	v_pk_add_f32 v[18:19], v[18:19], v[22:23]
	v_pk_fma_f32 v[22:23], v[2:3], v[34:35], v[20:21] neg_lo:[0,0,1] neg_hi:[0,0,1]
	v_pk_fma_f32 v[2:3], v[2:3], v[34:35], v[20:21] op_sel_hi:[1,0,1]
	s_nop 0
	v_mov_b32_e32 v23, v3
	v_pk_add_f32 v[2:3], v[18:19], v[22:23]
	v_mov_b32_e32 v18, v37
	v_pk_mul_f32 v[18:19], v[4:5], v[18:19] op_sel:[1,0] op_sel_hi:[0,0]
	v_pk_fma_f32 v[20:21], v[4:5], v[36:37], v[18:19] neg_lo:[0,0,1] neg_hi:[0,0,1]
	v_pk_fma_f32 v[4:5], v[4:5], v[36:37], v[18:19] op_sel_hi:[1,0,1]
	s_nop 0
	v_mov_b32_e32 v21, v5
	s_waitcnt vmcnt(2) lgkmcnt(1)
	v_pk_mul_f32 v[4:5], v[6:7], v[26:27] op_sel:[1,1] op_sel_hi:[0,1]
	v_pk_fma_f32 v[18:19], v[6:7], v[26:27], v[4:5] neg_lo:[0,0,1] neg_hi:[0,0,1]
	v_pk_fma_f32 v[4:5], v[6:7], v[26:27], v[4:5] op_sel_hi:[1,0,1]
	v_pk_add_f32 v[2:3], v[2:3], v[20:21]
	v_mov_b32_e32 v4, v29
	v_mov_b32_e32 v19, v5
	v_pk_mul_f32 v[4:5], v[8:9], v[4:5] op_sel:[1,0] op_sel_hi:[0,0]
	v_pk_fma_f32 v[6:7], v[8:9], v[28:29], v[4:5] neg_lo:[0,0,1] neg_hi:[0,0,1]
	v_pk_fma_f32 v[4:5], v[8:9], v[28:29], v[4:5] op_sel_hi:[1,0,1]
	v_pk_add_f32 v[2:3], v[2:3], v[18:19]
	v_mov_b32_e32 v7, v5
	s_waitcnt vmcnt(1) lgkmcnt(0)
	v_pk_mul_f32 v[4:5], v[14:15], v[10:11] op_sel:[1,1] op_sel_hi:[0,1]
	v_pk_add_f32 v[2:3], v[2:3], v[6:7]
	v_pk_fma_f32 v[6:7], v[14:15], v[10:11], v[4:5] neg_lo:[0,0,1] neg_hi:[0,0,1]
	v_pk_fma_f32 v[4:5], v[14:15], v[10:11], v[4:5] op_sel_hi:[1,0,1]
	s_nop 0
	v_mov_b32_e32 v4, v13
	v_mov_b32_e32 v7, v5
	v_pk_mul_f32 v[4:5], v[16:17], v[4:5] op_sel:[1,0] op_sel_hi:[0,0]
	v_pk_add_f32 v[2:3], v[2:3], v[6:7]
	v_pk_fma_f32 v[6:7], v[16:17], v[12:13], v[4:5] neg_lo:[0,0,1] neg_hi:[0,0,1]
	v_pk_fma_f32 v[4:5], v[16:17], v[12:13], v[4:5] op_sel_hi:[1,0,1]
	s_nop 0
	v_mov_b32_e32 v7, v5
	v_pk_add_f32 v[2:3], v[2:3], v[6:7]
	s_waitcnt vmcnt(0)
	v_pk_add_f32 v[2:3], v[96:97], v[2:3] neg_lo:[0,1] neg_hi:[0,1]
	scratch_store_dwordx2 off, v[2:3], off offset:240
	s_and_saveexec_b64 s[0:1], vcc
	s_cbranch_execz .LBB56_297
; %bb.296:
	scratch_load_dwordx2 v[2:3], off, off offset:232
	v_mov_b32_e32 v4, 0
	v_mov_b32_e32 v5, v4
	scratch_store_dwordx2 off, v[4:5], off offset:232
	s_waitcnt vmcnt(1)
	ds_write_b64 v1, v[2:3]
.LBB56_297:
	s_or_b64 exec, exec, s[0:1]
	s_waitcnt lgkmcnt(0)
	; wave barrier
	scratch_load_dwordx4 v[18:21], off, off offset:240
	scratch_load_dwordx4 v[30:33], off, off offset:256
	;; [unrolled: 1-line block ×13, first 2 shown]
	scratch_load_dwordx2 v[54:55], off, off offset:448
	scratch_load_dwordx2 v[80:81], off, off offset:232
	v_mov_b32_e32 v82, 0
	ds_read_b128 v[56:59], v82 offset:704
	ds_read_b128 v[60:63], v82 offset:720
	;; [unrolled: 1-line block ×10, first 2 shown]
	v_cmp_lt_u32_e32 vcc, 28, v0
	s_waitcnt vmcnt(14) lgkmcnt(9)
	v_mul_f32_e32 v83, v56, v19
	v_mul_f32_e32 v100, v58, v21
	s_waitcnt vmcnt(12) lgkmcnt(7)
	v_mul_f32_e32 v105, v64, v3
	v_mul_f32_e32 v3, v65, v3
	v_fmac_f32_e32 v83, v57, v18
	v_mul_f32_e32 v102, v60, v31
	v_fmac_f32_e32 v100, v59, v20
	v_fmac_f32_e32 v105, v65, v2
	v_fma_f32 v2, v64, v2, -v3
	v_add_f32_e32 v3, 0, v83
	v_mul_f32_e32 v104, v62, v33
	v_fmac_f32_e32 v102, v61, v30
	v_add_f32_e32 v3, v3, v100
	v_fmac_f32_e32 v104, v63, v32
	v_add_f32_e32 v3, v3, v102
	v_mul_f32_e32 v106, v66, v5
	v_add_f32_e32 v3, v3, v104
	s_waitcnt vmcnt(11) lgkmcnt(6)
	v_mul_f32_e32 v107, v68, v7
	v_fmac_f32_e32 v106, v67, v4
	v_add_f32_e32 v3, v3, v105
	v_mul_f32_e32 v108, v70, v9
	v_fmac_f32_e32 v107, v69, v6
	v_add_f32_e32 v3, v3, v106
	s_waitcnt vmcnt(10) lgkmcnt(5)
	v_mul_f32_e32 v109, v72, v15
	v_fmac_f32_e32 v108, v71, v8
	v_add_f32_e32 v3, v3, v107
	v_mul_f32_e32 v110, v74, v17
	v_fmac_f32_e32 v109, v73, v14
	v_add_f32_e32 v3, v3, v108
	s_waitcnt vmcnt(9) lgkmcnt(4)
	v_mul_f32_e32 v111, v76, v23
	v_fmac_f32_e32 v110, v75, v16
	v_add_f32_e32 v3, v3, v109
	v_mul_f32_e32 v112, v78, v25
	v_fmac_f32_e32 v111, v77, v22
	v_add_f32_e32 v3, v3, v110
	s_waitcnt vmcnt(8) lgkmcnt(3)
	v_mul_f32_e32 v113, v84, v35
	v_mul_f32_e32 v19, v57, v19
	v_fmac_f32_e32 v112, v79, v24
	v_add_f32_e32 v3, v3, v111
	v_mul_f32_e32 v114, v86, v37
	v_mul_f32_e32 v21, v59, v21
	v_fmac_f32_e32 v113, v85, v34
	v_fma_f32 v18, v56, v18, -v19
	v_add_f32_e32 v3, v3, v112
	s_waitcnt vmcnt(7) lgkmcnt(2)
	v_mul_f32_e32 v115, v88, v39
	v_mul_f32_e32 v31, v61, v31
	v_fmac_f32_e32 v114, v87, v36
	v_fma_f32 v19, v58, v20, -v21
	v_add_f32_e32 v18, 0, v18
	v_add_f32_e32 v3, v3, v113
	v_mul_f32_e32 v116, v90, v41
	v_mul_f32_e32 v33, v63, v33
	v_fmac_f32_e32 v115, v89, v38
	v_fma_f32 v20, v60, v30, -v31
	v_add_f32_e32 v18, v18, v19
	v_add_f32_e32 v3, v3, v114
	s_waitcnt vmcnt(6) lgkmcnt(1)
	v_mul_f32_e32 v117, v92, v51
	v_fmac_f32_e32 v116, v91, v40
	v_fma_f32 v21, v62, v32, -v33
	v_add_f32_e32 v18, v18, v20
	v_add_f32_e32 v3, v3, v115
	v_mul_f32_e32 v5, v67, v5
	v_fmac_f32_e32 v117, v93, v50
	v_add_f32_e32 v18, v18, v21
	v_add_f32_e32 v3, v3, v116
	;; [unrolled: 1-line block ×4, first 2 shown]
	v_fma_f32 v3, v66, v4, -v5
	v_add_f32_e32 v2, v2, v3
	v_mul_f32_e32 v3, v69, v7
	v_fma_f32 v3, v68, v6, -v3
	v_add_f32_e32 v2, v2, v3
	v_mul_f32_e32 v3, v71, v9
	;; [unrolled: 3-line block ×12, first 2 shown]
	v_mul_f32_e32 v101, v94, v53
	v_fma_f32 v100, v94, v52, -v2
	s_waitcnt vmcnt(5) lgkmcnt(0)
	v_mul_f32_e32 v2, v97, v47
	v_mov_b32_e32 v22, v49
	v_mul_f32_e32 v103, v96, v47
	v_fmac_f32_e32 v101, v95, v52
	v_fma_f32 v102, v96, v46, -v2
	ds_read_b128 v[2:5], v82 offset:864
	ds_read_b128 v[6:9], v82 offset:880
	;; [unrolled: 1-line block ×3, first 2 shown]
	ds_read_b64 v[20:21], v82 offset:912
	v_pk_mul_f32 v[22:23], v[98:99], v[22:23] op_sel:[1,0] op_sel_hi:[0,0]
	v_fmac_f32_e32 v103, v97, v46
	v_pk_add_f32 v[18:19], v[18:19], v[100:101]
	v_pk_fma_f32 v[24:25], v[98:99], v[48:49], v[22:23] neg_lo:[0,0,1] neg_hi:[0,0,1]
	v_pk_fma_f32 v[22:23], v[98:99], v[48:49], v[22:23] op_sel_hi:[1,0,1]
	v_pk_add_f32 v[18:19], v[18:19], v[102:103]
	v_mov_b32_e32 v25, v23
	s_waitcnt vmcnt(4) lgkmcnt(3)
	v_pk_mul_f32 v[22:23], v[2:3], v[42:43] op_sel:[1,1] op_sel_hi:[0,1]
	v_pk_add_f32 v[18:19], v[18:19], v[24:25]
	v_pk_fma_f32 v[24:25], v[2:3], v[42:43], v[22:23] neg_lo:[0,0,1] neg_hi:[0,0,1]
	v_pk_fma_f32 v[2:3], v[2:3], v[42:43], v[22:23] op_sel_hi:[1,0,1]
	s_nop 0
	v_mov_b32_e32 v25, v3
	v_pk_add_f32 v[2:3], v[18:19], v[24:25]
	v_mov_b32_e32 v18, v45
	v_pk_mul_f32 v[18:19], v[4:5], v[18:19] op_sel:[1,0] op_sel_hi:[0,0]
	v_pk_fma_f32 v[22:23], v[4:5], v[44:45], v[18:19] neg_lo:[0,0,1] neg_hi:[0,0,1]
	v_pk_fma_f32 v[4:5], v[4:5], v[44:45], v[18:19] op_sel_hi:[1,0,1]
	s_nop 0
	v_mov_b32_e32 v23, v5
	s_waitcnt vmcnt(3) lgkmcnt(2)
	v_pk_mul_f32 v[4:5], v[6:7], v[26:27] op_sel:[1,1] op_sel_hi:[0,1]
	v_pk_fma_f32 v[18:19], v[6:7], v[26:27], v[4:5] neg_lo:[0,0,1] neg_hi:[0,0,1]
	v_pk_fma_f32 v[4:5], v[6:7], v[26:27], v[4:5] op_sel_hi:[1,0,1]
	v_pk_add_f32 v[2:3], v[2:3], v[22:23]
	v_mov_b32_e32 v4, v29
	v_mov_b32_e32 v19, v5
	v_pk_mul_f32 v[4:5], v[8:9], v[4:5] op_sel:[1,0] op_sel_hi:[0,0]
	v_pk_fma_f32 v[6:7], v[8:9], v[28:29], v[4:5] neg_lo:[0,0,1] neg_hi:[0,0,1]
	v_pk_fma_f32 v[4:5], v[8:9], v[28:29], v[4:5] op_sel_hi:[1,0,1]
	v_pk_add_f32 v[2:3], v[2:3], v[18:19]
	v_mov_b32_e32 v7, v5
	s_waitcnt vmcnt(2) lgkmcnt(1)
	v_pk_mul_f32 v[4:5], v[14:15], v[10:11] op_sel:[1,1] op_sel_hi:[0,1]
	v_pk_add_f32 v[2:3], v[2:3], v[6:7]
	v_pk_fma_f32 v[6:7], v[14:15], v[10:11], v[4:5] neg_lo:[0,0,1] neg_hi:[0,0,1]
	v_pk_fma_f32 v[4:5], v[14:15], v[10:11], v[4:5] op_sel_hi:[1,0,1]
	s_nop 0
	v_mov_b32_e32 v4, v13
	v_mov_b32_e32 v7, v5
	v_pk_mul_f32 v[4:5], v[16:17], v[4:5] op_sel:[1,0] op_sel_hi:[0,0]
	v_pk_add_f32 v[2:3], v[2:3], v[6:7]
	v_pk_fma_f32 v[6:7], v[16:17], v[12:13], v[4:5] neg_lo:[0,0,1] neg_hi:[0,0,1]
	v_pk_fma_f32 v[4:5], v[16:17], v[12:13], v[4:5] op_sel_hi:[1,0,1]
	s_nop 0
	v_mov_b32_e32 v7, v5
	s_waitcnt vmcnt(1) lgkmcnt(0)
	v_pk_mul_f32 v[4:5], v[20:21], v[54:55] op_sel:[1,1] op_sel_hi:[0,1]
	v_pk_add_f32 v[2:3], v[2:3], v[6:7]
	v_pk_fma_f32 v[6:7], v[20:21], v[54:55], v[4:5] neg_lo:[0,0,1] neg_hi:[0,0,1]
	v_pk_fma_f32 v[4:5], v[20:21], v[54:55], v[4:5] op_sel_hi:[1,0,1]
	s_nop 0
	v_mov_b32_e32 v7, v5
	v_pk_add_f32 v[2:3], v[2:3], v[6:7]
	s_waitcnt vmcnt(0)
	v_pk_add_f32 v[2:3], v[80:81], v[2:3] neg_lo:[0,1] neg_hi:[0,1]
	scratch_store_dwordx2 off, v[2:3], off offset:232
	s_and_saveexec_b64 s[0:1], vcc
	s_cbranch_execz .LBB56_299
; %bb.298:
	scratch_load_dwordx2 v[2:3], off, off offset:224
	v_mov_b32_e32 v83, v82
	scratch_store_dwordx2 off, v[82:83], off offset:224
	s_waitcnt vmcnt(1)
	ds_write_b64 v1, v[2:3]
.LBB56_299:
	s_or_b64 exec, exec, s[0:1]
	s_waitcnt lgkmcnt(0)
	; wave barrier
	scratch_load_dwordx4 v[10:13], off, off offset:232
	scratch_load_dwordx4 v[26:29], off, off offset:248
	;; [unrolled: 1-line block ×10, first 2 shown]
	ds_read2_b64 v[84:87], v82 offset0:87 offset1:88
	ds_read2_b64 v[88:91], v82 offset0:89 offset1:90
	;; [unrolled: 1-line block ×10, first 2 shown]
	scratch_load_dwordx4 v[54:57], off, off offset:392
	scratch_load_dwordx4 v[46:49], off, off offset:408
	;; [unrolled: 1-line block ×4, first 2 shown]
	scratch_load_dwordx2 v[100:101], off, off offset:224
	v_cmp_lt_u32_e32 vcc, 27, v0
	s_waitcnt vmcnt(14) lgkmcnt(9)
	v_mul_f32_e32 v83, v84, v11
	v_mul_f32_e32 v102, v86, v13
	s_waitcnt vmcnt(12) lgkmcnt(7)
	v_mul_f32_e32 v107, v92, v3
	v_mul_f32_e32 v3, v93, v3
	v_fmac_f32_e32 v83, v85, v10
	v_mul_f32_e32 v104, v88, v27
	v_fmac_f32_e32 v102, v87, v12
	v_fmac_f32_e32 v107, v93, v2
	v_fma_f32 v2, v92, v2, -v3
	v_add_f32_e32 v3, 0, v83
	v_mul_f32_e32 v106, v90, v29
	v_fmac_f32_e32 v104, v89, v26
	v_add_f32_e32 v3, v3, v102
	v_fmac_f32_e32 v106, v91, v28
	v_add_f32_e32 v3, v3, v104
	v_mul_f32_e32 v108, v94, v5
	v_add_f32_e32 v3, v3, v106
	s_waitcnt vmcnt(11) lgkmcnt(6)
	v_mul_f32_e32 v109, v96, v7
	v_fmac_f32_e32 v108, v95, v4
	v_add_f32_e32 v3, v3, v107
	v_mul_f32_e32 v110, v98, v9
	v_fmac_f32_e32 v109, v97, v6
	v_add_f32_e32 v3, v3, v108
	s_waitcnt vmcnt(10) lgkmcnt(5)
	v_mul_f32_e32 v111, v78, v15
	v_fmac_f32_e32 v110, v99, v8
	v_add_f32_e32 v3, v3, v109
	v_mul_f32_e32 v112, v80, v17
	v_fmac_f32_e32 v111, v79, v14
	v_add_f32_e32 v3, v3, v110
	s_waitcnt vmcnt(9) lgkmcnt(4)
	v_mul_f32_e32 v113, v74, v23
	v_fmac_f32_e32 v112, v81, v16
	v_add_f32_e32 v3, v3, v111
	v_mul_f32_e32 v114, v76, v25
	v_fmac_f32_e32 v113, v75, v22
	v_add_f32_e32 v3, v3, v112
	s_waitcnt vmcnt(8) lgkmcnt(3)
	v_mul_f32_e32 v115, v70, v31
	v_fmac_f32_e32 v114, v77, v24
	v_add_f32_e32 v3, v3, v113
	v_mul_f32_e32 v116, v72, v33
	v_fmac_f32_e32 v115, v71, v30
	v_add_f32_e32 v3, v3, v114
	s_waitcnt vmcnt(7) lgkmcnt(2)
	v_mul_f32_e32 v117, v66, v39
	v_mul_f32_e32 v11, v85, v11
	v_fmac_f32_e32 v116, v73, v32
	v_add_f32_e32 v3, v3, v115
	v_mul_f32_e32 v118, v68, v41
	v_mul_f32_e32 v13, v87, v13
	v_fmac_f32_e32 v117, v67, v38
	v_fma_f32 v10, v84, v10, -v11
	v_add_f32_e32 v3, v3, v116
	s_waitcnt vmcnt(6) lgkmcnt(1)
	v_mul_f32_e32 v119, v62, v43
	v_mul_f32_e32 v27, v89, v27
	v_fmac_f32_e32 v118, v69, v40
	v_fma_f32 v11, v86, v12, -v13
	v_add_f32_e32 v10, 0, v10
	v_add_f32_e32 v3, v3, v117
	v_mul_f32_e32 v120, v64, v45
	v_mul_f32_e32 v29, v91, v29
	v_fmac_f32_e32 v119, v63, v42
	v_fma_f32 v12, v88, v26, -v27
	v_add_f32_e32 v10, v10, v11
	v_add_f32_e32 v3, v3, v118
	v_fmac_f32_e32 v120, v65, v44
	v_fma_f32 v13, v90, v28, -v29
	v_add_f32_e32 v10, v10, v12
	v_add_f32_e32 v3, v3, v119
	;; [unrolled: 1-line block ×4, first 2 shown]
	v_mul_f32_e32 v3, v95, v5
	v_add_f32_e32 v2, v10, v2
	v_fma_f32 v3, v94, v4, -v3
	v_add_f32_e32 v2, v2, v3
	v_mul_f32_e32 v3, v97, v7
	v_fma_f32 v3, v96, v6, -v3
	v_add_f32_e32 v2, v2, v3
	v_mul_f32_e32 v3, v99, v9
	;; [unrolled: 3-line block ×12, first 2 shown]
	v_fma_f32 v3, v64, v44, -v3
	v_add_f32_e32 v26, v2, v3
	s_waitcnt vmcnt(5) lgkmcnt(0)
	v_mul_f32_e32 v2, v59, v51
	v_fma_f32 v102, v58, v50, -v2
	v_mul_f32_e32 v2, v61, v53
	v_fma_f32 v104, v60, v52, -v2
	ds_read2_b64 v[2:5], v82 offset0:107 offset1:108
	ds_read2_b64 v[6:9], v82 offset0:109 offset1:110
	;; [unrolled: 1-line block ×4, first 2 shown]
	v_mul_f32_e32 v103, v58, v51
	v_mul_f32_e32 v105, v60, v53
	v_fmac_f32_e32 v103, v59, v50
	s_waitcnt vmcnt(4) lgkmcnt(3)
	v_pk_mul_f32 v[24:25], v[2:3], v[54:55] op_sel:[1,1] op_sel_hi:[0,1]
	v_fmac_f32_e32 v105, v61, v52
	v_pk_add_f32 v[22:23], v[26:27], v[102:103]
	v_pk_fma_f32 v[26:27], v[2:3], v[54:55], v[24:25] neg_lo:[0,0,1] neg_hi:[0,0,1]
	v_pk_fma_f32 v[2:3], v[2:3], v[54:55], v[24:25] op_sel_hi:[1,0,1]
	v_pk_add_f32 v[22:23], v[22:23], v[104:105]
	v_mov_b32_e32 v27, v3
	v_pk_add_f32 v[2:3], v[22:23], v[26:27]
	v_mov_b32_e32 v22, v57
	v_pk_mul_f32 v[22:23], v[4:5], v[22:23] op_sel:[1,0] op_sel_hi:[0,0]
	v_pk_fma_f32 v[24:25], v[4:5], v[56:57], v[22:23] neg_lo:[0,0,1] neg_hi:[0,0,1]
	v_pk_fma_f32 v[4:5], v[4:5], v[56:57], v[22:23] op_sel_hi:[1,0,1]
	s_nop 0
	v_mov_b32_e32 v25, v5
	s_waitcnt vmcnt(3) lgkmcnt(2)
	v_pk_mul_f32 v[4:5], v[6:7], v[46:47] op_sel:[1,1] op_sel_hi:[0,1]
	v_pk_fma_f32 v[22:23], v[6:7], v[46:47], v[4:5] neg_lo:[0,0,1] neg_hi:[0,0,1]
	v_pk_fma_f32 v[4:5], v[6:7], v[46:47], v[4:5] op_sel_hi:[1,0,1]
	v_pk_add_f32 v[2:3], v[2:3], v[24:25]
	v_mov_b32_e32 v4, v49
	v_mov_b32_e32 v23, v5
	v_pk_mul_f32 v[4:5], v[8:9], v[4:5] op_sel:[1,0] op_sel_hi:[0,0]
	v_pk_fma_f32 v[6:7], v[8:9], v[48:49], v[4:5] neg_lo:[0,0,1] neg_hi:[0,0,1]
	v_pk_fma_f32 v[4:5], v[8:9], v[48:49], v[4:5] op_sel_hi:[1,0,1]
	v_pk_add_f32 v[2:3], v[2:3], v[22:23]
	v_mov_b32_e32 v7, v5
	s_waitcnt vmcnt(2) lgkmcnt(1)
	v_pk_mul_f32 v[4:5], v[10:11], v[34:35] op_sel:[1,1] op_sel_hi:[0,1]
	v_pk_add_f32 v[2:3], v[2:3], v[6:7]
	v_pk_fma_f32 v[6:7], v[10:11], v[34:35], v[4:5] neg_lo:[0,0,1] neg_hi:[0,0,1]
	v_pk_fma_f32 v[4:5], v[10:11], v[34:35], v[4:5] op_sel_hi:[1,0,1]
	s_nop 0
	v_mov_b32_e32 v4, v37
	v_mov_b32_e32 v7, v5
	v_pk_mul_f32 v[4:5], v[12:13], v[4:5] op_sel:[1,0] op_sel_hi:[0,0]
	v_pk_add_f32 v[2:3], v[2:3], v[6:7]
	v_pk_fma_f32 v[6:7], v[12:13], v[36:37], v[4:5] neg_lo:[0,0,1] neg_hi:[0,0,1]
	v_pk_fma_f32 v[4:5], v[12:13], v[36:37], v[4:5] op_sel_hi:[1,0,1]
	s_nop 0
	v_mov_b32_e32 v7, v5
	s_waitcnt vmcnt(1) lgkmcnt(0)
	v_pk_mul_f32 v[4:5], v[14:15], v[18:19] op_sel:[1,1] op_sel_hi:[0,1]
	v_pk_add_f32 v[2:3], v[2:3], v[6:7]
	v_pk_fma_f32 v[6:7], v[14:15], v[18:19], v[4:5] neg_lo:[0,0,1] neg_hi:[0,0,1]
	v_pk_fma_f32 v[4:5], v[14:15], v[18:19], v[4:5] op_sel_hi:[1,0,1]
	s_nop 0
	v_mov_b32_e32 v4, v21
	v_mov_b32_e32 v7, v5
	v_pk_mul_f32 v[4:5], v[16:17], v[4:5] op_sel:[1,0] op_sel_hi:[0,0]
	v_pk_add_f32 v[2:3], v[2:3], v[6:7]
	v_pk_fma_f32 v[6:7], v[16:17], v[20:21], v[4:5] neg_lo:[0,0,1] neg_hi:[0,0,1]
	v_pk_fma_f32 v[4:5], v[16:17], v[20:21], v[4:5] op_sel_hi:[1,0,1]
	s_nop 0
	v_mov_b32_e32 v7, v5
	v_pk_add_f32 v[2:3], v[2:3], v[6:7]
	s_waitcnt vmcnt(0)
	v_pk_add_f32 v[2:3], v[100:101], v[2:3] neg_lo:[0,1] neg_hi:[0,1]
	scratch_store_dwordx2 off, v[2:3], off offset:224
	s_and_saveexec_b64 s[0:1], vcc
	s_cbranch_execz .LBB56_301
; %bb.300:
	scratch_load_dwordx2 v[2:3], off, off offset:216
	v_mov_b32_e32 v4, 0
	v_mov_b32_e32 v5, v4
	scratch_store_dwordx2 off, v[4:5], off offset:216
	s_waitcnt vmcnt(1)
	ds_write_b64 v1, v[2:3]
.LBB56_301:
	s_or_b64 exec, exec, s[0:1]
	s_waitcnt lgkmcnt(0)
	; wave barrier
	scratch_load_dwordx4 v[26:29], off, off offset:224
	scratch_load_dwordx4 v[2:5], off, off offset:240
	scratch_load_dwordx4 v[6:9], off, off offset:256
	scratch_load_dwordx4 v[10:13], off, off offset:272
	scratch_load_dwordx4 v[14:17], off, off offset:288
	scratch_load_dwordx4 v[22:25], off, off offset:304
	scratch_load_dwordx4 v[30:33], off, off offset:320
	scratch_load_dwordx4 v[38:41], off, off offset:336
	scratch_load_dwordx4 v[42:45], off, off offset:352
	scratch_load_dwordx4 v[50:53], off, off offset:368
	scratch_load_dwordx4 v[54:57], off, off offset:384
	scratch_load_dwordx4 v[46:49], off, off offset:400
	scratch_load_dwordx4 v[34:37], off, off offset:416
	scratch_load_dwordx4 v[18:21], off, off offset:432
	scratch_load_dwordx2 v[58:59], off, off offset:448
	scratch_load_dwordx2 v[100:101], off, off offset:216
	v_mov_b32_e32 v102, 0
	ds_read_b128 v[60:63], v102 offset:688
	ds_read_b128 v[64:67], v102 offset:704
	;; [unrolled: 1-line block ×12, first 2 shown]
	v_cmp_lt_u32_e32 vcc, 26, v0
	s_waitcnt vmcnt(15) lgkmcnt(11)
	v_mul_f32_e32 v103, v60, v27
	v_mul_f32_e32 v112, v62, v29
	s_waitcnt vmcnt(14) lgkmcnt(10)
	v_mul_f32_e32 v114, v64, v3
	v_mul_f32_e32 v3, v65, v3
	v_fmac_f32_e32 v103, v61, v26
	v_fmac_f32_e32 v112, v63, v28
	;; [unrolled: 1-line block ×3, first 2 shown]
	v_fma_f32 v2, v64, v2, -v3
	v_add_f32_e32 v3, 0, v103
	v_mul_f32_e32 v116, v66, v5
	v_add_f32_e32 v3, v3, v112
	s_waitcnt vmcnt(13) lgkmcnt(9)
	v_mul_f32_e32 v117, v68, v7
	v_fmac_f32_e32 v116, v67, v4
	v_add_f32_e32 v3, v3, v114
	v_mul_f32_e32 v118, v70, v9
	v_fmac_f32_e32 v117, v69, v6
	v_add_f32_e32 v3, v3, v116
	s_waitcnt vmcnt(12) lgkmcnt(8)
	v_mul_f32_e32 v119, v72, v11
	v_fmac_f32_e32 v118, v71, v8
	v_add_f32_e32 v3, v3, v117
	v_mul_f32_e32 v120, v74, v13
	v_fmac_f32_e32 v119, v73, v10
	;; [unrolled: 7-line block ×6, first 2 shown]
	v_add_f32_e32 v3, v3, v126
	s_waitcnt vmcnt(7) lgkmcnt(3)
	v_mul_f32_e32 v129, v92, v43
	v_fmac_f32_e32 v128, v91, v40
	v_add_f32_e32 v3, v3, v127
	v_mul_f32_e32 v130, v94, v45
	v_mul_f32_e32 v27, v61, v27
	v_fmac_f32_e32 v129, v93, v42
	v_add_f32_e32 v3, v3, v128
	s_waitcnt vmcnt(6) lgkmcnt(2)
	v_mul_f32_e32 v131, v96, v51
	v_mul_f32_e32 v29, v63, v29
	v_fmac_f32_e32 v130, v95, v44
	v_fma_f32 v26, v60, v26, -v27
	v_add_f32_e32 v3, v3, v129
	v_fmac_f32_e32 v131, v97, v50
	v_fma_f32 v27, v62, v28, -v29
	v_add_f32_e32 v26, 0, v26
	v_add_f32_e32 v3, v3, v130
	;; [unrolled: 1-line block ×4, first 2 shown]
	v_mul_f32_e32 v3, v67, v5
	v_add_f32_e32 v2, v26, v2
	v_fma_f32 v3, v66, v4, -v3
	v_add_f32_e32 v2, v2, v3
	v_mul_f32_e32 v3, v69, v7
	v_fma_f32 v3, v68, v6, -v3
	v_add_f32_e32 v2, v2, v3
	v_mul_f32_e32 v3, v71, v9
	;; [unrolled: 3-line block ×15, first 2 shown]
	v_fma_f32 v3, v96, v50, -v3
	v_mul_f32_e32 v113, v98, v53
	v_add_f32_e32 v26, v2, v3
	v_mul_f32_e32 v2, v99, v53
	s_waitcnt vmcnt(5)
	v_mov_b32_e32 v14, v57
	s_waitcnt lgkmcnt(1)
	v_mul_f32_e32 v115, v104, v55
	v_fmac_f32_e32 v113, v99, v52
	v_fma_f32 v112, v98, v52, -v2
	v_mul_f32_e32 v2, v105, v55
	v_pk_mul_f32 v[14:15], v[106:107], v[14:15] op_sel:[1,0] op_sel_hi:[0,0]
	v_fmac_f32_e32 v115, v105, v54
	v_fma_f32 v114, v104, v54, -v2
	v_pk_add_f32 v[12:13], v[26:27], v[112:113]
	v_pk_fma_f32 v[16:17], v[106:107], v[56:57], v[14:15] neg_lo:[0,0,1] neg_hi:[0,0,1]
	v_pk_fma_f32 v[14:15], v[106:107], v[56:57], v[14:15] op_sel_hi:[1,0,1]
	v_pk_add_f32 v[12:13], v[12:13], v[114:115]
	v_mov_b32_e32 v17, v15
	s_waitcnt vmcnt(4) lgkmcnt(0)
	v_pk_mul_f32 v[14:15], v[108:109], v[46:47] op_sel:[1,1] op_sel_hi:[0,1]
	v_pk_add_f32 v[12:13], v[12:13], v[16:17]
	v_pk_fma_f32 v[16:17], v[108:109], v[46:47], v[14:15] neg_lo:[0,0,1] neg_hi:[0,0,1]
	v_pk_fma_f32 v[14:15], v[108:109], v[46:47], v[14:15] op_sel_hi:[1,0,1]
	ds_read_b128 v[2:5], v102 offset:880
	ds_read_b128 v[6:9], v102 offset:896
	ds_read_b64 v[10:11], v102 offset:912
	v_mov_b32_e32 v14, v49
	v_mov_b32_e32 v17, v15
	v_pk_mul_f32 v[14:15], v[110:111], v[14:15] op_sel:[1,0] op_sel_hi:[0,0]
	v_pk_add_f32 v[12:13], v[12:13], v[16:17]
	v_pk_fma_f32 v[16:17], v[110:111], v[48:49], v[14:15] neg_lo:[0,0,1] neg_hi:[0,0,1]
	v_pk_fma_f32 v[14:15], v[110:111], v[48:49], v[14:15] op_sel_hi:[1,0,1]
	s_nop 0
	v_mov_b32_e32 v17, v15
	s_waitcnt vmcnt(3) lgkmcnt(2)
	v_pk_mul_f32 v[14:15], v[2:3], v[34:35] op_sel:[1,1] op_sel_hi:[0,1]
	v_pk_add_f32 v[12:13], v[12:13], v[16:17]
	v_pk_fma_f32 v[16:17], v[2:3], v[34:35], v[14:15] neg_lo:[0,0,1] neg_hi:[0,0,1]
	v_pk_fma_f32 v[2:3], v[2:3], v[34:35], v[14:15] op_sel_hi:[1,0,1]
	s_nop 0
	v_mov_b32_e32 v17, v3
	v_pk_add_f32 v[2:3], v[12:13], v[16:17]
	v_mov_b32_e32 v12, v37
	v_pk_mul_f32 v[12:13], v[4:5], v[12:13] op_sel:[1,0] op_sel_hi:[0,0]
	v_pk_fma_f32 v[14:15], v[4:5], v[36:37], v[12:13] neg_lo:[0,0,1] neg_hi:[0,0,1]
	v_pk_fma_f32 v[4:5], v[4:5], v[36:37], v[12:13] op_sel_hi:[1,0,1]
	s_nop 0
	v_mov_b32_e32 v15, v5
	s_waitcnt vmcnt(2) lgkmcnt(1)
	v_pk_mul_f32 v[4:5], v[6:7], v[18:19] op_sel:[1,1] op_sel_hi:[0,1]
	v_pk_fma_f32 v[12:13], v[6:7], v[18:19], v[4:5] neg_lo:[0,0,1] neg_hi:[0,0,1]
	v_pk_fma_f32 v[4:5], v[6:7], v[18:19], v[4:5] op_sel_hi:[1,0,1]
	v_pk_add_f32 v[2:3], v[2:3], v[14:15]
	v_mov_b32_e32 v4, v21
	v_mov_b32_e32 v13, v5
	v_pk_mul_f32 v[4:5], v[8:9], v[4:5] op_sel:[1,0] op_sel_hi:[0,0]
	v_pk_fma_f32 v[6:7], v[8:9], v[20:21], v[4:5] neg_lo:[0,0,1] neg_hi:[0,0,1]
	v_pk_fma_f32 v[4:5], v[8:9], v[20:21], v[4:5] op_sel_hi:[1,0,1]
	v_pk_add_f32 v[2:3], v[2:3], v[12:13]
	v_mov_b32_e32 v7, v5
	s_waitcnt vmcnt(1) lgkmcnt(0)
	v_pk_mul_f32 v[4:5], v[10:11], v[58:59] op_sel:[1,1] op_sel_hi:[0,1]
	v_pk_add_f32 v[2:3], v[2:3], v[6:7]
	v_pk_fma_f32 v[6:7], v[10:11], v[58:59], v[4:5] neg_lo:[0,0,1] neg_hi:[0,0,1]
	v_pk_fma_f32 v[4:5], v[10:11], v[58:59], v[4:5] op_sel_hi:[1,0,1]
	s_nop 0
	v_mov_b32_e32 v7, v5
	v_pk_add_f32 v[2:3], v[2:3], v[6:7]
	s_waitcnt vmcnt(0)
	v_pk_add_f32 v[2:3], v[100:101], v[2:3] neg_lo:[0,1] neg_hi:[0,1]
	scratch_store_dwordx2 off, v[2:3], off offset:216
	s_and_saveexec_b64 s[0:1], vcc
	s_cbranch_execz .LBB56_303
; %bb.302:
	scratch_load_dwordx2 v[2:3], off, off offset:208
	v_mov_b32_e32 v103, v102
	scratch_store_dwordx2 off, v[102:103], off offset:208
	s_waitcnt vmcnt(1)
	ds_write_b64 v1, v[2:3]
.LBB56_303:
	s_or_b64 exec, exec, s[0:1]
	s_waitcnt lgkmcnt(0)
	; wave barrier
	scratch_load_dwordx4 v[18:21], off, off offset:216
	scratch_load_dwordx4 v[2:5], off, off offset:232
	;; [unrolled: 1-line block ×11, first 2 shown]
	ds_read2_b64 v[104:107], v102 offset0:85 offset1:86
	ds_read2_b64 v[98:101], v102 offset0:87 offset1:88
	;; [unrolled: 1-line block ×10, first 2 shown]
	scratch_load_dwordx4 v[58:61], off, off offset:392
	scratch_load_dwordx4 v[50:53], off, off offset:408
	;; [unrolled: 1-line block ×4, first 2 shown]
	ds_read2_b64 v[78:81], v102 offset0:105 offset1:106
	ds_read2_b64 v[108:111], v102 offset0:107 offset1:108
	scratch_load_dwordx2 v[112:113], off, off offset:208
	v_cmp_lt_u32_e32 vcc, 25, v0
	s_waitcnt vmcnt(15) lgkmcnt(11)
	v_mul_f32_e32 v103, v104, v19
	v_mul_f32_e32 v114, v106, v21
	s_waitcnt vmcnt(14) lgkmcnt(10)
	v_mul_f32_e32 v116, v98, v3
	v_mul_f32_e32 v3, v99, v3
	v_fmac_f32_e32 v103, v105, v18
	v_fmac_f32_e32 v114, v107, v20
	;; [unrolled: 1-line block ×3, first 2 shown]
	v_fma_f32 v2, v98, v2, -v3
	v_add_f32_e32 v3, 0, v103
	v_mul_f32_e32 v118, v100, v5
	v_add_f32_e32 v3, v3, v114
	s_waitcnt vmcnt(13) lgkmcnt(9)
	v_mul_f32_e32 v119, v94, v7
	v_fmac_f32_e32 v118, v101, v4
	v_add_f32_e32 v3, v3, v116
	v_mul_f32_e32 v120, v96, v9
	v_fmac_f32_e32 v119, v95, v6
	v_add_f32_e32 v3, v3, v118
	s_waitcnt vmcnt(12) lgkmcnt(8)
	v_mul_f32_e32 v121, v90, v11
	v_fmac_f32_e32 v120, v97, v8
	v_add_f32_e32 v3, v3, v119
	v_mul_f32_e32 v122, v92, v13
	v_fmac_f32_e32 v121, v91, v10
	v_add_f32_e32 v3, v3, v120
	s_waitcnt vmcnt(11) lgkmcnt(7)
	v_mul_f32_e32 v123, v86, v15
	v_fmac_f32_e32 v122, v93, v12
	v_add_f32_e32 v3, v3, v121
	v_mul_f32_e32 v124, v88, v17
	v_fmac_f32_e32 v123, v87, v14
	v_add_f32_e32 v3, v3, v122
	s_waitcnt vmcnt(10) lgkmcnt(6)
	v_mul_f32_e32 v125, v82, v23
	v_fmac_f32_e32 v124, v89, v16
	v_add_f32_e32 v3, v3, v123
	v_mul_f32_e32 v126, v84, v25
	v_fmac_f32_e32 v125, v83, v22
	v_add_f32_e32 v3, v3, v124
	s_waitcnt vmcnt(9) lgkmcnt(5)
	v_mul_f32_e32 v127, v74, v31
	v_fmac_f32_e32 v126, v85, v24
	v_add_f32_e32 v3, v3, v125
	v_mul_f32_e32 v128, v76, v33
	v_fmac_f32_e32 v127, v75, v30
	v_add_f32_e32 v3, v3, v126
	s_waitcnt vmcnt(8) lgkmcnt(4)
	v_mul_f32_e32 v129, v70, v35
	v_fmac_f32_e32 v128, v77, v32
	v_add_f32_e32 v3, v3, v127
	v_mul_f32_e32 v130, v72, v37
	v_fmac_f32_e32 v129, v71, v34
	v_add_f32_e32 v3, v3, v128
	s_waitcnt vmcnt(7) lgkmcnt(3)
	v_mul_f32_e32 v131, v66, v43
	v_fmac_f32_e32 v130, v73, v36
	v_add_f32_e32 v3, v3, v129
	v_mul_f32_e32 v132, v68, v45
	v_fmac_f32_e32 v131, v67, v42
	v_add_f32_e32 v3, v3, v130
	s_waitcnt vmcnt(6) lgkmcnt(2)
	v_mul_f32_e32 v133, v62, v47
	v_mul_f32_e32 v19, v105, v19
	v_fmac_f32_e32 v132, v69, v44
	v_add_f32_e32 v3, v3, v131
	v_mul_f32_e32 v134, v64, v49
	v_mul_f32_e32 v21, v107, v21
	v_fmac_f32_e32 v133, v63, v46
	v_fma_f32 v18, v104, v18, -v19
	v_add_f32_e32 v3, v3, v132
	v_fmac_f32_e32 v134, v65, v48
	v_fma_f32 v19, v106, v20, -v21
	v_add_f32_e32 v18, 0, v18
	v_add_f32_e32 v3, v3, v133
	;; [unrolled: 1-line block ×4, first 2 shown]
	v_mul_f32_e32 v3, v101, v5
	v_add_f32_e32 v2, v18, v2
	v_fma_f32 v3, v100, v4, -v3
	v_add_f32_e32 v2, v2, v3
	v_mul_f32_e32 v3, v95, v7
	v_fma_f32 v3, v94, v6, -v3
	v_add_f32_e32 v2, v2, v3
	v_mul_f32_e32 v3, v97, v9
	;; [unrolled: 3-line block ×16, first 2 shown]
	v_fma_f32 v3, v64, v48, -v3
	s_waitcnt vmcnt(5) lgkmcnt(1)
	v_mul_f32_e32 v115, v78, v55
	v_add_f32_e32 v18, v2, v3
	v_mul_f32_e32 v2, v79, v55
	v_fmac_f32_e32 v115, v79, v54
	v_fma_f32 v114, v78, v54, -v2
	s_waitcnt vmcnt(4) lgkmcnt(0)
	v_pk_mul_f32 v[16:17], v[108:109], v[58:59] op_sel:[1,1] op_sel_hi:[0,1]
	v_mul_f32_e32 v117, v80, v57
	v_mul_f32_e32 v2, v81, v57
	v_pk_add_f32 v[14:15], v[18:19], v[114:115]
	v_pk_fma_f32 v[18:19], v[108:109], v[58:59], v[16:17] neg_lo:[0,0,1] neg_hi:[0,0,1]
	v_pk_fma_f32 v[16:17], v[108:109], v[58:59], v[16:17] op_sel_hi:[1,0,1]
	v_fmac_f32_e32 v117, v81, v56
	v_fma_f32 v116, v80, v56, -v2
	ds_read2_b64 v[2:5], v102 offset0:109 offset1:110
	ds_read2_b64 v[6:9], v102 offset0:111 offset1:112
	;; [unrolled: 1-line block ×3, first 2 shown]
	v_mov_b32_e32 v16, v61
	v_pk_add_f32 v[14:15], v[14:15], v[116:117]
	v_mov_b32_e32 v19, v17
	v_pk_mul_f32 v[16:17], v[110:111], v[16:17] op_sel:[1,0] op_sel_hi:[0,0]
	v_pk_add_f32 v[14:15], v[14:15], v[18:19]
	v_pk_fma_f32 v[18:19], v[110:111], v[60:61], v[16:17] neg_lo:[0,0,1] neg_hi:[0,0,1]
	v_pk_fma_f32 v[16:17], v[110:111], v[60:61], v[16:17] op_sel_hi:[1,0,1]
	s_nop 0
	v_mov_b32_e32 v19, v17
	s_waitcnt vmcnt(3) lgkmcnt(2)
	v_pk_mul_f32 v[16:17], v[2:3], v[50:51] op_sel:[1,1] op_sel_hi:[0,1]
	v_pk_add_f32 v[14:15], v[14:15], v[18:19]
	v_pk_fma_f32 v[18:19], v[2:3], v[50:51], v[16:17] neg_lo:[0,0,1] neg_hi:[0,0,1]
	v_pk_fma_f32 v[2:3], v[2:3], v[50:51], v[16:17] op_sel_hi:[1,0,1]
	s_nop 0
	v_mov_b32_e32 v19, v3
	v_pk_add_f32 v[2:3], v[14:15], v[18:19]
	v_mov_b32_e32 v14, v53
	v_pk_mul_f32 v[14:15], v[4:5], v[14:15] op_sel:[1,0] op_sel_hi:[0,0]
	v_pk_fma_f32 v[16:17], v[4:5], v[52:53], v[14:15] neg_lo:[0,0,1] neg_hi:[0,0,1]
	v_pk_fma_f32 v[4:5], v[4:5], v[52:53], v[14:15] op_sel_hi:[1,0,1]
	s_nop 0
	v_mov_b32_e32 v17, v5
	s_waitcnt vmcnt(2) lgkmcnt(1)
	v_pk_mul_f32 v[4:5], v[6:7], v[38:39] op_sel:[1,1] op_sel_hi:[0,1]
	v_pk_fma_f32 v[14:15], v[6:7], v[38:39], v[4:5] neg_lo:[0,0,1] neg_hi:[0,0,1]
	v_pk_fma_f32 v[4:5], v[6:7], v[38:39], v[4:5] op_sel_hi:[1,0,1]
	v_pk_add_f32 v[2:3], v[2:3], v[16:17]
	v_mov_b32_e32 v4, v41
	v_mov_b32_e32 v15, v5
	v_pk_mul_f32 v[4:5], v[8:9], v[4:5] op_sel:[1,0] op_sel_hi:[0,0]
	v_pk_fma_f32 v[6:7], v[8:9], v[40:41], v[4:5] neg_lo:[0,0,1] neg_hi:[0,0,1]
	v_pk_fma_f32 v[4:5], v[8:9], v[40:41], v[4:5] op_sel_hi:[1,0,1]
	v_pk_add_f32 v[2:3], v[2:3], v[14:15]
	v_mov_b32_e32 v7, v5
	s_waitcnt vmcnt(1) lgkmcnt(0)
	v_pk_mul_f32 v[4:5], v[10:11], v[26:27] op_sel:[1,1] op_sel_hi:[0,1]
	v_pk_add_f32 v[2:3], v[2:3], v[6:7]
	v_pk_fma_f32 v[6:7], v[10:11], v[26:27], v[4:5] neg_lo:[0,0,1] neg_hi:[0,0,1]
	v_pk_fma_f32 v[4:5], v[10:11], v[26:27], v[4:5] op_sel_hi:[1,0,1]
	s_nop 0
	v_mov_b32_e32 v4, v29
	v_mov_b32_e32 v7, v5
	v_pk_mul_f32 v[4:5], v[12:13], v[4:5] op_sel:[1,0] op_sel_hi:[0,0]
	v_pk_add_f32 v[2:3], v[2:3], v[6:7]
	v_pk_fma_f32 v[6:7], v[12:13], v[28:29], v[4:5] neg_lo:[0,0,1] neg_hi:[0,0,1]
	v_pk_fma_f32 v[4:5], v[12:13], v[28:29], v[4:5] op_sel_hi:[1,0,1]
	s_nop 0
	v_mov_b32_e32 v7, v5
	v_pk_add_f32 v[2:3], v[2:3], v[6:7]
	s_waitcnt vmcnt(0)
	v_pk_add_f32 v[2:3], v[112:113], v[2:3] neg_lo:[0,1] neg_hi:[0,1]
	scratch_store_dwordx2 off, v[2:3], off offset:208
	s_and_saveexec_b64 s[0:1], vcc
	s_cbranch_execz .LBB56_305
; %bb.304:
	scratch_load_dwordx2 v[2:3], off, off offset:200
	v_mov_b32_e32 v4, 0
	v_mov_b32_e32 v5, v4
	scratch_store_dwordx2 off, v[4:5], off offset:200
	s_waitcnt vmcnt(1)
	ds_write_b64 v1, v[2:3]
.LBB56_305:
	s_or_b64 exec, exec, s[0:1]
	s_waitcnt lgkmcnt(0)
	; wave barrier
	scratch_load_dwordx4 v[2:5], off, off offset:208
	scratch_load_dwordx4 v[6:9], off, off offset:224
	;; [unrolled: 1-line block ×15, first 2 shown]
	scratch_load_dwordx2 v[62:63], off, off offset:448
	scratch_load_dwordx2 v[112:113], off, off offset:200
	v_mov_b32_e32 v114, 0
	ds_read_b128 v[64:67], v114 offset:672
	ds_read_b128 v[68:71], v114 offset:688
	;; [unrolled: 1-line block ×12, first 2 shown]
	v_cmp_lt_u32_e32 vcc, 24, v0
	s_waitcnt vmcnt(16) lgkmcnt(11)
	v_mul_f32_e32 v115, v64, v3
	v_mul_f32_e32 v116, v66, v5
	;; [unrolled: 1-line block ×3, first 2 shown]
	v_fmac_f32_e32 v115, v65, v2
	s_waitcnt vmcnt(15) lgkmcnt(10)
	v_mul_f32_e32 v118, v68, v7
	v_fmac_f32_e32 v116, v67, v4
	v_fma_f32 v2, v64, v2, -v3
	v_add_f32_e32 v3, 0, v115
	v_mul_f32_e32 v120, v70, v9
	v_fmac_f32_e32 v118, v69, v6
	v_add_f32_e32 v3, v3, v116
	s_waitcnt vmcnt(14) lgkmcnt(9)
	v_mul_f32_e32 v121, v72, v11
	v_fmac_f32_e32 v120, v71, v8
	v_add_f32_e32 v3, v3, v118
	v_mul_f32_e32 v122, v74, v13
	v_fmac_f32_e32 v121, v73, v10
	v_add_f32_e32 v3, v3, v120
	s_waitcnt vmcnt(13) lgkmcnt(8)
	v_mul_f32_e32 v123, v76, v15
	v_fmac_f32_e32 v122, v75, v12
	;; [unrolled: 7-line block ×9, first 2 shown]
	v_add_f32_e32 v3, v3, v135
	v_mul_f32_e32 v5, v67, v5
	v_fmac_f32_e32 v137, v105, v58
	v_add_f32_e32 v3, v3, v136
	v_add_f32_e32 v2, 0, v2
	;; [unrolled: 1-line block ×3, first 2 shown]
	v_fma_f32 v3, v66, v4, -v5
	v_add_f32_e32 v2, v2, v3
	v_mul_f32_e32 v3, v69, v7
	v_fma_f32 v3, v68, v6, -v3
	v_add_f32_e32 v2, v2, v3
	v_mul_f32_e32 v3, v71, v9
	;; [unrolled: 3-line block ×20, first 2 shown]
	v_mul_f32_e32 v117, v106, v61
	v_fma_f32 v116, v106, v60, -v2
	s_waitcnt vmcnt(5) lgkmcnt(0)
	v_mul_f32_e32 v2, v109, v55
	v_mov_b32_e32 v18, v57
	v_mul_f32_e32 v119, v108, v55
	v_fmac_f32_e32 v117, v107, v60
	v_fma_f32 v118, v108, v54, -v2
	ds_read_b128 v[2:5], v114 offset:864
	ds_read_b128 v[6:9], v114 offset:880
	ds_read_b128 v[10:13], v114 offset:896
	ds_read_b64 v[14:15], v114 offset:912
	v_pk_mul_f32 v[18:19], v[110:111], v[18:19] op_sel:[1,0] op_sel_hi:[0,0]
	v_fmac_f32_e32 v119, v109, v54
	v_pk_add_f32 v[16:17], v[64:65], v[116:117]
	v_pk_fma_f32 v[20:21], v[110:111], v[56:57], v[18:19] neg_lo:[0,0,1] neg_hi:[0,0,1]
	v_pk_fma_f32 v[18:19], v[110:111], v[56:57], v[18:19] op_sel_hi:[1,0,1]
	v_pk_add_f32 v[16:17], v[16:17], v[118:119]
	v_mov_b32_e32 v21, v19
	s_waitcnt vmcnt(4) lgkmcnt(3)
	v_pk_mul_f32 v[18:19], v[2:3], v[50:51] op_sel:[1,1] op_sel_hi:[0,1]
	v_pk_add_f32 v[16:17], v[16:17], v[20:21]
	v_pk_fma_f32 v[20:21], v[2:3], v[50:51], v[18:19] neg_lo:[0,0,1] neg_hi:[0,0,1]
	v_pk_fma_f32 v[2:3], v[2:3], v[50:51], v[18:19] op_sel_hi:[1,0,1]
	s_nop 0
	v_mov_b32_e32 v21, v3
	v_pk_add_f32 v[2:3], v[16:17], v[20:21]
	v_mov_b32_e32 v16, v53
	v_pk_mul_f32 v[16:17], v[4:5], v[16:17] op_sel:[1,0] op_sel_hi:[0,0]
	v_pk_fma_f32 v[18:19], v[4:5], v[52:53], v[16:17] neg_lo:[0,0,1] neg_hi:[0,0,1]
	v_pk_fma_f32 v[4:5], v[4:5], v[52:53], v[16:17] op_sel_hi:[1,0,1]
	s_nop 0
	v_mov_b32_e32 v19, v5
	s_waitcnt vmcnt(3) lgkmcnt(2)
	v_pk_mul_f32 v[4:5], v[6:7], v[38:39] op_sel:[1,1] op_sel_hi:[0,1]
	v_pk_fma_f32 v[16:17], v[6:7], v[38:39], v[4:5] neg_lo:[0,0,1] neg_hi:[0,0,1]
	v_pk_fma_f32 v[4:5], v[6:7], v[38:39], v[4:5] op_sel_hi:[1,0,1]
	v_pk_add_f32 v[2:3], v[2:3], v[18:19]
	v_mov_b32_e32 v4, v41
	v_mov_b32_e32 v17, v5
	v_pk_mul_f32 v[4:5], v[8:9], v[4:5] op_sel:[1,0] op_sel_hi:[0,0]
	v_pk_fma_f32 v[6:7], v[8:9], v[40:41], v[4:5] neg_lo:[0,0,1] neg_hi:[0,0,1]
	v_pk_fma_f32 v[4:5], v[8:9], v[40:41], v[4:5] op_sel_hi:[1,0,1]
	v_pk_add_f32 v[2:3], v[2:3], v[16:17]
	v_mov_b32_e32 v7, v5
	s_waitcnt vmcnt(2) lgkmcnt(1)
	v_pk_mul_f32 v[4:5], v[10:11], v[26:27] op_sel:[1,1] op_sel_hi:[0,1]
	v_pk_add_f32 v[2:3], v[2:3], v[6:7]
	v_pk_fma_f32 v[6:7], v[10:11], v[26:27], v[4:5] neg_lo:[0,0,1] neg_hi:[0,0,1]
	v_pk_fma_f32 v[4:5], v[10:11], v[26:27], v[4:5] op_sel_hi:[1,0,1]
	s_nop 0
	v_mov_b32_e32 v4, v29
	v_mov_b32_e32 v7, v5
	v_pk_mul_f32 v[4:5], v[12:13], v[4:5] op_sel:[1,0] op_sel_hi:[0,0]
	v_pk_add_f32 v[2:3], v[2:3], v[6:7]
	v_pk_fma_f32 v[6:7], v[12:13], v[28:29], v[4:5] neg_lo:[0,0,1] neg_hi:[0,0,1]
	v_pk_fma_f32 v[4:5], v[12:13], v[28:29], v[4:5] op_sel_hi:[1,0,1]
	s_nop 0
	v_mov_b32_e32 v7, v5
	s_waitcnt vmcnt(1) lgkmcnt(0)
	v_pk_mul_f32 v[4:5], v[14:15], v[62:63] op_sel:[1,1] op_sel_hi:[0,1]
	v_pk_add_f32 v[2:3], v[2:3], v[6:7]
	v_pk_fma_f32 v[6:7], v[14:15], v[62:63], v[4:5] neg_lo:[0,0,1] neg_hi:[0,0,1]
	v_pk_fma_f32 v[4:5], v[14:15], v[62:63], v[4:5] op_sel_hi:[1,0,1]
	s_nop 0
	v_mov_b32_e32 v7, v5
	v_pk_add_f32 v[2:3], v[2:3], v[6:7]
	s_waitcnt vmcnt(0)
	v_pk_add_f32 v[2:3], v[112:113], v[2:3] neg_lo:[0,1] neg_hi:[0,1]
	scratch_store_dwordx2 off, v[2:3], off offset:200
	s_and_saveexec_b64 s[0:1], vcc
	s_cbranch_execz .LBB56_307
; %bb.306:
	scratch_load_dwordx2 v[2:3], off, off offset:192
	v_mov_b32_e32 v115, v114
	scratch_store_dwordx2 off, v[114:115], off offset:192
	s_waitcnt vmcnt(1)
	ds_write_b64 v1, v[2:3]
.LBB56_307:
	s_or_b64 exec, exec, s[0:1]
	s_waitcnt lgkmcnt(0)
	; wave barrier
	scratch_load_dwordx4 v[2:5], off, off offset:200
	scratch_load_dwordx4 v[6:9], off, off offset:216
	;; [unrolled: 1-line block ×12, first 2 shown]
	ds_read2_b64 v[110:113], v114 offset0:83 offset1:84
	ds_read2_b64 v[106:109], v114 offset0:85 offset1:86
	;; [unrolled: 1-line block ×12, first 2 shown]
	scratch_load_dwordx4 v[62:65], off, off offset:392
	scratch_load_dwordx4 v[54:57], off, off offset:408
	;; [unrolled: 1-line block ×4, first 2 shown]
	scratch_load_dwordx2 v[116:117], off, off offset:192
	v_cmp_lt_u32_e32 vcc, 23, v0
	s_waitcnt vmcnt(16) lgkmcnt(11)
	v_mul_f32_e32 v115, v110, v3
	v_mul_f32_e32 v118, v112, v5
	;; [unrolled: 1-line block ×3, first 2 shown]
	v_fmac_f32_e32 v115, v111, v2
	s_waitcnt vmcnt(15) lgkmcnt(10)
	v_mul_f32_e32 v120, v106, v7
	v_fmac_f32_e32 v118, v113, v4
	v_fma_f32 v2, v110, v2, -v3
	v_add_f32_e32 v3, 0, v115
	v_mul_f32_e32 v122, v108, v9
	v_fmac_f32_e32 v120, v107, v6
	v_add_f32_e32 v3, v3, v118
	s_waitcnt vmcnt(14) lgkmcnt(9)
	v_mul_f32_e32 v123, v102, v11
	v_fmac_f32_e32 v122, v109, v8
	v_add_f32_e32 v3, v3, v120
	v_mul_f32_e32 v124, v104, v13
	v_fmac_f32_e32 v123, v103, v10
	v_add_f32_e32 v3, v3, v122
	s_waitcnt vmcnt(13) lgkmcnt(8)
	v_mul_f32_e32 v125, v98, v15
	v_fmac_f32_e32 v124, v105, v12
	v_add_f32_e32 v3, v3, v123
	v_mul_f32_e32 v126, v100, v17
	v_fmac_f32_e32 v125, v99, v14
	v_add_f32_e32 v3, v3, v124
	s_waitcnt vmcnt(12) lgkmcnt(7)
	v_mul_f32_e32 v127, v94, v19
	v_fmac_f32_e32 v126, v101, v16
	v_add_f32_e32 v3, v3, v125
	v_mul_f32_e32 v128, v96, v21
	v_fmac_f32_e32 v127, v95, v18
	v_add_f32_e32 v3, v3, v126
	s_waitcnt vmcnt(11) lgkmcnt(6)
	v_mul_f32_e32 v129, v90, v23
	v_fmac_f32_e32 v128, v97, v20
	v_add_f32_e32 v3, v3, v127
	v_mul_f32_e32 v130, v92, v25
	v_fmac_f32_e32 v129, v91, v22
	v_add_f32_e32 v3, v3, v128
	s_waitcnt vmcnt(10) lgkmcnt(5)
	v_mul_f32_e32 v131, v86, v27
	v_fmac_f32_e32 v130, v93, v24
	v_add_f32_e32 v3, v3, v129
	v_mul_f32_e32 v132, v88, v29
	v_fmac_f32_e32 v131, v87, v26
	v_add_f32_e32 v3, v3, v130
	s_waitcnt vmcnt(9) lgkmcnt(4)
	v_mul_f32_e32 v133, v82, v31
	v_fmac_f32_e32 v132, v89, v28
	v_add_f32_e32 v3, v3, v131
	v_mul_f32_e32 v134, v84, v33
	v_fmac_f32_e32 v133, v83, v30
	v_add_f32_e32 v3, v3, v132
	s_waitcnt vmcnt(8) lgkmcnt(3)
	v_mul_f32_e32 v135, v78, v39
	v_fmac_f32_e32 v134, v85, v32
	v_add_f32_e32 v3, v3, v133
	v_mul_f32_e32 v136, v80, v41
	v_fmac_f32_e32 v135, v79, v38
	v_add_f32_e32 v3, v3, v134
	s_waitcnt vmcnt(7) lgkmcnt(2)
	v_mul_f32_e32 v137, v74, v47
	v_fmac_f32_e32 v136, v81, v40
	v_add_f32_e32 v3, v3, v135
	v_mul_f32_e32 v138, v76, v49
	v_fmac_f32_e32 v137, v75, v46
	v_add_f32_e32 v3, v3, v136
	s_waitcnt vmcnt(6) lgkmcnt(1)
	v_mul_f32_e32 v139, v70, v51
	v_fmac_f32_e32 v138, v77, v48
	v_add_f32_e32 v3, v3, v137
	v_mul_f32_e32 v140, v72, v53
	v_fmac_f32_e32 v139, v71, v50
	v_add_f32_e32 v3, v3, v138
	v_fmac_f32_e32 v140, v73, v52
	v_add_f32_e32 v3, v3, v139
	v_add_f32_e32 v111, v3, v140
	v_mul_f32_e32 v3, v113, v5
	v_add_f32_e32 v2, 0, v2
	v_fma_f32 v3, v112, v4, -v3
	v_add_f32_e32 v2, v2, v3
	v_mul_f32_e32 v3, v107, v7
	v_fma_f32 v3, v106, v6, -v3
	v_add_f32_e32 v2, v2, v3
	v_mul_f32_e32 v3, v109, v9
	;; [unrolled: 3-line block ×20, first 2 shown]
	v_fma_f32 v3, v72, v52, -v3
	v_add_f32_e32 v110, v2, v3
	s_waitcnt vmcnt(5) lgkmcnt(0)
	v_mul_f32_e32 v2, v67, v59
	v_fma_f32 v118, v66, v58, -v2
	v_mul_f32_e32 v2, v69, v61
	v_fma_f32 v120, v68, v60, -v2
	ds_read2_b64 v[2:5], v114 offset0:107 offset1:108
	ds_read2_b64 v[6:9], v114 offset0:109 offset1:110
	;; [unrolled: 1-line block ×4, first 2 shown]
	v_mul_f32_e32 v119, v66, v59
	v_mul_f32_e32 v121, v68, v61
	v_fmac_f32_e32 v119, v67, v58
	s_waitcnt vmcnt(4) lgkmcnt(3)
	v_pk_mul_f32 v[20:21], v[2:3], v[62:63] op_sel:[1,1] op_sel_hi:[0,1]
	v_fmac_f32_e32 v121, v69, v60
	v_pk_add_f32 v[18:19], v[110:111], v[118:119]
	v_pk_fma_f32 v[22:23], v[2:3], v[62:63], v[20:21] neg_lo:[0,0,1] neg_hi:[0,0,1]
	v_pk_fma_f32 v[2:3], v[2:3], v[62:63], v[20:21] op_sel_hi:[1,0,1]
	v_pk_add_f32 v[18:19], v[18:19], v[120:121]
	v_mov_b32_e32 v23, v3
	v_pk_add_f32 v[2:3], v[18:19], v[22:23]
	v_mov_b32_e32 v18, v65
	v_pk_mul_f32 v[18:19], v[4:5], v[18:19] op_sel:[1,0] op_sel_hi:[0,0]
	v_pk_fma_f32 v[20:21], v[4:5], v[64:65], v[18:19] neg_lo:[0,0,1] neg_hi:[0,0,1]
	v_pk_fma_f32 v[4:5], v[4:5], v[64:65], v[18:19] op_sel_hi:[1,0,1]
	s_nop 0
	v_mov_b32_e32 v21, v5
	s_waitcnt vmcnt(3) lgkmcnt(2)
	v_pk_mul_f32 v[4:5], v[6:7], v[54:55] op_sel:[1,1] op_sel_hi:[0,1]
	v_pk_fma_f32 v[18:19], v[6:7], v[54:55], v[4:5] neg_lo:[0,0,1] neg_hi:[0,0,1]
	v_pk_fma_f32 v[4:5], v[6:7], v[54:55], v[4:5] op_sel_hi:[1,0,1]
	v_pk_add_f32 v[2:3], v[2:3], v[20:21]
	v_mov_b32_e32 v4, v57
	v_mov_b32_e32 v19, v5
	v_pk_mul_f32 v[4:5], v[8:9], v[4:5] op_sel:[1,0] op_sel_hi:[0,0]
	v_pk_fma_f32 v[6:7], v[8:9], v[56:57], v[4:5] neg_lo:[0,0,1] neg_hi:[0,0,1]
	v_pk_fma_f32 v[4:5], v[8:9], v[56:57], v[4:5] op_sel_hi:[1,0,1]
	v_pk_add_f32 v[2:3], v[2:3], v[18:19]
	v_mov_b32_e32 v7, v5
	s_waitcnt vmcnt(2) lgkmcnt(1)
	v_pk_mul_f32 v[4:5], v[10:11], v[42:43] op_sel:[1,1] op_sel_hi:[0,1]
	v_pk_add_f32 v[2:3], v[2:3], v[6:7]
	v_pk_fma_f32 v[6:7], v[10:11], v[42:43], v[4:5] neg_lo:[0,0,1] neg_hi:[0,0,1]
	v_pk_fma_f32 v[4:5], v[10:11], v[42:43], v[4:5] op_sel_hi:[1,0,1]
	s_nop 0
	v_mov_b32_e32 v4, v45
	v_mov_b32_e32 v7, v5
	v_pk_mul_f32 v[4:5], v[12:13], v[4:5] op_sel:[1,0] op_sel_hi:[0,0]
	v_pk_add_f32 v[2:3], v[2:3], v[6:7]
	v_pk_fma_f32 v[6:7], v[12:13], v[44:45], v[4:5] neg_lo:[0,0,1] neg_hi:[0,0,1]
	v_pk_fma_f32 v[4:5], v[12:13], v[44:45], v[4:5] op_sel_hi:[1,0,1]
	s_nop 0
	v_mov_b32_e32 v7, v5
	s_waitcnt vmcnt(1) lgkmcnt(0)
	v_pk_mul_f32 v[4:5], v[14:15], v[34:35] op_sel:[1,1] op_sel_hi:[0,1]
	v_pk_add_f32 v[2:3], v[2:3], v[6:7]
	v_pk_fma_f32 v[6:7], v[14:15], v[34:35], v[4:5] neg_lo:[0,0,1] neg_hi:[0,0,1]
	v_pk_fma_f32 v[4:5], v[14:15], v[34:35], v[4:5] op_sel_hi:[1,0,1]
	s_nop 0
	v_mov_b32_e32 v4, v37
	v_mov_b32_e32 v7, v5
	v_pk_mul_f32 v[4:5], v[16:17], v[4:5] op_sel:[1,0] op_sel_hi:[0,0]
	v_pk_add_f32 v[2:3], v[2:3], v[6:7]
	v_pk_fma_f32 v[6:7], v[16:17], v[36:37], v[4:5] neg_lo:[0,0,1] neg_hi:[0,0,1]
	v_pk_fma_f32 v[4:5], v[16:17], v[36:37], v[4:5] op_sel_hi:[1,0,1]
	s_nop 0
	v_mov_b32_e32 v7, v5
	v_pk_add_f32 v[2:3], v[2:3], v[6:7]
	s_waitcnt vmcnt(0)
	v_pk_add_f32 v[2:3], v[116:117], v[2:3] neg_lo:[0,1] neg_hi:[0,1]
	scratch_store_dwordx2 off, v[2:3], off offset:192
	s_and_saveexec_b64 s[0:1], vcc
	s_cbranch_execz .LBB56_309
; %bb.308:
	scratch_load_dwordx2 v[2:3], off, off offset:184
	v_mov_b32_e32 v4, 0
	v_mov_b32_e32 v5, v4
	scratch_store_dwordx2 off, v[4:5], off offset:184
	s_waitcnt vmcnt(1)
	ds_write_b64 v1, v[2:3]
.LBB56_309:
	s_or_b64 exec, exec, s[0:1]
	s_waitcnt lgkmcnt(0)
	; wave barrier
	scratch_load_dwordx4 v[2:5], off, off offset:192
	scratch_load_dwordx4 v[6:9], off, off offset:208
	;; [unrolled: 1-line block ×13, first 2 shown]
	v_mov_b32_e32 v106, 0
	scratch_load_dwordx2 v[124:125], off, off offset:184
	ds_read_b128 v[54:57], v106 offset:656
	ds_read_b128 v[58:61], v106 offset:672
	;; [unrolled: 1-line block ×14, first 2 shown]
	v_cmp_lt_u32_e32 vcc, 22, v0
	s_waitcnt vmcnt(13) lgkmcnt(13)
	v_mul_f32_e32 v107, v54, v3
	v_mul_f32_e32 v112, v56, v5
	v_fmac_f32_e32 v107, v55, v2
	s_waitcnt vmcnt(12) lgkmcnt(12)
	v_mul_f32_e32 v113, v58, v7
	v_fmac_f32_e32 v112, v57, v4
	v_add_f32_e32 v107, 0, v107
	v_mul_f32_e32 v114, v60, v9
	v_fmac_f32_e32 v113, v59, v6
	v_add_f32_e32 v107, v107, v112
	s_waitcnt vmcnt(11) lgkmcnt(11)
	v_mul_f32_e32 v115, v62, v11
	v_fmac_f32_e32 v114, v61, v8
	v_add_f32_e32 v107, v107, v113
	v_mul_f32_e32 v116, v64, v13
	v_fmac_f32_e32 v115, v63, v10
	v_add_f32_e32 v107, v107, v114
	;; [unrolled: 7-line block ×8, first 2 shown]
	s_waitcnt vmcnt(4) lgkmcnt(4)
	v_mul_f32_e32 v133, v90, v39
	v_fmac_f32_e32 v132, v89, v36
	v_add_f32_e32 v107, v107, v131
	v_fmac_f32_e32 v133, v91, v38
	v_add_f32_e32 v107, v107, v132
	v_add_f32_e32 v107, v107, v133
	scratch_load_dwordx4 v[112:115], off, off offset:400
	scratch_load_dwordx4 v[116:119], off, off offset:416
	;; [unrolled: 1-line block ×3, first 2 shown]
	scratch_load_dwordx2 v[132:133], off, off offset:448
	v_mul_f32_e32 v3, v55, v3
	v_fma_f32 v2, v54, v2, -v3
	v_mul_f32_e32 v3, v57, v5
	v_add_f32_e32 v2, 0, v2
	v_fma_f32 v3, v56, v4, -v3
	v_add_f32_e32 v2, v2, v3
	v_mul_f32_e32 v3, v59, v7
	v_fma_f32 v3, v58, v6, -v3
	v_add_f32_e32 v2, v2, v3
	v_mul_f32_e32 v3, v61, v9
	;; [unrolled: 3-line block ×18, first 2 shown]
	v_fma_f32 v3, v92, v40, -v3
	v_add_f32_e32 v2, v2, v3
	s_waitcnt vmcnt(7) lgkmcnt(3)
	v_mul_f32_e32 v3, v95, v43
	v_fma_f32 v3, v94, v42, -v3
	v_mul_f32_e32 v134, v92, v41
	v_add_f32_e32 v2, v2, v3
	v_mul_f32_e32 v3, v97, v45
	v_mul_f32_e32 v135, v94, v43
	v_fmac_f32_e32 v134, v93, v40
	v_fma_f32 v3, v96, v44, -v3
	v_mul_f32_e32 v136, v96, v45
	v_fmac_f32_e32 v135, v95, v42
	v_add_f32_e32 v107, v107, v134
	v_add_f32_e32 v2, v2, v3
	s_waitcnt vmcnt(6) lgkmcnt(2)
	v_mul_f32_e32 v3, v99, v47
	v_mul_f32_e32 v137, v98, v47
	v_fmac_f32_e32 v136, v97, v44
	v_add_f32_e32 v107, v107, v135
	v_fma_f32 v3, v98, v46, -v3
	v_mul_f32_e32 v127, v100, v49
	v_fmac_f32_e32 v137, v99, v46
	v_add_f32_e32 v107, v107, v136
	v_add_f32_e32 v130, v2, v3
	v_mul_f32_e32 v2, v101, v49
	s_waitcnt vmcnt(5)
	v_mov_b32_e32 v14, v53
	s_waitcnt lgkmcnt(1)
	v_mul_f32_e32 v129, v102, v51
	v_fmac_f32_e32 v127, v101, v48
	v_add_f32_e32 v131, v107, v137
	v_fma_f32 v126, v100, v48, -v2
	v_mul_f32_e32 v2, v103, v51
	v_pk_mul_f32 v[14:15], v[104:105], v[14:15] op_sel:[1,0] op_sel_hi:[0,0]
	v_fmac_f32_e32 v129, v103, v50
	v_fma_f32 v128, v102, v50, -v2
	v_pk_add_f32 v[12:13], v[130:131], v[126:127]
	v_pk_fma_f32 v[16:17], v[104:105], v[52:53], v[14:15] neg_lo:[0,0,1] neg_hi:[0,0,1]
	v_pk_fma_f32 v[14:15], v[104:105], v[52:53], v[14:15] op_sel_hi:[1,0,1]
	v_pk_add_f32 v[12:13], v[12:13], v[128:129]
	v_mov_b32_e32 v17, v15
	s_waitcnt vmcnt(3) lgkmcnt(0)
	v_pk_mul_f32 v[14:15], v[108:109], v[112:113] op_sel:[1,1] op_sel_hi:[0,1]
	v_pk_add_f32 v[12:13], v[12:13], v[16:17]
	v_pk_fma_f32 v[16:17], v[108:109], v[112:113], v[14:15] neg_lo:[0,0,1] neg_hi:[0,0,1]
	v_pk_fma_f32 v[14:15], v[108:109], v[112:113], v[14:15] op_sel_hi:[1,0,1]
	ds_read_b128 v[2:5], v106 offset:880
	ds_read_b128 v[6:9], v106 offset:896
	ds_read_b64 v[10:11], v106 offset:912
	v_mov_b32_e32 v14, v115
	v_mov_b32_e32 v17, v15
	v_pk_mul_f32 v[14:15], v[110:111], v[14:15] op_sel:[1,0] op_sel_hi:[0,0]
	v_pk_add_f32 v[12:13], v[12:13], v[16:17]
	v_pk_fma_f32 v[16:17], v[110:111], v[114:115], v[14:15] neg_lo:[0,0,1] neg_hi:[0,0,1]
	v_pk_fma_f32 v[14:15], v[110:111], v[114:115], v[14:15] op_sel_hi:[1,0,1]
	s_nop 0
	v_mov_b32_e32 v17, v15
	s_waitcnt vmcnt(2) lgkmcnt(2)
	v_pk_mul_f32 v[14:15], v[2:3], v[116:117] op_sel:[1,1] op_sel_hi:[0,1]
	v_pk_add_f32 v[12:13], v[12:13], v[16:17]
	v_pk_fma_f32 v[16:17], v[2:3], v[116:117], v[14:15] neg_lo:[0,0,1] neg_hi:[0,0,1]
	v_pk_fma_f32 v[2:3], v[2:3], v[116:117], v[14:15] op_sel_hi:[1,0,1]
	s_nop 0
	v_mov_b32_e32 v17, v3
	v_pk_add_f32 v[2:3], v[12:13], v[16:17]
	v_mov_b32_e32 v12, v119
	v_pk_mul_f32 v[12:13], v[4:5], v[12:13] op_sel:[1,0] op_sel_hi:[0,0]
	v_pk_fma_f32 v[14:15], v[4:5], v[118:119], v[12:13] neg_lo:[0,0,1] neg_hi:[0,0,1]
	v_pk_fma_f32 v[4:5], v[4:5], v[118:119], v[12:13] op_sel_hi:[1,0,1]
	s_nop 0
	v_mov_b32_e32 v15, v5
	s_waitcnt vmcnt(1) lgkmcnt(1)
	v_pk_mul_f32 v[4:5], v[6:7], v[120:121] op_sel:[1,1] op_sel_hi:[0,1]
	v_pk_fma_f32 v[12:13], v[6:7], v[120:121], v[4:5] neg_lo:[0,0,1] neg_hi:[0,0,1]
	v_pk_fma_f32 v[4:5], v[6:7], v[120:121], v[4:5] op_sel_hi:[1,0,1]
	v_pk_add_f32 v[2:3], v[2:3], v[14:15]
	v_mov_b32_e32 v4, v123
	v_mov_b32_e32 v13, v5
	v_pk_mul_f32 v[4:5], v[8:9], v[4:5] op_sel:[1,0] op_sel_hi:[0,0]
	v_pk_fma_f32 v[6:7], v[8:9], v[122:123], v[4:5] neg_lo:[0,0,1] neg_hi:[0,0,1]
	v_pk_fma_f32 v[4:5], v[8:9], v[122:123], v[4:5] op_sel_hi:[1,0,1]
	v_pk_add_f32 v[2:3], v[2:3], v[12:13]
	v_mov_b32_e32 v7, v5
	s_waitcnt vmcnt(0) lgkmcnt(0)
	v_pk_mul_f32 v[4:5], v[10:11], v[132:133] op_sel:[1,1] op_sel_hi:[0,1]
	v_pk_add_f32 v[2:3], v[2:3], v[6:7]
	v_pk_fma_f32 v[6:7], v[10:11], v[132:133], v[4:5] neg_lo:[0,0,1] neg_hi:[0,0,1]
	v_pk_fma_f32 v[4:5], v[10:11], v[132:133], v[4:5] op_sel_hi:[1,0,1]
	s_nop 0
	v_mov_b32_e32 v7, v5
	v_pk_add_f32 v[2:3], v[2:3], v[6:7]
	s_nop 0
	v_pk_add_f32 v[2:3], v[124:125], v[2:3] neg_lo:[0,1] neg_hi:[0,1]
	scratch_store_dwordx2 off, v[2:3], off offset:184
	s_and_saveexec_b64 s[0:1], vcc
	s_cbranch_execz .LBB56_311
; %bb.310:
	scratch_load_dwordx2 v[2:3], off, off offset:176
	v_mov_b32_e32 v107, v106
	scratch_store_dwordx2 off, v[106:107], off offset:176
	s_waitcnt vmcnt(1)
	ds_write_b64 v1, v[2:3]
.LBB56_311:
	s_or_b64 exec, exec, s[0:1]
	s_waitcnt lgkmcnt(0)
	; wave barrier
	scratch_load_dwordx4 v[2:5], off, off offset:184
	scratch_load_dwordx4 v[6:9], off, off offset:200
	;; [unrolled: 1-line block ×13, first 2 shown]
	ds_read2_b64 v[102:105], v106 offset0:81 offset1:82
	ds_read2_b64 v[98:101], v106 offset0:83 offset1:84
	;; [unrolled: 1-line block ×14, first 2 shown]
	scratch_load_dwordx2 v[128:129], off, off offset:176
	v_cmp_lt_u32_e32 vcc, 21, v0
	s_waitcnt vmcnt(13) lgkmcnt(13)
	v_mul_f32_e32 v107, v102, v3
	v_mul_f32_e32 v112, v104, v5
	v_fmac_f32_e32 v107, v103, v2
	s_waitcnt vmcnt(12) lgkmcnt(12)
	v_mul_f32_e32 v113, v98, v7
	v_fmac_f32_e32 v112, v105, v4
	v_add_f32_e32 v107, 0, v107
	v_mul_f32_e32 v114, v100, v9
	v_fmac_f32_e32 v113, v99, v6
	v_add_f32_e32 v107, v107, v112
	s_waitcnt vmcnt(11) lgkmcnt(11)
	v_mul_f32_e32 v115, v94, v11
	v_fmac_f32_e32 v114, v101, v8
	v_add_f32_e32 v107, v107, v113
	v_mul_f32_e32 v116, v96, v13
	v_fmac_f32_e32 v115, v95, v10
	v_add_f32_e32 v107, v107, v114
	;; [unrolled: 7-line block ×7, first 2 shown]
	s_waitcnt vmcnt(5) lgkmcnt(5)
	v_mul_f32_e32 v127, v70, v35
	v_fmac_f32_e32 v126, v77, v32
	v_add_f32_e32 v107, v107, v125
	v_fmac_f32_e32 v127, v71, v34
	v_add_f32_e32 v107, v107, v126
	v_add_f32_e32 v107, v107, v127
	scratch_load_dwordx4 v[112:115], off, off offset:392
	scratch_load_dwordx4 v[116:119], off, off offset:408
	;; [unrolled: 1-line block ×4, first 2 shown]
	v_mul_f32_e32 v3, v103, v3
	v_fma_f32 v2, v102, v2, -v3
	v_mul_f32_e32 v3, v105, v5
	v_add_f32_e32 v2, 0, v2
	v_fma_f32 v3, v104, v4, -v3
	v_add_f32_e32 v2, v2, v3
	v_mul_f32_e32 v3, v99, v7
	v_fma_f32 v3, v98, v6, -v3
	v_add_f32_e32 v2, v2, v3
	v_mul_f32_e32 v3, v101, v9
	;; [unrolled: 3-line block ×16, first 2 shown]
	v_fma_f32 v3, v72, v36, -v3
	v_add_f32_e32 v2, v2, v3
	s_waitcnt vmcnt(8) lgkmcnt(4)
	v_mul_f32_e32 v3, v67, v39
	v_fma_f32 v3, v66, v38, -v3
	v_add_f32_e32 v2, v2, v3
	v_mul_f32_e32 v3, v69, v41
	v_fma_f32 v3, v68, v40, -v3
	v_add_f32_e32 v2, v2, v3
	s_waitcnt vmcnt(7) lgkmcnt(3)
	v_mul_f32_e32 v3, v63, v43
	v_mul_f32_e32 v130, v72, v37
	v_fma_f32 v3, v62, v42, -v3
	v_mul_f32_e32 v132, v66, v39
	v_fmac_f32_e32 v130, v73, v36
	v_add_f32_e32 v2, v2, v3
	v_mul_f32_e32 v3, v65, v45
	v_mul_f32_e32 v134, v68, v41
	v_fmac_f32_e32 v132, v67, v38
	v_add_f32_e32 v107, v107, v130
	v_fma_f32 v3, v64, v44, -v3
	v_mul_f32_e32 v135, v62, v43
	v_fmac_f32_e32 v134, v69, v40
	v_add_f32_e32 v107, v107, v132
	v_add_f32_e32 v2, v2, v3
	s_waitcnt vmcnt(6) lgkmcnt(2)
	v_mul_f32_e32 v3, v59, v47
	v_mul_f32_e32 v136, v64, v45
	v_fmac_f32_e32 v135, v63, v42
	v_add_f32_e32 v107, v107, v134
	v_fma_f32 v3, v58, v46, -v3
	v_mul_f32_e32 v137, v58, v47
	v_fmac_f32_e32 v136, v65, v44
	v_add_f32_e32 v107, v107, v135
	v_add_f32_e32 v2, v2, v3
	v_mul_f32_e32 v3, v61, v49
	v_mul_f32_e32 v138, v60, v49
	v_fmac_f32_e32 v137, v59, v46
	v_add_f32_e32 v107, v107, v136
	v_fma_f32 v3, v60, v48, -v3
	s_waitcnt vmcnt(5) lgkmcnt(1)
	v_mul_f32_e32 v131, v54, v51
	v_fmac_f32_e32 v138, v61, v48
	v_add_f32_e32 v107, v107, v137
	v_add_f32_e32 v134, v2, v3
	v_mul_f32_e32 v2, v55, v51
	s_waitcnt vmcnt(3) lgkmcnt(0)
	v_pk_mul_f32 v[16:17], v[108:109], v[112:113] op_sel:[1,1] op_sel_hi:[0,1]
	v_mul_f32_e32 v133, v56, v53
	v_fmac_f32_e32 v131, v55, v50
	v_add_f32_e32 v135, v107, v138
	v_fma_f32 v130, v54, v50, -v2
	v_mul_f32_e32 v2, v57, v53
	v_pk_fma_f32 v[18:19], v[108:109], v[112:113], v[16:17] neg_lo:[0,0,1] neg_hi:[0,0,1]
	v_pk_fma_f32 v[16:17], v[108:109], v[112:113], v[16:17] op_sel_hi:[1,0,1]
	v_fmac_f32_e32 v133, v57, v52
	v_fma_f32 v132, v56, v52, -v2
	ds_read2_b64 v[2:5], v106 offset0:109 offset1:110
	ds_read2_b64 v[6:9], v106 offset0:111 offset1:112
	;; [unrolled: 1-line block ×3, first 2 shown]
	v_pk_add_f32 v[14:15], v[134:135], v[130:131]
	v_mov_b32_e32 v16, v115
	v_pk_add_f32 v[14:15], v[14:15], v[132:133]
	v_mov_b32_e32 v19, v17
	v_pk_mul_f32 v[16:17], v[110:111], v[16:17] op_sel:[1,0] op_sel_hi:[0,0]
	v_pk_add_f32 v[14:15], v[14:15], v[18:19]
	v_pk_fma_f32 v[18:19], v[110:111], v[114:115], v[16:17] neg_lo:[0,0,1] neg_hi:[0,0,1]
	v_pk_fma_f32 v[16:17], v[110:111], v[114:115], v[16:17] op_sel_hi:[1,0,1]
	s_nop 0
	v_mov_b32_e32 v19, v17
	s_waitcnt vmcnt(2) lgkmcnt(2)
	v_pk_mul_f32 v[16:17], v[2:3], v[116:117] op_sel:[1,1] op_sel_hi:[0,1]
	v_pk_add_f32 v[14:15], v[14:15], v[18:19]
	v_pk_fma_f32 v[18:19], v[2:3], v[116:117], v[16:17] neg_lo:[0,0,1] neg_hi:[0,0,1]
	v_pk_fma_f32 v[2:3], v[2:3], v[116:117], v[16:17] op_sel_hi:[1,0,1]
	s_nop 0
	v_mov_b32_e32 v19, v3
	v_pk_add_f32 v[2:3], v[14:15], v[18:19]
	v_mov_b32_e32 v14, v119
	v_pk_mul_f32 v[14:15], v[4:5], v[14:15] op_sel:[1,0] op_sel_hi:[0,0]
	v_pk_fma_f32 v[16:17], v[4:5], v[118:119], v[14:15] neg_lo:[0,0,1] neg_hi:[0,0,1]
	v_pk_fma_f32 v[4:5], v[4:5], v[118:119], v[14:15] op_sel_hi:[1,0,1]
	s_nop 0
	v_mov_b32_e32 v17, v5
	s_waitcnt vmcnt(1) lgkmcnt(1)
	v_pk_mul_f32 v[4:5], v[6:7], v[120:121] op_sel:[1,1] op_sel_hi:[0,1]
	v_pk_fma_f32 v[14:15], v[6:7], v[120:121], v[4:5] neg_lo:[0,0,1] neg_hi:[0,0,1]
	v_pk_fma_f32 v[4:5], v[6:7], v[120:121], v[4:5] op_sel_hi:[1,0,1]
	v_pk_add_f32 v[2:3], v[2:3], v[16:17]
	v_mov_b32_e32 v4, v123
	v_mov_b32_e32 v15, v5
	v_pk_mul_f32 v[4:5], v[8:9], v[4:5] op_sel:[1,0] op_sel_hi:[0,0]
	v_pk_fma_f32 v[6:7], v[8:9], v[122:123], v[4:5] neg_lo:[0,0,1] neg_hi:[0,0,1]
	v_pk_fma_f32 v[4:5], v[8:9], v[122:123], v[4:5] op_sel_hi:[1,0,1]
	v_pk_add_f32 v[2:3], v[2:3], v[14:15]
	v_mov_b32_e32 v7, v5
	s_waitcnt vmcnt(0) lgkmcnt(0)
	v_pk_mul_f32 v[4:5], v[10:11], v[124:125] op_sel:[1,1] op_sel_hi:[0,1]
	v_pk_add_f32 v[2:3], v[2:3], v[6:7]
	v_pk_fma_f32 v[6:7], v[10:11], v[124:125], v[4:5] neg_lo:[0,0,1] neg_hi:[0,0,1]
	v_pk_fma_f32 v[4:5], v[10:11], v[124:125], v[4:5] op_sel_hi:[1,0,1]
	s_nop 0
	v_mov_b32_e32 v4, v127
	v_mov_b32_e32 v7, v5
	v_pk_mul_f32 v[4:5], v[12:13], v[4:5] op_sel:[1,0] op_sel_hi:[0,0]
	v_pk_add_f32 v[2:3], v[2:3], v[6:7]
	v_pk_fma_f32 v[6:7], v[12:13], v[126:127], v[4:5] neg_lo:[0,0,1] neg_hi:[0,0,1]
	v_pk_fma_f32 v[4:5], v[12:13], v[126:127], v[4:5] op_sel_hi:[1,0,1]
	s_nop 0
	v_mov_b32_e32 v7, v5
	v_pk_add_f32 v[2:3], v[2:3], v[6:7]
	s_nop 0
	v_pk_add_f32 v[2:3], v[128:129], v[2:3] neg_lo:[0,1] neg_hi:[0,1]
	scratch_store_dwordx2 off, v[2:3], off offset:176
	s_and_saveexec_b64 s[0:1], vcc
	s_cbranch_execz .LBB56_313
; %bb.312:
	scratch_load_dwordx2 v[2:3], off, off offset:168
	v_mov_b32_e32 v4, 0
	v_mov_b32_e32 v5, v4
	scratch_store_dwordx2 off, v[4:5], off offset:168
	s_waitcnt vmcnt(1)
	ds_write_b64 v1, v[2:3]
.LBB56_313:
	s_or_b64 exec, exec, s[0:1]
	s_waitcnt lgkmcnt(0)
	; wave barrier
	scratch_load_dwordx4 v[62:65], off, off offset:176
	scratch_load_dwordx4 v[66:69], off, off offset:192
	;; [unrolled: 1-line block ×13, first 2 shown]
	v_mov_b32_e32 v90, 0
	scratch_load_dwordx4 v[22:25], off, off offset:384
	ds_read_b128 v[104:107], v90 offset:640
	ds_read_b128 v[108:111], v90 offset:656
	;; [unrolled: 1-line block ×14, first 2 shown]
	v_cmp_lt_u32_e32 vcc, 20, v0
	s_waitcnt vmcnt(13) lgkmcnt(13)
	v_mul_f32_e32 v50, v104, v63
	v_mul_f32_e32 v51, v106, v65
	v_fmac_f32_e32 v50, v105, v62
	s_waitcnt vmcnt(12) lgkmcnt(12)
	v_mul_f32_e32 v52, v108, v67
	v_fmac_f32_e32 v51, v107, v64
	v_add_f32_e32 v50, 0, v50
	v_mul_f32_e32 v53, v110, v69
	v_fmac_f32_e32 v52, v109, v66
	v_add_f32_e32 v50, v50, v51
	s_waitcnt vmcnt(11) lgkmcnt(11)
	v_mul_f32_e32 v54, v112, v71
	v_fmac_f32_e32 v53, v111, v68
	v_add_f32_e32 v50, v50, v52
	v_mul_f32_e32 v55, v114, v73
	v_fmac_f32_e32 v54, v113, v70
	v_add_f32_e32 v50, v50, v53
	;; [unrolled: 7-line block ×11, first 2 shown]
	s_waitcnt vmcnt(1) lgkmcnt(1)
	v_mul_f32_e32 v140, v30, v19
	v_fmac_f32_e32 v139, v37, v16
	v_add_f32_e32 v50, v50, v138
	v_fmac_f32_e32 v140, v31, v18
	v_add_f32_e32 v50, v50, v139
	v_add_f32_e32 v97, v50, v140
	scratch_load_dwordx4 v[58:61], off, off offset:400
	scratch_load_dwordx4 v[54:57], off, off offset:416
	;; [unrolled: 1-line block ×3, first 2 shown]
	scratch_load_dwordx2 v[94:95], off, off offset:448
	v_mul_f32_e32 v3, v47, v3
	v_fma_f32 v46, v46, v2, -v3
	scratch_load_dwordx2 v[2:3], off, off offset:168
	v_mul_f32_e32 v63, v105, v63
	v_fma_f32 v62, v104, v62, -v63
	v_mul_f32_e32 v63, v107, v65
	v_add_f32_e32 v62, 0, v62
	v_fma_f32 v63, v106, v64, -v63
	v_add_f32_e32 v62, v62, v63
	v_mul_f32_e32 v63, v109, v67
	v_fma_f32 v63, v108, v66, -v63
	v_add_f32_e32 v62, v62, v63
	v_mul_f32_e32 v63, v111, v69
	;; [unrolled: 3-line block ×15, first 2 shown]
	v_add_f32_e32 v46, v62, v46
	v_fma_f32 v4, v48, v4, -v5
	v_mul_f32_e32 v5, v43, v7
	v_add_f32_e32 v4, v46, v4
	v_fma_f32 v5, v42, v6, -v5
	v_add_f32_e32 v4, v4, v5
	v_mul_f32_e32 v5, v45, v9
	v_fma_f32 v5, v44, v8, -v5
	v_add_f32_e32 v4, v4, v5
	v_mul_f32_e32 v5, v39, v11
	;; [unrolled: 3-line block ×6, first 2 shown]
	v_fma_f32 v5, v30, v18, -v5
	v_mul_f32_e32 v93, v32, v21
	v_add_f32_e32 v96, v4, v5
	v_mul_f32_e32 v4, v33, v21
	v_fmac_f32_e32 v93, v33, v20
	v_fma_f32 v92, v32, v20, -v4
	s_waitcnt vmcnt(5) lgkmcnt(0)
	v_mul_f32_e32 v4, v27, v23
	v_mov_b32_e32 v20, v25
	v_mul_f32_e32 v99, v26, v23
	v_fma_f32 v98, v26, v22, -v4
	ds_read_b128 v[4:7], v90 offset:864
	ds_read_b128 v[8:11], v90 offset:880
	;; [unrolled: 1-line block ×3, first 2 shown]
	ds_read_b64 v[16:17], v90 offset:912
	v_pk_mul_f32 v[20:21], v[28:29], v[20:21] op_sel:[1,0] op_sel_hi:[0,0]
	v_fmac_f32_e32 v99, v27, v22
	v_pk_add_f32 v[18:19], v[96:97], v[92:93]
	v_pk_fma_f32 v[22:23], v[28:29], v[24:25], v[20:21] neg_lo:[0,0,1] neg_hi:[0,0,1]
	v_pk_fma_f32 v[20:21], v[28:29], v[24:25], v[20:21] op_sel_hi:[1,0,1]
	v_pk_add_f32 v[18:19], v[18:19], v[98:99]
	v_mov_b32_e32 v23, v21
	s_waitcnt vmcnt(4) lgkmcnt(3)
	v_pk_mul_f32 v[20:21], v[4:5], v[58:59] op_sel:[1,1] op_sel_hi:[0,1]
	v_pk_add_f32 v[18:19], v[18:19], v[22:23]
	v_pk_fma_f32 v[22:23], v[4:5], v[58:59], v[20:21] neg_lo:[0,0,1] neg_hi:[0,0,1]
	v_pk_fma_f32 v[4:5], v[4:5], v[58:59], v[20:21] op_sel_hi:[1,0,1]
	s_nop 0
	v_mov_b32_e32 v23, v5
	v_pk_add_f32 v[4:5], v[18:19], v[22:23]
	v_mov_b32_e32 v18, v61
	v_pk_mul_f32 v[18:19], v[6:7], v[18:19] op_sel:[1,0] op_sel_hi:[0,0]
	v_pk_fma_f32 v[20:21], v[6:7], v[60:61], v[18:19] neg_lo:[0,0,1] neg_hi:[0,0,1]
	v_pk_fma_f32 v[6:7], v[6:7], v[60:61], v[18:19] op_sel_hi:[1,0,1]
	s_nop 0
	v_mov_b32_e32 v21, v7
	s_waitcnt vmcnt(3) lgkmcnt(2)
	v_pk_mul_f32 v[6:7], v[8:9], v[54:55] op_sel:[1,1] op_sel_hi:[0,1]
	v_pk_fma_f32 v[18:19], v[8:9], v[54:55], v[6:7] neg_lo:[0,0,1] neg_hi:[0,0,1]
	v_pk_fma_f32 v[6:7], v[8:9], v[54:55], v[6:7] op_sel_hi:[1,0,1]
	v_pk_add_f32 v[4:5], v[4:5], v[20:21]
	v_mov_b32_e32 v6, v57
	v_mov_b32_e32 v19, v7
	v_pk_mul_f32 v[6:7], v[10:11], v[6:7] op_sel:[1,0] op_sel_hi:[0,0]
	v_pk_fma_f32 v[8:9], v[10:11], v[56:57], v[6:7] neg_lo:[0,0,1] neg_hi:[0,0,1]
	v_pk_fma_f32 v[6:7], v[10:11], v[56:57], v[6:7] op_sel_hi:[1,0,1]
	v_pk_add_f32 v[4:5], v[4:5], v[18:19]
	v_mov_b32_e32 v9, v7
	s_waitcnt vmcnt(2) lgkmcnt(1)
	v_pk_mul_f32 v[6:7], v[12:13], v[50:51] op_sel:[1,1] op_sel_hi:[0,1]
	v_pk_add_f32 v[4:5], v[4:5], v[8:9]
	v_pk_fma_f32 v[8:9], v[12:13], v[50:51], v[6:7] neg_lo:[0,0,1] neg_hi:[0,0,1]
	v_pk_fma_f32 v[6:7], v[12:13], v[50:51], v[6:7] op_sel_hi:[1,0,1]
	s_nop 0
	v_mov_b32_e32 v6, v53
	v_mov_b32_e32 v9, v7
	v_pk_mul_f32 v[6:7], v[14:15], v[6:7] op_sel:[1,0] op_sel_hi:[0,0]
	v_pk_add_f32 v[4:5], v[4:5], v[8:9]
	v_pk_fma_f32 v[8:9], v[14:15], v[52:53], v[6:7] neg_lo:[0,0,1] neg_hi:[0,0,1]
	v_pk_fma_f32 v[6:7], v[14:15], v[52:53], v[6:7] op_sel_hi:[1,0,1]
	s_nop 0
	v_mov_b32_e32 v9, v7
	s_waitcnt vmcnt(1) lgkmcnt(0)
	v_pk_mul_f32 v[6:7], v[16:17], v[94:95] op_sel:[1,1] op_sel_hi:[0,1]
	v_pk_add_f32 v[4:5], v[4:5], v[8:9]
	v_pk_fma_f32 v[8:9], v[16:17], v[94:95], v[6:7] neg_lo:[0,0,1] neg_hi:[0,0,1]
	v_pk_fma_f32 v[6:7], v[16:17], v[94:95], v[6:7] op_sel_hi:[1,0,1]
	s_nop 0
	v_mov_b32_e32 v9, v7
	v_pk_add_f32 v[4:5], v[4:5], v[8:9]
	s_waitcnt vmcnt(0)
	v_pk_add_f32 v[2:3], v[2:3], v[4:5] neg_lo:[0,1] neg_hi:[0,1]
	scratch_store_dwordx2 off, v[2:3], off offset:168
	s_and_saveexec_b64 s[0:1], vcc
	s_cbranch_execz .LBB56_315
; %bb.314:
	scratch_load_dwordx2 v[2:3], off, off offset:160
	v_mov_b32_e32 v91, v90
	scratch_store_dwordx2 off, v[90:91], off offset:160
	s_waitcnt vmcnt(1)
	ds_write_b64 v1, v[2:3]
.LBB56_315:
	s_or_b64 exec, exec, s[0:1]
	s_waitcnt lgkmcnt(0)
	; wave barrier
	scratch_load_dwordx4 v[58:61], off, off offset:168
	scratch_load_dwordx4 v[62:65], off, off offset:184
	;; [unrolled: 1-line block ×13, first 2 shown]
	ds_read2_b64 v[102:105], v90 offset0:79 offset1:80
	ds_read2_b64 v[106:109], v90 offset0:81 offset1:82
	;; [unrolled: 1-line block ×13, first 2 shown]
	scratch_load_dwordx4 v[34:37], off, off offset:376
	ds_read2_b64 v[38:41], v90 offset0:105 offset1:106
	v_cmp_lt_u32_e32 vcc, 19, v0
	s_waitcnt vmcnt(13) lgkmcnt(13)
	v_mul_f32_e32 v42, v102, v59
	v_mul_f32_e32 v43, v104, v61
	v_fmac_f32_e32 v42, v103, v58
	s_waitcnt vmcnt(12) lgkmcnt(12)
	v_mul_f32_e32 v44, v106, v63
	v_fmac_f32_e32 v43, v105, v60
	v_add_f32_e32 v42, 0, v42
	v_mul_f32_e32 v45, v108, v65
	v_fmac_f32_e32 v44, v107, v62
	v_add_f32_e32 v42, v42, v43
	s_waitcnt vmcnt(11) lgkmcnt(11)
	v_mul_f32_e32 v46, v110, v67
	v_fmac_f32_e32 v45, v109, v64
	v_add_f32_e32 v42, v42, v44
	v_mul_f32_e32 v47, v112, v69
	v_fmac_f32_e32 v46, v111, v66
	v_add_f32_e32 v42, v42, v45
	;; [unrolled: 7-line block ×6, first 2 shown]
	v_mul_f32_e32 v59, v103, v59
	s_waitcnt vmcnt(6) lgkmcnt(6)
	v_mul_f32_e32 v56, v130, v87
	v_fmac_f32_e32 v55, v129, v84
	v_add_f32_e32 v42, v42, v54
	v_fma_f32 v58, v102, v58, -v59
	v_mul_f32_e32 v59, v105, v61
	v_mul_f32_e32 v57, v132, v89
	v_fmac_f32_e32 v56, v131, v86
	v_add_f32_e32 v42, v42, v55
	v_add_f32_e32 v58, 0, v58
	v_fma_f32 v59, v104, v60, -v59
	s_waitcnt vmcnt(5) lgkmcnt(5)
	v_mul_f32_e32 v91, v134, v99
	v_fmac_f32_e32 v57, v133, v88
	v_add_f32_e32 v42, v42, v56
	v_add_f32_e32 v58, v58, v59
	v_mul_f32_e32 v59, v107, v63
	v_mul_f32_e32 v92, v136, v101
	v_fmac_f32_e32 v91, v135, v98
	v_add_f32_e32 v42, v42, v57
	v_fma_f32 v59, v106, v62, -v59
	s_waitcnt vmcnt(4) lgkmcnt(4)
	v_mul_f32_e32 v93, v30, v3
	v_fmac_f32_e32 v92, v137, v100
	v_add_f32_e32 v42, v42, v91
	v_add_f32_e32 v58, v58, v59
	v_mul_f32_e32 v59, v109, v65
	v_mul_f32_e32 v94, v32, v5
	v_fmac_f32_e32 v93, v31, v2
	;; [unrolled: 10-line block ×5, first 2 shown]
	v_add_f32_e32 v42, v42, v138
	v_fma_f32 v59, v114, v70, -v59
	v_fmac_f32_e32 v140, v21, v16
	v_add_f32_e32 v42, v42, v139
	v_add_f32_e32 v58, v58, v59
	v_mul_f32_e32 v59, v117, v73
	v_add_f32_e32 v93, v42, v140
	scratch_load_dwordx4 v[54:57], off, off offset:392
	scratch_load_dwordx4 v[50:53], off, off offset:408
	;; [unrolled: 1-line block ×4, first 2 shown]
	v_fma_f32 v59, v116, v72, -v59
	v_add_f32_e32 v58, v58, v59
	v_mul_f32_e32 v59, v119, v75
	v_fma_f32 v59, v118, v74, -v59
	v_add_f32_e32 v58, v58, v59
	v_mul_f32_e32 v59, v121, v77
	;; [unrolled: 3-line block ×10, first 2 shown]
	v_fma_f32 v61, v136, v100, -v58
	scratch_load_dwordx2 v[58:59], off, off offset:160
	v_mul_f32_e32 v3, v31, v3
	v_add_f32_e32 v60, v60, v61
	v_fma_f32 v2, v30, v2, -v3
	v_mul_f32_e32 v3, v33, v5
	v_add_f32_e32 v2, v60, v2
	v_fma_f32 v3, v32, v4, -v3
	v_add_f32_e32 v2, v2, v3
	v_mul_f32_e32 v3, v27, v7
	v_fma_f32 v3, v26, v6, -v3
	v_add_f32_e32 v2, v2, v3
	v_mul_f32_e32 v3, v29, v9
	;; [unrolled: 3-line block ×6, first 2 shown]
	v_fma_f32 v3, v20, v16, -v3
	v_add_f32_e32 v92, v2, v3
	s_waitcnt vmcnt(5) lgkmcnt(0)
	v_mul_f32_e32 v2, v39, v35
	v_fma_f32 v94, v38, v34, -v2
	v_mul_f32_e32 v2, v41, v37
	v_fma_f32 v96, v40, v36, -v2
	ds_read2_b64 v[2:5], v90 offset0:107 offset1:108
	ds_read2_b64 v[6:9], v90 offset0:109 offset1:110
	;; [unrolled: 1-line block ×4, first 2 shown]
	v_mul_f32_e32 v95, v38, v35
	v_fmac_f32_e32 v95, v39, v34
	v_mul_f32_e32 v97, v40, v37
	v_fmac_f32_e32 v97, v41, v36
	v_pk_add_f32 v[18:19], v[92:93], v[94:95]
	s_waitcnt vmcnt(4) lgkmcnt(3)
	v_pk_mul_f32 v[20:21], v[2:3], v[54:55] op_sel:[1,1] op_sel_hi:[0,1]
	v_pk_fma_f32 v[22:23], v[2:3], v[54:55], v[20:21] neg_lo:[0,0,1] neg_hi:[0,0,1]
	v_pk_fma_f32 v[2:3], v[2:3], v[54:55], v[20:21] op_sel_hi:[1,0,1]
	v_pk_add_f32 v[18:19], v[18:19], v[96:97]
	v_mov_b32_e32 v23, v3
	v_pk_add_f32 v[2:3], v[18:19], v[22:23]
	v_mov_b32_e32 v18, v57
	v_pk_mul_f32 v[18:19], v[4:5], v[18:19] op_sel:[1,0] op_sel_hi:[0,0]
	v_pk_fma_f32 v[20:21], v[4:5], v[56:57], v[18:19] neg_lo:[0,0,1] neg_hi:[0,0,1]
	v_pk_fma_f32 v[4:5], v[4:5], v[56:57], v[18:19] op_sel_hi:[1,0,1]
	s_nop 0
	v_mov_b32_e32 v21, v5
	s_waitcnt vmcnt(3) lgkmcnt(2)
	v_pk_mul_f32 v[4:5], v[6:7], v[50:51] op_sel:[1,1] op_sel_hi:[0,1]
	v_pk_fma_f32 v[18:19], v[6:7], v[50:51], v[4:5] neg_lo:[0,0,1] neg_hi:[0,0,1]
	v_pk_fma_f32 v[4:5], v[6:7], v[50:51], v[4:5] op_sel_hi:[1,0,1]
	v_pk_add_f32 v[2:3], v[2:3], v[20:21]
	v_mov_b32_e32 v4, v53
	v_mov_b32_e32 v19, v5
	v_pk_mul_f32 v[4:5], v[8:9], v[4:5] op_sel:[1,0] op_sel_hi:[0,0]
	v_pk_fma_f32 v[6:7], v[8:9], v[52:53], v[4:5] neg_lo:[0,0,1] neg_hi:[0,0,1]
	v_pk_fma_f32 v[4:5], v[8:9], v[52:53], v[4:5] op_sel_hi:[1,0,1]
	v_pk_add_f32 v[2:3], v[2:3], v[18:19]
	v_mov_b32_e32 v7, v5
	s_waitcnt vmcnt(2) lgkmcnt(1)
	v_pk_mul_f32 v[4:5], v[10:11], v[46:47] op_sel:[1,1] op_sel_hi:[0,1]
	v_pk_add_f32 v[2:3], v[2:3], v[6:7]
	v_pk_fma_f32 v[6:7], v[10:11], v[46:47], v[4:5] neg_lo:[0,0,1] neg_hi:[0,0,1]
	v_pk_fma_f32 v[4:5], v[10:11], v[46:47], v[4:5] op_sel_hi:[1,0,1]
	s_nop 0
	v_mov_b32_e32 v4, v49
	v_mov_b32_e32 v7, v5
	v_pk_mul_f32 v[4:5], v[12:13], v[4:5] op_sel:[1,0] op_sel_hi:[0,0]
	v_pk_add_f32 v[2:3], v[2:3], v[6:7]
	v_pk_fma_f32 v[6:7], v[12:13], v[48:49], v[4:5] neg_lo:[0,0,1] neg_hi:[0,0,1]
	v_pk_fma_f32 v[4:5], v[12:13], v[48:49], v[4:5] op_sel_hi:[1,0,1]
	s_nop 0
	v_mov_b32_e32 v7, v5
	s_waitcnt vmcnt(1) lgkmcnt(0)
	v_pk_mul_f32 v[4:5], v[14:15], v[42:43] op_sel:[1,1] op_sel_hi:[0,1]
	v_pk_add_f32 v[2:3], v[2:3], v[6:7]
	v_pk_fma_f32 v[6:7], v[14:15], v[42:43], v[4:5] neg_lo:[0,0,1] neg_hi:[0,0,1]
	v_pk_fma_f32 v[4:5], v[14:15], v[42:43], v[4:5] op_sel_hi:[1,0,1]
	s_nop 0
	v_mov_b32_e32 v4, v45
	v_mov_b32_e32 v7, v5
	v_pk_mul_f32 v[4:5], v[16:17], v[4:5] op_sel:[1,0] op_sel_hi:[0,0]
	v_pk_add_f32 v[2:3], v[2:3], v[6:7]
	v_pk_fma_f32 v[6:7], v[16:17], v[44:45], v[4:5] neg_lo:[0,0,1] neg_hi:[0,0,1]
	v_pk_fma_f32 v[4:5], v[16:17], v[44:45], v[4:5] op_sel_hi:[1,0,1]
	s_nop 0
	v_mov_b32_e32 v7, v5
	v_pk_add_f32 v[2:3], v[2:3], v[6:7]
	s_waitcnt vmcnt(0)
	v_pk_add_f32 v[2:3], v[58:59], v[2:3] neg_lo:[0,1] neg_hi:[0,1]
	scratch_store_dwordx2 off, v[2:3], off offset:160
	s_and_saveexec_b64 s[0:1], vcc
	s_cbranch_execz .LBB56_317
; %bb.316:
	scratch_load_dwordx2 v[2:3], off, off offset:152
	v_mov_b32_e32 v4, 0
	v_mov_b32_e32 v5, v4
	scratch_store_dwordx2 off, v[4:5], off offset:152
	s_waitcnt vmcnt(1)
	ds_write_b64 v1, v[2:3]
.LBB56_317:
	s_or_b64 exec, exec, s[0:1]
	v_mov_b32_e32 v86, 0
	s_waitcnt lgkmcnt(0)
	; wave barrier
	ds_read_b128 v[14:17], v86 offset:624
	ds_read_b128 v[10:13], v86 offset:640
	;; [unrolled: 1-line block ×4, first 2 shown]
	scratch_load_dwordx4 v[18:21], off, off offset:160
	scratch_load_dwordx4 v[38:41], off, off offset:224
	scratch_load_dwordx4 v[70:73], off, off offset:288
	scratch_load_dwordx4 v[78:81], off, off offset:304
	scratch_load_dwordx4 v[88:91], off, off offset:320
	scratch_load_dwordx4 v[96:99], off, off offset:336
	scratch_load_dwordx4 v[104:107], off, off offset:352
	scratch_load_dwordx4 v[112:115], off, off offset:368
	scratch_load_dwordx4 v[120:123], off, off offset:384
	v_cmp_lt_u32_e32 vcc, 18, v0
	scratch_load_dwordx4 v[46:49], off, off offset:240
	scratch_load_dwordx4 v[54:57], off, off offset:256
	scratch_load_dwordx4 v[62:65], off, off offset:272
	s_waitcnt vmcnt(11) lgkmcnt(3)
	v_mul_f32_e32 v22, v14, v19
	v_fmac_f32_e32 v22, v15, v18
	v_mul_f32_e32 v23, v16, v21
	v_add_f32_e32 v22, 0, v22
	v_fmac_f32_e32 v23, v17, v20
	v_add_f32_e32 v26, v22, v23
	scratch_load_dwordx4 v[22:25], off, off offset:176
	v_mul_f32_e32 v15, v15, v19
	v_fma_f32 v14, v14, v18, -v15
	v_mul_f32_e32 v15, v17, v21
	v_add_f32_e32 v14, 0, v14
	v_fma_f32 v15, v16, v20, -v15
	v_add_f32_e32 v14, v14, v15
	s_waitcnt vmcnt(4)
	v_mov_b32_e32 v18, v123
	s_waitcnt vmcnt(0) lgkmcnt(2)
	v_mul_f32_e32 v27, v10, v23
	v_fmac_f32_e32 v27, v11, v22
	v_add_f32_e32 v26, v26, v27
	v_mul_f32_e32 v27, v12, v25
	v_fmac_f32_e32 v27, v13, v24
	v_add_f32_e32 v30, v26, v27
	scratch_load_dwordx4 v[26:29], off, off offset:192
	v_mul_f32_e32 v11, v11, v23
	v_fma_f32 v10, v10, v22, -v11
	v_mul_f32_e32 v11, v13, v25
	v_add_f32_e32 v10, v14, v10
	v_fma_f32 v11, v12, v24, -v11
	v_add_f32_e32 v10, v10, v11
	s_waitcnt vmcnt(0) lgkmcnt(1)
	v_mul_f32_e32 v31, v6, v27
	v_fmac_f32_e32 v31, v7, v26
	v_add_f32_e32 v30, v30, v31
	v_mul_f32_e32 v31, v8, v29
	v_fmac_f32_e32 v31, v9, v28
	v_add_f32_e32 v34, v30, v31
	scratch_load_dwordx4 v[30:33], off, off offset:208
	v_mul_f32_e32 v7, v7, v27
	v_fma_f32 v6, v6, v26, -v7
	v_mul_f32_e32 v7, v9, v29
	v_add_f32_e32 v6, v10, v6
	v_fma_f32 v7, v8, v28, -v7
	v_add_f32_e32 v6, v6, v7
	s_waitcnt vmcnt(0) lgkmcnt(0)
	v_mul_f32_e32 v35, v2, v31
	v_fmac_f32_e32 v35, v3, v30
	v_add_f32_e32 v34, v34, v35
	v_mul_f32_e32 v35, v4, v33
	v_fmac_f32_e32 v35, v5, v32
	v_add_f32_e32 v42, v34, v35
	ds_read_b128 v[34:37], v86 offset:688
	v_mul_f32_e32 v3, v3, v31
	v_fma_f32 v2, v2, v30, -v3
	v_mul_f32_e32 v3, v5, v33
	v_add_f32_e32 v2, v6, v2
	s_waitcnt lgkmcnt(0)
	v_mul_f32_e32 v43, v34, v39
	v_fmac_f32_e32 v43, v35, v38
	v_add_f32_e32 v42, v42, v43
	v_mul_f32_e32 v43, v36, v41
	v_fmac_f32_e32 v43, v37, v40
	v_add_f32_e32 v50, v42, v43
	ds_read_b128 v[42:45], v86 offset:704
	v_fma_f32 v3, v4, v32, -v3
	v_add_f32_e32 v2, v2, v3
	v_mul_f32_e32 v3, v35, v39
	v_fma_f32 v3, v34, v38, -v3
	s_waitcnt lgkmcnt(0)
	v_mul_f32_e32 v51, v42, v47
	v_fmac_f32_e32 v51, v43, v46
	v_add_f32_e32 v50, v50, v51
	v_mul_f32_e32 v51, v44, v49
	v_fmac_f32_e32 v51, v45, v48
	v_add_f32_e32 v58, v50, v51
	ds_read_b128 v[50:53], v86 offset:720
	v_add_f32_e32 v2, v2, v3
	v_mul_f32_e32 v3, v37, v41
	v_fma_f32 v3, v36, v40, -v3
	v_add_f32_e32 v2, v2, v3
	s_waitcnt lgkmcnt(0)
	v_mul_f32_e32 v59, v50, v55
	v_fmac_f32_e32 v59, v51, v54
	v_add_f32_e32 v58, v58, v59
	v_mul_f32_e32 v59, v52, v57
	v_fmac_f32_e32 v59, v53, v56
	v_add_f32_e32 v66, v58, v59
	ds_read_b128 v[58:61], v86 offset:736
	v_mul_f32_e32 v3, v43, v47
	v_fma_f32 v3, v42, v46, -v3
	v_add_f32_e32 v2, v2, v3
	v_mul_f32_e32 v3, v45, v49
	s_waitcnt lgkmcnt(0)
	v_mul_f32_e32 v67, v58, v63
	v_fmac_f32_e32 v67, v59, v62
	v_add_f32_e32 v66, v66, v67
	v_mul_f32_e32 v67, v60, v65
	v_fmac_f32_e32 v67, v61, v64
	v_add_f32_e32 v74, v66, v67
	ds_read_b128 v[66:69], v86 offset:752
	v_fma_f32 v3, v44, v48, -v3
	v_add_f32_e32 v2, v2, v3
	v_mul_f32_e32 v3, v51, v55
	v_fma_f32 v3, v50, v54, -v3
	s_waitcnt lgkmcnt(0)
	v_mul_f32_e32 v75, v66, v71
	v_fmac_f32_e32 v75, v67, v70
	v_add_f32_e32 v74, v74, v75
	v_mul_f32_e32 v75, v68, v73
	v_fmac_f32_e32 v75, v69, v72
	v_add_f32_e32 v82, v74, v75
	ds_read_b128 v[74:77], v86 offset:768
	v_add_f32_e32 v2, v2, v3
	v_mul_f32_e32 v3, v53, v57
	v_fma_f32 v3, v52, v56, -v3
	v_add_f32_e32 v2, v2, v3
	s_waitcnt lgkmcnt(0)
	v_mul_f32_e32 v83, v74, v79
	v_fmac_f32_e32 v83, v75, v78
	v_add_f32_e32 v82, v82, v83
	v_mul_f32_e32 v83, v76, v81
	v_fmac_f32_e32 v83, v77, v80
	v_add_f32_e32 v87, v82, v83
	ds_read_b128 v[82:85], v86 offset:784
	v_mul_f32_e32 v3, v59, v63
	v_fma_f32 v3, v58, v62, -v3
	v_add_f32_e32 v2, v2, v3
	v_mul_f32_e32 v3, v61, v65
	;; [unrolled: 36-line block ×3, first 2 shown]
	s_waitcnt lgkmcnt(0)
	v_mul_f32_e32 v116, v108, v113
	v_fmac_f32_e32 v116, v109, v112
	v_add_f32_e32 v137, v87, v116
	ds_read_b128 v[116:119], v86 offset:848
	scratch_load_dwordx4 v[124:127], off, off offset:400
	scratch_load_dwordx4 v[128:131], off, off offset:416
	;; [unrolled: 1-line block ×3, first 2 shown]
	scratch_load_dwordx2 v[142:143], off, off offset:448
	v_fma_f32 v3, v76, v80, -v3
	v_add_f32_e32 v2, v2, v3
	v_mul_f32_e32 v3, v83, v89
	v_fma_f32 v3, v82, v88, -v3
	v_add_f32_e32 v2, v2, v3
	v_mul_f32_e32 v3, v85, v91
	;; [unrolled: 3-line block ×8, first 2 shown]
	v_mul_f32_e32 v139, v110, v115
	v_fma_f32 v138, v110, v114, -v2
	s_waitcnt lgkmcnt(0)
	v_mul_f32_e32 v2, v117, v121
	v_fmac_f32_e32 v139, v111, v114
	v_mul_f32_e32 v141, v116, v121
	v_fma_f32 v140, v116, v120, -v2
	ds_read_b128 v[2:5], v86 offset:864
	ds_read_b128 v[6:9], v86 offset:880
	;; [unrolled: 1-line block ×3, first 2 shown]
	ds_read_b64 v[14:15], v86 offset:912
	v_pk_mul_f32 v[18:19], v[118:119], v[18:19] op_sel:[1,0] op_sel_hi:[0,0]
	v_fmac_f32_e32 v141, v117, v120
	v_pk_add_f32 v[16:17], v[136:137], v[138:139]
	v_pk_fma_f32 v[20:21], v[118:119], v[122:123], v[18:19] neg_lo:[0,0,1] neg_hi:[0,0,1]
	v_pk_fma_f32 v[18:19], v[118:119], v[122:123], v[18:19] op_sel_hi:[1,0,1]
	v_pk_add_f32 v[16:17], v[16:17], v[140:141]
	v_mov_b32_e32 v21, v19
	v_pk_add_f32 v[16:17], v[16:17], v[20:21]
	s_waitcnt vmcnt(3) lgkmcnt(3)
	v_pk_mul_f32 v[18:19], v[2:3], v[124:125] op_sel:[1,1] op_sel_hi:[0,1]
	v_pk_fma_f32 v[20:21], v[2:3], v[124:125], v[18:19] neg_lo:[0,0,1] neg_hi:[0,0,1]
	v_pk_fma_f32 v[2:3], v[2:3], v[124:125], v[18:19] op_sel_hi:[1,0,1]
	s_nop 0
	v_mov_b32_e32 v21, v3
	v_pk_add_f32 v[2:3], v[16:17], v[20:21]
	v_mov_b32_e32 v16, v127
	v_pk_mul_f32 v[16:17], v[4:5], v[16:17] op_sel:[1,0] op_sel_hi:[0,0]
	v_pk_fma_f32 v[18:19], v[4:5], v[126:127], v[16:17] neg_lo:[0,0,1] neg_hi:[0,0,1]
	v_pk_fma_f32 v[4:5], v[4:5], v[126:127], v[16:17] op_sel_hi:[1,0,1]
	s_nop 0
	v_mov_b32_e32 v19, v5
	s_waitcnt vmcnt(2) lgkmcnt(2)
	v_pk_mul_f32 v[4:5], v[6:7], v[128:129] op_sel:[1,1] op_sel_hi:[0,1]
	v_pk_fma_f32 v[16:17], v[6:7], v[128:129], v[4:5] neg_lo:[0,0,1] neg_hi:[0,0,1]
	v_pk_fma_f32 v[4:5], v[6:7], v[128:129], v[4:5] op_sel_hi:[1,0,1]
	v_pk_add_f32 v[2:3], v[2:3], v[18:19]
	v_mov_b32_e32 v4, v131
	v_mov_b32_e32 v17, v5
	v_pk_mul_f32 v[4:5], v[8:9], v[4:5] op_sel:[1,0] op_sel_hi:[0,0]
	v_pk_fma_f32 v[6:7], v[8:9], v[130:131], v[4:5] neg_lo:[0,0,1] neg_hi:[0,0,1]
	v_pk_fma_f32 v[4:5], v[8:9], v[130:131], v[4:5] op_sel_hi:[1,0,1]
	v_pk_add_f32 v[2:3], v[2:3], v[16:17]
	v_mov_b32_e32 v7, v5
	s_waitcnt vmcnt(1) lgkmcnt(1)
	v_pk_mul_f32 v[4:5], v[10:11], v[132:133] op_sel:[1,1] op_sel_hi:[0,1]
	v_pk_add_f32 v[2:3], v[2:3], v[6:7]
	v_pk_fma_f32 v[6:7], v[10:11], v[132:133], v[4:5] neg_lo:[0,0,1] neg_hi:[0,0,1]
	v_pk_fma_f32 v[4:5], v[10:11], v[132:133], v[4:5] op_sel_hi:[1,0,1]
	s_nop 0
	v_mov_b32_e32 v4, v135
	v_mov_b32_e32 v7, v5
	v_pk_mul_f32 v[4:5], v[12:13], v[4:5] op_sel:[1,0] op_sel_hi:[0,0]
	v_pk_add_f32 v[2:3], v[2:3], v[6:7]
	v_pk_fma_f32 v[6:7], v[12:13], v[134:135], v[4:5] neg_lo:[0,0,1] neg_hi:[0,0,1]
	v_pk_fma_f32 v[4:5], v[12:13], v[134:135], v[4:5] op_sel_hi:[1,0,1]
	s_nop 0
	v_mov_b32_e32 v7, v5
	s_waitcnt vmcnt(0) lgkmcnt(0)
	v_pk_mul_f32 v[4:5], v[14:15], v[142:143] op_sel:[1,1] op_sel_hi:[0,1]
	v_pk_add_f32 v[2:3], v[2:3], v[6:7]
	v_pk_fma_f32 v[6:7], v[14:15], v[142:143], v[4:5] neg_lo:[0,0,1] neg_hi:[0,0,1]
	v_pk_fma_f32 v[4:5], v[14:15], v[142:143], v[4:5] op_sel_hi:[1,0,1]
	s_nop 0
	v_mov_b32_e32 v7, v5
	scratch_load_dwordx2 v[4:5], off, off offset:152
	v_pk_add_f32 v[2:3], v[2:3], v[6:7]
	s_waitcnt vmcnt(0)
	v_pk_add_f32 v[2:3], v[4:5], v[2:3] neg_lo:[0,1] neg_hi:[0,1]
	scratch_store_dwordx2 off, v[2:3], off offset:152
	s_and_saveexec_b64 s[0:1], vcc
	s_cbranch_execz .LBB56_319
; %bb.318:
	scratch_load_dwordx2 v[2:3], off, off offset:144
	v_mov_b32_e32 v87, v86
	scratch_store_dwordx2 off, v[86:87], off offset:144
	s_waitcnt vmcnt(1)
	ds_write_b64 v1, v[2:3]
.LBB56_319:
	s_or_b64 exec, exec, s[0:1]
	s_waitcnt lgkmcnt(0)
	; wave barrier
	scratch_load_dwordx4 v[6:9], off, off offset:152
	scratch_load_dwordx4 v[14:17], off, off offset:168
	;; [unrolled: 1-line block ×10, first 2 shown]
	ds_read2_b64 v[2:5], v86 offset0:77 offset1:78
	scratch_load_dwordx4 v[88:91], off, off offset:312
	scratch_load_dwordx4 v[96:99], off, off offset:328
	;; [unrolled: 1-line block ×5, first 2 shown]
	v_cmp_lt_u32_e32 vcc, 17, v0
	s_waitcnt vmcnt(14) lgkmcnt(0)
	v_mul_f32_e32 v10, v2, v7
	v_fmac_f32_e32 v10, v3, v6
	v_mul_f32_e32 v11, v4, v9
	v_add_f32_e32 v10, 0, v10
	v_fmac_f32_e32 v11, v5, v8
	v_add_f32_e32 v18, v10, v11
	ds_read2_b64 v[10:13], v86 offset0:79 offset1:80
	v_mul_f32_e32 v3, v3, v7
	v_fma_f32 v2, v2, v6, -v3
	v_mul_f32_e32 v3, v5, v9
	v_add_f32_e32 v2, 0, v2
	s_waitcnt vmcnt(13) lgkmcnt(0)
	v_mul_f32_e32 v19, v10, v15
	v_fmac_f32_e32 v19, v11, v14
	v_add_f32_e32 v18, v18, v19
	v_mul_f32_e32 v19, v12, v17
	v_fmac_f32_e32 v19, v13, v16
	v_add_f32_e32 v26, v18, v19
	ds_read2_b64 v[18:21], v86 offset0:81 offset1:82
	v_fma_f32 v3, v4, v8, -v3
	v_add_f32_e32 v2, v2, v3
	v_mul_f32_e32 v3, v11, v15
	v_fma_f32 v3, v10, v14, -v3
	s_waitcnt vmcnt(12) lgkmcnt(0)
	v_mul_f32_e32 v27, v18, v23
	v_fmac_f32_e32 v27, v19, v22
	v_add_f32_e32 v26, v26, v27
	v_mul_f32_e32 v27, v20, v25
	v_fmac_f32_e32 v27, v21, v24
	v_add_f32_e32 v34, v26, v27
	ds_read2_b64 v[26:29], v86 offset0:83 offset1:84
	v_add_f32_e32 v2, v2, v3
	v_mul_f32_e32 v3, v13, v17
	v_fma_f32 v3, v12, v16, -v3
	v_add_f32_e32 v2, v2, v3
	s_waitcnt vmcnt(11) lgkmcnt(0)
	v_mul_f32_e32 v35, v26, v31
	v_fmac_f32_e32 v35, v27, v30
	v_add_f32_e32 v34, v34, v35
	v_mul_f32_e32 v35, v28, v33
	v_fmac_f32_e32 v35, v29, v32
	v_add_f32_e32 v42, v34, v35
	ds_read2_b64 v[34:37], v86 offset0:85 offset1:86
	v_mul_f32_e32 v3, v19, v23
	v_fma_f32 v3, v18, v22, -v3
	v_add_f32_e32 v2, v2, v3
	v_mul_f32_e32 v3, v21, v25
	s_waitcnt vmcnt(10) lgkmcnt(0)
	v_mul_f32_e32 v43, v34, v39
	v_fmac_f32_e32 v43, v35, v38
	v_add_f32_e32 v42, v42, v43
	v_mul_f32_e32 v43, v36, v41
	v_fmac_f32_e32 v43, v37, v40
	v_add_f32_e32 v50, v42, v43
	ds_read2_b64 v[42:45], v86 offset0:87 offset1:88
	v_fma_f32 v3, v20, v24, -v3
	v_add_f32_e32 v2, v2, v3
	v_mul_f32_e32 v3, v27, v31
	v_fma_f32 v3, v26, v30, -v3
	s_waitcnt vmcnt(9) lgkmcnt(0)
	v_mul_f32_e32 v51, v42, v47
	v_fmac_f32_e32 v51, v43, v46
	v_add_f32_e32 v50, v50, v51
	v_mul_f32_e32 v51, v44, v49
	v_fmac_f32_e32 v51, v45, v48
	v_add_f32_e32 v58, v50, v51
	ds_read2_b64 v[50:53], v86 offset0:89 offset1:90
	v_add_f32_e32 v2, v2, v3
	v_mul_f32_e32 v3, v29, v33
	v_fma_f32 v3, v28, v32, -v3
	v_add_f32_e32 v2, v2, v3
	s_waitcnt vmcnt(8) lgkmcnt(0)
	v_mul_f32_e32 v59, v50, v55
	v_fmac_f32_e32 v59, v51, v54
	v_add_f32_e32 v58, v58, v59
	v_mul_f32_e32 v59, v52, v57
	v_fmac_f32_e32 v59, v53, v56
	v_add_f32_e32 v66, v58, v59
	ds_read2_b64 v[58:61], v86 offset0:91 offset1:92
	v_mul_f32_e32 v3, v35, v39
	v_fma_f32 v3, v34, v38, -v3
	v_add_f32_e32 v2, v2, v3
	v_mul_f32_e32 v3, v37, v41
	;; [unrolled: 36-line block ×4, first 2 shown]
	s_waitcnt vmcnt(1) lgkmcnt(0)
	v_mul_f32_e32 v116, v108, v113
	v_fmac_f32_e32 v116, v109, v112
	v_add_f32_e32 v87, v87, v116
	v_mul_f32_e32 v116, v110, v115
	v_fmac_f32_e32 v116, v111, v114
	v_add_f32_e32 v141, v87, v116
	ds_read2_b64 v[116:119], v86 offset0:105 offset1:106
	scratch_load_dwordx4 v[124:127], off, off offset:392
	scratch_load_dwordx4 v[128:131], off, off offset:408
	;; [unrolled: 1-line block ×4, first 2 shown]
	v_fma_f32 v3, v68, v72, -v3
	v_add_f32_e32 v2, v2, v3
	v_mul_f32_e32 v3, v75, v79
	v_fma_f32 v3, v74, v78, -v3
	v_add_f32_e32 v2, v2, v3
	v_mul_f32_e32 v3, v77, v81
	v_fma_f32 v3, v76, v80, -v3
	v_add_f32_e32 v2, v2, v3
	v_mul_f32_e32 v3, v83, v89
	v_fma_f32 v3, v82, v88, -v3
	v_add_f32_e32 v2, v2, v3
	v_mul_f32_e32 v3, v85, v91
	v_fma_f32 v3, v84, v90, -v3
	v_add_f32_e32 v2, v2, v3
	v_mul_f32_e32 v3, v93, v97
	v_fma_f32 v3, v92, v96, -v3
	v_add_f32_e32 v2, v2, v3
	v_mul_f32_e32 v3, v95, v99
	v_fma_f32 v3, v94, v98, -v3
	v_add_f32_e32 v2, v2, v3
	v_mul_f32_e32 v3, v101, v105
	v_fma_f32 v3, v100, v104, -v3
	v_add_f32_e32 v2, v2, v3
	v_mul_f32_e32 v3, v103, v107
	v_fma_f32 v3, v102, v106, -v3
	v_add_f32_e32 v2, v2, v3
	v_mul_f32_e32 v3, v109, v113
	v_fma_f32 v3, v108, v112, -v3
	v_add_f32_e32 v2, v2, v3
	v_mul_f32_e32 v3, v111, v115
	v_fma_f32 v3, v110, v114, -v3
	v_add_f32_e32 v140, v2, v3
	s_waitcnt vmcnt(4) lgkmcnt(0)
	v_mul_f32_e32 v2, v117, v121
	v_fma_f32 v142, v116, v120, -v2
	v_mul_f32_e32 v2, v119, v123
	v_fma_f32 v144, v118, v122, -v2
	ds_read2_b64 v[2:5], v86 offset0:107 offset1:108
	ds_read2_b64 v[6:9], v86 offset0:109 offset1:110
	;; [unrolled: 1-line block ×4, first 2 shown]
	v_mul_f32_e32 v143, v116, v121
	v_fmac_f32_e32 v143, v117, v120
	v_mul_f32_e32 v145, v118, v123
	v_fmac_f32_e32 v145, v119, v122
	v_pk_add_f32 v[18:19], v[140:141], v[142:143]
	s_waitcnt vmcnt(3) lgkmcnt(3)
	v_pk_mul_f32 v[20:21], v[2:3], v[124:125] op_sel:[1,1] op_sel_hi:[0,1]
	v_pk_fma_f32 v[22:23], v[2:3], v[124:125], v[20:21] neg_lo:[0,0,1] neg_hi:[0,0,1]
	v_pk_fma_f32 v[2:3], v[2:3], v[124:125], v[20:21] op_sel_hi:[1,0,1]
	v_pk_add_f32 v[18:19], v[18:19], v[144:145]
	v_mov_b32_e32 v23, v3
	v_pk_add_f32 v[2:3], v[18:19], v[22:23]
	v_mov_b32_e32 v18, v127
	v_pk_mul_f32 v[18:19], v[4:5], v[18:19] op_sel:[1,0] op_sel_hi:[0,0]
	v_pk_fma_f32 v[20:21], v[4:5], v[126:127], v[18:19] neg_lo:[0,0,1] neg_hi:[0,0,1]
	v_pk_fma_f32 v[4:5], v[4:5], v[126:127], v[18:19] op_sel_hi:[1,0,1]
	s_nop 0
	v_mov_b32_e32 v21, v5
	s_waitcnt vmcnt(2) lgkmcnt(2)
	v_pk_mul_f32 v[4:5], v[6:7], v[128:129] op_sel:[1,1] op_sel_hi:[0,1]
	v_pk_fma_f32 v[18:19], v[6:7], v[128:129], v[4:5] neg_lo:[0,0,1] neg_hi:[0,0,1]
	v_pk_fma_f32 v[4:5], v[6:7], v[128:129], v[4:5] op_sel_hi:[1,0,1]
	v_pk_add_f32 v[2:3], v[2:3], v[20:21]
	v_mov_b32_e32 v4, v131
	v_mov_b32_e32 v19, v5
	v_pk_mul_f32 v[4:5], v[8:9], v[4:5] op_sel:[1,0] op_sel_hi:[0,0]
	v_pk_fma_f32 v[6:7], v[8:9], v[130:131], v[4:5] neg_lo:[0,0,1] neg_hi:[0,0,1]
	v_pk_fma_f32 v[4:5], v[8:9], v[130:131], v[4:5] op_sel_hi:[1,0,1]
	v_pk_add_f32 v[2:3], v[2:3], v[18:19]
	v_mov_b32_e32 v7, v5
	s_waitcnt vmcnt(1) lgkmcnt(1)
	v_pk_mul_f32 v[4:5], v[10:11], v[132:133] op_sel:[1,1] op_sel_hi:[0,1]
	v_pk_add_f32 v[2:3], v[2:3], v[6:7]
	v_pk_fma_f32 v[6:7], v[10:11], v[132:133], v[4:5] neg_lo:[0,0,1] neg_hi:[0,0,1]
	v_pk_fma_f32 v[4:5], v[10:11], v[132:133], v[4:5] op_sel_hi:[1,0,1]
	s_nop 0
	v_mov_b32_e32 v4, v135
	v_mov_b32_e32 v7, v5
	v_pk_mul_f32 v[4:5], v[12:13], v[4:5] op_sel:[1,0] op_sel_hi:[0,0]
	v_pk_add_f32 v[2:3], v[2:3], v[6:7]
	v_pk_fma_f32 v[6:7], v[12:13], v[134:135], v[4:5] neg_lo:[0,0,1] neg_hi:[0,0,1]
	v_pk_fma_f32 v[4:5], v[12:13], v[134:135], v[4:5] op_sel_hi:[1,0,1]
	s_nop 0
	v_mov_b32_e32 v7, v5
	s_waitcnt vmcnt(0) lgkmcnt(0)
	v_pk_mul_f32 v[4:5], v[14:15], v[136:137] op_sel:[1,1] op_sel_hi:[0,1]
	v_pk_add_f32 v[2:3], v[2:3], v[6:7]
	v_pk_fma_f32 v[6:7], v[14:15], v[136:137], v[4:5] neg_lo:[0,0,1] neg_hi:[0,0,1]
	v_pk_fma_f32 v[4:5], v[14:15], v[136:137], v[4:5] op_sel_hi:[1,0,1]
	s_nop 0
	v_mov_b32_e32 v4, v139
	v_mov_b32_e32 v7, v5
	v_pk_mul_f32 v[4:5], v[16:17], v[4:5] op_sel:[1,0] op_sel_hi:[0,0]
	v_pk_add_f32 v[2:3], v[2:3], v[6:7]
	v_pk_fma_f32 v[6:7], v[16:17], v[138:139], v[4:5] neg_lo:[0,0,1] neg_hi:[0,0,1]
	v_pk_fma_f32 v[4:5], v[16:17], v[138:139], v[4:5] op_sel_hi:[1,0,1]
	s_nop 0
	v_mov_b32_e32 v7, v5
	scratch_load_dwordx2 v[4:5], off, off offset:144
	v_pk_add_f32 v[2:3], v[2:3], v[6:7]
	s_waitcnt vmcnt(0)
	v_pk_add_f32 v[2:3], v[4:5], v[2:3] neg_lo:[0,1] neg_hi:[0,1]
	scratch_store_dwordx2 off, v[2:3], off offset:144
	s_and_saveexec_b64 s[0:1], vcc
	s_cbranch_execz .LBB56_321
; %bb.320:
	scratch_load_dwordx2 v[2:3], off, off offset:136
	v_mov_b32_e32 v4, 0
	v_mov_b32_e32 v5, v4
	scratch_store_dwordx2 off, v[4:5], off offset:136
	s_waitcnt vmcnt(1)
	ds_write_b64 v1, v[2:3]
.LBB56_321:
	s_or_b64 exec, exec, s[0:1]
	v_mov_b32_e32 v94, 0
	s_waitcnt lgkmcnt(0)
	; wave barrier
	ds_read_b128 v[14:17], v94 offset:608
	ds_read_b128 v[10:13], v94 offset:624
	;; [unrolled: 1-line block ×4, first 2 shown]
	scratch_load_dwordx4 v[18:21], off, off offset:144
	scratch_load_dwordx4 v[38:41], off, off offset:208
	;; [unrolled: 1-line block ×10, first 2 shown]
	v_cmp_lt_u32_e32 vcc, 16, v0
	scratch_load_dwordx4 v[46:49], off, off offset:224
	scratch_load_dwordx4 v[54:57], off, off offset:240
	;; [unrolled: 1-line block ×3, first 2 shown]
	s_waitcnt vmcnt(12) lgkmcnt(3)
	v_mul_f32_e32 v22, v14, v19
	v_fmac_f32_e32 v22, v15, v18
	v_mul_f32_e32 v23, v16, v21
	v_add_f32_e32 v22, 0, v22
	v_fmac_f32_e32 v23, v17, v20
	v_add_f32_e32 v26, v22, v23
	scratch_load_dwordx4 v[22:25], off, off offset:160
	v_mul_f32_e32 v15, v15, v19
	v_fma_f32 v14, v14, v18, -v15
	v_mul_f32_e32 v15, v17, v21
	v_add_f32_e32 v14, 0, v14
	v_fma_f32 v15, v16, v20, -v15
	v_add_f32_e32 v14, v14, v15
	s_waitcnt vmcnt(4)
	v_mov_b32_e32 v18, v131
	s_waitcnt vmcnt(0) lgkmcnt(2)
	v_mul_f32_e32 v27, v10, v23
	v_fmac_f32_e32 v27, v11, v22
	v_add_f32_e32 v26, v26, v27
	v_mul_f32_e32 v27, v12, v25
	v_fmac_f32_e32 v27, v13, v24
	v_add_f32_e32 v30, v26, v27
	scratch_load_dwordx4 v[26:29], off, off offset:176
	v_mul_f32_e32 v11, v11, v23
	v_fma_f32 v10, v10, v22, -v11
	v_mul_f32_e32 v11, v13, v25
	v_add_f32_e32 v10, v14, v10
	v_fma_f32 v11, v12, v24, -v11
	v_add_f32_e32 v10, v10, v11
	s_waitcnt vmcnt(0) lgkmcnt(1)
	v_mul_f32_e32 v31, v6, v27
	v_fmac_f32_e32 v31, v7, v26
	v_add_f32_e32 v30, v30, v31
	v_mul_f32_e32 v31, v8, v29
	v_fmac_f32_e32 v31, v9, v28
	v_add_f32_e32 v34, v30, v31
	scratch_load_dwordx4 v[30:33], off, off offset:192
	v_mul_f32_e32 v7, v7, v27
	v_fma_f32 v6, v6, v26, -v7
	v_mul_f32_e32 v7, v9, v29
	v_add_f32_e32 v6, v10, v6
	v_fma_f32 v7, v8, v28, -v7
	v_add_f32_e32 v6, v6, v7
	s_waitcnt vmcnt(0) lgkmcnt(0)
	v_mul_f32_e32 v35, v2, v31
	v_fmac_f32_e32 v35, v3, v30
	v_add_f32_e32 v34, v34, v35
	v_mul_f32_e32 v35, v4, v33
	v_fmac_f32_e32 v35, v5, v32
	v_add_f32_e32 v42, v34, v35
	ds_read_b128 v[34:37], v94 offset:672
	v_mul_f32_e32 v3, v3, v31
	v_fma_f32 v2, v2, v30, -v3
	v_mul_f32_e32 v3, v5, v33
	v_add_f32_e32 v2, v6, v2
	s_waitcnt lgkmcnt(0)
	v_mul_f32_e32 v43, v34, v39
	v_fmac_f32_e32 v43, v35, v38
	v_add_f32_e32 v42, v42, v43
	v_mul_f32_e32 v43, v36, v41
	v_fmac_f32_e32 v43, v37, v40
	v_add_f32_e32 v50, v42, v43
	ds_read_b128 v[42:45], v94 offset:688
	v_fma_f32 v3, v4, v32, -v3
	v_add_f32_e32 v2, v2, v3
	v_mul_f32_e32 v3, v35, v39
	v_fma_f32 v3, v34, v38, -v3
	s_waitcnt lgkmcnt(0)
	v_mul_f32_e32 v51, v42, v47
	v_fmac_f32_e32 v51, v43, v46
	v_add_f32_e32 v50, v50, v51
	v_mul_f32_e32 v51, v44, v49
	v_fmac_f32_e32 v51, v45, v48
	v_add_f32_e32 v58, v50, v51
	ds_read_b128 v[50:53], v94 offset:704
	v_add_f32_e32 v2, v2, v3
	v_mul_f32_e32 v3, v37, v41
	v_fma_f32 v3, v36, v40, -v3
	v_add_f32_e32 v2, v2, v3
	s_waitcnt lgkmcnt(0)
	v_mul_f32_e32 v59, v50, v55
	v_fmac_f32_e32 v59, v51, v54
	v_add_f32_e32 v58, v58, v59
	v_mul_f32_e32 v59, v52, v57
	v_fmac_f32_e32 v59, v53, v56
	v_add_f32_e32 v66, v58, v59
	ds_read_b128 v[58:61], v94 offset:720
	v_mul_f32_e32 v3, v43, v47
	v_fma_f32 v3, v42, v46, -v3
	v_add_f32_e32 v2, v2, v3
	v_mul_f32_e32 v3, v45, v49
	s_waitcnt lgkmcnt(0)
	v_mul_f32_e32 v67, v58, v63
	v_fmac_f32_e32 v67, v59, v62
	v_add_f32_e32 v66, v66, v67
	v_mul_f32_e32 v67, v60, v65
	v_fmac_f32_e32 v67, v61, v64
	v_add_f32_e32 v74, v66, v67
	ds_read_b128 v[66:69], v94 offset:736
	v_fma_f32 v3, v44, v48, -v3
	v_add_f32_e32 v2, v2, v3
	v_mul_f32_e32 v3, v51, v55
	v_fma_f32 v3, v50, v54, -v3
	s_waitcnt lgkmcnt(0)
	v_mul_f32_e32 v75, v66, v71
	v_fmac_f32_e32 v75, v67, v70
	v_add_f32_e32 v74, v74, v75
	v_mul_f32_e32 v75, v68, v73
	v_fmac_f32_e32 v75, v69, v72
	v_add_f32_e32 v82, v74, v75
	ds_read_b128 v[74:77], v94 offset:752
	v_add_f32_e32 v2, v2, v3
	v_mul_f32_e32 v3, v53, v57
	v_fma_f32 v3, v52, v56, -v3
	v_add_f32_e32 v2, v2, v3
	s_waitcnt lgkmcnt(0)
	v_mul_f32_e32 v83, v74, v79
	v_fmac_f32_e32 v83, v75, v78
	v_add_f32_e32 v82, v82, v83
	v_mul_f32_e32 v83, v76, v81
	v_fmac_f32_e32 v83, v77, v80
	v_add_f32_e32 v90, v82, v83
	ds_read_b128 v[82:85], v94 offset:768
	v_mul_f32_e32 v3, v59, v63
	v_fma_f32 v3, v58, v62, -v3
	v_add_f32_e32 v2, v2, v3
	v_mul_f32_e32 v3, v61, v65
	;; [unrolled: 36-line block ×3, first 2 shown]
	s_waitcnt lgkmcnt(0)
	v_mul_f32_e32 v116, v108, v113
	v_fmac_f32_e32 v116, v109, v112
	v_add_f32_e32 v95, v95, v116
	v_mul_f32_e32 v116, v110, v115
	v_fmac_f32_e32 v116, v111, v114
	v_add_f32_e32 v95, v95, v116
	ds_read_b128 v[116:119], v94 offset:832
	v_fma_f32 v3, v76, v80, -v3
	v_add_f32_e32 v2, v2, v3
	v_mul_f32_e32 v3, v83, v87
	v_fma_f32 v3, v82, v86, -v3
	s_waitcnt lgkmcnt(0)
	v_mul_f32_e32 v124, v116, v121
	v_fmac_f32_e32 v124, v117, v120
	v_add_f32_e32 v145, v95, v124
	ds_read_b128 v[124:127], v94 offset:848
	scratch_load_dwordx4 v[132:135], off, off offset:400
	scratch_load_dwordx4 v[136:139], off, off offset:416
	;; [unrolled: 1-line block ×3, first 2 shown]
	scratch_load_dwordx2 v[158:159], off, off offset:448
	v_add_f32_e32 v2, v2, v3
	v_mul_f32_e32 v3, v85, v89
	v_fma_f32 v3, v84, v88, -v3
	v_add_f32_e32 v2, v2, v3
	v_mul_f32_e32 v3, v91, v97
	v_fma_f32 v3, v90, v96, -v3
	;; [unrolled: 3-line block ×8, first 2 shown]
	v_add_f32_e32 v144, v2, v3
	v_mul_f32_e32 v2, v119, v123
	v_mul_f32_e32 v147, v118, v123
	v_fma_f32 v146, v118, v122, -v2
	s_waitcnt lgkmcnt(0)
	v_mul_f32_e32 v2, v125, v129
	v_fmac_f32_e32 v147, v119, v122
	v_mul_f32_e32 v149, v124, v129
	v_fma_f32 v148, v124, v128, -v2
	ds_read_b128 v[2:5], v94 offset:864
	ds_read_b128 v[6:9], v94 offset:880
	;; [unrolled: 1-line block ×3, first 2 shown]
	ds_read_b64 v[14:15], v94 offset:912
	v_pk_mul_f32 v[18:19], v[126:127], v[18:19] op_sel:[1,0] op_sel_hi:[0,0]
	v_fmac_f32_e32 v149, v125, v128
	v_pk_add_f32 v[16:17], v[144:145], v[146:147]
	v_pk_fma_f32 v[20:21], v[126:127], v[130:131], v[18:19] neg_lo:[0,0,1] neg_hi:[0,0,1]
	v_pk_fma_f32 v[18:19], v[126:127], v[130:131], v[18:19] op_sel_hi:[1,0,1]
	v_pk_add_f32 v[16:17], v[16:17], v[148:149]
	v_mov_b32_e32 v21, v19
	v_pk_add_f32 v[16:17], v[16:17], v[20:21]
	s_waitcnt vmcnt(3) lgkmcnt(3)
	v_pk_mul_f32 v[18:19], v[2:3], v[132:133] op_sel:[1,1] op_sel_hi:[0,1]
	v_pk_fma_f32 v[20:21], v[2:3], v[132:133], v[18:19] neg_lo:[0,0,1] neg_hi:[0,0,1]
	v_pk_fma_f32 v[2:3], v[2:3], v[132:133], v[18:19] op_sel_hi:[1,0,1]
	s_nop 0
	v_mov_b32_e32 v21, v3
	v_pk_add_f32 v[2:3], v[16:17], v[20:21]
	v_mov_b32_e32 v16, v135
	v_pk_mul_f32 v[16:17], v[4:5], v[16:17] op_sel:[1,0] op_sel_hi:[0,0]
	v_pk_fma_f32 v[18:19], v[4:5], v[134:135], v[16:17] neg_lo:[0,0,1] neg_hi:[0,0,1]
	v_pk_fma_f32 v[4:5], v[4:5], v[134:135], v[16:17] op_sel_hi:[1,0,1]
	s_nop 0
	v_mov_b32_e32 v19, v5
	s_waitcnt vmcnt(2) lgkmcnt(2)
	v_pk_mul_f32 v[4:5], v[6:7], v[136:137] op_sel:[1,1] op_sel_hi:[0,1]
	v_pk_fma_f32 v[16:17], v[6:7], v[136:137], v[4:5] neg_lo:[0,0,1] neg_hi:[0,0,1]
	v_pk_fma_f32 v[4:5], v[6:7], v[136:137], v[4:5] op_sel_hi:[1,0,1]
	v_pk_add_f32 v[2:3], v[2:3], v[18:19]
	v_mov_b32_e32 v4, v139
	v_mov_b32_e32 v17, v5
	v_pk_mul_f32 v[4:5], v[8:9], v[4:5] op_sel:[1,0] op_sel_hi:[0,0]
	v_pk_fma_f32 v[6:7], v[8:9], v[138:139], v[4:5] neg_lo:[0,0,1] neg_hi:[0,0,1]
	v_pk_fma_f32 v[4:5], v[8:9], v[138:139], v[4:5] op_sel_hi:[1,0,1]
	v_pk_add_f32 v[2:3], v[2:3], v[16:17]
	v_mov_b32_e32 v7, v5
	s_waitcnt vmcnt(1) lgkmcnt(1)
	v_pk_mul_f32 v[4:5], v[10:11], v[140:141] op_sel:[1,1] op_sel_hi:[0,1]
	v_pk_add_f32 v[2:3], v[2:3], v[6:7]
	v_pk_fma_f32 v[6:7], v[10:11], v[140:141], v[4:5] neg_lo:[0,0,1] neg_hi:[0,0,1]
	v_pk_fma_f32 v[4:5], v[10:11], v[140:141], v[4:5] op_sel_hi:[1,0,1]
	s_nop 0
	v_mov_b32_e32 v4, v143
	v_mov_b32_e32 v7, v5
	v_pk_mul_f32 v[4:5], v[12:13], v[4:5] op_sel:[1,0] op_sel_hi:[0,0]
	v_pk_add_f32 v[2:3], v[2:3], v[6:7]
	v_pk_fma_f32 v[6:7], v[12:13], v[142:143], v[4:5] neg_lo:[0,0,1] neg_hi:[0,0,1]
	v_pk_fma_f32 v[4:5], v[12:13], v[142:143], v[4:5] op_sel_hi:[1,0,1]
	s_nop 0
	v_mov_b32_e32 v7, v5
	s_waitcnt vmcnt(0) lgkmcnt(0)
	v_pk_mul_f32 v[4:5], v[14:15], v[158:159] op_sel:[1,1] op_sel_hi:[0,1]
	v_pk_add_f32 v[2:3], v[2:3], v[6:7]
	v_pk_fma_f32 v[6:7], v[14:15], v[158:159], v[4:5] neg_lo:[0,0,1] neg_hi:[0,0,1]
	v_pk_fma_f32 v[4:5], v[14:15], v[158:159], v[4:5] op_sel_hi:[1,0,1]
	s_nop 0
	v_mov_b32_e32 v7, v5
	scratch_load_dwordx2 v[4:5], off, off offset:136
	v_pk_add_f32 v[2:3], v[2:3], v[6:7]
	s_waitcnt vmcnt(0)
	v_pk_add_f32 v[2:3], v[4:5], v[2:3] neg_lo:[0,1] neg_hi:[0,1]
	scratch_store_dwordx2 off, v[2:3], off offset:136
	s_and_saveexec_b64 s[0:1], vcc
	s_cbranch_execz .LBB56_323
; %bb.322:
	scratch_load_dwordx2 v[2:3], off, off offset:128
	v_mov_b32_e32 v95, v94
	scratch_store_dwordx2 off, v[94:95], off offset:128
	s_waitcnt vmcnt(1)
	ds_write_b64 v1, v[2:3]
.LBB56_323:
	s_or_b64 exec, exec, s[0:1]
	s_waitcnt lgkmcnt(0)
	; wave barrier
	scratch_load_dwordx4 v[6:9], off, off offset:136
	scratch_load_dwordx4 v[14:17], off, off offset:152
	;; [unrolled: 1-line block ×10, first 2 shown]
	ds_read2_b64 v[2:5], v94 offset0:75 offset1:76
	scratch_load_dwordx4 v[86:89], off, off offset:296
	scratch_load_dwordx4 v[96:99], off, off offset:312
	;; [unrolled: 1-line block ×6, first 2 shown]
	v_cmp_lt_u32_e32 vcc, 15, v0
	s_waitcnt vmcnt(15) lgkmcnt(0)
	v_mul_f32_e32 v10, v2, v7
	v_fmac_f32_e32 v10, v3, v6
	v_mul_f32_e32 v11, v4, v9
	v_add_f32_e32 v10, 0, v10
	v_fmac_f32_e32 v11, v5, v8
	v_add_f32_e32 v18, v10, v11
	ds_read2_b64 v[10:13], v94 offset0:77 offset1:78
	v_mul_f32_e32 v3, v3, v7
	v_fma_f32 v2, v2, v6, -v3
	v_mul_f32_e32 v3, v5, v9
	v_add_f32_e32 v2, 0, v2
	s_waitcnt vmcnt(14) lgkmcnt(0)
	v_mul_f32_e32 v19, v10, v15
	v_fmac_f32_e32 v19, v11, v14
	v_add_f32_e32 v18, v18, v19
	v_mul_f32_e32 v19, v12, v17
	v_fmac_f32_e32 v19, v13, v16
	v_add_f32_e32 v26, v18, v19
	ds_read2_b64 v[18:21], v94 offset0:79 offset1:80
	v_fma_f32 v3, v4, v8, -v3
	v_add_f32_e32 v2, v2, v3
	v_mul_f32_e32 v3, v11, v15
	v_fma_f32 v3, v10, v14, -v3
	s_waitcnt vmcnt(13) lgkmcnt(0)
	v_mul_f32_e32 v27, v18, v23
	v_fmac_f32_e32 v27, v19, v22
	v_add_f32_e32 v26, v26, v27
	v_mul_f32_e32 v27, v20, v25
	v_fmac_f32_e32 v27, v21, v24
	v_add_f32_e32 v34, v26, v27
	ds_read2_b64 v[26:29], v94 offset0:81 offset1:82
	v_add_f32_e32 v2, v2, v3
	v_mul_f32_e32 v3, v13, v17
	v_fma_f32 v3, v12, v16, -v3
	v_add_f32_e32 v2, v2, v3
	s_waitcnt vmcnt(12) lgkmcnt(0)
	v_mul_f32_e32 v35, v26, v31
	v_fmac_f32_e32 v35, v27, v30
	v_add_f32_e32 v34, v34, v35
	v_mul_f32_e32 v35, v28, v33
	v_fmac_f32_e32 v35, v29, v32
	v_add_f32_e32 v42, v34, v35
	ds_read2_b64 v[34:37], v94 offset0:83 offset1:84
	v_mul_f32_e32 v3, v19, v23
	v_fma_f32 v3, v18, v22, -v3
	v_add_f32_e32 v2, v2, v3
	v_mul_f32_e32 v3, v21, v25
	s_waitcnt vmcnt(11) lgkmcnt(0)
	v_mul_f32_e32 v43, v34, v39
	v_fmac_f32_e32 v43, v35, v38
	v_add_f32_e32 v42, v42, v43
	v_mul_f32_e32 v43, v36, v41
	v_fmac_f32_e32 v43, v37, v40
	v_add_f32_e32 v50, v42, v43
	ds_read2_b64 v[42:45], v94 offset0:85 offset1:86
	v_fma_f32 v3, v20, v24, -v3
	v_add_f32_e32 v2, v2, v3
	v_mul_f32_e32 v3, v27, v31
	v_fma_f32 v3, v26, v30, -v3
	s_waitcnt vmcnt(10) lgkmcnt(0)
	v_mul_f32_e32 v51, v42, v47
	v_fmac_f32_e32 v51, v43, v46
	v_add_f32_e32 v50, v50, v51
	v_mul_f32_e32 v51, v44, v49
	v_fmac_f32_e32 v51, v45, v48
	v_add_f32_e32 v58, v50, v51
	ds_read2_b64 v[50:53], v94 offset0:87 offset1:88
	v_add_f32_e32 v2, v2, v3
	v_mul_f32_e32 v3, v29, v33
	v_fma_f32 v3, v28, v32, -v3
	v_add_f32_e32 v2, v2, v3
	s_waitcnt vmcnt(9) lgkmcnt(0)
	v_mul_f32_e32 v59, v50, v55
	v_fmac_f32_e32 v59, v51, v54
	v_add_f32_e32 v58, v58, v59
	v_mul_f32_e32 v59, v52, v57
	v_fmac_f32_e32 v59, v53, v56
	v_add_f32_e32 v66, v58, v59
	ds_read2_b64 v[58:61], v94 offset0:89 offset1:90
	v_mul_f32_e32 v3, v35, v39
	v_fma_f32 v3, v34, v38, -v3
	v_add_f32_e32 v2, v2, v3
	v_mul_f32_e32 v3, v37, v41
	;; [unrolled: 36-line block ×4, first 2 shown]
	s_waitcnt vmcnt(2) lgkmcnt(0)
	v_mul_f32_e32 v116, v108, v113
	v_fmac_f32_e32 v116, v109, v112
	v_add_f32_e32 v95, v95, v116
	v_mul_f32_e32 v116, v110, v115
	v_fmac_f32_e32 v116, v111, v114
	v_add_f32_e32 v95, v95, v116
	ds_read2_b64 v[116:119], v94 offset0:103 offset1:104
	v_fma_f32 v3, v68, v72, -v3
	v_add_f32_e32 v2, v2, v3
	v_mul_f32_e32 v3, v75, v79
	v_fma_f32 v3, v74, v78, -v3
	s_waitcnt vmcnt(1) lgkmcnt(0)
	v_mul_f32_e32 v124, v116, v121
	v_fmac_f32_e32 v124, v117, v120
	v_add_f32_e32 v95, v95, v124
	v_mul_f32_e32 v124, v118, v123
	v_fmac_f32_e32 v124, v119, v122
	v_add_f32_e32 v149, v95, v124
	ds_read2_b64 v[124:127], v94 offset0:105 offset1:106
	scratch_load_dwordx4 v[132:135], off, off offset:392
	scratch_load_dwordx4 v[136:139], off, off offset:408
	;; [unrolled: 1-line block ×4, first 2 shown]
	v_add_f32_e32 v2, v2, v3
	v_mul_f32_e32 v3, v77, v81
	v_fma_f32 v3, v76, v80, -v3
	v_add_f32_e32 v2, v2, v3
	v_mul_f32_e32 v3, v83, v87
	v_fma_f32 v3, v82, v86, -v3
	;; [unrolled: 3-line block ×11, first 2 shown]
	v_add_f32_e32 v148, v2, v3
	s_waitcnt vmcnt(4) lgkmcnt(0)
	v_mul_f32_e32 v2, v125, v129
	v_fma_f32 v158, v124, v128, -v2
	v_mul_f32_e32 v2, v127, v131
	v_fma_f32 v160, v126, v130, -v2
	ds_read2_b64 v[2:5], v94 offset0:107 offset1:108
	ds_read2_b64 v[6:9], v94 offset0:109 offset1:110
	;; [unrolled: 1-line block ×4, first 2 shown]
	v_mul_f32_e32 v159, v124, v129
	v_fmac_f32_e32 v159, v125, v128
	v_mul_f32_e32 v161, v126, v131
	v_fmac_f32_e32 v161, v127, v130
	v_pk_add_f32 v[18:19], v[148:149], v[158:159]
	s_waitcnt vmcnt(3) lgkmcnt(3)
	v_pk_mul_f32 v[20:21], v[2:3], v[132:133] op_sel:[1,1] op_sel_hi:[0,1]
	v_pk_fma_f32 v[22:23], v[2:3], v[132:133], v[20:21] neg_lo:[0,0,1] neg_hi:[0,0,1]
	v_pk_fma_f32 v[2:3], v[2:3], v[132:133], v[20:21] op_sel_hi:[1,0,1]
	v_pk_add_f32 v[18:19], v[18:19], v[160:161]
	v_mov_b32_e32 v23, v3
	v_pk_add_f32 v[2:3], v[18:19], v[22:23]
	v_mov_b32_e32 v18, v135
	v_pk_mul_f32 v[18:19], v[4:5], v[18:19] op_sel:[1,0] op_sel_hi:[0,0]
	v_pk_fma_f32 v[20:21], v[4:5], v[134:135], v[18:19] neg_lo:[0,0,1] neg_hi:[0,0,1]
	v_pk_fma_f32 v[4:5], v[4:5], v[134:135], v[18:19] op_sel_hi:[1,0,1]
	s_nop 0
	v_mov_b32_e32 v21, v5
	s_waitcnt vmcnt(2) lgkmcnt(2)
	v_pk_mul_f32 v[4:5], v[6:7], v[136:137] op_sel:[1,1] op_sel_hi:[0,1]
	v_pk_fma_f32 v[18:19], v[6:7], v[136:137], v[4:5] neg_lo:[0,0,1] neg_hi:[0,0,1]
	v_pk_fma_f32 v[4:5], v[6:7], v[136:137], v[4:5] op_sel_hi:[1,0,1]
	v_pk_add_f32 v[2:3], v[2:3], v[20:21]
	v_mov_b32_e32 v4, v139
	v_mov_b32_e32 v19, v5
	v_pk_mul_f32 v[4:5], v[8:9], v[4:5] op_sel:[1,0] op_sel_hi:[0,0]
	v_pk_fma_f32 v[6:7], v[8:9], v[138:139], v[4:5] neg_lo:[0,0,1] neg_hi:[0,0,1]
	v_pk_fma_f32 v[4:5], v[8:9], v[138:139], v[4:5] op_sel_hi:[1,0,1]
	v_pk_add_f32 v[2:3], v[2:3], v[18:19]
	v_mov_b32_e32 v7, v5
	s_waitcnt vmcnt(1) lgkmcnt(1)
	v_pk_mul_f32 v[4:5], v[10:11], v[140:141] op_sel:[1,1] op_sel_hi:[0,1]
	v_pk_add_f32 v[2:3], v[2:3], v[6:7]
	v_pk_fma_f32 v[6:7], v[10:11], v[140:141], v[4:5] neg_lo:[0,0,1] neg_hi:[0,0,1]
	v_pk_fma_f32 v[4:5], v[10:11], v[140:141], v[4:5] op_sel_hi:[1,0,1]
	s_nop 0
	v_mov_b32_e32 v4, v143
	v_mov_b32_e32 v7, v5
	v_pk_mul_f32 v[4:5], v[12:13], v[4:5] op_sel:[1,0] op_sel_hi:[0,0]
	v_pk_add_f32 v[2:3], v[2:3], v[6:7]
	v_pk_fma_f32 v[6:7], v[12:13], v[142:143], v[4:5] neg_lo:[0,0,1] neg_hi:[0,0,1]
	v_pk_fma_f32 v[4:5], v[12:13], v[142:143], v[4:5] op_sel_hi:[1,0,1]
	s_nop 0
	v_mov_b32_e32 v7, v5
	s_waitcnt vmcnt(0) lgkmcnt(0)
	v_pk_mul_f32 v[4:5], v[14:15], v[144:145] op_sel:[1,1] op_sel_hi:[0,1]
	v_pk_add_f32 v[2:3], v[2:3], v[6:7]
	v_pk_fma_f32 v[6:7], v[14:15], v[144:145], v[4:5] neg_lo:[0,0,1] neg_hi:[0,0,1]
	v_pk_fma_f32 v[4:5], v[14:15], v[144:145], v[4:5] op_sel_hi:[1,0,1]
	s_nop 0
	v_mov_b32_e32 v4, v147
	v_mov_b32_e32 v7, v5
	v_pk_mul_f32 v[4:5], v[16:17], v[4:5] op_sel:[1,0] op_sel_hi:[0,0]
	v_pk_add_f32 v[2:3], v[2:3], v[6:7]
	v_pk_fma_f32 v[6:7], v[16:17], v[146:147], v[4:5] neg_lo:[0,0,1] neg_hi:[0,0,1]
	v_pk_fma_f32 v[4:5], v[16:17], v[146:147], v[4:5] op_sel_hi:[1,0,1]
	s_nop 0
	v_mov_b32_e32 v7, v5
	scratch_load_dwordx2 v[4:5], off, off offset:128
	v_pk_add_f32 v[2:3], v[2:3], v[6:7]
	s_waitcnt vmcnt(0)
	v_pk_add_f32 v[2:3], v[4:5], v[2:3] neg_lo:[0,1] neg_hi:[0,1]
	scratch_store_dwordx2 off, v[2:3], off offset:128
	s_and_saveexec_b64 s[0:1], vcc
	s_cbranch_execz .LBB56_325
; %bb.324:
	scratch_load_dwordx2 v[2:3], off, off offset:120
	v_mov_b32_e32 v4, 0
	v_mov_b32_e32 v5, v4
	scratch_store_dwordx2 off, v[4:5], off offset:120
	s_waitcnt vmcnt(1)
	ds_write_b64 v1, v[2:3]
.LBB56_325:
	s_or_b64 exec, exec, s[0:1]
	v_mov_b32_e32 v102, 0
	s_waitcnt lgkmcnt(0)
	; wave barrier
	ds_read_b128 v[14:17], v102 offset:592
	ds_read_b128 v[10:13], v102 offset:608
	;; [unrolled: 1-line block ×4, first 2 shown]
	scratch_load_dwordx4 v[18:21], off, off offset:128
	scratch_load_dwordx4 v[38:41], off, off offset:192
	;; [unrolled: 1-line block ×11, first 2 shown]
	v_cmp_lt_u32_e32 vcc, 14, v0
	scratch_load_dwordx4 v[46:49], off, off offset:208
	scratch_load_dwordx4 v[54:57], off, off offset:224
	;; [unrolled: 1-line block ×3, first 2 shown]
	s_waitcnt vmcnt(13) lgkmcnt(3)
	v_mul_f32_e32 v22, v14, v19
	v_fmac_f32_e32 v22, v15, v18
	v_mul_f32_e32 v23, v16, v21
	v_add_f32_e32 v22, 0, v22
	v_fmac_f32_e32 v23, v17, v20
	v_add_f32_e32 v26, v22, v23
	scratch_load_dwordx4 v[22:25], off, off offset:144
	v_mul_f32_e32 v15, v15, v19
	v_fma_f32 v14, v14, v18, -v15
	v_mul_f32_e32 v15, v17, v21
	v_add_f32_e32 v14, 0, v14
	v_fma_f32 v15, v16, v20, -v15
	v_add_f32_e32 v14, v14, v15
	s_waitcnt vmcnt(4)
	v_mov_b32_e32 v18, v139
	s_waitcnt vmcnt(0) lgkmcnt(2)
	v_mul_f32_e32 v27, v10, v23
	v_fmac_f32_e32 v27, v11, v22
	v_add_f32_e32 v26, v26, v27
	v_mul_f32_e32 v27, v12, v25
	v_fmac_f32_e32 v27, v13, v24
	v_add_f32_e32 v30, v26, v27
	scratch_load_dwordx4 v[26:29], off, off offset:160
	v_mul_f32_e32 v11, v11, v23
	v_fma_f32 v10, v10, v22, -v11
	v_mul_f32_e32 v11, v13, v25
	v_add_f32_e32 v10, v14, v10
	v_fma_f32 v11, v12, v24, -v11
	v_add_f32_e32 v10, v10, v11
	s_waitcnt vmcnt(0) lgkmcnt(1)
	v_mul_f32_e32 v31, v6, v27
	v_fmac_f32_e32 v31, v7, v26
	v_add_f32_e32 v30, v30, v31
	v_mul_f32_e32 v31, v8, v29
	v_fmac_f32_e32 v31, v9, v28
	v_add_f32_e32 v34, v30, v31
	scratch_load_dwordx4 v[30:33], off, off offset:176
	v_mul_f32_e32 v7, v7, v27
	v_fma_f32 v6, v6, v26, -v7
	v_mul_f32_e32 v7, v9, v29
	v_add_f32_e32 v6, v10, v6
	v_fma_f32 v7, v8, v28, -v7
	v_add_f32_e32 v6, v6, v7
	s_waitcnt vmcnt(0) lgkmcnt(0)
	v_mul_f32_e32 v35, v2, v31
	v_fmac_f32_e32 v35, v3, v30
	v_add_f32_e32 v34, v34, v35
	v_mul_f32_e32 v35, v4, v33
	v_fmac_f32_e32 v35, v5, v32
	v_add_f32_e32 v42, v34, v35
	ds_read_b128 v[34:37], v102 offset:656
	v_mul_f32_e32 v3, v3, v31
	v_fma_f32 v2, v2, v30, -v3
	v_mul_f32_e32 v3, v5, v33
	v_add_f32_e32 v2, v6, v2
	s_waitcnt lgkmcnt(0)
	v_mul_f32_e32 v43, v34, v39
	v_fmac_f32_e32 v43, v35, v38
	v_add_f32_e32 v42, v42, v43
	v_mul_f32_e32 v43, v36, v41
	v_fmac_f32_e32 v43, v37, v40
	v_add_f32_e32 v50, v42, v43
	ds_read_b128 v[42:45], v102 offset:672
	v_fma_f32 v3, v4, v32, -v3
	v_add_f32_e32 v2, v2, v3
	v_mul_f32_e32 v3, v35, v39
	v_fma_f32 v3, v34, v38, -v3
	s_waitcnt lgkmcnt(0)
	v_mul_f32_e32 v51, v42, v47
	v_fmac_f32_e32 v51, v43, v46
	v_add_f32_e32 v50, v50, v51
	v_mul_f32_e32 v51, v44, v49
	v_fmac_f32_e32 v51, v45, v48
	v_add_f32_e32 v58, v50, v51
	ds_read_b128 v[50:53], v102 offset:688
	v_add_f32_e32 v2, v2, v3
	v_mul_f32_e32 v3, v37, v41
	v_fma_f32 v3, v36, v40, -v3
	v_add_f32_e32 v2, v2, v3
	s_waitcnt lgkmcnt(0)
	v_mul_f32_e32 v59, v50, v55
	v_fmac_f32_e32 v59, v51, v54
	v_add_f32_e32 v58, v58, v59
	v_mul_f32_e32 v59, v52, v57
	v_fmac_f32_e32 v59, v53, v56
	v_add_f32_e32 v66, v58, v59
	ds_read_b128 v[58:61], v102 offset:704
	v_mul_f32_e32 v3, v43, v47
	v_fma_f32 v3, v42, v46, -v3
	v_add_f32_e32 v2, v2, v3
	v_mul_f32_e32 v3, v45, v49
	s_waitcnt lgkmcnt(0)
	v_mul_f32_e32 v67, v58, v63
	v_fmac_f32_e32 v67, v59, v62
	v_add_f32_e32 v66, v66, v67
	v_mul_f32_e32 v67, v60, v65
	v_fmac_f32_e32 v67, v61, v64
	v_add_f32_e32 v74, v66, v67
	ds_read_b128 v[66:69], v102 offset:720
	v_fma_f32 v3, v44, v48, -v3
	v_add_f32_e32 v2, v2, v3
	v_mul_f32_e32 v3, v51, v55
	v_fma_f32 v3, v50, v54, -v3
	s_waitcnt lgkmcnt(0)
	v_mul_f32_e32 v75, v66, v71
	v_fmac_f32_e32 v75, v67, v70
	v_add_f32_e32 v74, v74, v75
	v_mul_f32_e32 v75, v68, v73
	v_fmac_f32_e32 v75, v69, v72
	v_add_f32_e32 v82, v74, v75
	ds_read_b128 v[74:77], v102 offset:736
	v_add_f32_e32 v2, v2, v3
	v_mul_f32_e32 v3, v53, v57
	v_fma_f32 v3, v52, v56, -v3
	v_add_f32_e32 v2, v2, v3
	s_waitcnt lgkmcnt(0)
	v_mul_f32_e32 v83, v74, v79
	v_fmac_f32_e32 v83, v75, v78
	v_add_f32_e32 v82, v82, v83
	v_mul_f32_e32 v83, v76, v81
	v_fmac_f32_e32 v83, v77, v80
	v_add_f32_e32 v90, v82, v83
	ds_read_b128 v[82:85], v102 offset:752
	v_mul_f32_e32 v3, v59, v63
	v_fma_f32 v3, v58, v62, -v3
	v_add_f32_e32 v2, v2, v3
	v_mul_f32_e32 v3, v61, v65
	;; [unrolled: 36-line block ×3, first 2 shown]
	s_waitcnt lgkmcnt(0)
	v_mul_f32_e32 v116, v108, v113
	v_fmac_f32_e32 v116, v109, v112
	v_add_f32_e32 v103, v103, v116
	v_mul_f32_e32 v116, v110, v115
	v_fmac_f32_e32 v116, v111, v114
	v_add_f32_e32 v103, v103, v116
	ds_read_b128 v[116:119], v102 offset:816
	v_fma_f32 v3, v76, v80, -v3
	v_add_f32_e32 v2, v2, v3
	v_mul_f32_e32 v3, v83, v87
	v_fma_f32 v3, v82, v86, -v3
	s_waitcnt lgkmcnt(0)
	v_mul_f32_e32 v124, v116, v121
	v_fmac_f32_e32 v124, v117, v120
	v_add_f32_e32 v103, v103, v124
	v_mul_f32_e32 v124, v118, v123
	v_fmac_f32_e32 v124, v119, v122
	v_add_f32_e32 v103, v103, v124
	ds_read_b128 v[124:127], v102 offset:832
	v_add_f32_e32 v2, v2, v3
	v_mul_f32_e32 v3, v85, v89
	v_fma_f32 v3, v84, v88, -v3
	v_add_f32_e32 v2, v2, v3
	s_waitcnt lgkmcnt(0)
	v_mul_f32_e32 v132, v124, v129
	v_fmac_f32_e32 v132, v125, v128
	v_add_f32_e32 v149, v103, v132
	ds_read_b128 v[132:135], v102 offset:848
	scratch_load_dwordx4 v[140:143], off, off offset:400
	scratch_load_dwordx4 v[144:147], off, off offset:416
	;; [unrolled: 1-line block ×3, first 2 shown]
	scratch_load_dwordx2 v[166:167], off, off offset:448
	v_mul_f32_e32 v3, v91, v95
	v_fma_f32 v3, v90, v94, -v3
	v_add_f32_e32 v2, v2, v3
	v_mul_f32_e32 v3, v93, v97
	v_fma_f32 v3, v92, v96, -v3
	v_add_f32_e32 v2, v2, v3
	;; [unrolled: 3-line block ×9, first 2 shown]
	v_mul_f32_e32 v2, v127, v131
	v_mul_f32_e32 v163, v126, v131
	v_fma_f32 v162, v126, v130, -v2
	s_waitcnt lgkmcnt(0)
	v_mul_f32_e32 v2, v133, v137
	v_fmac_f32_e32 v163, v127, v130
	v_mul_f32_e32 v165, v132, v137
	v_fma_f32 v164, v132, v136, -v2
	ds_read_b128 v[2:5], v102 offset:864
	ds_read_b128 v[6:9], v102 offset:880
	;; [unrolled: 1-line block ×3, first 2 shown]
	ds_read_b64 v[14:15], v102 offset:912
	v_pk_mul_f32 v[18:19], v[134:135], v[18:19] op_sel:[1,0] op_sel_hi:[0,0]
	v_fmac_f32_e32 v165, v133, v136
	v_pk_add_f32 v[16:17], v[148:149], v[162:163]
	v_pk_fma_f32 v[20:21], v[134:135], v[138:139], v[18:19] neg_lo:[0,0,1] neg_hi:[0,0,1]
	v_pk_fma_f32 v[18:19], v[134:135], v[138:139], v[18:19] op_sel_hi:[1,0,1]
	v_pk_add_f32 v[16:17], v[16:17], v[164:165]
	v_mov_b32_e32 v21, v19
	v_pk_add_f32 v[16:17], v[16:17], v[20:21]
	s_waitcnt vmcnt(3) lgkmcnt(3)
	v_pk_mul_f32 v[18:19], v[2:3], v[140:141] op_sel:[1,1] op_sel_hi:[0,1]
	v_pk_fma_f32 v[20:21], v[2:3], v[140:141], v[18:19] neg_lo:[0,0,1] neg_hi:[0,0,1]
	v_pk_fma_f32 v[2:3], v[2:3], v[140:141], v[18:19] op_sel_hi:[1,0,1]
	s_nop 0
	v_mov_b32_e32 v21, v3
	v_pk_add_f32 v[2:3], v[16:17], v[20:21]
	v_mov_b32_e32 v16, v143
	v_pk_mul_f32 v[16:17], v[4:5], v[16:17] op_sel:[1,0] op_sel_hi:[0,0]
	v_pk_fma_f32 v[18:19], v[4:5], v[142:143], v[16:17] neg_lo:[0,0,1] neg_hi:[0,0,1]
	v_pk_fma_f32 v[4:5], v[4:5], v[142:143], v[16:17] op_sel_hi:[1,0,1]
	s_nop 0
	v_mov_b32_e32 v19, v5
	s_waitcnt vmcnt(2) lgkmcnt(2)
	v_pk_mul_f32 v[4:5], v[6:7], v[144:145] op_sel:[1,1] op_sel_hi:[0,1]
	v_pk_fma_f32 v[16:17], v[6:7], v[144:145], v[4:5] neg_lo:[0,0,1] neg_hi:[0,0,1]
	v_pk_fma_f32 v[4:5], v[6:7], v[144:145], v[4:5] op_sel_hi:[1,0,1]
	v_pk_add_f32 v[2:3], v[2:3], v[18:19]
	v_mov_b32_e32 v4, v147
	v_mov_b32_e32 v17, v5
	v_pk_mul_f32 v[4:5], v[8:9], v[4:5] op_sel:[1,0] op_sel_hi:[0,0]
	v_pk_fma_f32 v[6:7], v[8:9], v[146:147], v[4:5] neg_lo:[0,0,1] neg_hi:[0,0,1]
	v_pk_fma_f32 v[4:5], v[8:9], v[146:147], v[4:5] op_sel_hi:[1,0,1]
	v_pk_add_f32 v[2:3], v[2:3], v[16:17]
	v_mov_b32_e32 v7, v5
	s_waitcnt vmcnt(1) lgkmcnt(1)
	v_pk_mul_f32 v[4:5], v[10:11], v[158:159] op_sel:[1,1] op_sel_hi:[0,1]
	v_pk_add_f32 v[2:3], v[2:3], v[6:7]
	v_pk_fma_f32 v[6:7], v[10:11], v[158:159], v[4:5] neg_lo:[0,0,1] neg_hi:[0,0,1]
	v_pk_fma_f32 v[4:5], v[10:11], v[158:159], v[4:5] op_sel_hi:[1,0,1]
	s_nop 0
	v_mov_b32_e32 v4, v161
	v_mov_b32_e32 v7, v5
	v_pk_mul_f32 v[4:5], v[12:13], v[4:5] op_sel:[1,0] op_sel_hi:[0,0]
	v_pk_add_f32 v[2:3], v[2:3], v[6:7]
	v_pk_fma_f32 v[6:7], v[12:13], v[160:161], v[4:5] neg_lo:[0,0,1] neg_hi:[0,0,1]
	v_pk_fma_f32 v[4:5], v[12:13], v[160:161], v[4:5] op_sel_hi:[1,0,1]
	s_nop 0
	v_mov_b32_e32 v7, v5
	s_waitcnt vmcnt(0) lgkmcnt(0)
	v_pk_mul_f32 v[4:5], v[14:15], v[166:167] op_sel:[1,1] op_sel_hi:[0,1]
	v_pk_add_f32 v[2:3], v[2:3], v[6:7]
	v_pk_fma_f32 v[6:7], v[14:15], v[166:167], v[4:5] neg_lo:[0,0,1] neg_hi:[0,0,1]
	v_pk_fma_f32 v[4:5], v[14:15], v[166:167], v[4:5] op_sel_hi:[1,0,1]
	s_nop 0
	v_mov_b32_e32 v7, v5
	scratch_load_dwordx2 v[4:5], off, off offset:120
	v_pk_add_f32 v[2:3], v[2:3], v[6:7]
	s_waitcnt vmcnt(0)
	v_pk_add_f32 v[2:3], v[4:5], v[2:3] neg_lo:[0,1] neg_hi:[0,1]
	scratch_store_dwordx2 off, v[2:3], off offset:120
	s_and_saveexec_b64 s[0:1], vcc
	s_cbranch_execz .LBB56_327
; %bb.326:
	scratch_load_dwordx2 v[2:3], off, off offset:112
	v_mov_b32_e32 v103, v102
	scratch_store_dwordx2 off, v[102:103], off offset:112
	s_waitcnt vmcnt(1)
	ds_write_b64 v1, v[2:3]
.LBB56_327:
	s_or_b64 exec, exec, s[0:1]
	s_waitcnt lgkmcnt(0)
	; wave barrier
	scratch_load_dwordx4 v[6:9], off, off offset:120
	scratch_load_dwordx4 v[14:17], off, off offset:136
	;; [unrolled: 1-line block ×10, first 2 shown]
	ds_read2_b64 v[2:5], v102 offset0:73 offset1:74
	scratch_load_dwordx4 v[86:89], off, off offset:280
	scratch_load_dwordx4 v[94:97], off, off offset:296
	;; [unrolled: 1-line block ×7, first 2 shown]
	v_cmp_lt_u32_e32 vcc, 13, v0
	s_waitcnt vmcnt(16) lgkmcnt(0)
	v_mul_f32_e32 v10, v2, v7
	v_fmac_f32_e32 v10, v3, v6
	v_mul_f32_e32 v11, v4, v9
	v_add_f32_e32 v10, 0, v10
	v_fmac_f32_e32 v11, v5, v8
	v_add_f32_e32 v18, v10, v11
	ds_read2_b64 v[10:13], v102 offset0:75 offset1:76
	v_mul_f32_e32 v3, v3, v7
	v_fma_f32 v2, v2, v6, -v3
	v_mul_f32_e32 v3, v5, v9
	v_add_f32_e32 v2, 0, v2
	s_waitcnt vmcnt(15) lgkmcnt(0)
	v_mul_f32_e32 v19, v10, v15
	v_fmac_f32_e32 v19, v11, v14
	v_add_f32_e32 v18, v18, v19
	v_mul_f32_e32 v19, v12, v17
	v_fmac_f32_e32 v19, v13, v16
	v_add_f32_e32 v26, v18, v19
	ds_read2_b64 v[18:21], v102 offset0:77 offset1:78
	v_fma_f32 v3, v4, v8, -v3
	v_add_f32_e32 v2, v2, v3
	v_mul_f32_e32 v3, v11, v15
	v_fma_f32 v3, v10, v14, -v3
	s_waitcnt vmcnt(14) lgkmcnt(0)
	v_mul_f32_e32 v27, v18, v23
	v_fmac_f32_e32 v27, v19, v22
	v_add_f32_e32 v26, v26, v27
	v_mul_f32_e32 v27, v20, v25
	v_fmac_f32_e32 v27, v21, v24
	v_add_f32_e32 v34, v26, v27
	ds_read2_b64 v[26:29], v102 offset0:79 offset1:80
	v_add_f32_e32 v2, v2, v3
	v_mul_f32_e32 v3, v13, v17
	v_fma_f32 v3, v12, v16, -v3
	v_add_f32_e32 v2, v2, v3
	s_waitcnt vmcnt(13) lgkmcnt(0)
	v_mul_f32_e32 v35, v26, v31
	v_fmac_f32_e32 v35, v27, v30
	v_add_f32_e32 v34, v34, v35
	v_mul_f32_e32 v35, v28, v33
	v_fmac_f32_e32 v35, v29, v32
	v_add_f32_e32 v42, v34, v35
	ds_read2_b64 v[34:37], v102 offset0:81 offset1:82
	v_mul_f32_e32 v3, v19, v23
	v_fma_f32 v3, v18, v22, -v3
	v_add_f32_e32 v2, v2, v3
	v_mul_f32_e32 v3, v21, v25
	s_waitcnt vmcnt(12) lgkmcnt(0)
	v_mul_f32_e32 v43, v34, v39
	v_fmac_f32_e32 v43, v35, v38
	v_add_f32_e32 v42, v42, v43
	v_mul_f32_e32 v43, v36, v41
	v_fmac_f32_e32 v43, v37, v40
	v_add_f32_e32 v50, v42, v43
	ds_read2_b64 v[42:45], v102 offset0:83 offset1:84
	v_fma_f32 v3, v20, v24, -v3
	v_add_f32_e32 v2, v2, v3
	v_mul_f32_e32 v3, v27, v31
	v_fma_f32 v3, v26, v30, -v3
	s_waitcnt vmcnt(11) lgkmcnt(0)
	v_mul_f32_e32 v51, v42, v47
	v_fmac_f32_e32 v51, v43, v46
	v_add_f32_e32 v50, v50, v51
	v_mul_f32_e32 v51, v44, v49
	v_fmac_f32_e32 v51, v45, v48
	v_add_f32_e32 v58, v50, v51
	ds_read2_b64 v[50:53], v102 offset0:85 offset1:86
	v_add_f32_e32 v2, v2, v3
	v_mul_f32_e32 v3, v29, v33
	v_fma_f32 v3, v28, v32, -v3
	v_add_f32_e32 v2, v2, v3
	s_waitcnt vmcnt(10) lgkmcnt(0)
	v_mul_f32_e32 v59, v50, v55
	v_fmac_f32_e32 v59, v51, v54
	v_add_f32_e32 v58, v58, v59
	v_mul_f32_e32 v59, v52, v57
	v_fmac_f32_e32 v59, v53, v56
	v_add_f32_e32 v66, v58, v59
	ds_read2_b64 v[58:61], v102 offset0:87 offset1:88
	v_mul_f32_e32 v3, v35, v39
	v_fma_f32 v3, v34, v38, -v3
	v_add_f32_e32 v2, v2, v3
	v_mul_f32_e32 v3, v37, v41
	;; [unrolled: 36-line block ×4, first 2 shown]
	s_waitcnt vmcnt(3) lgkmcnt(0)
	v_mul_f32_e32 v116, v108, v113
	v_fmac_f32_e32 v116, v109, v112
	v_add_f32_e32 v103, v103, v116
	v_mul_f32_e32 v116, v110, v115
	v_fmac_f32_e32 v116, v111, v114
	v_add_f32_e32 v103, v103, v116
	ds_read2_b64 v[116:119], v102 offset0:101 offset1:102
	v_fma_f32 v3, v68, v72, -v3
	v_add_f32_e32 v2, v2, v3
	v_mul_f32_e32 v3, v75, v79
	v_fma_f32 v3, v74, v78, -v3
	s_waitcnt vmcnt(2) lgkmcnt(0)
	v_mul_f32_e32 v124, v116, v121
	v_fmac_f32_e32 v124, v117, v120
	v_add_f32_e32 v103, v103, v124
	v_mul_f32_e32 v124, v118, v123
	v_fmac_f32_e32 v124, v119, v122
	v_add_f32_e32 v103, v103, v124
	ds_read2_b64 v[124:127], v102 offset0:103 offset1:104
	v_add_f32_e32 v2, v2, v3
	v_mul_f32_e32 v3, v77, v81
	v_fma_f32 v3, v76, v80, -v3
	v_add_f32_e32 v2, v2, v3
	s_waitcnt vmcnt(1) lgkmcnt(0)
	v_mul_f32_e32 v132, v124, v129
	v_fmac_f32_e32 v132, v125, v128
	v_add_f32_e32 v103, v103, v132
	v_mul_f32_e32 v132, v126, v131
	v_fmac_f32_e32 v132, v127, v130
	v_add_f32_e32 v149, v103, v132
	ds_read2_b64 v[132:135], v102 offset0:105 offset1:106
	scratch_load_dwordx4 v[140:143], off, off offset:392
	scratch_load_dwordx4 v[144:147], off, off offset:408
	scratch_load_dwordx4 v[158:161], off, off offset:424
	scratch_load_dwordx4 v[162:165], off, off offset:440
	v_mul_f32_e32 v3, v83, v87
	v_fma_f32 v3, v82, v86, -v3
	v_add_f32_e32 v2, v2, v3
	v_mul_f32_e32 v3, v85, v89
	v_fma_f32 v3, v84, v88, -v3
	v_add_f32_e32 v2, v2, v3
	v_mul_f32_e32 v3, v91, v95
	v_fma_f32 v3, v90, v94, -v3
	v_add_f32_e32 v2, v2, v3
	v_mul_f32_e32 v3, v93, v97
	v_fma_f32 v3, v92, v96, -v3
	v_add_f32_e32 v2, v2, v3
	v_mul_f32_e32 v3, v99, v105
	v_fma_f32 v3, v98, v104, -v3
	v_add_f32_e32 v2, v2, v3
	v_mul_f32_e32 v3, v101, v107
	v_fma_f32 v3, v100, v106, -v3
	v_add_f32_e32 v2, v2, v3
	v_mul_f32_e32 v3, v109, v113
	v_fma_f32 v3, v108, v112, -v3
	v_add_f32_e32 v2, v2, v3
	v_mul_f32_e32 v3, v111, v115
	v_fma_f32 v3, v110, v114, -v3
	v_add_f32_e32 v2, v2, v3
	v_mul_f32_e32 v3, v117, v121
	v_fma_f32 v3, v116, v120, -v3
	v_add_f32_e32 v2, v2, v3
	v_mul_f32_e32 v3, v119, v123
	v_fma_f32 v3, v118, v122, -v3
	v_add_f32_e32 v2, v2, v3
	v_mul_f32_e32 v3, v125, v129
	v_fma_f32 v3, v124, v128, -v3
	v_add_f32_e32 v2, v2, v3
	v_mul_f32_e32 v3, v127, v131
	v_fma_f32 v3, v126, v130, -v3
	v_add_f32_e32 v148, v2, v3
	s_waitcnt vmcnt(4) lgkmcnt(0)
	v_mul_f32_e32 v2, v133, v137
	v_fma_f32 v166, v132, v136, -v2
	v_mul_f32_e32 v2, v135, v139
	v_fma_f32 v168, v134, v138, -v2
	ds_read2_b64 v[2:5], v102 offset0:107 offset1:108
	ds_read2_b64 v[6:9], v102 offset0:109 offset1:110
	;; [unrolled: 1-line block ×4, first 2 shown]
	v_mul_f32_e32 v167, v132, v137
	v_fmac_f32_e32 v167, v133, v136
	v_mul_f32_e32 v169, v134, v139
	v_fmac_f32_e32 v169, v135, v138
	v_pk_add_f32 v[18:19], v[148:149], v[166:167]
	s_waitcnt vmcnt(3) lgkmcnt(3)
	v_pk_mul_f32 v[20:21], v[2:3], v[140:141] op_sel:[1,1] op_sel_hi:[0,1]
	v_pk_fma_f32 v[22:23], v[2:3], v[140:141], v[20:21] neg_lo:[0,0,1] neg_hi:[0,0,1]
	v_pk_fma_f32 v[2:3], v[2:3], v[140:141], v[20:21] op_sel_hi:[1,0,1]
	v_pk_add_f32 v[18:19], v[18:19], v[168:169]
	v_mov_b32_e32 v23, v3
	v_pk_add_f32 v[2:3], v[18:19], v[22:23]
	v_mov_b32_e32 v18, v143
	v_pk_mul_f32 v[18:19], v[4:5], v[18:19] op_sel:[1,0] op_sel_hi:[0,0]
	v_pk_fma_f32 v[20:21], v[4:5], v[142:143], v[18:19] neg_lo:[0,0,1] neg_hi:[0,0,1]
	v_pk_fma_f32 v[4:5], v[4:5], v[142:143], v[18:19] op_sel_hi:[1,0,1]
	s_nop 0
	v_mov_b32_e32 v21, v5
	s_waitcnt vmcnt(2) lgkmcnt(2)
	v_pk_mul_f32 v[4:5], v[6:7], v[144:145] op_sel:[1,1] op_sel_hi:[0,1]
	v_pk_fma_f32 v[18:19], v[6:7], v[144:145], v[4:5] neg_lo:[0,0,1] neg_hi:[0,0,1]
	v_pk_fma_f32 v[4:5], v[6:7], v[144:145], v[4:5] op_sel_hi:[1,0,1]
	v_pk_add_f32 v[2:3], v[2:3], v[20:21]
	v_mov_b32_e32 v4, v147
	v_mov_b32_e32 v19, v5
	v_pk_mul_f32 v[4:5], v[8:9], v[4:5] op_sel:[1,0] op_sel_hi:[0,0]
	v_pk_fma_f32 v[6:7], v[8:9], v[146:147], v[4:5] neg_lo:[0,0,1] neg_hi:[0,0,1]
	v_pk_fma_f32 v[4:5], v[8:9], v[146:147], v[4:5] op_sel_hi:[1,0,1]
	v_pk_add_f32 v[2:3], v[2:3], v[18:19]
	v_mov_b32_e32 v7, v5
	s_waitcnt vmcnt(1) lgkmcnt(1)
	v_pk_mul_f32 v[4:5], v[10:11], v[158:159] op_sel:[1,1] op_sel_hi:[0,1]
	v_pk_add_f32 v[2:3], v[2:3], v[6:7]
	v_pk_fma_f32 v[6:7], v[10:11], v[158:159], v[4:5] neg_lo:[0,0,1] neg_hi:[0,0,1]
	v_pk_fma_f32 v[4:5], v[10:11], v[158:159], v[4:5] op_sel_hi:[1,0,1]
	s_nop 0
	v_mov_b32_e32 v4, v161
	v_mov_b32_e32 v7, v5
	v_pk_mul_f32 v[4:5], v[12:13], v[4:5] op_sel:[1,0] op_sel_hi:[0,0]
	v_pk_add_f32 v[2:3], v[2:3], v[6:7]
	v_pk_fma_f32 v[6:7], v[12:13], v[160:161], v[4:5] neg_lo:[0,0,1] neg_hi:[0,0,1]
	v_pk_fma_f32 v[4:5], v[12:13], v[160:161], v[4:5] op_sel_hi:[1,0,1]
	s_nop 0
	v_mov_b32_e32 v7, v5
	s_waitcnt vmcnt(0) lgkmcnt(0)
	v_pk_mul_f32 v[4:5], v[14:15], v[162:163] op_sel:[1,1] op_sel_hi:[0,1]
	v_pk_add_f32 v[2:3], v[2:3], v[6:7]
	v_pk_fma_f32 v[6:7], v[14:15], v[162:163], v[4:5] neg_lo:[0,0,1] neg_hi:[0,0,1]
	v_pk_fma_f32 v[4:5], v[14:15], v[162:163], v[4:5] op_sel_hi:[1,0,1]
	s_nop 0
	v_mov_b32_e32 v4, v165
	v_mov_b32_e32 v7, v5
	v_pk_mul_f32 v[4:5], v[16:17], v[4:5] op_sel:[1,0] op_sel_hi:[0,0]
	v_pk_add_f32 v[2:3], v[2:3], v[6:7]
	v_pk_fma_f32 v[6:7], v[16:17], v[164:165], v[4:5] neg_lo:[0,0,1] neg_hi:[0,0,1]
	v_pk_fma_f32 v[4:5], v[16:17], v[164:165], v[4:5] op_sel_hi:[1,0,1]
	s_nop 0
	v_mov_b32_e32 v7, v5
	scratch_load_dwordx2 v[4:5], off, off offset:112
	v_pk_add_f32 v[2:3], v[2:3], v[6:7]
	s_waitcnt vmcnt(0)
	v_pk_add_f32 v[2:3], v[4:5], v[2:3] neg_lo:[0,1] neg_hi:[0,1]
	scratch_store_dwordx2 off, v[2:3], off offset:112
	s_and_saveexec_b64 s[0:1], vcc
	s_cbranch_execz .LBB56_329
; %bb.328:
	scratch_load_dwordx2 v[2:3], off, off offset:104
	v_mov_b32_e32 v4, 0
	v_mov_b32_e32 v5, v4
	scratch_store_dwordx2 off, v[4:5], off offset:104
	s_waitcnt vmcnt(1)
	ds_write_b64 v1, v[2:3]
.LBB56_329:
	s_or_b64 exec, exec, s[0:1]
	v_mov_b32_e32 v102, 0
	s_waitcnt lgkmcnt(0)
	; wave barrier
	ds_read_b128 v[14:17], v102 offset:576
	ds_read_b128 v[10:13], v102 offset:592
	;; [unrolled: 1-line block ×4, first 2 shown]
	scratch_load_dwordx4 v[18:21], off, off offset:112
	scratch_load_dwordx4 v[38:41], off, off offset:176
	;; [unrolled: 1-line block ×12, first 2 shown]
	v_cmp_lt_u32_e32 vcc, 12, v0
	scratch_load_dwordx4 v[46:49], off, off offset:192
	scratch_load_dwordx4 v[54:57], off, off offset:208
	;; [unrolled: 1-line block ×3, first 2 shown]
	s_waitcnt vmcnt(14) lgkmcnt(3)
	v_mul_f32_e32 v22, v14, v19
	v_fmac_f32_e32 v22, v15, v18
	v_mul_f32_e32 v23, v16, v21
	v_add_f32_e32 v22, 0, v22
	v_fmac_f32_e32 v23, v17, v20
	v_add_f32_e32 v26, v22, v23
	scratch_load_dwordx4 v[22:25], off, off offset:128
	v_mul_f32_e32 v15, v15, v19
	v_fma_f32 v14, v14, v18, -v15
	v_mul_f32_e32 v15, v17, v21
	v_add_f32_e32 v14, 0, v14
	v_fma_f32 v15, v16, v20, -v15
	v_add_f32_e32 v14, v14, v15
	s_waitcnt vmcnt(4)
	v_mov_b32_e32 v18, v147
	s_waitcnt vmcnt(0) lgkmcnt(2)
	v_mul_f32_e32 v27, v10, v23
	v_fmac_f32_e32 v27, v11, v22
	v_add_f32_e32 v26, v26, v27
	v_mul_f32_e32 v27, v12, v25
	v_fmac_f32_e32 v27, v13, v24
	v_add_f32_e32 v30, v26, v27
	scratch_load_dwordx4 v[26:29], off, off offset:144
	v_mul_f32_e32 v11, v11, v23
	v_fma_f32 v10, v10, v22, -v11
	v_mul_f32_e32 v11, v13, v25
	v_add_f32_e32 v10, v14, v10
	v_fma_f32 v11, v12, v24, -v11
	v_add_f32_e32 v10, v10, v11
	s_waitcnt vmcnt(0) lgkmcnt(1)
	v_mul_f32_e32 v31, v6, v27
	v_fmac_f32_e32 v31, v7, v26
	v_add_f32_e32 v30, v30, v31
	v_mul_f32_e32 v31, v8, v29
	v_fmac_f32_e32 v31, v9, v28
	v_add_f32_e32 v34, v30, v31
	scratch_load_dwordx4 v[30:33], off, off offset:160
	v_mul_f32_e32 v7, v7, v27
	v_fma_f32 v6, v6, v26, -v7
	v_mul_f32_e32 v7, v9, v29
	v_add_f32_e32 v6, v10, v6
	v_fma_f32 v7, v8, v28, -v7
	v_add_f32_e32 v6, v6, v7
	s_waitcnt vmcnt(0) lgkmcnt(0)
	v_mul_f32_e32 v35, v2, v31
	v_fmac_f32_e32 v35, v3, v30
	v_add_f32_e32 v34, v34, v35
	v_mul_f32_e32 v35, v4, v33
	v_fmac_f32_e32 v35, v5, v32
	v_add_f32_e32 v42, v34, v35
	ds_read_b128 v[34:37], v102 offset:640
	v_mul_f32_e32 v3, v3, v31
	v_fma_f32 v2, v2, v30, -v3
	v_mul_f32_e32 v3, v5, v33
	v_add_f32_e32 v2, v6, v2
	s_waitcnt lgkmcnt(0)
	v_mul_f32_e32 v43, v34, v39
	v_fmac_f32_e32 v43, v35, v38
	v_add_f32_e32 v42, v42, v43
	v_mul_f32_e32 v43, v36, v41
	v_fmac_f32_e32 v43, v37, v40
	v_add_f32_e32 v50, v42, v43
	ds_read_b128 v[42:45], v102 offset:656
	v_fma_f32 v3, v4, v32, -v3
	v_add_f32_e32 v2, v2, v3
	v_mul_f32_e32 v3, v35, v39
	v_fma_f32 v3, v34, v38, -v3
	s_waitcnt lgkmcnt(0)
	v_mul_f32_e32 v51, v42, v47
	v_fmac_f32_e32 v51, v43, v46
	v_add_f32_e32 v50, v50, v51
	v_mul_f32_e32 v51, v44, v49
	v_fmac_f32_e32 v51, v45, v48
	v_add_f32_e32 v58, v50, v51
	ds_read_b128 v[50:53], v102 offset:672
	v_add_f32_e32 v2, v2, v3
	v_mul_f32_e32 v3, v37, v41
	v_fma_f32 v3, v36, v40, -v3
	v_add_f32_e32 v2, v2, v3
	s_waitcnt lgkmcnt(0)
	v_mul_f32_e32 v59, v50, v55
	v_fmac_f32_e32 v59, v51, v54
	v_add_f32_e32 v58, v58, v59
	v_mul_f32_e32 v59, v52, v57
	v_fmac_f32_e32 v59, v53, v56
	v_add_f32_e32 v66, v58, v59
	ds_read_b128 v[58:61], v102 offset:688
	v_mul_f32_e32 v3, v43, v47
	v_fma_f32 v3, v42, v46, -v3
	v_add_f32_e32 v2, v2, v3
	v_mul_f32_e32 v3, v45, v49
	s_waitcnt lgkmcnt(0)
	v_mul_f32_e32 v67, v58, v63
	v_fmac_f32_e32 v67, v59, v62
	v_add_f32_e32 v66, v66, v67
	v_mul_f32_e32 v67, v60, v65
	v_fmac_f32_e32 v67, v61, v64
	v_add_f32_e32 v74, v66, v67
	ds_read_b128 v[66:69], v102 offset:704
	v_fma_f32 v3, v44, v48, -v3
	v_add_f32_e32 v2, v2, v3
	v_mul_f32_e32 v3, v51, v55
	v_fma_f32 v3, v50, v54, -v3
	s_waitcnt lgkmcnt(0)
	v_mul_f32_e32 v75, v66, v71
	v_fmac_f32_e32 v75, v67, v70
	v_add_f32_e32 v74, v74, v75
	v_mul_f32_e32 v75, v68, v73
	v_fmac_f32_e32 v75, v69, v72
	v_add_f32_e32 v82, v74, v75
	ds_read_b128 v[74:77], v102 offset:720
	v_add_f32_e32 v2, v2, v3
	v_mul_f32_e32 v3, v53, v57
	v_fma_f32 v3, v52, v56, -v3
	v_add_f32_e32 v2, v2, v3
	s_waitcnt lgkmcnt(0)
	v_mul_f32_e32 v83, v74, v79
	v_fmac_f32_e32 v83, v75, v78
	v_add_f32_e32 v82, v82, v83
	v_mul_f32_e32 v83, v76, v81
	v_fmac_f32_e32 v83, v77, v80
	v_add_f32_e32 v90, v82, v83
	ds_read_b128 v[82:85], v102 offset:736
	v_mul_f32_e32 v3, v59, v63
	v_fma_f32 v3, v58, v62, -v3
	v_add_f32_e32 v2, v2, v3
	v_mul_f32_e32 v3, v61, v65
	;; [unrolled: 36-line block ×4, first 2 shown]
	s_waitcnt lgkmcnt(0)
	v_mul_f32_e32 v140, v132, v137
	v_fmac_f32_e32 v140, v133, v136
	v_add_f32_e32 v149, v103, v140
	ds_read_b128 v[140:143], v102 offset:848
	scratch_load_dwordx4 v[158:161], off, off offset:400
	scratch_load_dwordx4 v[162:165], off, off offset:416
	;; [unrolled: 1-line block ×3, first 2 shown]
	scratch_load_dwordx2 v[174:175], off, off offset:448
	v_fma_f32 v3, v92, v96, -v3
	v_add_f32_e32 v2, v2, v3
	v_mul_f32_e32 v3, v99, v105
	v_fma_f32 v3, v98, v104, -v3
	v_add_f32_e32 v2, v2, v3
	v_mul_f32_e32 v3, v101, v107
	;; [unrolled: 3-line block ×10, first 2 shown]
	v_mul_f32_e32 v171, v134, v139
	v_fma_f32 v170, v134, v138, -v2
	s_waitcnt lgkmcnt(0)
	v_mul_f32_e32 v2, v141, v145
	v_fmac_f32_e32 v171, v135, v138
	v_mul_f32_e32 v173, v140, v145
	v_fma_f32 v172, v140, v144, -v2
	ds_read_b128 v[2:5], v102 offset:864
	ds_read_b128 v[6:9], v102 offset:880
	;; [unrolled: 1-line block ×3, first 2 shown]
	ds_read_b64 v[14:15], v102 offset:912
	v_pk_mul_f32 v[18:19], v[142:143], v[18:19] op_sel:[1,0] op_sel_hi:[0,0]
	v_fmac_f32_e32 v173, v141, v144
	v_pk_add_f32 v[16:17], v[148:149], v[170:171]
	v_pk_fma_f32 v[20:21], v[142:143], v[146:147], v[18:19] neg_lo:[0,0,1] neg_hi:[0,0,1]
	v_pk_fma_f32 v[18:19], v[142:143], v[146:147], v[18:19] op_sel_hi:[1,0,1]
	v_pk_add_f32 v[16:17], v[16:17], v[172:173]
	v_mov_b32_e32 v21, v19
	v_pk_add_f32 v[16:17], v[16:17], v[20:21]
	s_waitcnt vmcnt(3) lgkmcnt(3)
	v_pk_mul_f32 v[18:19], v[2:3], v[158:159] op_sel:[1,1] op_sel_hi:[0,1]
	v_pk_fma_f32 v[20:21], v[2:3], v[158:159], v[18:19] neg_lo:[0,0,1] neg_hi:[0,0,1]
	v_pk_fma_f32 v[2:3], v[2:3], v[158:159], v[18:19] op_sel_hi:[1,0,1]
	s_nop 0
	v_mov_b32_e32 v21, v3
	v_pk_add_f32 v[2:3], v[16:17], v[20:21]
	v_mov_b32_e32 v16, v161
	v_pk_mul_f32 v[16:17], v[4:5], v[16:17] op_sel:[1,0] op_sel_hi:[0,0]
	v_pk_fma_f32 v[18:19], v[4:5], v[160:161], v[16:17] neg_lo:[0,0,1] neg_hi:[0,0,1]
	v_pk_fma_f32 v[4:5], v[4:5], v[160:161], v[16:17] op_sel_hi:[1,0,1]
	s_nop 0
	v_mov_b32_e32 v19, v5
	s_waitcnt vmcnt(2) lgkmcnt(2)
	v_pk_mul_f32 v[4:5], v[6:7], v[162:163] op_sel:[1,1] op_sel_hi:[0,1]
	v_pk_fma_f32 v[16:17], v[6:7], v[162:163], v[4:5] neg_lo:[0,0,1] neg_hi:[0,0,1]
	v_pk_fma_f32 v[4:5], v[6:7], v[162:163], v[4:5] op_sel_hi:[1,0,1]
	v_pk_add_f32 v[2:3], v[2:3], v[18:19]
	v_mov_b32_e32 v4, v165
	v_mov_b32_e32 v17, v5
	v_pk_mul_f32 v[4:5], v[8:9], v[4:5] op_sel:[1,0] op_sel_hi:[0,0]
	v_pk_fma_f32 v[6:7], v[8:9], v[164:165], v[4:5] neg_lo:[0,0,1] neg_hi:[0,0,1]
	v_pk_fma_f32 v[4:5], v[8:9], v[164:165], v[4:5] op_sel_hi:[1,0,1]
	v_pk_add_f32 v[2:3], v[2:3], v[16:17]
	v_mov_b32_e32 v7, v5
	s_waitcnt vmcnt(1) lgkmcnt(1)
	v_pk_mul_f32 v[4:5], v[10:11], v[166:167] op_sel:[1,1] op_sel_hi:[0,1]
	v_pk_add_f32 v[2:3], v[2:3], v[6:7]
	v_pk_fma_f32 v[6:7], v[10:11], v[166:167], v[4:5] neg_lo:[0,0,1] neg_hi:[0,0,1]
	v_pk_fma_f32 v[4:5], v[10:11], v[166:167], v[4:5] op_sel_hi:[1,0,1]
	s_nop 0
	v_mov_b32_e32 v4, v169
	v_mov_b32_e32 v7, v5
	v_pk_mul_f32 v[4:5], v[12:13], v[4:5] op_sel:[1,0] op_sel_hi:[0,0]
	v_pk_add_f32 v[2:3], v[2:3], v[6:7]
	v_pk_fma_f32 v[6:7], v[12:13], v[168:169], v[4:5] neg_lo:[0,0,1] neg_hi:[0,0,1]
	v_pk_fma_f32 v[4:5], v[12:13], v[168:169], v[4:5] op_sel_hi:[1,0,1]
	s_nop 0
	v_mov_b32_e32 v7, v5
	s_waitcnt vmcnt(0) lgkmcnt(0)
	v_pk_mul_f32 v[4:5], v[14:15], v[174:175] op_sel:[1,1] op_sel_hi:[0,1]
	v_pk_add_f32 v[2:3], v[2:3], v[6:7]
	v_pk_fma_f32 v[6:7], v[14:15], v[174:175], v[4:5] neg_lo:[0,0,1] neg_hi:[0,0,1]
	v_pk_fma_f32 v[4:5], v[14:15], v[174:175], v[4:5] op_sel_hi:[1,0,1]
	s_nop 0
	v_mov_b32_e32 v7, v5
	scratch_load_dwordx2 v[4:5], off, off offset:104
	v_pk_add_f32 v[2:3], v[2:3], v[6:7]
	s_waitcnt vmcnt(0)
	v_pk_add_f32 v[2:3], v[4:5], v[2:3] neg_lo:[0,1] neg_hi:[0,1]
	scratch_store_dwordx2 off, v[2:3], off offset:104
	s_and_saveexec_b64 s[0:1], vcc
	s_cbranch_execz .LBB56_331
; %bb.330:
	scratch_load_dwordx2 v[2:3], off, off offset:96
	v_mov_b32_e32 v103, v102
	scratch_store_dwordx2 off, v[102:103], off offset:96
	s_waitcnt vmcnt(1)
	ds_write_b64 v1, v[2:3]
.LBB56_331:
	s_or_b64 exec, exec, s[0:1]
	s_waitcnt lgkmcnt(0)
	; wave barrier
	scratch_load_dwordx4 v[6:9], off, off offset:104
	scratch_load_dwordx4 v[14:17], off, off offset:120
	;; [unrolled: 1-line block ×10, first 2 shown]
	ds_read2_b64 v[2:5], v102 offset0:71 offset1:72
	scratch_load_dwordx4 v[86:89], off, off offset:264
	scratch_load_dwordx4 v[94:97], off, off offset:280
	;; [unrolled: 1-line block ×8, first 2 shown]
	v_cmp_lt_u32_e32 vcc, 11, v0
	s_waitcnt vmcnt(17) lgkmcnt(0)
	v_mul_f32_e32 v10, v2, v7
	v_fmac_f32_e32 v10, v3, v6
	v_mul_f32_e32 v11, v4, v9
	v_add_f32_e32 v10, 0, v10
	v_fmac_f32_e32 v11, v5, v8
	v_add_f32_e32 v18, v10, v11
	ds_read2_b64 v[10:13], v102 offset0:73 offset1:74
	v_mul_f32_e32 v3, v3, v7
	v_fma_f32 v2, v2, v6, -v3
	v_mul_f32_e32 v3, v5, v9
	v_add_f32_e32 v2, 0, v2
	s_waitcnt vmcnt(16) lgkmcnt(0)
	v_mul_f32_e32 v19, v10, v15
	v_fmac_f32_e32 v19, v11, v14
	v_add_f32_e32 v18, v18, v19
	v_mul_f32_e32 v19, v12, v17
	v_fmac_f32_e32 v19, v13, v16
	v_add_f32_e32 v26, v18, v19
	ds_read2_b64 v[18:21], v102 offset0:75 offset1:76
	v_fma_f32 v3, v4, v8, -v3
	v_add_f32_e32 v2, v2, v3
	v_mul_f32_e32 v3, v11, v15
	v_fma_f32 v3, v10, v14, -v3
	s_waitcnt vmcnt(15) lgkmcnt(0)
	v_mul_f32_e32 v27, v18, v23
	v_fmac_f32_e32 v27, v19, v22
	v_add_f32_e32 v26, v26, v27
	v_mul_f32_e32 v27, v20, v25
	v_fmac_f32_e32 v27, v21, v24
	v_add_f32_e32 v34, v26, v27
	ds_read2_b64 v[26:29], v102 offset0:77 offset1:78
	v_add_f32_e32 v2, v2, v3
	v_mul_f32_e32 v3, v13, v17
	v_fma_f32 v3, v12, v16, -v3
	v_add_f32_e32 v2, v2, v3
	s_waitcnt vmcnt(14) lgkmcnt(0)
	v_mul_f32_e32 v35, v26, v31
	v_fmac_f32_e32 v35, v27, v30
	v_add_f32_e32 v34, v34, v35
	v_mul_f32_e32 v35, v28, v33
	v_fmac_f32_e32 v35, v29, v32
	v_add_f32_e32 v42, v34, v35
	ds_read2_b64 v[34:37], v102 offset0:79 offset1:80
	v_mul_f32_e32 v3, v19, v23
	v_fma_f32 v3, v18, v22, -v3
	v_add_f32_e32 v2, v2, v3
	v_mul_f32_e32 v3, v21, v25
	s_waitcnt vmcnt(13) lgkmcnt(0)
	v_mul_f32_e32 v43, v34, v39
	v_fmac_f32_e32 v43, v35, v38
	v_add_f32_e32 v42, v42, v43
	v_mul_f32_e32 v43, v36, v41
	v_fmac_f32_e32 v43, v37, v40
	v_add_f32_e32 v50, v42, v43
	ds_read2_b64 v[42:45], v102 offset0:81 offset1:82
	v_fma_f32 v3, v20, v24, -v3
	v_add_f32_e32 v2, v2, v3
	v_mul_f32_e32 v3, v27, v31
	v_fma_f32 v3, v26, v30, -v3
	s_waitcnt vmcnt(12) lgkmcnt(0)
	v_mul_f32_e32 v51, v42, v47
	v_fmac_f32_e32 v51, v43, v46
	v_add_f32_e32 v50, v50, v51
	v_mul_f32_e32 v51, v44, v49
	v_fmac_f32_e32 v51, v45, v48
	v_add_f32_e32 v58, v50, v51
	ds_read2_b64 v[50:53], v102 offset0:83 offset1:84
	v_add_f32_e32 v2, v2, v3
	v_mul_f32_e32 v3, v29, v33
	v_fma_f32 v3, v28, v32, -v3
	v_add_f32_e32 v2, v2, v3
	s_waitcnt vmcnt(11) lgkmcnt(0)
	v_mul_f32_e32 v59, v50, v55
	v_fmac_f32_e32 v59, v51, v54
	v_add_f32_e32 v58, v58, v59
	v_mul_f32_e32 v59, v52, v57
	v_fmac_f32_e32 v59, v53, v56
	v_add_f32_e32 v66, v58, v59
	ds_read2_b64 v[58:61], v102 offset0:85 offset1:86
	v_mul_f32_e32 v3, v35, v39
	v_fma_f32 v3, v34, v38, -v3
	v_add_f32_e32 v2, v2, v3
	v_mul_f32_e32 v3, v37, v41
	;; [unrolled: 36-line block ×5, first 2 shown]
	s_waitcnt vmcnt(1) lgkmcnt(0)
	v_mul_f32_e32 v140, v132, v137
	v_fmac_f32_e32 v140, v133, v136
	v_add_f32_e32 v103, v103, v140
	v_mul_f32_e32 v140, v134, v139
	v_fmac_f32_e32 v140, v135, v138
	v_add_f32_e32 v149, v103, v140
	ds_read2_b64 v[140:143], v102 offset0:105 offset1:106
	scratch_load_dwordx4 v[158:161], off, off offset:392
	scratch_load_dwordx4 v[162:165], off, off offset:408
	;; [unrolled: 1-line block ×4, first 2 shown]
	v_fma_f32 v3, v84, v88, -v3
	v_add_f32_e32 v2, v2, v3
	v_mul_f32_e32 v3, v91, v95
	v_fma_f32 v3, v90, v94, -v3
	v_add_f32_e32 v2, v2, v3
	v_mul_f32_e32 v3, v93, v97
	;; [unrolled: 3-line block ×12, first 2 shown]
	v_fma_f32 v3, v134, v138, -v3
	v_add_f32_e32 v148, v2, v3
	s_waitcnt vmcnt(4) lgkmcnt(0)
	v_mul_f32_e32 v2, v141, v145
	v_fma_f32 v174, v140, v144, -v2
	v_mul_f32_e32 v2, v143, v147
	v_fma_f32 v176, v142, v146, -v2
	ds_read2_b64 v[2:5], v102 offset0:107 offset1:108
	ds_read2_b64 v[6:9], v102 offset0:109 offset1:110
	;; [unrolled: 1-line block ×4, first 2 shown]
	v_mul_f32_e32 v175, v140, v145
	v_fmac_f32_e32 v175, v141, v144
	v_mul_f32_e32 v177, v142, v147
	v_fmac_f32_e32 v177, v143, v146
	v_pk_add_f32 v[18:19], v[148:149], v[174:175]
	s_waitcnt vmcnt(3) lgkmcnt(3)
	v_pk_mul_f32 v[20:21], v[2:3], v[158:159] op_sel:[1,1] op_sel_hi:[0,1]
	v_pk_fma_f32 v[22:23], v[2:3], v[158:159], v[20:21] neg_lo:[0,0,1] neg_hi:[0,0,1]
	v_pk_fma_f32 v[2:3], v[2:3], v[158:159], v[20:21] op_sel_hi:[1,0,1]
	v_pk_add_f32 v[18:19], v[18:19], v[176:177]
	v_mov_b32_e32 v23, v3
	v_pk_add_f32 v[2:3], v[18:19], v[22:23]
	v_mov_b32_e32 v18, v161
	v_pk_mul_f32 v[18:19], v[4:5], v[18:19] op_sel:[1,0] op_sel_hi:[0,0]
	v_pk_fma_f32 v[20:21], v[4:5], v[160:161], v[18:19] neg_lo:[0,0,1] neg_hi:[0,0,1]
	v_pk_fma_f32 v[4:5], v[4:5], v[160:161], v[18:19] op_sel_hi:[1,0,1]
	s_nop 0
	v_mov_b32_e32 v21, v5
	s_waitcnt vmcnt(2) lgkmcnt(2)
	v_pk_mul_f32 v[4:5], v[6:7], v[162:163] op_sel:[1,1] op_sel_hi:[0,1]
	v_pk_fma_f32 v[18:19], v[6:7], v[162:163], v[4:5] neg_lo:[0,0,1] neg_hi:[0,0,1]
	v_pk_fma_f32 v[4:5], v[6:7], v[162:163], v[4:5] op_sel_hi:[1,0,1]
	v_pk_add_f32 v[2:3], v[2:3], v[20:21]
	v_mov_b32_e32 v4, v165
	v_mov_b32_e32 v19, v5
	v_pk_mul_f32 v[4:5], v[8:9], v[4:5] op_sel:[1,0] op_sel_hi:[0,0]
	v_pk_fma_f32 v[6:7], v[8:9], v[164:165], v[4:5] neg_lo:[0,0,1] neg_hi:[0,0,1]
	v_pk_fma_f32 v[4:5], v[8:9], v[164:165], v[4:5] op_sel_hi:[1,0,1]
	v_pk_add_f32 v[2:3], v[2:3], v[18:19]
	v_mov_b32_e32 v7, v5
	s_waitcnt vmcnt(1) lgkmcnt(1)
	v_pk_mul_f32 v[4:5], v[10:11], v[166:167] op_sel:[1,1] op_sel_hi:[0,1]
	v_pk_add_f32 v[2:3], v[2:3], v[6:7]
	v_pk_fma_f32 v[6:7], v[10:11], v[166:167], v[4:5] neg_lo:[0,0,1] neg_hi:[0,0,1]
	v_pk_fma_f32 v[4:5], v[10:11], v[166:167], v[4:5] op_sel_hi:[1,0,1]
	s_nop 0
	v_mov_b32_e32 v4, v169
	v_mov_b32_e32 v7, v5
	v_pk_mul_f32 v[4:5], v[12:13], v[4:5] op_sel:[1,0] op_sel_hi:[0,0]
	v_pk_add_f32 v[2:3], v[2:3], v[6:7]
	v_pk_fma_f32 v[6:7], v[12:13], v[168:169], v[4:5] neg_lo:[0,0,1] neg_hi:[0,0,1]
	v_pk_fma_f32 v[4:5], v[12:13], v[168:169], v[4:5] op_sel_hi:[1,0,1]
	s_nop 0
	v_mov_b32_e32 v7, v5
	s_waitcnt vmcnt(0) lgkmcnt(0)
	v_pk_mul_f32 v[4:5], v[14:15], v[170:171] op_sel:[1,1] op_sel_hi:[0,1]
	v_pk_add_f32 v[2:3], v[2:3], v[6:7]
	v_pk_fma_f32 v[6:7], v[14:15], v[170:171], v[4:5] neg_lo:[0,0,1] neg_hi:[0,0,1]
	v_pk_fma_f32 v[4:5], v[14:15], v[170:171], v[4:5] op_sel_hi:[1,0,1]
	s_nop 0
	v_mov_b32_e32 v4, v173
	v_mov_b32_e32 v7, v5
	v_pk_mul_f32 v[4:5], v[16:17], v[4:5] op_sel:[1,0] op_sel_hi:[0,0]
	v_pk_add_f32 v[2:3], v[2:3], v[6:7]
	v_pk_fma_f32 v[6:7], v[16:17], v[172:173], v[4:5] neg_lo:[0,0,1] neg_hi:[0,0,1]
	v_pk_fma_f32 v[4:5], v[16:17], v[172:173], v[4:5] op_sel_hi:[1,0,1]
	s_nop 0
	v_mov_b32_e32 v7, v5
	scratch_load_dwordx2 v[4:5], off, off offset:96
	v_pk_add_f32 v[2:3], v[2:3], v[6:7]
	s_waitcnt vmcnt(0)
	v_pk_add_f32 v[2:3], v[4:5], v[2:3] neg_lo:[0,1] neg_hi:[0,1]
	scratch_store_dwordx2 off, v[2:3], off offset:96
	s_and_saveexec_b64 s[0:1], vcc
	s_cbranch_execz .LBB56_333
; %bb.332:
	scratch_load_dwordx2 v[2:3], off, off offset:88
	v_mov_b32_e32 v4, 0
	v_mov_b32_e32 v5, v4
	scratch_store_dwordx2 off, v[4:5], off offset:88
	s_waitcnt vmcnt(1)
	ds_write_b64 v1, v[2:3]
.LBB56_333:
	s_or_b64 exec, exec, s[0:1]
	v_mov_b32_e32 v110, 0
	s_waitcnt lgkmcnt(0)
	; wave barrier
	ds_read_b128 v[14:17], v110 offset:560
	ds_read_b128 v[10:13], v110 offset:576
	;; [unrolled: 1-line block ×4, first 2 shown]
	scratch_load_dwordx4 v[18:21], off, off offset:96
	scratch_load_dwordx4 v[38:41], off, off offset:160
	;; [unrolled: 1-line block ×13, first 2 shown]
	v_cmp_lt_u32_e32 vcc, 10, v0
	scratch_load_dwordx4 v[46:49], off, off offset:176
	scratch_load_dwordx4 v[54:57], off, off offset:192
	;; [unrolled: 1-line block ×3, first 2 shown]
	ds_read_b128 v[158:161], v110 offset:848
	s_waitcnt vmcnt(15) lgkmcnt(4)
	v_mul_f32_e32 v22, v14, v19
	v_fmac_f32_e32 v22, v15, v18
	v_mul_f32_e32 v23, v16, v21
	v_add_f32_e32 v22, 0, v22
	v_fmac_f32_e32 v23, v17, v20
	v_add_f32_e32 v26, v22, v23
	scratch_load_dwordx4 v[22:25], off, off offset:112
	v_mul_f32_e32 v15, v15, v19
	v_fma_f32 v14, v14, v18, -v15
	v_mul_f32_e32 v15, v17, v21
	v_add_f32_e32 v14, 0, v14
	v_fma_f32 v15, v16, v20, -v15
	v_add_f32_e32 v14, v14, v15
	s_waitcnt vmcnt(4)
	v_mov_b32_e32 v18, v165
	s_waitcnt lgkmcnt(0)
	v_mul_f32_e32 v181, v158, v163
	v_pk_mul_f32 v[18:19], v[160:161], v[18:19] op_sel:[1,0] op_sel_hi:[0,0]
	v_fmac_f32_e32 v181, v159, v162
	v_pk_fma_f32 v[20:21], v[160:161], v[164:165], v[18:19] neg_lo:[0,0,1] neg_hi:[0,0,1]
	v_pk_fma_f32 v[18:19], v[160:161], v[164:165], v[18:19] op_sel_hi:[1,0,1]
	s_waitcnt vmcnt(0)
	v_mul_f32_e32 v27, v10, v23
	v_fmac_f32_e32 v27, v11, v22
	v_add_f32_e32 v26, v26, v27
	v_mul_f32_e32 v27, v12, v25
	v_fmac_f32_e32 v27, v13, v24
	v_add_f32_e32 v30, v26, v27
	scratch_load_dwordx4 v[26:29], off, off offset:128
	v_mul_f32_e32 v11, v11, v23
	v_fma_f32 v10, v10, v22, -v11
	v_mul_f32_e32 v11, v13, v25
	v_add_f32_e32 v10, v14, v10
	v_fma_f32 v11, v12, v24, -v11
	v_add_f32_e32 v10, v10, v11
	v_mov_b32_e32 v21, v19
	s_waitcnt vmcnt(0)
	v_mul_f32_e32 v31, v6, v27
	v_fmac_f32_e32 v31, v7, v26
	v_add_f32_e32 v30, v30, v31
	v_mul_f32_e32 v31, v8, v29
	v_fmac_f32_e32 v31, v9, v28
	v_add_f32_e32 v34, v30, v31
	scratch_load_dwordx4 v[30:33], off, off offset:144
	v_mul_f32_e32 v7, v7, v27
	v_fma_f32 v6, v6, v26, -v7
	v_mul_f32_e32 v7, v9, v29
	v_add_f32_e32 v6, v10, v6
	v_fma_f32 v7, v8, v28, -v7
	v_add_f32_e32 v6, v6, v7
	s_waitcnt vmcnt(0)
	v_mul_f32_e32 v35, v2, v31
	v_fmac_f32_e32 v35, v3, v30
	v_add_f32_e32 v34, v34, v35
	v_mul_f32_e32 v35, v4, v33
	v_fmac_f32_e32 v35, v5, v32
	v_add_f32_e32 v42, v34, v35
	ds_read_b128 v[34:37], v110 offset:624
	v_mul_f32_e32 v3, v3, v31
	v_fma_f32 v2, v2, v30, -v3
	v_mul_f32_e32 v3, v5, v33
	v_add_f32_e32 v2, v6, v2
	s_waitcnt lgkmcnt(0)
	v_mul_f32_e32 v43, v34, v39
	v_fmac_f32_e32 v43, v35, v38
	v_add_f32_e32 v42, v42, v43
	v_mul_f32_e32 v43, v36, v41
	v_fmac_f32_e32 v43, v37, v40
	v_add_f32_e32 v50, v42, v43
	ds_read_b128 v[42:45], v110 offset:640
	v_fma_f32 v3, v4, v32, -v3
	v_add_f32_e32 v2, v2, v3
	v_mul_f32_e32 v3, v35, v39
	v_fma_f32 v3, v34, v38, -v3
	s_waitcnt lgkmcnt(0)
	v_mul_f32_e32 v51, v42, v47
	v_fmac_f32_e32 v51, v43, v46
	v_add_f32_e32 v50, v50, v51
	v_mul_f32_e32 v51, v44, v49
	v_fmac_f32_e32 v51, v45, v48
	v_add_f32_e32 v58, v50, v51
	ds_read_b128 v[50:53], v110 offset:656
	v_add_f32_e32 v2, v2, v3
	v_mul_f32_e32 v3, v37, v41
	v_fma_f32 v3, v36, v40, -v3
	v_add_f32_e32 v2, v2, v3
	s_waitcnt lgkmcnt(0)
	v_mul_f32_e32 v59, v50, v55
	v_fmac_f32_e32 v59, v51, v54
	v_add_f32_e32 v58, v58, v59
	v_mul_f32_e32 v59, v52, v57
	v_fmac_f32_e32 v59, v53, v56
	v_add_f32_e32 v66, v58, v59
	ds_read_b128 v[58:61], v110 offset:672
	v_mul_f32_e32 v3, v43, v47
	v_fma_f32 v3, v42, v46, -v3
	v_add_f32_e32 v2, v2, v3
	v_mul_f32_e32 v3, v45, v49
	s_waitcnt lgkmcnt(0)
	v_mul_f32_e32 v67, v58, v63
	v_fmac_f32_e32 v67, v59, v62
	v_add_f32_e32 v66, v66, v67
	v_mul_f32_e32 v67, v60, v65
	v_fmac_f32_e32 v67, v61, v64
	v_add_f32_e32 v74, v66, v67
	ds_read_b128 v[66:69], v110 offset:688
	v_fma_f32 v3, v44, v48, -v3
	v_add_f32_e32 v2, v2, v3
	v_mul_f32_e32 v3, v51, v55
	v_fma_f32 v3, v50, v54, -v3
	s_waitcnt lgkmcnt(0)
	v_mul_f32_e32 v75, v66, v71
	v_fmac_f32_e32 v75, v67, v70
	v_add_f32_e32 v74, v74, v75
	v_mul_f32_e32 v75, v68, v73
	v_fmac_f32_e32 v75, v69, v72
	v_add_f32_e32 v82, v74, v75
	ds_read_b128 v[74:77], v110 offset:704
	v_add_f32_e32 v2, v2, v3
	v_mul_f32_e32 v3, v53, v57
	v_fma_f32 v3, v52, v56, -v3
	v_add_f32_e32 v2, v2, v3
	s_waitcnt lgkmcnt(0)
	v_mul_f32_e32 v83, v74, v79
	v_fmac_f32_e32 v83, v75, v78
	v_add_f32_e32 v82, v82, v83
	v_mul_f32_e32 v83, v76, v81
	v_fmac_f32_e32 v83, v77, v80
	v_add_f32_e32 v90, v82, v83
	ds_read_b128 v[82:85], v110 offset:720
	v_mul_f32_e32 v3, v59, v63
	v_fma_f32 v3, v58, v62, -v3
	v_add_f32_e32 v2, v2, v3
	v_mul_f32_e32 v3, v61, v65
	;; [unrolled: 36-line block ×4, first 2 shown]
	s_waitcnt lgkmcnt(0)
	v_mul_f32_e32 v140, v132, v137
	v_fmac_f32_e32 v140, v133, v136
	v_add_f32_e32 v111, v111, v140
	v_mul_f32_e32 v140, v134, v139
	v_fmac_f32_e32 v140, v135, v138
	v_add_f32_e32 v111, v111, v140
	ds_read_b128 v[140:143], v110 offset:832
	scratch_load_dwordx4 v[166:169], off, off offset:400
	scratch_load_dwordx4 v[170:173], off, off offset:416
	;; [unrolled: 1-line block ×3, first 2 shown]
	scratch_load_dwordx2 v[182:183], off, off offset:448
	v_fma_f32 v3, v92, v96, -v3
	v_add_f32_e32 v2, v2, v3
	v_mul_f32_e32 v3, v99, v103
	v_fma_f32 v3, v98, v102, -v3
	v_add_f32_e32 v2, v2, v3
	v_mul_f32_e32 v3, v101, v105
	;; [unrolled: 3-line block ×10, first 2 shown]
	v_fma_f32 v3, v134, v138, -v3
	s_waitcnt lgkmcnt(0)
	v_mul_f32_e32 v148, v140, v145
	v_add_f32_e32 v2, v2, v3
	v_mul_f32_e32 v3, v141, v145
	v_fmac_f32_e32 v148, v141, v144
	v_fma_f32 v3, v140, v144, -v3
	v_add_f32_e32 v149, v111, v148
	v_add_f32_e32 v148, v2, v3
	v_mul_f32_e32 v2, v143, v147
	v_mul_f32_e32 v179, v142, v147
	v_fma_f32 v178, v142, v146, -v2
	v_mul_f32_e32 v2, v159, v163
	v_fmac_f32_e32 v179, v143, v146
	v_fma_f32 v180, v158, v162, -v2
	ds_read_b128 v[2:5], v110 offset:864
	ds_read_b128 v[6:9], v110 offset:880
	;; [unrolled: 1-line block ×3, first 2 shown]
	ds_read_b64 v[14:15], v110 offset:912
	v_pk_add_f32 v[16:17], v[148:149], v[178:179]
	s_waitcnt vmcnt(3) lgkmcnt(3)
	v_pk_mul_f32 v[18:19], v[2:3], v[166:167] op_sel:[1,1] op_sel_hi:[0,1]
	v_pk_add_f32 v[16:17], v[16:17], v[180:181]
	s_nop 0
	v_pk_add_f32 v[16:17], v[16:17], v[20:21]
	v_pk_fma_f32 v[20:21], v[2:3], v[166:167], v[18:19] neg_lo:[0,0,1] neg_hi:[0,0,1]
	v_pk_fma_f32 v[2:3], v[2:3], v[166:167], v[18:19] op_sel_hi:[1,0,1]
	s_nop 0
	v_mov_b32_e32 v21, v3
	v_pk_add_f32 v[2:3], v[16:17], v[20:21]
	v_mov_b32_e32 v16, v169
	v_pk_mul_f32 v[16:17], v[4:5], v[16:17] op_sel:[1,0] op_sel_hi:[0,0]
	v_pk_fma_f32 v[18:19], v[4:5], v[168:169], v[16:17] neg_lo:[0,0,1] neg_hi:[0,0,1]
	v_pk_fma_f32 v[4:5], v[4:5], v[168:169], v[16:17] op_sel_hi:[1,0,1]
	s_nop 0
	v_mov_b32_e32 v19, v5
	s_waitcnt vmcnt(2) lgkmcnt(2)
	v_pk_mul_f32 v[4:5], v[6:7], v[170:171] op_sel:[1,1] op_sel_hi:[0,1]
	v_pk_fma_f32 v[16:17], v[6:7], v[170:171], v[4:5] neg_lo:[0,0,1] neg_hi:[0,0,1]
	v_pk_fma_f32 v[4:5], v[6:7], v[170:171], v[4:5] op_sel_hi:[1,0,1]
	v_pk_add_f32 v[2:3], v[2:3], v[18:19]
	v_mov_b32_e32 v4, v173
	v_mov_b32_e32 v17, v5
	v_pk_mul_f32 v[4:5], v[8:9], v[4:5] op_sel:[1,0] op_sel_hi:[0,0]
	v_pk_fma_f32 v[6:7], v[8:9], v[172:173], v[4:5] neg_lo:[0,0,1] neg_hi:[0,0,1]
	v_pk_fma_f32 v[4:5], v[8:9], v[172:173], v[4:5] op_sel_hi:[1,0,1]
	v_pk_add_f32 v[2:3], v[2:3], v[16:17]
	v_mov_b32_e32 v7, v5
	s_waitcnt vmcnt(1) lgkmcnt(1)
	v_pk_mul_f32 v[4:5], v[10:11], v[174:175] op_sel:[1,1] op_sel_hi:[0,1]
	v_pk_add_f32 v[2:3], v[2:3], v[6:7]
	v_pk_fma_f32 v[6:7], v[10:11], v[174:175], v[4:5] neg_lo:[0,0,1] neg_hi:[0,0,1]
	v_pk_fma_f32 v[4:5], v[10:11], v[174:175], v[4:5] op_sel_hi:[1,0,1]
	s_nop 0
	v_mov_b32_e32 v4, v177
	v_mov_b32_e32 v7, v5
	v_pk_mul_f32 v[4:5], v[12:13], v[4:5] op_sel:[1,0] op_sel_hi:[0,0]
	v_pk_add_f32 v[2:3], v[2:3], v[6:7]
	v_pk_fma_f32 v[6:7], v[12:13], v[176:177], v[4:5] neg_lo:[0,0,1] neg_hi:[0,0,1]
	v_pk_fma_f32 v[4:5], v[12:13], v[176:177], v[4:5] op_sel_hi:[1,0,1]
	s_nop 0
	v_mov_b32_e32 v7, v5
	s_waitcnt vmcnt(0) lgkmcnt(0)
	v_pk_mul_f32 v[4:5], v[14:15], v[182:183] op_sel:[1,1] op_sel_hi:[0,1]
	v_pk_add_f32 v[2:3], v[2:3], v[6:7]
	v_pk_fma_f32 v[6:7], v[14:15], v[182:183], v[4:5] neg_lo:[0,0,1] neg_hi:[0,0,1]
	v_pk_fma_f32 v[4:5], v[14:15], v[182:183], v[4:5] op_sel_hi:[1,0,1]
	s_nop 0
	v_mov_b32_e32 v7, v5
	scratch_load_dwordx2 v[4:5], off, off offset:88
	v_pk_add_f32 v[2:3], v[2:3], v[6:7]
	s_waitcnt vmcnt(0)
	v_pk_add_f32 v[2:3], v[4:5], v[2:3] neg_lo:[0,1] neg_hi:[0,1]
	scratch_store_dwordx2 off, v[2:3], off offset:88
	s_and_saveexec_b64 s[0:1], vcc
	s_cbranch_execz .LBB56_335
; %bb.334:
	scratch_load_dwordx2 v[2:3], off, off offset:80
	v_mov_b32_e32 v111, v110
	scratch_store_dwordx2 off, v[110:111], off offset:80
	s_waitcnt vmcnt(1)
	ds_write_b64 v1, v[2:3]
.LBB56_335:
	s_or_b64 exec, exec, s[0:1]
	s_waitcnt lgkmcnt(0)
	; wave barrier
	scratch_load_dwordx4 v[6:9], off, off offset:88
	scratch_load_dwordx4 v[14:17], off, off offset:104
	;; [unrolled: 1-line block ×10, first 2 shown]
	ds_read2_b64 v[2:5], v110 offset0:69 offset1:70
	ds_read2_b64 v[158:161], v110 offset0:105 offset1:106
	scratch_load_dwordx4 v[86:89], off, off offset:248
	scratch_load_dwordx4 v[94:97], off, off offset:264
	;; [unrolled: 1-line block ×9, first 2 shown]
	v_cmp_lt_u32_e32 vcc, 9, v0
	s_waitcnt vmcnt(18) lgkmcnt(1)
	v_mul_f32_e32 v10, v2, v7
	v_fmac_f32_e32 v10, v3, v6
	v_mul_f32_e32 v11, v4, v9
	v_add_f32_e32 v10, 0, v10
	v_fmac_f32_e32 v11, v5, v8
	v_add_f32_e32 v18, v10, v11
	ds_read2_b64 v[10:13], v110 offset0:71 offset1:72
	v_mul_f32_e32 v3, v3, v7
	v_fma_f32 v2, v2, v6, -v3
	v_mul_f32_e32 v3, v5, v9
	v_add_f32_e32 v2, 0, v2
	s_waitcnt vmcnt(17) lgkmcnt(0)
	v_mul_f32_e32 v19, v10, v15
	v_fmac_f32_e32 v19, v11, v14
	v_add_f32_e32 v18, v18, v19
	v_mul_f32_e32 v19, v12, v17
	v_fmac_f32_e32 v19, v13, v16
	v_add_f32_e32 v26, v18, v19
	ds_read2_b64 v[18:21], v110 offset0:73 offset1:74
	v_fma_f32 v3, v4, v8, -v3
	v_add_f32_e32 v2, v2, v3
	v_mul_f32_e32 v3, v11, v15
	v_fma_f32 v3, v10, v14, -v3
	s_waitcnt vmcnt(16) lgkmcnt(0)
	v_mul_f32_e32 v27, v18, v23
	v_fmac_f32_e32 v27, v19, v22
	v_add_f32_e32 v26, v26, v27
	v_mul_f32_e32 v27, v20, v25
	v_fmac_f32_e32 v27, v21, v24
	v_add_f32_e32 v34, v26, v27
	ds_read2_b64 v[26:29], v110 offset0:75 offset1:76
	v_add_f32_e32 v2, v2, v3
	v_mul_f32_e32 v3, v13, v17
	v_fma_f32 v3, v12, v16, -v3
	v_add_f32_e32 v2, v2, v3
	s_waitcnt vmcnt(15) lgkmcnt(0)
	v_mul_f32_e32 v35, v26, v31
	v_fmac_f32_e32 v35, v27, v30
	v_add_f32_e32 v34, v34, v35
	v_mul_f32_e32 v35, v28, v33
	v_fmac_f32_e32 v35, v29, v32
	v_add_f32_e32 v42, v34, v35
	ds_read2_b64 v[34:37], v110 offset0:77 offset1:78
	v_mul_f32_e32 v3, v19, v23
	v_fma_f32 v3, v18, v22, -v3
	v_add_f32_e32 v2, v2, v3
	v_mul_f32_e32 v3, v21, v25
	s_waitcnt vmcnt(14) lgkmcnt(0)
	v_mul_f32_e32 v43, v34, v39
	v_fmac_f32_e32 v43, v35, v38
	v_add_f32_e32 v42, v42, v43
	v_mul_f32_e32 v43, v36, v41
	v_fmac_f32_e32 v43, v37, v40
	v_add_f32_e32 v50, v42, v43
	ds_read2_b64 v[42:45], v110 offset0:79 offset1:80
	v_fma_f32 v3, v20, v24, -v3
	v_add_f32_e32 v2, v2, v3
	v_mul_f32_e32 v3, v27, v31
	v_fma_f32 v3, v26, v30, -v3
	s_waitcnt vmcnt(13) lgkmcnt(0)
	v_mul_f32_e32 v51, v42, v47
	v_fmac_f32_e32 v51, v43, v46
	v_add_f32_e32 v50, v50, v51
	v_mul_f32_e32 v51, v44, v49
	v_fmac_f32_e32 v51, v45, v48
	v_add_f32_e32 v58, v50, v51
	ds_read2_b64 v[50:53], v110 offset0:81 offset1:82
	v_add_f32_e32 v2, v2, v3
	v_mul_f32_e32 v3, v29, v33
	v_fma_f32 v3, v28, v32, -v3
	v_add_f32_e32 v2, v2, v3
	s_waitcnt vmcnt(12) lgkmcnt(0)
	v_mul_f32_e32 v59, v50, v55
	v_fmac_f32_e32 v59, v51, v54
	v_add_f32_e32 v58, v58, v59
	v_mul_f32_e32 v59, v52, v57
	v_fmac_f32_e32 v59, v53, v56
	v_add_f32_e32 v66, v58, v59
	ds_read2_b64 v[58:61], v110 offset0:83 offset1:84
	v_mul_f32_e32 v3, v35, v39
	v_fma_f32 v3, v34, v38, -v3
	v_add_f32_e32 v2, v2, v3
	v_mul_f32_e32 v3, v37, v41
	;; [unrolled: 36-line block ×5, first 2 shown]
	s_waitcnt vmcnt(2) lgkmcnt(0)
	v_mul_f32_e32 v140, v132, v137
	v_fmac_f32_e32 v140, v133, v136
	v_add_f32_e32 v111, v111, v140
	v_mul_f32_e32 v140, v134, v139
	v_fmac_f32_e32 v140, v135, v138
	v_add_f32_e32 v111, v111, v140
	ds_read2_b64 v[140:143], v110 offset0:103 offset1:104
	scratch_load_dwordx4 v[166:169], off, off offset:392
	scratch_load_dwordx4 v[170:173], off, off offset:408
	;; [unrolled: 1-line block ×4, first 2 shown]
	v_fma_f32 v3, v84, v88, -v3
	v_add_f32_e32 v2, v2, v3
	v_mul_f32_e32 v3, v91, v95
	v_fma_f32 v3, v90, v94, -v3
	v_add_f32_e32 v2, v2, v3
	v_mul_f32_e32 v3, v93, v97
	;; [unrolled: 3-line block ×12, first 2 shown]
	v_fma_f32 v3, v134, v138, -v3
	s_waitcnt vmcnt(5) lgkmcnt(0)
	v_mul_f32_e32 v148, v140, v145
	v_add_f32_e32 v2, v2, v3
	v_mul_f32_e32 v3, v141, v145
	v_fmac_f32_e32 v148, v141, v144
	v_fma_f32 v3, v140, v144, -v3
	v_add_f32_e32 v111, v111, v148
	v_mul_f32_e32 v148, v142, v147
	v_add_f32_e32 v2, v2, v3
	v_mul_f32_e32 v3, v143, v147
	v_fmac_f32_e32 v148, v143, v146
	v_fma_f32 v3, v142, v146, -v3
	v_add_f32_e32 v149, v111, v148
	v_add_f32_e32 v148, v2, v3
	s_waitcnt vmcnt(4)
	v_mul_f32_e32 v2, v159, v163
	v_fma_f32 v182, v158, v162, -v2
	v_mul_f32_e32 v2, v161, v165
	v_fma_f32 v184, v160, v164, -v2
	ds_read2_b64 v[2:5], v110 offset0:107 offset1:108
	ds_read2_b64 v[6:9], v110 offset0:109 offset1:110
	;; [unrolled: 1-line block ×4, first 2 shown]
	v_mul_f32_e32 v183, v158, v163
	v_fmac_f32_e32 v183, v159, v162
	v_mul_f32_e32 v185, v160, v165
	v_fmac_f32_e32 v185, v161, v164
	v_pk_add_f32 v[18:19], v[148:149], v[182:183]
	s_waitcnt vmcnt(3) lgkmcnt(3)
	v_pk_mul_f32 v[20:21], v[2:3], v[166:167] op_sel:[1,1] op_sel_hi:[0,1]
	v_pk_fma_f32 v[22:23], v[2:3], v[166:167], v[20:21] neg_lo:[0,0,1] neg_hi:[0,0,1]
	v_pk_fma_f32 v[2:3], v[2:3], v[166:167], v[20:21] op_sel_hi:[1,0,1]
	v_pk_add_f32 v[18:19], v[18:19], v[184:185]
	v_mov_b32_e32 v23, v3
	v_pk_add_f32 v[2:3], v[18:19], v[22:23]
	v_mov_b32_e32 v18, v169
	v_pk_mul_f32 v[18:19], v[4:5], v[18:19] op_sel:[1,0] op_sel_hi:[0,0]
	v_pk_fma_f32 v[20:21], v[4:5], v[168:169], v[18:19] neg_lo:[0,0,1] neg_hi:[0,0,1]
	v_pk_fma_f32 v[4:5], v[4:5], v[168:169], v[18:19] op_sel_hi:[1,0,1]
	s_nop 0
	v_mov_b32_e32 v21, v5
	s_waitcnt vmcnt(2) lgkmcnt(2)
	v_pk_mul_f32 v[4:5], v[6:7], v[170:171] op_sel:[1,1] op_sel_hi:[0,1]
	v_pk_fma_f32 v[18:19], v[6:7], v[170:171], v[4:5] neg_lo:[0,0,1] neg_hi:[0,0,1]
	v_pk_fma_f32 v[4:5], v[6:7], v[170:171], v[4:5] op_sel_hi:[1,0,1]
	v_pk_add_f32 v[2:3], v[2:3], v[20:21]
	v_mov_b32_e32 v4, v173
	v_mov_b32_e32 v19, v5
	v_pk_mul_f32 v[4:5], v[8:9], v[4:5] op_sel:[1,0] op_sel_hi:[0,0]
	v_pk_fma_f32 v[6:7], v[8:9], v[172:173], v[4:5] neg_lo:[0,0,1] neg_hi:[0,0,1]
	v_pk_fma_f32 v[4:5], v[8:9], v[172:173], v[4:5] op_sel_hi:[1,0,1]
	v_pk_add_f32 v[2:3], v[2:3], v[18:19]
	v_mov_b32_e32 v7, v5
	s_waitcnt vmcnt(1) lgkmcnt(1)
	v_pk_mul_f32 v[4:5], v[10:11], v[174:175] op_sel:[1,1] op_sel_hi:[0,1]
	v_pk_add_f32 v[2:3], v[2:3], v[6:7]
	v_pk_fma_f32 v[6:7], v[10:11], v[174:175], v[4:5] neg_lo:[0,0,1] neg_hi:[0,0,1]
	v_pk_fma_f32 v[4:5], v[10:11], v[174:175], v[4:5] op_sel_hi:[1,0,1]
	s_nop 0
	v_mov_b32_e32 v4, v177
	v_mov_b32_e32 v7, v5
	v_pk_mul_f32 v[4:5], v[12:13], v[4:5] op_sel:[1,0] op_sel_hi:[0,0]
	v_pk_add_f32 v[2:3], v[2:3], v[6:7]
	v_pk_fma_f32 v[6:7], v[12:13], v[176:177], v[4:5] neg_lo:[0,0,1] neg_hi:[0,0,1]
	v_pk_fma_f32 v[4:5], v[12:13], v[176:177], v[4:5] op_sel_hi:[1,0,1]
	s_nop 0
	v_mov_b32_e32 v7, v5
	s_waitcnt vmcnt(0) lgkmcnt(0)
	v_pk_mul_f32 v[4:5], v[14:15], v[178:179] op_sel:[1,1] op_sel_hi:[0,1]
	v_pk_add_f32 v[2:3], v[2:3], v[6:7]
	v_pk_fma_f32 v[6:7], v[14:15], v[178:179], v[4:5] neg_lo:[0,0,1] neg_hi:[0,0,1]
	v_pk_fma_f32 v[4:5], v[14:15], v[178:179], v[4:5] op_sel_hi:[1,0,1]
	s_nop 0
	v_mov_b32_e32 v4, v181
	v_mov_b32_e32 v7, v5
	v_pk_mul_f32 v[4:5], v[16:17], v[4:5] op_sel:[1,0] op_sel_hi:[0,0]
	v_pk_add_f32 v[2:3], v[2:3], v[6:7]
	v_pk_fma_f32 v[6:7], v[16:17], v[180:181], v[4:5] neg_lo:[0,0,1] neg_hi:[0,0,1]
	v_pk_fma_f32 v[4:5], v[16:17], v[180:181], v[4:5] op_sel_hi:[1,0,1]
	s_nop 0
	v_mov_b32_e32 v7, v5
	scratch_load_dwordx2 v[4:5], off, off offset:80
	v_pk_add_f32 v[2:3], v[2:3], v[6:7]
	s_waitcnt vmcnt(0)
	v_pk_add_f32 v[2:3], v[4:5], v[2:3] neg_lo:[0,1] neg_hi:[0,1]
	scratch_store_dwordx2 off, v[2:3], off offset:80
	s_and_saveexec_b64 s[0:1], vcc
	s_cbranch_execz .LBB56_337
; %bb.336:
	scratch_load_dwordx2 v[2:3], off, off offset:72
	v_mov_b32_e32 v4, 0
	v_mov_b32_e32 v5, v4
	scratch_store_dwordx2 off, v[4:5], off offset:72
	s_waitcnt vmcnt(1)
	ds_write_b64 v1, v[2:3]
.LBB56_337:
	s_or_b64 exec, exec, s[0:1]
	v_mov_b32_e32 v118, 0
	s_waitcnt lgkmcnt(0)
	; wave barrier
	ds_read_b128 v[14:17], v118 offset:544
	ds_read_b128 v[10:13], v118 offset:560
	;; [unrolled: 1-line block ×4, first 2 shown]
	scratch_load_dwordx4 v[18:21], off, off offset:80
	scratch_load_dwordx4 v[38:41], off, off offset:144
	scratch_load_dwordx4 v[70:73], off, off offset:208
	scratch_load_dwordx4 v[78:81], off, off offset:224
	scratch_load_dwordx4 v[86:89], off, off offset:240
	scratch_load_dwordx4 v[94:97], off, off offset:256
	scratch_load_dwordx4 v[102:105], off, off offset:272
	scratch_load_dwordx4 v[110:113], off, off offset:288
	scratch_load_dwordx4 v[120:123], off, off offset:304
	scratch_load_dwordx4 v[128:131], off, off offset:320
	scratch_load_dwordx4 v[136:139], off, off offset:336
	scratch_load_dwordx4 v[144:147], off, off offset:352
	scratch_load_dwordx4 v[162:165], off, off offset:368
	scratch_load_dwordx4 v[170:173], off, off offset:384
	v_cmp_lt_u32_e32 vcc, 8, v0
	scratch_load_dwordx4 v[46:49], off, off offset:160
	scratch_load_dwordx4 v[54:57], off, off offset:176
	;; [unrolled: 1-line block ×3, first 2 shown]
	ds_read_b128 v[158:161], v118 offset:832
	ds_read_b128 v[166:169], v118 offset:848
	s_waitcnt vmcnt(16) lgkmcnt(5)
	v_mul_f32_e32 v22, v14, v19
	v_fmac_f32_e32 v22, v15, v18
	v_mul_f32_e32 v23, v16, v21
	v_add_f32_e32 v22, 0, v22
	v_fmac_f32_e32 v23, v17, v20
	v_add_f32_e32 v26, v22, v23
	scratch_load_dwordx4 v[22:25], off, off offset:96
	v_mul_f32_e32 v15, v15, v19
	v_fma_f32 v14, v14, v18, -v15
	v_mul_f32_e32 v15, v17, v21
	v_add_f32_e32 v14, 0, v14
	v_fma_f32 v15, v16, v20, -v15
	v_add_f32_e32 v14, v14, v15
	s_waitcnt vmcnt(5) lgkmcnt(1)
	v_mul_f32_e32 v187, v160, v165
	s_waitcnt vmcnt(4)
	v_mov_b32_e32 v18, v173
	v_fmac_f32_e32 v187, v161, v164
	s_waitcnt lgkmcnt(0)
	v_mul_f32_e32 v189, v166, v171
	v_pk_mul_f32 v[18:19], v[168:169], v[18:19] op_sel:[1,0] op_sel_hi:[0,0]
	v_fmac_f32_e32 v189, v167, v170
	v_pk_fma_f32 v[20:21], v[168:169], v[172:173], v[18:19] neg_lo:[0,0,1] neg_hi:[0,0,1]
	v_pk_fma_f32 v[18:19], v[168:169], v[172:173], v[18:19] op_sel_hi:[1,0,1]
	s_waitcnt vmcnt(0)
	v_mul_f32_e32 v27, v10, v23
	v_fmac_f32_e32 v27, v11, v22
	v_add_f32_e32 v26, v26, v27
	v_mul_f32_e32 v27, v12, v25
	v_fmac_f32_e32 v27, v13, v24
	v_add_f32_e32 v30, v26, v27
	scratch_load_dwordx4 v[26:29], off, off offset:112
	v_mul_f32_e32 v11, v11, v23
	v_fma_f32 v10, v10, v22, -v11
	v_mul_f32_e32 v11, v13, v25
	v_add_f32_e32 v10, v14, v10
	v_fma_f32 v11, v12, v24, -v11
	v_add_f32_e32 v10, v10, v11
	v_mov_b32_e32 v21, v19
	s_waitcnt vmcnt(0)
	v_mul_f32_e32 v31, v6, v27
	v_fmac_f32_e32 v31, v7, v26
	v_add_f32_e32 v30, v30, v31
	v_mul_f32_e32 v31, v8, v29
	v_fmac_f32_e32 v31, v9, v28
	v_add_f32_e32 v34, v30, v31
	scratch_load_dwordx4 v[30:33], off, off offset:128
	v_mul_f32_e32 v7, v7, v27
	v_fma_f32 v6, v6, v26, -v7
	v_mul_f32_e32 v7, v9, v29
	v_add_f32_e32 v6, v10, v6
	v_fma_f32 v7, v8, v28, -v7
	v_add_f32_e32 v6, v6, v7
	s_waitcnt vmcnt(0)
	v_mul_f32_e32 v35, v2, v31
	v_fmac_f32_e32 v35, v3, v30
	v_add_f32_e32 v34, v34, v35
	v_mul_f32_e32 v35, v4, v33
	v_fmac_f32_e32 v35, v5, v32
	v_add_f32_e32 v42, v34, v35
	ds_read_b128 v[34:37], v118 offset:608
	v_mul_f32_e32 v3, v3, v31
	v_fma_f32 v2, v2, v30, -v3
	v_mul_f32_e32 v3, v5, v33
	v_add_f32_e32 v2, v6, v2
	s_waitcnt lgkmcnt(0)
	v_mul_f32_e32 v43, v34, v39
	v_fmac_f32_e32 v43, v35, v38
	v_add_f32_e32 v42, v42, v43
	v_mul_f32_e32 v43, v36, v41
	v_fmac_f32_e32 v43, v37, v40
	v_add_f32_e32 v50, v42, v43
	ds_read_b128 v[42:45], v118 offset:624
	v_fma_f32 v3, v4, v32, -v3
	v_add_f32_e32 v2, v2, v3
	v_mul_f32_e32 v3, v35, v39
	v_fma_f32 v3, v34, v38, -v3
	s_waitcnt lgkmcnt(0)
	v_mul_f32_e32 v51, v42, v47
	v_fmac_f32_e32 v51, v43, v46
	v_add_f32_e32 v50, v50, v51
	v_mul_f32_e32 v51, v44, v49
	v_fmac_f32_e32 v51, v45, v48
	v_add_f32_e32 v58, v50, v51
	ds_read_b128 v[50:53], v118 offset:640
	v_add_f32_e32 v2, v2, v3
	v_mul_f32_e32 v3, v37, v41
	v_fma_f32 v3, v36, v40, -v3
	v_add_f32_e32 v2, v2, v3
	s_waitcnt lgkmcnt(0)
	v_mul_f32_e32 v59, v50, v55
	v_fmac_f32_e32 v59, v51, v54
	v_add_f32_e32 v58, v58, v59
	v_mul_f32_e32 v59, v52, v57
	v_fmac_f32_e32 v59, v53, v56
	v_add_f32_e32 v66, v58, v59
	ds_read_b128 v[58:61], v118 offset:656
	v_mul_f32_e32 v3, v43, v47
	v_fma_f32 v3, v42, v46, -v3
	v_add_f32_e32 v2, v2, v3
	v_mul_f32_e32 v3, v45, v49
	s_waitcnt lgkmcnt(0)
	v_mul_f32_e32 v67, v58, v63
	v_fmac_f32_e32 v67, v59, v62
	v_add_f32_e32 v66, v66, v67
	v_mul_f32_e32 v67, v60, v65
	v_fmac_f32_e32 v67, v61, v64
	v_add_f32_e32 v74, v66, v67
	ds_read_b128 v[66:69], v118 offset:672
	v_fma_f32 v3, v44, v48, -v3
	v_add_f32_e32 v2, v2, v3
	v_mul_f32_e32 v3, v51, v55
	v_fma_f32 v3, v50, v54, -v3
	s_waitcnt lgkmcnt(0)
	v_mul_f32_e32 v75, v66, v71
	v_fmac_f32_e32 v75, v67, v70
	v_add_f32_e32 v74, v74, v75
	v_mul_f32_e32 v75, v68, v73
	v_fmac_f32_e32 v75, v69, v72
	v_add_f32_e32 v82, v74, v75
	ds_read_b128 v[74:77], v118 offset:688
	v_add_f32_e32 v2, v2, v3
	v_mul_f32_e32 v3, v53, v57
	v_fma_f32 v3, v52, v56, -v3
	v_add_f32_e32 v2, v2, v3
	s_waitcnt lgkmcnt(0)
	v_mul_f32_e32 v83, v74, v79
	v_fmac_f32_e32 v83, v75, v78
	v_add_f32_e32 v82, v82, v83
	v_mul_f32_e32 v83, v76, v81
	v_fmac_f32_e32 v83, v77, v80
	v_add_f32_e32 v90, v82, v83
	ds_read_b128 v[82:85], v118 offset:704
	v_mul_f32_e32 v3, v59, v63
	v_fma_f32 v3, v58, v62, -v3
	v_add_f32_e32 v2, v2, v3
	v_mul_f32_e32 v3, v61, v65
	;; [unrolled: 36-line block ×4, first 2 shown]
	s_waitcnt lgkmcnt(0)
	v_mul_f32_e32 v140, v132, v137
	v_fmac_f32_e32 v140, v133, v136
	v_add_f32_e32 v119, v119, v140
	v_mul_f32_e32 v140, v134, v139
	v_fmac_f32_e32 v140, v135, v138
	v_add_f32_e32 v119, v119, v140
	ds_read_b128 v[140:143], v118 offset:816
	scratch_load_dwordx4 v[174:177], off, off offset:400
	scratch_load_dwordx4 v[178:181], off, off offset:416
	;; [unrolled: 1-line block ×3, first 2 shown]
	scratch_load_dwordx2 v[190:191], off, off offset:448
	v_fma_f32 v3, v92, v96, -v3
	v_add_f32_e32 v2, v2, v3
	v_mul_f32_e32 v3, v99, v103
	v_fma_f32 v3, v98, v102, -v3
	v_add_f32_e32 v2, v2, v3
	v_mul_f32_e32 v3, v101, v105
	;; [unrolled: 3-line block ×10, first 2 shown]
	v_fma_f32 v3, v134, v138, -v3
	s_waitcnt lgkmcnt(0)
	v_mul_f32_e32 v148, v140, v145
	v_add_f32_e32 v2, v2, v3
	v_mul_f32_e32 v3, v141, v145
	v_fmac_f32_e32 v148, v141, v144
	v_fma_f32 v3, v140, v144, -v3
	v_add_f32_e32 v119, v119, v148
	v_mul_f32_e32 v148, v142, v147
	v_add_f32_e32 v2, v2, v3
	v_mul_f32_e32 v3, v143, v147
	v_fmac_f32_e32 v148, v143, v146
	v_fma_f32 v3, v142, v146, -v3
	v_add_f32_e32 v119, v119, v148
	;; [unrolled: 6-line block ×3, first 2 shown]
	v_add_f32_e32 v148, v2, v3
	v_mul_f32_e32 v2, v161, v165
	v_fma_f32 v186, v160, v164, -v2
	v_mul_f32_e32 v2, v167, v171
	v_fma_f32 v188, v166, v170, -v2
	ds_read_b128 v[2:5], v118 offset:864
	ds_read_b128 v[6:9], v118 offset:880
	;; [unrolled: 1-line block ×3, first 2 shown]
	ds_read_b64 v[14:15], v118 offset:912
	v_pk_add_f32 v[16:17], v[148:149], v[186:187]
	s_waitcnt vmcnt(3) lgkmcnt(3)
	v_pk_mul_f32 v[18:19], v[2:3], v[174:175] op_sel:[1,1] op_sel_hi:[0,1]
	v_pk_add_f32 v[16:17], v[16:17], v[188:189]
	s_nop 0
	v_pk_add_f32 v[16:17], v[16:17], v[20:21]
	v_pk_fma_f32 v[20:21], v[2:3], v[174:175], v[18:19] neg_lo:[0,0,1] neg_hi:[0,0,1]
	v_pk_fma_f32 v[2:3], v[2:3], v[174:175], v[18:19] op_sel_hi:[1,0,1]
	s_nop 0
	v_mov_b32_e32 v21, v3
	v_pk_add_f32 v[2:3], v[16:17], v[20:21]
	v_mov_b32_e32 v16, v177
	v_pk_mul_f32 v[16:17], v[4:5], v[16:17] op_sel:[1,0] op_sel_hi:[0,0]
	v_pk_fma_f32 v[18:19], v[4:5], v[176:177], v[16:17] neg_lo:[0,0,1] neg_hi:[0,0,1]
	v_pk_fma_f32 v[4:5], v[4:5], v[176:177], v[16:17] op_sel_hi:[1,0,1]
	s_nop 0
	v_mov_b32_e32 v19, v5
	s_waitcnt vmcnt(2) lgkmcnt(2)
	v_pk_mul_f32 v[4:5], v[6:7], v[178:179] op_sel:[1,1] op_sel_hi:[0,1]
	v_pk_fma_f32 v[16:17], v[6:7], v[178:179], v[4:5] neg_lo:[0,0,1] neg_hi:[0,0,1]
	v_pk_fma_f32 v[4:5], v[6:7], v[178:179], v[4:5] op_sel_hi:[1,0,1]
	v_pk_add_f32 v[2:3], v[2:3], v[18:19]
	v_mov_b32_e32 v4, v181
	v_mov_b32_e32 v17, v5
	v_pk_mul_f32 v[4:5], v[8:9], v[4:5] op_sel:[1,0] op_sel_hi:[0,0]
	v_pk_fma_f32 v[6:7], v[8:9], v[180:181], v[4:5] neg_lo:[0,0,1] neg_hi:[0,0,1]
	v_pk_fma_f32 v[4:5], v[8:9], v[180:181], v[4:5] op_sel_hi:[1,0,1]
	v_pk_add_f32 v[2:3], v[2:3], v[16:17]
	v_mov_b32_e32 v7, v5
	s_waitcnt vmcnt(1) lgkmcnt(1)
	v_pk_mul_f32 v[4:5], v[10:11], v[182:183] op_sel:[1,1] op_sel_hi:[0,1]
	v_pk_add_f32 v[2:3], v[2:3], v[6:7]
	v_pk_fma_f32 v[6:7], v[10:11], v[182:183], v[4:5] neg_lo:[0,0,1] neg_hi:[0,0,1]
	v_pk_fma_f32 v[4:5], v[10:11], v[182:183], v[4:5] op_sel_hi:[1,0,1]
	s_nop 0
	v_mov_b32_e32 v4, v185
	v_mov_b32_e32 v7, v5
	v_pk_mul_f32 v[4:5], v[12:13], v[4:5] op_sel:[1,0] op_sel_hi:[0,0]
	v_pk_add_f32 v[2:3], v[2:3], v[6:7]
	v_pk_fma_f32 v[6:7], v[12:13], v[184:185], v[4:5] neg_lo:[0,0,1] neg_hi:[0,0,1]
	v_pk_fma_f32 v[4:5], v[12:13], v[184:185], v[4:5] op_sel_hi:[1,0,1]
	s_nop 0
	v_mov_b32_e32 v7, v5
	s_waitcnt vmcnt(0) lgkmcnt(0)
	v_pk_mul_f32 v[4:5], v[14:15], v[190:191] op_sel:[1,1] op_sel_hi:[0,1]
	v_pk_add_f32 v[2:3], v[2:3], v[6:7]
	v_pk_fma_f32 v[6:7], v[14:15], v[190:191], v[4:5] neg_lo:[0,0,1] neg_hi:[0,0,1]
	v_pk_fma_f32 v[4:5], v[14:15], v[190:191], v[4:5] op_sel_hi:[1,0,1]
	s_nop 0
	v_mov_b32_e32 v7, v5
	scratch_load_dwordx2 v[4:5], off, off offset:72
	v_pk_add_f32 v[2:3], v[2:3], v[6:7]
	s_waitcnt vmcnt(0)
	v_pk_add_f32 v[2:3], v[4:5], v[2:3] neg_lo:[0,1] neg_hi:[0,1]
	scratch_store_dwordx2 off, v[2:3], off offset:72
	s_and_saveexec_b64 s[0:1], vcc
	s_cbranch_execz .LBB56_339
; %bb.338:
	scratch_load_dwordx2 v[2:3], off, off offset:64
	v_mov_b32_e32 v119, v118
	scratch_store_dwordx2 off, v[118:119], off offset:64
	s_waitcnt vmcnt(1)
	ds_write_b64 v1, v[2:3]
.LBB56_339:
	s_or_b64 exec, exec, s[0:1]
	s_waitcnt lgkmcnt(0)
	; wave barrier
	scratch_load_dwordx4 v[6:9], off, off offset:72
	scratch_load_dwordx4 v[14:17], off, off offset:88
	;; [unrolled: 1-line block ×10, first 2 shown]
	ds_read2_b64 v[2:5], v118 offset0:67 offset1:68
	ds_read2_b64 v[158:161], v118 offset0:103 offset1:104
	scratch_load_dwordx4 v[86:89], off, off offset:232
	scratch_load_dwordx4 v[94:97], off, off offset:248
	;; [unrolled: 1-line block ×10, first 2 shown]
	v_cmp_lt_u32_e32 vcc, 7, v0
	ds_read2_b64 v[166:169], v118 offset0:105 offset1:106
	s_waitcnt vmcnt(19) lgkmcnt(2)
	v_mul_f32_e32 v10, v2, v7
	v_fmac_f32_e32 v10, v3, v6
	v_mul_f32_e32 v11, v4, v9
	v_add_f32_e32 v10, 0, v10
	v_fmac_f32_e32 v11, v5, v8
	v_add_f32_e32 v18, v10, v11
	ds_read2_b64 v[10:13], v118 offset0:69 offset1:70
	v_mul_f32_e32 v3, v3, v7
	v_fma_f32 v2, v2, v6, -v3
	v_mul_f32_e32 v3, v5, v9
	v_add_f32_e32 v2, 0, v2
	s_waitcnt vmcnt(18) lgkmcnt(0)
	v_mul_f32_e32 v19, v10, v15
	v_fmac_f32_e32 v19, v11, v14
	v_add_f32_e32 v18, v18, v19
	v_mul_f32_e32 v19, v12, v17
	v_fmac_f32_e32 v19, v13, v16
	v_add_f32_e32 v26, v18, v19
	ds_read2_b64 v[18:21], v118 offset0:71 offset1:72
	v_fma_f32 v3, v4, v8, -v3
	v_add_f32_e32 v2, v2, v3
	v_mul_f32_e32 v3, v11, v15
	v_fma_f32 v3, v10, v14, -v3
	s_waitcnt vmcnt(17) lgkmcnt(0)
	v_mul_f32_e32 v27, v18, v23
	v_fmac_f32_e32 v27, v19, v22
	v_add_f32_e32 v26, v26, v27
	v_mul_f32_e32 v27, v20, v25
	v_fmac_f32_e32 v27, v21, v24
	v_add_f32_e32 v34, v26, v27
	ds_read2_b64 v[26:29], v118 offset0:73 offset1:74
	v_add_f32_e32 v2, v2, v3
	v_mul_f32_e32 v3, v13, v17
	v_fma_f32 v3, v12, v16, -v3
	v_add_f32_e32 v2, v2, v3
	s_waitcnt vmcnt(16) lgkmcnt(0)
	v_mul_f32_e32 v35, v26, v31
	v_fmac_f32_e32 v35, v27, v30
	v_add_f32_e32 v34, v34, v35
	v_mul_f32_e32 v35, v28, v33
	v_fmac_f32_e32 v35, v29, v32
	v_add_f32_e32 v42, v34, v35
	ds_read2_b64 v[34:37], v118 offset0:75 offset1:76
	v_mul_f32_e32 v3, v19, v23
	v_fma_f32 v3, v18, v22, -v3
	v_add_f32_e32 v2, v2, v3
	v_mul_f32_e32 v3, v21, v25
	s_waitcnt vmcnt(15) lgkmcnt(0)
	v_mul_f32_e32 v43, v34, v39
	v_fmac_f32_e32 v43, v35, v38
	v_add_f32_e32 v42, v42, v43
	v_mul_f32_e32 v43, v36, v41
	v_fmac_f32_e32 v43, v37, v40
	v_add_f32_e32 v50, v42, v43
	ds_read2_b64 v[42:45], v118 offset0:77 offset1:78
	v_fma_f32 v3, v20, v24, -v3
	v_add_f32_e32 v2, v2, v3
	v_mul_f32_e32 v3, v27, v31
	v_fma_f32 v3, v26, v30, -v3
	s_waitcnt vmcnt(14) lgkmcnt(0)
	v_mul_f32_e32 v51, v42, v47
	v_fmac_f32_e32 v51, v43, v46
	v_add_f32_e32 v50, v50, v51
	v_mul_f32_e32 v51, v44, v49
	v_fmac_f32_e32 v51, v45, v48
	v_add_f32_e32 v58, v50, v51
	ds_read2_b64 v[50:53], v118 offset0:79 offset1:80
	v_add_f32_e32 v2, v2, v3
	v_mul_f32_e32 v3, v29, v33
	v_fma_f32 v3, v28, v32, -v3
	v_add_f32_e32 v2, v2, v3
	s_waitcnt vmcnt(13) lgkmcnt(0)
	v_mul_f32_e32 v59, v50, v55
	v_fmac_f32_e32 v59, v51, v54
	v_add_f32_e32 v58, v58, v59
	v_mul_f32_e32 v59, v52, v57
	v_fmac_f32_e32 v59, v53, v56
	v_add_f32_e32 v66, v58, v59
	ds_read2_b64 v[58:61], v118 offset0:81 offset1:82
	v_mul_f32_e32 v3, v35, v39
	v_fma_f32 v3, v34, v38, -v3
	v_add_f32_e32 v2, v2, v3
	v_mul_f32_e32 v3, v37, v41
	;; [unrolled: 36-line block ×5, first 2 shown]
	s_waitcnt vmcnt(3) lgkmcnt(0)
	v_mul_f32_e32 v140, v132, v137
	v_fmac_f32_e32 v140, v133, v136
	v_add_f32_e32 v119, v119, v140
	v_mul_f32_e32 v140, v134, v139
	v_fmac_f32_e32 v140, v135, v138
	v_add_f32_e32 v119, v119, v140
	ds_read2_b64 v[140:143], v118 offset0:101 offset1:102
	scratch_load_dwordx4 v[174:177], off, off offset:392
	scratch_load_dwordx4 v[178:181], off, off offset:408
	;; [unrolled: 1-line block ×4, first 2 shown]
	v_fma_f32 v3, v84, v88, -v3
	v_add_f32_e32 v2, v2, v3
	v_mul_f32_e32 v3, v91, v95
	v_fma_f32 v3, v90, v94, -v3
	v_add_f32_e32 v2, v2, v3
	v_mul_f32_e32 v3, v93, v97
	;; [unrolled: 3-line block ×12, first 2 shown]
	v_fma_f32 v3, v134, v138, -v3
	s_waitcnt vmcnt(6) lgkmcnt(0)
	v_mul_f32_e32 v148, v140, v145
	v_add_f32_e32 v2, v2, v3
	v_mul_f32_e32 v3, v141, v145
	v_fmac_f32_e32 v148, v141, v144
	v_fma_f32 v3, v140, v144, -v3
	v_add_f32_e32 v119, v119, v148
	v_mul_f32_e32 v148, v142, v147
	v_add_f32_e32 v2, v2, v3
	v_mul_f32_e32 v3, v143, v147
	v_fmac_f32_e32 v148, v143, v146
	v_fma_f32 v3, v142, v146, -v3
	v_add_f32_e32 v119, v119, v148
	s_waitcnt vmcnt(5)
	v_mul_f32_e32 v148, v158, v163
	v_add_f32_e32 v2, v2, v3
	v_mul_f32_e32 v3, v159, v163
	v_fmac_f32_e32 v148, v159, v162
	v_fma_f32 v3, v158, v162, -v3
	v_add_f32_e32 v119, v119, v148
	v_mul_f32_e32 v148, v160, v165
	v_add_f32_e32 v2, v2, v3
	v_mul_f32_e32 v3, v161, v165
	v_fmac_f32_e32 v148, v161, v164
	v_fma_f32 v3, v160, v164, -v3
	v_add_f32_e32 v149, v119, v148
	v_add_f32_e32 v148, v2, v3
	s_waitcnt vmcnt(4)
	v_mul_f32_e32 v2, v167, v171
	v_fma_f32 v190, v166, v170, -v2
	v_mul_f32_e32 v2, v169, v173
	v_fma_f32 v192, v168, v172, -v2
	ds_read2_b64 v[2:5], v118 offset0:107 offset1:108
	ds_read2_b64 v[6:9], v118 offset0:109 offset1:110
	;; [unrolled: 1-line block ×4, first 2 shown]
	v_mul_f32_e32 v191, v166, v171
	v_fmac_f32_e32 v191, v167, v170
	v_mul_f32_e32 v193, v168, v173
	v_fmac_f32_e32 v193, v169, v172
	v_pk_add_f32 v[18:19], v[148:149], v[190:191]
	s_waitcnt vmcnt(3) lgkmcnt(3)
	v_pk_mul_f32 v[20:21], v[2:3], v[174:175] op_sel:[1,1] op_sel_hi:[0,1]
	v_pk_fma_f32 v[22:23], v[2:3], v[174:175], v[20:21] neg_lo:[0,0,1] neg_hi:[0,0,1]
	v_pk_fma_f32 v[2:3], v[2:3], v[174:175], v[20:21] op_sel_hi:[1,0,1]
	v_pk_add_f32 v[18:19], v[18:19], v[192:193]
	v_mov_b32_e32 v23, v3
	v_pk_add_f32 v[2:3], v[18:19], v[22:23]
	v_mov_b32_e32 v18, v177
	v_pk_mul_f32 v[18:19], v[4:5], v[18:19] op_sel:[1,0] op_sel_hi:[0,0]
	v_pk_fma_f32 v[20:21], v[4:5], v[176:177], v[18:19] neg_lo:[0,0,1] neg_hi:[0,0,1]
	v_pk_fma_f32 v[4:5], v[4:5], v[176:177], v[18:19] op_sel_hi:[1,0,1]
	s_nop 0
	v_mov_b32_e32 v21, v5
	s_waitcnt vmcnt(2) lgkmcnt(2)
	v_pk_mul_f32 v[4:5], v[6:7], v[178:179] op_sel:[1,1] op_sel_hi:[0,1]
	v_pk_fma_f32 v[18:19], v[6:7], v[178:179], v[4:5] neg_lo:[0,0,1] neg_hi:[0,0,1]
	v_pk_fma_f32 v[4:5], v[6:7], v[178:179], v[4:5] op_sel_hi:[1,0,1]
	v_pk_add_f32 v[2:3], v[2:3], v[20:21]
	v_mov_b32_e32 v4, v181
	v_mov_b32_e32 v19, v5
	v_pk_mul_f32 v[4:5], v[8:9], v[4:5] op_sel:[1,0] op_sel_hi:[0,0]
	v_pk_fma_f32 v[6:7], v[8:9], v[180:181], v[4:5] neg_lo:[0,0,1] neg_hi:[0,0,1]
	v_pk_fma_f32 v[4:5], v[8:9], v[180:181], v[4:5] op_sel_hi:[1,0,1]
	v_pk_add_f32 v[2:3], v[2:3], v[18:19]
	v_mov_b32_e32 v7, v5
	s_waitcnt vmcnt(1) lgkmcnt(1)
	v_pk_mul_f32 v[4:5], v[10:11], v[182:183] op_sel:[1,1] op_sel_hi:[0,1]
	v_pk_add_f32 v[2:3], v[2:3], v[6:7]
	v_pk_fma_f32 v[6:7], v[10:11], v[182:183], v[4:5] neg_lo:[0,0,1] neg_hi:[0,0,1]
	v_pk_fma_f32 v[4:5], v[10:11], v[182:183], v[4:5] op_sel_hi:[1,0,1]
	s_nop 0
	v_mov_b32_e32 v4, v185
	v_mov_b32_e32 v7, v5
	v_pk_mul_f32 v[4:5], v[12:13], v[4:5] op_sel:[1,0] op_sel_hi:[0,0]
	v_pk_add_f32 v[2:3], v[2:3], v[6:7]
	v_pk_fma_f32 v[6:7], v[12:13], v[184:185], v[4:5] neg_lo:[0,0,1] neg_hi:[0,0,1]
	v_pk_fma_f32 v[4:5], v[12:13], v[184:185], v[4:5] op_sel_hi:[1,0,1]
	s_nop 0
	v_mov_b32_e32 v7, v5
	s_waitcnt vmcnt(0) lgkmcnt(0)
	v_pk_mul_f32 v[4:5], v[14:15], v[186:187] op_sel:[1,1] op_sel_hi:[0,1]
	v_pk_add_f32 v[2:3], v[2:3], v[6:7]
	v_pk_fma_f32 v[6:7], v[14:15], v[186:187], v[4:5] neg_lo:[0,0,1] neg_hi:[0,0,1]
	v_pk_fma_f32 v[4:5], v[14:15], v[186:187], v[4:5] op_sel_hi:[1,0,1]
	s_nop 0
	v_mov_b32_e32 v4, v189
	v_mov_b32_e32 v7, v5
	v_pk_mul_f32 v[4:5], v[16:17], v[4:5] op_sel:[1,0] op_sel_hi:[0,0]
	v_pk_add_f32 v[2:3], v[2:3], v[6:7]
	v_pk_fma_f32 v[6:7], v[16:17], v[188:189], v[4:5] neg_lo:[0,0,1] neg_hi:[0,0,1]
	v_pk_fma_f32 v[4:5], v[16:17], v[188:189], v[4:5] op_sel_hi:[1,0,1]
	s_nop 0
	v_mov_b32_e32 v7, v5
	scratch_load_dwordx2 v[4:5], off, off offset:64
	v_pk_add_f32 v[2:3], v[2:3], v[6:7]
	s_waitcnt vmcnt(0)
	v_pk_add_f32 v[2:3], v[4:5], v[2:3] neg_lo:[0,1] neg_hi:[0,1]
	scratch_store_dwordx2 off, v[2:3], off offset:64
	s_and_saveexec_b64 s[0:1], vcc
	s_cbranch_execz .LBB56_341
; %bb.340:
	scratch_load_dwordx2 v[2:3], off, off offset:56
	v_mov_b32_e32 v4, 0
	v_mov_b32_e32 v5, v4
	scratch_store_dwordx2 off, v[4:5], off offset:56
	s_waitcnt vmcnt(1)
	ds_write_b64 v1, v[2:3]
.LBB56_341:
	s_or_b64 exec, exec, s[0:1]
	v_mov_b32_e32 v134, 0
	s_waitcnt lgkmcnt(0)
	; wave barrier
	ds_read_b128 v[14:17], v134 offset:528
	ds_read_b128 v[10:13], v134 offset:544
	;; [unrolled: 1-line block ×4, first 2 shown]
	scratch_load_dwordx4 v[18:21], off, off offset:64
	scratch_load_dwordx4 v[38:41], off, off offset:128
	;; [unrolled: 1-line block ×15, first 2 shown]
	v_cmp_lt_u32_e32 vcc, 6, v0
	scratch_load_dwordx4 v[46:49], off, off offset:144
	scratch_load_dwordx4 v[54:57], off, off offset:160
	;; [unrolled: 1-line block ×3, first 2 shown]
	ds_read_b128 v[158:161], v134 offset:816
	ds_read_b128 v[166:169], v134 offset:832
	;; [unrolled: 1-line block ×3, first 2 shown]
	s_waitcnt vmcnt(17) lgkmcnt(6)
	v_mul_f32_e32 v22, v14, v19
	v_fmac_f32_e32 v22, v15, v18
	v_mul_f32_e32 v23, v16, v21
	v_add_f32_e32 v22, 0, v22
	v_fmac_f32_e32 v23, v17, v20
	v_add_f32_e32 v26, v22, v23
	scratch_load_dwordx4 v[22:25], off, off offset:80
	v_mul_f32_e32 v15, v15, v19
	v_fma_f32 v14, v14, v18, -v15
	v_mul_f32_e32 v15, v17, v21
	v_add_f32_e32 v14, 0, v14
	v_fma_f32 v15, v16, v20, -v15
	v_add_f32_e32 v14, v14, v15
	s_waitcnt vmcnt(5) lgkmcnt(1)
	v_mul_f32_e32 v195, v168, v173
	s_waitcnt vmcnt(4)
	v_mov_b32_e32 v18, v181
	v_fmac_f32_e32 v195, v169, v172
	s_waitcnt lgkmcnt(0)
	v_mul_f32_e32 v197, v174, v179
	v_pk_mul_f32 v[18:19], v[176:177], v[18:19] op_sel:[1,0] op_sel_hi:[0,0]
	v_fmac_f32_e32 v197, v175, v178
	v_pk_fma_f32 v[20:21], v[176:177], v[180:181], v[18:19] neg_lo:[0,0,1] neg_hi:[0,0,1]
	v_pk_fma_f32 v[18:19], v[176:177], v[180:181], v[18:19] op_sel_hi:[1,0,1]
	s_waitcnt vmcnt(0)
	v_mul_f32_e32 v27, v10, v23
	v_fmac_f32_e32 v27, v11, v22
	v_add_f32_e32 v26, v26, v27
	v_mul_f32_e32 v27, v12, v25
	v_fmac_f32_e32 v27, v13, v24
	v_add_f32_e32 v30, v26, v27
	scratch_load_dwordx4 v[26:29], off, off offset:96
	v_mul_f32_e32 v11, v11, v23
	v_fma_f32 v10, v10, v22, -v11
	v_mul_f32_e32 v11, v13, v25
	v_add_f32_e32 v10, v14, v10
	v_fma_f32 v11, v12, v24, -v11
	v_add_f32_e32 v10, v10, v11
	v_mov_b32_e32 v21, v19
	s_waitcnt vmcnt(0)
	v_mul_f32_e32 v31, v6, v27
	v_fmac_f32_e32 v31, v7, v26
	v_add_f32_e32 v30, v30, v31
	v_mul_f32_e32 v31, v8, v29
	v_fmac_f32_e32 v31, v9, v28
	v_add_f32_e32 v34, v30, v31
	scratch_load_dwordx4 v[30:33], off, off offset:112
	v_mul_f32_e32 v7, v7, v27
	v_fma_f32 v6, v6, v26, -v7
	v_mul_f32_e32 v7, v9, v29
	v_add_f32_e32 v6, v10, v6
	v_fma_f32 v7, v8, v28, -v7
	v_add_f32_e32 v6, v6, v7
	s_waitcnt vmcnt(0)
	v_mul_f32_e32 v35, v2, v31
	v_fmac_f32_e32 v35, v3, v30
	v_add_f32_e32 v34, v34, v35
	v_mul_f32_e32 v35, v4, v33
	v_fmac_f32_e32 v35, v5, v32
	v_add_f32_e32 v42, v34, v35
	ds_read_b128 v[34:37], v134 offset:592
	v_mul_f32_e32 v3, v3, v31
	v_fma_f32 v2, v2, v30, -v3
	v_mul_f32_e32 v3, v5, v33
	v_add_f32_e32 v2, v6, v2
	s_waitcnt lgkmcnt(0)
	v_mul_f32_e32 v43, v34, v39
	v_fmac_f32_e32 v43, v35, v38
	v_add_f32_e32 v42, v42, v43
	v_mul_f32_e32 v43, v36, v41
	v_fmac_f32_e32 v43, v37, v40
	v_add_f32_e32 v50, v42, v43
	ds_read_b128 v[42:45], v134 offset:608
	v_fma_f32 v3, v4, v32, -v3
	v_add_f32_e32 v2, v2, v3
	v_mul_f32_e32 v3, v35, v39
	v_fma_f32 v3, v34, v38, -v3
	s_waitcnt lgkmcnt(0)
	v_mul_f32_e32 v51, v42, v47
	v_fmac_f32_e32 v51, v43, v46
	v_add_f32_e32 v50, v50, v51
	v_mul_f32_e32 v51, v44, v49
	v_fmac_f32_e32 v51, v45, v48
	v_add_f32_e32 v58, v50, v51
	ds_read_b128 v[50:53], v134 offset:624
	v_add_f32_e32 v2, v2, v3
	v_mul_f32_e32 v3, v37, v41
	v_fma_f32 v3, v36, v40, -v3
	v_add_f32_e32 v2, v2, v3
	s_waitcnt lgkmcnt(0)
	v_mul_f32_e32 v59, v50, v55
	v_fmac_f32_e32 v59, v51, v54
	v_add_f32_e32 v58, v58, v59
	v_mul_f32_e32 v59, v52, v57
	v_fmac_f32_e32 v59, v53, v56
	v_add_f32_e32 v66, v58, v59
	ds_read_b128 v[58:61], v134 offset:640
	v_mul_f32_e32 v3, v43, v47
	v_fma_f32 v3, v42, v46, -v3
	v_add_f32_e32 v2, v2, v3
	v_mul_f32_e32 v3, v45, v49
	s_waitcnt lgkmcnt(0)
	v_mul_f32_e32 v67, v58, v63
	v_fmac_f32_e32 v67, v59, v62
	v_add_f32_e32 v66, v66, v67
	v_mul_f32_e32 v67, v60, v65
	v_fmac_f32_e32 v67, v61, v64
	v_add_f32_e32 v74, v66, v67
	ds_read_b128 v[66:69], v134 offset:656
	v_fma_f32 v3, v44, v48, -v3
	v_add_f32_e32 v2, v2, v3
	v_mul_f32_e32 v3, v51, v55
	v_fma_f32 v3, v50, v54, -v3
	s_waitcnt lgkmcnt(0)
	v_mul_f32_e32 v75, v66, v71
	v_fmac_f32_e32 v75, v67, v70
	v_add_f32_e32 v74, v74, v75
	v_mul_f32_e32 v75, v68, v73
	v_fmac_f32_e32 v75, v69, v72
	v_add_f32_e32 v82, v74, v75
	ds_read_b128 v[74:77], v134 offset:672
	v_add_f32_e32 v2, v2, v3
	v_mul_f32_e32 v3, v53, v57
	v_fma_f32 v3, v52, v56, -v3
	v_add_f32_e32 v2, v2, v3
	s_waitcnt lgkmcnt(0)
	v_mul_f32_e32 v83, v74, v79
	v_fmac_f32_e32 v83, v75, v78
	v_add_f32_e32 v82, v82, v83
	v_mul_f32_e32 v83, v76, v81
	v_fmac_f32_e32 v83, v77, v80
	v_add_f32_e32 v90, v82, v83
	ds_read_b128 v[82:85], v134 offset:688
	v_mul_f32_e32 v3, v59, v63
	v_fma_f32 v3, v58, v62, -v3
	v_add_f32_e32 v2, v2, v3
	v_mul_f32_e32 v3, v61, v65
	;; [unrolled: 36-line block ×4, first 2 shown]
	s_waitcnt lgkmcnt(0)
	v_mul_f32_e32 v140, v130, v137
	v_fmac_f32_e32 v140, v131, v136
	v_add_f32_e32 v135, v135, v140
	v_mul_f32_e32 v140, v132, v139
	v_fmac_f32_e32 v140, v133, v138
	v_add_f32_e32 v135, v135, v140
	ds_read_b128 v[140:143], v134 offset:800
	scratch_load_dwordx4 v[182:185], off, off offset:400
	scratch_load_dwordx4 v[186:189], off, off offset:416
	;; [unrolled: 1-line block ×3, first 2 shown]
	scratch_load_dwordx2 v[198:199], off, off offset:448
	v_fma_f32 v3, v92, v96, -v3
	v_add_f32_e32 v2, v2, v3
	v_mul_f32_e32 v3, v99, v103
	v_fma_f32 v3, v98, v102, -v3
	v_add_f32_e32 v2, v2, v3
	v_mul_f32_e32 v3, v101, v105
	;; [unrolled: 3-line block ×10, first 2 shown]
	v_fma_f32 v3, v132, v138, -v3
	s_waitcnt lgkmcnt(0)
	v_mul_f32_e32 v148, v140, v145
	v_add_f32_e32 v2, v2, v3
	v_mul_f32_e32 v3, v141, v145
	v_fmac_f32_e32 v148, v141, v144
	v_fma_f32 v3, v140, v144, -v3
	v_add_f32_e32 v135, v135, v148
	v_mul_f32_e32 v148, v142, v147
	v_add_f32_e32 v2, v2, v3
	v_mul_f32_e32 v3, v143, v147
	v_fmac_f32_e32 v148, v143, v146
	v_fma_f32 v3, v142, v146, -v3
	v_add_f32_e32 v135, v135, v148
	;; [unrolled: 6-line block ×5, first 2 shown]
	v_add_f32_e32 v148, v2, v3
	v_mul_f32_e32 v2, v169, v173
	v_fma_f32 v194, v168, v172, -v2
	v_mul_f32_e32 v2, v175, v179
	v_fma_f32 v196, v174, v178, -v2
	ds_read_b128 v[2:5], v134 offset:864
	ds_read_b128 v[6:9], v134 offset:880
	;; [unrolled: 1-line block ×3, first 2 shown]
	ds_read_b64 v[14:15], v134 offset:912
	v_pk_add_f32 v[16:17], v[148:149], v[194:195]
	s_waitcnt vmcnt(3) lgkmcnt(3)
	v_pk_mul_f32 v[18:19], v[2:3], v[182:183] op_sel:[1,1] op_sel_hi:[0,1]
	v_pk_add_f32 v[16:17], v[16:17], v[196:197]
	s_nop 0
	v_pk_add_f32 v[16:17], v[16:17], v[20:21]
	v_pk_fma_f32 v[20:21], v[2:3], v[182:183], v[18:19] neg_lo:[0,0,1] neg_hi:[0,0,1]
	v_pk_fma_f32 v[2:3], v[2:3], v[182:183], v[18:19] op_sel_hi:[1,0,1]
	s_nop 0
	v_mov_b32_e32 v21, v3
	v_pk_add_f32 v[2:3], v[16:17], v[20:21]
	v_mov_b32_e32 v16, v185
	v_pk_mul_f32 v[16:17], v[4:5], v[16:17] op_sel:[1,0] op_sel_hi:[0,0]
	v_pk_fma_f32 v[18:19], v[4:5], v[184:185], v[16:17] neg_lo:[0,0,1] neg_hi:[0,0,1]
	v_pk_fma_f32 v[4:5], v[4:5], v[184:185], v[16:17] op_sel_hi:[1,0,1]
	s_nop 0
	v_mov_b32_e32 v19, v5
	s_waitcnt vmcnt(2) lgkmcnt(2)
	v_pk_mul_f32 v[4:5], v[6:7], v[186:187] op_sel:[1,1] op_sel_hi:[0,1]
	v_pk_fma_f32 v[16:17], v[6:7], v[186:187], v[4:5] neg_lo:[0,0,1] neg_hi:[0,0,1]
	v_pk_fma_f32 v[4:5], v[6:7], v[186:187], v[4:5] op_sel_hi:[1,0,1]
	v_pk_add_f32 v[2:3], v[2:3], v[18:19]
	v_mov_b32_e32 v4, v189
	v_mov_b32_e32 v17, v5
	v_pk_mul_f32 v[4:5], v[8:9], v[4:5] op_sel:[1,0] op_sel_hi:[0,0]
	v_pk_fma_f32 v[6:7], v[8:9], v[188:189], v[4:5] neg_lo:[0,0,1] neg_hi:[0,0,1]
	v_pk_fma_f32 v[4:5], v[8:9], v[188:189], v[4:5] op_sel_hi:[1,0,1]
	v_pk_add_f32 v[2:3], v[2:3], v[16:17]
	v_mov_b32_e32 v7, v5
	s_waitcnt vmcnt(1) lgkmcnt(1)
	v_pk_mul_f32 v[4:5], v[10:11], v[190:191] op_sel:[1,1] op_sel_hi:[0,1]
	v_pk_add_f32 v[2:3], v[2:3], v[6:7]
	v_pk_fma_f32 v[6:7], v[10:11], v[190:191], v[4:5] neg_lo:[0,0,1] neg_hi:[0,0,1]
	v_pk_fma_f32 v[4:5], v[10:11], v[190:191], v[4:5] op_sel_hi:[1,0,1]
	s_nop 0
	v_mov_b32_e32 v4, v193
	v_mov_b32_e32 v7, v5
	v_pk_mul_f32 v[4:5], v[12:13], v[4:5] op_sel:[1,0] op_sel_hi:[0,0]
	v_pk_add_f32 v[2:3], v[2:3], v[6:7]
	v_pk_fma_f32 v[6:7], v[12:13], v[192:193], v[4:5] neg_lo:[0,0,1] neg_hi:[0,0,1]
	v_pk_fma_f32 v[4:5], v[12:13], v[192:193], v[4:5] op_sel_hi:[1,0,1]
	s_nop 0
	v_mov_b32_e32 v7, v5
	s_waitcnt vmcnt(0) lgkmcnt(0)
	v_pk_mul_f32 v[4:5], v[14:15], v[198:199] op_sel:[1,1] op_sel_hi:[0,1]
	v_pk_add_f32 v[2:3], v[2:3], v[6:7]
	v_pk_fma_f32 v[6:7], v[14:15], v[198:199], v[4:5] neg_lo:[0,0,1] neg_hi:[0,0,1]
	v_pk_fma_f32 v[4:5], v[14:15], v[198:199], v[4:5] op_sel_hi:[1,0,1]
	s_nop 0
	v_mov_b32_e32 v7, v5
	scratch_load_dwordx2 v[4:5], off, off offset:56
	v_pk_add_f32 v[2:3], v[2:3], v[6:7]
	s_waitcnt vmcnt(0)
	v_pk_add_f32 v[2:3], v[4:5], v[2:3] neg_lo:[0,1] neg_hi:[0,1]
	scratch_store_dwordx2 off, v[2:3], off offset:56
	s_and_saveexec_b64 s[0:1], vcc
	s_cbranch_execz .LBB56_343
; %bb.342:
	scratch_load_dwordx2 v[2:3], off, off offset:48
	v_mov_b32_e32 v135, v134
	scratch_store_dwordx2 off, v[134:135], off offset:48
	s_waitcnt vmcnt(1)
	ds_write_b64 v1, v[2:3]
.LBB56_343:
	s_or_b64 exec, exec, s[0:1]
	s_waitcnt lgkmcnt(0)
	; wave barrier
	scratch_load_dwordx4 v[6:9], off, off offset:56
	scratch_load_dwordx4 v[14:17], off, off offset:72
	;; [unrolled: 1-line block ×10, first 2 shown]
	ds_read2_b64 v[2:5], v134 offset0:65 offset1:66
	ds_read2_b64 v[158:161], v134 offset0:101 offset1:102
	scratch_load_dwordx4 v[86:89], off, off offset:216
	scratch_load_dwordx4 v[94:97], off, off offset:232
	;; [unrolled: 1-line block ×11, first 2 shown]
	v_cmp_lt_u32_e32 vcc, 5, v0
	ds_read2_b64 v[166:169], v134 offset0:103 offset1:104
	ds_read2_b64 v[174:177], v134 offset0:105 offset1:106
	s_waitcnt vmcnt(20) lgkmcnt(3)
	v_mul_f32_e32 v10, v2, v7
	v_fmac_f32_e32 v10, v3, v6
	v_mul_f32_e32 v11, v4, v9
	v_add_f32_e32 v10, 0, v10
	v_fmac_f32_e32 v11, v5, v8
	v_add_f32_e32 v18, v10, v11
	ds_read2_b64 v[10:13], v134 offset0:67 offset1:68
	v_mul_f32_e32 v3, v3, v7
	v_fma_f32 v2, v2, v6, -v3
	v_mul_f32_e32 v3, v5, v9
	v_add_f32_e32 v2, 0, v2
	s_waitcnt vmcnt(19) lgkmcnt(0)
	v_mul_f32_e32 v19, v10, v15
	v_fmac_f32_e32 v19, v11, v14
	v_add_f32_e32 v18, v18, v19
	v_mul_f32_e32 v19, v12, v17
	v_fmac_f32_e32 v19, v13, v16
	v_add_f32_e32 v26, v18, v19
	ds_read2_b64 v[18:21], v134 offset0:69 offset1:70
	v_fma_f32 v3, v4, v8, -v3
	v_add_f32_e32 v2, v2, v3
	v_mul_f32_e32 v3, v11, v15
	v_fma_f32 v3, v10, v14, -v3
	s_waitcnt vmcnt(18) lgkmcnt(0)
	v_mul_f32_e32 v27, v18, v23
	v_fmac_f32_e32 v27, v19, v22
	v_add_f32_e32 v26, v26, v27
	v_mul_f32_e32 v27, v20, v25
	v_fmac_f32_e32 v27, v21, v24
	v_add_f32_e32 v34, v26, v27
	ds_read2_b64 v[26:29], v134 offset0:71 offset1:72
	v_add_f32_e32 v2, v2, v3
	v_mul_f32_e32 v3, v13, v17
	v_fma_f32 v3, v12, v16, -v3
	v_add_f32_e32 v2, v2, v3
	s_waitcnt vmcnt(17) lgkmcnt(0)
	v_mul_f32_e32 v35, v26, v31
	v_fmac_f32_e32 v35, v27, v30
	v_add_f32_e32 v34, v34, v35
	v_mul_f32_e32 v35, v28, v33
	v_fmac_f32_e32 v35, v29, v32
	v_add_f32_e32 v42, v34, v35
	ds_read2_b64 v[34:37], v134 offset0:73 offset1:74
	v_mul_f32_e32 v3, v19, v23
	v_fma_f32 v3, v18, v22, -v3
	v_add_f32_e32 v2, v2, v3
	v_mul_f32_e32 v3, v21, v25
	s_waitcnt vmcnt(16) lgkmcnt(0)
	v_mul_f32_e32 v43, v34, v39
	v_fmac_f32_e32 v43, v35, v38
	v_add_f32_e32 v42, v42, v43
	v_mul_f32_e32 v43, v36, v41
	v_fmac_f32_e32 v43, v37, v40
	v_add_f32_e32 v50, v42, v43
	ds_read2_b64 v[42:45], v134 offset0:75 offset1:76
	v_fma_f32 v3, v20, v24, -v3
	v_add_f32_e32 v2, v2, v3
	v_mul_f32_e32 v3, v27, v31
	v_fma_f32 v3, v26, v30, -v3
	s_waitcnt vmcnt(15) lgkmcnt(0)
	v_mul_f32_e32 v51, v42, v47
	v_fmac_f32_e32 v51, v43, v46
	v_add_f32_e32 v50, v50, v51
	v_mul_f32_e32 v51, v44, v49
	v_fmac_f32_e32 v51, v45, v48
	v_add_f32_e32 v58, v50, v51
	ds_read2_b64 v[50:53], v134 offset0:77 offset1:78
	v_add_f32_e32 v2, v2, v3
	v_mul_f32_e32 v3, v29, v33
	v_fma_f32 v3, v28, v32, -v3
	v_add_f32_e32 v2, v2, v3
	s_waitcnt vmcnt(14) lgkmcnt(0)
	v_mul_f32_e32 v59, v50, v55
	v_fmac_f32_e32 v59, v51, v54
	v_add_f32_e32 v58, v58, v59
	v_mul_f32_e32 v59, v52, v57
	v_fmac_f32_e32 v59, v53, v56
	v_add_f32_e32 v66, v58, v59
	ds_read2_b64 v[58:61], v134 offset0:79 offset1:80
	v_mul_f32_e32 v3, v35, v39
	v_fma_f32 v3, v34, v38, -v3
	v_add_f32_e32 v2, v2, v3
	v_mul_f32_e32 v3, v37, v41
	;; [unrolled: 36-line block ×5, first 2 shown]
	s_waitcnt vmcnt(4) lgkmcnt(0)
	v_mul_f32_e32 v140, v130, v137
	v_fmac_f32_e32 v140, v131, v136
	v_add_f32_e32 v135, v135, v140
	v_mul_f32_e32 v140, v132, v139
	v_fmac_f32_e32 v140, v133, v138
	v_add_f32_e32 v135, v135, v140
	ds_read2_b64 v[140:143], v134 offset0:99 offset1:100
	scratch_load_dwordx4 v[182:185], off, off offset:392
	scratch_load_dwordx4 v[186:189], off, off offset:408
	;; [unrolled: 1-line block ×4, first 2 shown]
	v_fma_f32 v3, v84, v88, -v3
	v_add_f32_e32 v2, v2, v3
	v_mul_f32_e32 v3, v91, v95
	v_fma_f32 v3, v90, v94, -v3
	v_add_f32_e32 v2, v2, v3
	v_mul_f32_e32 v3, v93, v97
	;; [unrolled: 3-line block ×12, first 2 shown]
	v_fma_f32 v3, v132, v138, -v3
	s_waitcnt vmcnt(7) lgkmcnt(0)
	v_mul_f32_e32 v148, v140, v145
	v_add_f32_e32 v2, v2, v3
	v_mul_f32_e32 v3, v141, v145
	v_fmac_f32_e32 v148, v141, v144
	v_fma_f32 v3, v140, v144, -v3
	v_add_f32_e32 v135, v135, v148
	v_mul_f32_e32 v148, v142, v147
	v_add_f32_e32 v2, v2, v3
	v_mul_f32_e32 v3, v143, v147
	v_fmac_f32_e32 v148, v143, v146
	v_fma_f32 v3, v142, v146, -v3
	v_add_f32_e32 v135, v135, v148
	s_waitcnt vmcnt(6)
	v_mul_f32_e32 v148, v158, v163
	v_add_f32_e32 v2, v2, v3
	v_mul_f32_e32 v3, v159, v163
	v_fmac_f32_e32 v148, v159, v162
	v_fma_f32 v3, v158, v162, -v3
	v_add_f32_e32 v135, v135, v148
	v_mul_f32_e32 v148, v160, v165
	v_add_f32_e32 v2, v2, v3
	v_mul_f32_e32 v3, v161, v165
	v_fmac_f32_e32 v148, v161, v164
	v_fma_f32 v3, v160, v164, -v3
	v_add_f32_e32 v135, v135, v148
	s_waitcnt vmcnt(5)
	v_mul_f32_e32 v148, v166, v171
	v_add_f32_e32 v2, v2, v3
	v_mul_f32_e32 v3, v167, v171
	v_fmac_f32_e32 v148, v167, v170
	v_fma_f32 v3, v166, v170, -v3
	v_add_f32_e32 v135, v135, v148
	v_mul_f32_e32 v148, v168, v173
	v_add_f32_e32 v2, v2, v3
	v_mul_f32_e32 v3, v169, v173
	v_fmac_f32_e32 v148, v169, v172
	v_fma_f32 v3, v168, v172, -v3
	v_add_f32_e32 v149, v135, v148
	v_add_f32_e32 v148, v2, v3
	s_waitcnt vmcnt(4)
	v_mul_f32_e32 v2, v175, v179
	v_fma_f32 v198, v174, v178, -v2
	v_mul_f32_e32 v2, v177, v181
	v_fma_f32 v200, v176, v180, -v2
	ds_read2_b64 v[2:5], v134 offset0:107 offset1:108
	ds_read2_b64 v[6:9], v134 offset0:109 offset1:110
	ds_read2_b64 v[10:13], v134 offset0:111 offset1:112
	ds_read2_b64 v[14:17], v134 offset0:113 offset1:114
	v_mul_f32_e32 v199, v174, v179
	v_fmac_f32_e32 v199, v175, v178
	v_mul_f32_e32 v201, v176, v181
	s_waitcnt vmcnt(3) lgkmcnt(3)
	v_pk_mul_f32 v[20:21], v[2:3], v[182:183] op_sel:[1,1] op_sel_hi:[0,1]
	v_fmac_f32_e32 v201, v177, v180
	v_pk_add_f32 v[18:19], v[148:149], v[198:199]
	v_pk_fma_f32 v[22:23], v[2:3], v[182:183], v[20:21] neg_lo:[0,0,1] neg_hi:[0,0,1]
	v_pk_fma_f32 v[2:3], v[2:3], v[182:183], v[20:21] op_sel_hi:[1,0,1]
	v_pk_add_f32 v[18:19], v[18:19], v[200:201]
	v_mov_b32_e32 v23, v3
	v_pk_add_f32 v[2:3], v[18:19], v[22:23]
	v_mov_b32_e32 v18, v185
	v_pk_mul_f32 v[18:19], v[4:5], v[18:19] op_sel:[1,0] op_sel_hi:[0,0]
	v_pk_fma_f32 v[20:21], v[4:5], v[184:185], v[18:19] neg_lo:[0,0,1] neg_hi:[0,0,1]
	v_pk_fma_f32 v[4:5], v[4:5], v[184:185], v[18:19] op_sel_hi:[1,0,1]
	s_nop 0
	v_mov_b32_e32 v21, v5
	s_waitcnt vmcnt(2) lgkmcnt(2)
	v_pk_mul_f32 v[4:5], v[6:7], v[186:187] op_sel:[1,1] op_sel_hi:[0,1]
	v_pk_fma_f32 v[18:19], v[6:7], v[186:187], v[4:5] neg_lo:[0,0,1] neg_hi:[0,0,1]
	v_pk_fma_f32 v[4:5], v[6:7], v[186:187], v[4:5] op_sel_hi:[1,0,1]
	v_pk_add_f32 v[2:3], v[2:3], v[20:21]
	v_mov_b32_e32 v4, v189
	v_mov_b32_e32 v19, v5
	v_pk_mul_f32 v[4:5], v[8:9], v[4:5] op_sel:[1,0] op_sel_hi:[0,0]
	v_pk_fma_f32 v[6:7], v[8:9], v[188:189], v[4:5] neg_lo:[0,0,1] neg_hi:[0,0,1]
	v_pk_fma_f32 v[4:5], v[8:9], v[188:189], v[4:5] op_sel_hi:[1,0,1]
	v_pk_add_f32 v[2:3], v[2:3], v[18:19]
	v_mov_b32_e32 v7, v5
	s_waitcnt vmcnt(1) lgkmcnt(1)
	v_pk_mul_f32 v[4:5], v[10:11], v[190:191] op_sel:[1,1] op_sel_hi:[0,1]
	v_pk_add_f32 v[2:3], v[2:3], v[6:7]
	v_pk_fma_f32 v[6:7], v[10:11], v[190:191], v[4:5] neg_lo:[0,0,1] neg_hi:[0,0,1]
	v_pk_fma_f32 v[4:5], v[10:11], v[190:191], v[4:5] op_sel_hi:[1,0,1]
	s_nop 0
	v_mov_b32_e32 v4, v193
	v_mov_b32_e32 v7, v5
	v_pk_mul_f32 v[4:5], v[12:13], v[4:5] op_sel:[1,0] op_sel_hi:[0,0]
	v_pk_add_f32 v[2:3], v[2:3], v[6:7]
	v_pk_fma_f32 v[6:7], v[12:13], v[192:193], v[4:5] neg_lo:[0,0,1] neg_hi:[0,0,1]
	v_pk_fma_f32 v[4:5], v[12:13], v[192:193], v[4:5] op_sel_hi:[1,0,1]
	s_nop 0
	v_mov_b32_e32 v7, v5
	s_waitcnt vmcnt(0) lgkmcnt(0)
	v_pk_mul_f32 v[4:5], v[14:15], v[194:195] op_sel:[1,1] op_sel_hi:[0,1]
	v_pk_add_f32 v[2:3], v[2:3], v[6:7]
	v_pk_fma_f32 v[6:7], v[14:15], v[194:195], v[4:5] neg_lo:[0,0,1] neg_hi:[0,0,1]
	v_pk_fma_f32 v[4:5], v[14:15], v[194:195], v[4:5] op_sel_hi:[1,0,1]
	s_nop 0
	v_mov_b32_e32 v4, v197
	v_mov_b32_e32 v7, v5
	v_pk_mul_f32 v[4:5], v[16:17], v[4:5] op_sel:[1,0] op_sel_hi:[0,0]
	v_pk_add_f32 v[2:3], v[2:3], v[6:7]
	v_pk_fma_f32 v[6:7], v[16:17], v[196:197], v[4:5] neg_lo:[0,0,1] neg_hi:[0,0,1]
	v_pk_fma_f32 v[4:5], v[16:17], v[196:197], v[4:5] op_sel_hi:[1,0,1]
	s_nop 0
	v_mov_b32_e32 v7, v5
	scratch_load_dwordx2 v[4:5], off, off offset:48
	v_pk_add_f32 v[2:3], v[2:3], v[6:7]
	s_waitcnt vmcnt(0)
	v_pk_add_f32 v[2:3], v[4:5], v[2:3] neg_lo:[0,1] neg_hi:[0,1]
	scratch_store_dwordx2 off, v[2:3], off offset:48
	s_and_saveexec_b64 s[0:1], vcc
	s_cbranch_execz .LBB56_345
; %bb.344:
	scratch_load_dwordx2 v[2:3], off, off offset:40
	v_mov_b32_e32 v4, 0
	v_mov_b32_e32 v5, v4
	scratch_store_dwordx2 off, v[4:5], off offset:40
	s_waitcnt vmcnt(1)
	ds_write_b64 v1, v[2:3]
.LBB56_345:
	s_or_b64 exec, exec, s[0:1]
	v_mov_b32_e32 v142, 0
	s_waitcnt lgkmcnt(0)
	; wave barrier
	ds_read_b128 v[14:17], v142 offset:512
	ds_read_b128 v[10:13], v142 offset:528
	;; [unrolled: 1-line block ×4, first 2 shown]
	scratch_load_dwordx4 v[18:21], off, off offset:48
	scratch_load_dwordx4 v[38:41], off, off offset:112
	;; [unrolled: 1-line block ×16, first 2 shown]
	v_cmp_lt_u32_e32 vcc, 4, v0
	scratch_load_dwordx4 v[46:49], off, off offset:128
	scratch_load_dwordx4 v[54:57], off, off offset:144
	;; [unrolled: 1-line block ×3, first 2 shown]
	ds_read_b128 v[158:161], v142 offset:800
	ds_read_b128 v[166:169], v142 offset:816
	ds_read_b128 v[174:177], v142 offset:832
	ds_read_b128 v[182:185], v142 offset:848
	s_waitcnt vmcnt(18) lgkmcnt(7)
	v_mul_f32_e32 v22, v14, v19
	v_fmac_f32_e32 v22, v15, v18
	v_mul_f32_e32 v23, v16, v21
	v_add_f32_e32 v22, 0, v22
	v_fmac_f32_e32 v23, v17, v20
	v_add_f32_e32 v26, v22, v23
	scratch_load_dwordx4 v[22:25], off, off offset:64
	v_mul_f32_e32 v15, v15, v19
	v_fma_f32 v14, v14, v18, -v15
	v_mul_f32_e32 v15, v17, v21
	v_add_f32_e32 v14, 0, v14
	v_fma_f32 v15, v16, v20, -v15
	v_add_f32_e32 v14, v14, v15
	s_waitcnt vmcnt(5) lgkmcnt(1)
	v_mul_f32_e32 v203, v176, v181
	s_waitcnt vmcnt(4)
	v_mov_b32_e32 v18, v189
	v_fmac_f32_e32 v203, v177, v180
	s_waitcnt lgkmcnt(0)
	v_mul_f32_e32 v205, v182, v187
	v_pk_mul_f32 v[18:19], v[184:185], v[18:19] op_sel:[1,0] op_sel_hi:[0,0]
	v_fmac_f32_e32 v205, v183, v186
	v_pk_fma_f32 v[20:21], v[184:185], v[188:189], v[18:19] neg_lo:[0,0,1] neg_hi:[0,0,1]
	v_pk_fma_f32 v[18:19], v[184:185], v[188:189], v[18:19] op_sel_hi:[1,0,1]
	s_waitcnt vmcnt(0)
	v_mul_f32_e32 v27, v10, v23
	v_fmac_f32_e32 v27, v11, v22
	v_add_f32_e32 v26, v26, v27
	v_mul_f32_e32 v27, v12, v25
	v_fmac_f32_e32 v27, v13, v24
	v_add_f32_e32 v30, v26, v27
	scratch_load_dwordx4 v[26:29], off, off offset:80
	v_mul_f32_e32 v11, v11, v23
	v_fma_f32 v10, v10, v22, -v11
	v_mul_f32_e32 v11, v13, v25
	v_add_f32_e32 v10, v14, v10
	v_fma_f32 v11, v12, v24, -v11
	v_add_f32_e32 v10, v10, v11
	v_mov_b32_e32 v21, v19
	s_waitcnt vmcnt(0)
	v_mul_f32_e32 v31, v6, v27
	v_fmac_f32_e32 v31, v7, v26
	v_add_f32_e32 v30, v30, v31
	v_mul_f32_e32 v31, v8, v29
	v_fmac_f32_e32 v31, v9, v28
	v_add_f32_e32 v34, v30, v31
	scratch_load_dwordx4 v[30:33], off, off offset:96
	v_mul_f32_e32 v7, v7, v27
	v_fma_f32 v6, v6, v26, -v7
	v_mul_f32_e32 v7, v9, v29
	v_add_f32_e32 v6, v10, v6
	v_fma_f32 v7, v8, v28, -v7
	v_add_f32_e32 v6, v6, v7
	s_waitcnt vmcnt(0)
	v_mul_f32_e32 v35, v2, v31
	v_fmac_f32_e32 v35, v3, v30
	v_add_f32_e32 v34, v34, v35
	v_mul_f32_e32 v35, v4, v33
	v_fmac_f32_e32 v35, v5, v32
	v_add_f32_e32 v42, v34, v35
	ds_read_b128 v[34:37], v142 offset:576
	v_mul_f32_e32 v3, v3, v31
	v_fma_f32 v2, v2, v30, -v3
	v_mul_f32_e32 v3, v5, v33
	v_add_f32_e32 v2, v6, v2
	s_waitcnt lgkmcnt(0)
	v_mul_f32_e32 v43, v34, v39
	v_fmac_f32_e32 v43, v35, v38
	v_add_f32_e32 v42, v42, v43
	v_mul_f32_e32 v43, v36, v41
	v_fmac_f32_e32 v43, v37, v40
	v_add_f32_e32 v50, v42, v43
	ds_read_b128 v[42:45], v142 offset:592
	v_fma_f32 v3, v4, v32, -v3
	v_add_f32_e32 v2, v2, v3
	v_mul_f32_e32 v3, v35, v39
	v_fma_f32 v3, v34, v38, -v3
	s_waitcnt lgkmcnt(0)
	v_mul_f32_e32 v51, v42, v47
	v_fmac_f32_e32 v51, v43, v46
	v_add_f32_e32 v50, v50, v51
	v_mul_f32_e32 v51, v44, v49
	v_fmac_f32_e32 v51, v45, v48
	v_add_f32_e32 v58, v50, v51
	ds_read_b128 v[50:53], v142 offset:608
	v_add_f32_e32 v2, v2, v3
	v_mul_f32_e32 v3, v37, v41
	v_fma_f32 v3, v36, v40, -v3
	v_add_f32_e32 v2, v2, v3
	s_waitcnt lgkmcnt(0)
	v_mul_f32_e32 v59, v50, v55
	v_fmac_f32_e32 v59, v51, v54
	v_add_f32_e32 v58, v58, v59
	v_mul_f32_e32 v59, v52, v57
	v_fmac_f32_e32 v59, v53, v56
	v_add_f32_e32 v66, v58, v59
	ds_read_b128 v[58:61], v142 offset:624
	v_mul_f32_e32 v3, v43, v47
	v_fma_f32 v3, v42, v46, -v3
	v_add_f32_e32 v2, v2, v3
	v_mul_f32_e32 v3, v45, v49
	s_waitcnt lgkmcnt(0)
	v_mul_f32_e32 v67, v58, v63
	v_fmac_f32_e32 v67, v59, v62
	v_add_f32_e32 v66, v66, v67
	v_mul_f32_e32 v67, v60, v65
	v_fmac_f32_e32 v67, v61, v64
	v_add_f32_e32 v74, v66, v67
	ds_read_b128 v[66:69], v142 offset:640
	v_fma_f32 v3, v44, v48, -v3
	v_add_f32_e32 v2, v2, v3
	v_mul_f32_e32 v3, v51, v55
	v_fma_f32 v3, v50, v54, -v3
	s_waitcnt lgkmcnt(0)
	v_mul_f32_e32 v75, v66, v71
	v_fmac_f32_e32 v75, v67, v70
	v_add_f32_e32 v74, v74, v75
	v_mul_f32_e32 v75, v68, v73
	v_fmac_f32_e32 v75, v69, v72
	v_add_f32_e32 v82, v74, v75
	ds_read_b128 v[74:77], v142 offset:656
	v_add_f32_e32 v2, v2, v3
	v_mul_f32_e32 v3, v53, v57
	v_fma_f32 v3, v52, v56, -v3
	v_add_f32_e32 v2, v2, v3
	s_waitcnt lgkmcnt(0)
	v_mul_f32_e32 v83, v74, v79
	v_fmac_f32_e32 v83, v75, v78
	v_add_f32_e32 v82, v82, v83
	v_mul_f32_e32 v83, v76, v81
	v_fmac_f32_e32 v83, v77, v80
	v_add_f32_e32 v90, v82, v83
	ds_read_b128 v[82:85], v142 offset:672
	v_mul_f32_e32 v3, v59, v63
	v_fma_f32 v3, v58, v62, -v3
	v_add_f32_e32 v2, v2, v3
	v_mul_f32_e32 v3, v61, v65
	;; [unrolled: 36-line block ×4, first 2 shown]
	s_waitcnt lgkmcnt(0)
	v_mul_f32_e32 v139, v130, v135
	v_fmac_f32_e32 v139, v131, v134
	v_add_f32_e32 v138, v138, v139
	v_mul_f32_e32 v139, v132, v137
	v_fmac_f32_e32 v139, v133, v136
	v_add_f32_e32 v143, v138, v139
	ds_read_b128 v[138:141], v142 offset:784
	scratch_load_dwordx4 v[190:193], off, off offset:400
	scratch_load_dwordx4 v[194:197], off, off offset:416
	;; [unrolled: 1-line block ×3, first 2 shown]
	scratch_load_dwordx2 v[206:207], off, off offset:448
	v_fma_f32 v3, v92, v96, -v3
	v_add_f32_e32 v2, v2, v3
	v_mul_f32_e32 v3, v99, v103
	v_fma_f32 v3, v98, v102, -v3
	v_add_f32_e32 v2, v2, v3
	v_mul_f32_e32 v3, v101, v105
	;; [unrolled: 3-line block ×10, first 2 shown]
	v_fma_f32 v3, v132, v136, -v3
	s_waitcnt lgkmcnt(0)
	v_mul_f32_e32 v148, v138, v145
	v_add_f32_e32 v2, v2, v3
	v_mul_f32_e32 v3, v139, v145
	v_fmac_f32_e32 v148, v139, v144
	v_fma_f32 v3, v138, v144, -v3
	v_add_f32_e32 v143, v143, v148
	v_mul_f32_e32 v148, v140, v147
	v_add_f32_e32 v2, v2, v3
	v_mul_f32_e32 v3, v141, v147
	v_fmac_f32_e32 v148, v141, v146
	v_fma_f32 v3, v140, v146, -v3
	v_add_f32_e32 v143, v143, v148
	;; [unrolled: 6-line block ×7, first 2 shown]
	v_add_f32_e32 v148, v2, v3
	v_mul_f32_e32 v2, v177, v181
	v_fma_f32 v202, v176, v180, -v2
	v_mul_f32_e32 v2, v183, v187
	v_fma_f32 v204, v182, v186, -v2
	ds_read_b128 v[2:5], v142 offset:864
	ds_read_b128 v[6:9], v142 offset:880
	;; [unrolled: 1-line block ×3, first 2 shown]
	ds_read_b64 v[14:15], v142 offset:912
	v_pk_add_f32 v[16:17], v[148:149], v[202:203]
	s_waitcnt vmcnt(3) lgkmcnt(3)
	v_pk_mul_f32 v[18:19], v[2:3], v[190:191] op_sel:[1,1] op_sel_hi:[0,1]
	v_pk_add_f32 v[16:17], v[16:17], v[204:205]
	s_nop 0
	v_pk_add_f32 v[16:17], v[16:17], v[20:21]
	v_pk_fma_f32 v[20:21], v[2:3], v[190:191], v[18:19] neg_lo:[0,0,1] neg_hi:[0,0,1]
	v_pk_fma_f32 v[2:3], v[2:3], v[190:191], v[18:19] op_sel_hi:[1,0,1]
	s_nop 0
	v_mov_b32_e32 v21, v3
	v_pk_add_f32 v[2:3], v[16:17], v[20:21]
	v_mov_b32_e32 v16, v193
	v_pk_mul_f32 v[16:17], v[4:5], v[16:17] op_sel:[1,0] op_sel_hi:[0,0]
	v_pk_fma_f32 v[18:19], v[4:5], v[192:193], v[16:17] neg_lo:[0,0,1] neg_hi:[0,0,1]
	v_pk_fma_f32 v[4:5], v[4:5], v[192:193], v[16:17] op_sel_hi:[1,0,1]
	s_nop 0
	v_mov_b32_e32 v19, v5
	s_waitcnt vmcnt(2) lgkmcnt(2)
	v_pk_mul_f32 v[4:5], v[6:7], v[194:195] op_sel:[1,1] op_sel_hi:[0,1]
	v_pk_fma_f32 v[16:17], v[6:7], v[194:195], v[4:5] neg_lo:[0,0,1] neg_hi:[0,0,1]
	v_pk_fma_f32 v[4:5], v[6:7], v[194:195], v[4:5] op_sel_hi:[1,0,1]
	v_pk_add_f32 v[2:3], v[2:3], v[18:19]
	v_mov_b32_e32 v4, v197
	v_mov_b32_e32 v17, v5
	v_pk_mul_f32 v[4:5], v[8:9], v[4:5] op_sel:[1,0] op_sel_hi:[0,0]
	v_pk_fma_f32 v[6:7], v[8:9], v[196:197], v[4:5] neg_lo:[0,0,1] neg_hi:[0,0,1]
	v_pk_fma_f32 v[4:5], v[8:9], v[196:197], v[4:5] op_sel_hi:[1,0,1]
	v_pk_add_f32 v[2:3], v[2:3], v[16:17]
	v_mov_b32_e32 v7, v5
	s_waitcnt vmcnt(1) lgkmcnt(1)
	v_pk_mul_f32 v[4:5], v[10:11], v[198:199] op_sel:[1,1] op_sel_hi:[0,1]
	v_pk_add_f32 v[2:3], v[2:3], v[6:7]
	v_pk_fma_f32 v[6:7], v[10:11], v[198:199], v[4:5] neg_lo:[0,0,1] neg_hi:[0,0,1]
	v_pk_fma_f32 v[4:5], v[10:11], v[198:199], v[4:5] op_sel_hi:[1,0,1]
	s_nop 0
	v_mov_b32_e32 v4, v201
	v_mov_b32_e32 v7, v5
	v_pk_mul_f32 v[4:5], v[12:13], v[4:5] op_sel:[1,0] op_sel_hi:[0,0]
	v_pk_add_f32 v[2:3], v[2:3], v[6:7]
	v_pk_fma_f32 v[6:7], v[12:13], v[200:201], v[4:5] neg_lo:[0,0,1] neg_hi:[0,0,1]
	v_pk_fma_f32 v[4:5], v[12:13], v[200:201], v[4:5] op_sel_hi:[1,0,1]
	s_nop 0
	v_mov_b32_e32 v7, v5
	s_waitcnt vmcnt(0) lgkmcnt(0)
	v_pk_mul_f32 v[4:5], v[14:15], v[206:207] op_sel:[1,1] op_sel_hi:[0,1]
	v_pk_add_f32 v[2:3], v[2:3], v[6:7]
	v_pk_fma_f32 v[6:7], v[14:15], v[206:207], v[4:5] neg_lo:[0,0,1] neg_hi:[0,0,1]
	v_pk_fma_f32 v[4:5], v[14:15], v[206:207], v[4:5] op_sel_hi:[1,0,1]
	s_nop 0
	v_mov_b32_e32 v7, v5
	scratch_load_dwordx2 v[4:5], off, off offset:40
	v_pk_add_f32 v[2:3], v[2:3], v[6:7]
	s_waitcnt vmcnt(0)
	v_pk_add_f32 v[2:3], v[4:5], v[2:3] neg_lo:[0,1] neg_hi:[0,1]
	scratch_store_dwordx2 off, v[2:3], off offset:40
	s_and_saveexec_b64 s[0:1], vcc
	s_cbranch_execz .LBB56_347
; %bb.346:
	scratch_load_dwordx2 v[2:3], off, off offset:32
	v_mov_b32_e32 v143, v142
	scratch_store_dwordx2 off, v[142:143], off offset:32
	s_waitcnt vmcnt(1)
	ds_write_b64 v1, v[2:3]
.LBB56_347:
	s_or_b64 exec, exec, s[0:1]
	s_waitcnt lgkmcnt(0)
	; wave barrier
	scratch_load_dwordx4 v[6:9], off, off offset:40
	scratch_load_dwordx4 v[14:17], off, off offset:56
	;; [unrolled: 1-line block ×10, first 2 shown]
	ds_read2_b64 v[2:5], v142 offset0:63 offset1:64
	ds_read2_b64 v[158:161], v142 offset0:99 offset1:100
	scratch_load_dwordx4 v[86:89], off, off offset:200
	scratch_load_dwordx4 v[94:97], off, off offset:216
	;; [unrolled: 1-line block ×12, first 2 shown]
	v_cmp_lt_u32_e32 vcc, 3, v0
	ds_read2_b64 v[166:169], v142 offset0:101 offset1:102
	ds_read2_b64 v[174:177], v142 offset0:103 offset1:104
	;; [unrolled: 1-line block ×3, first 2 shown]
	s_waitcnt vmcnt(21) lgkmcnt(4)
	v_mul_f32_e32 v10, v2, v7
	v_fmac_f32_e32 v10, v3, v6
	v_mul_f32_e32 v11, v4, v9
	v_add_f32_e32 v10, 0, v10
	v_fmac_f32_e32 v11, v5, v8
	v_add_f32_e32 v18, v10, v11
	ds_read2_b64 v[10:13], v142 offset0:65 offset1:66
	v_mul_f32_e32 v3, v3, v7
	v_fma_f32 v2, v2, v6, -v3
	v_mul_f32_e32 v3, v5, v9
	v_add_f32_e32 v2, 0, v2
	s_waitcnt vmcnt(20) lgkmcnt(0)
	v_mul_f32_e32 v19, v10, v15
	v_fmac_f32_e32 v19, v11, v14
	v_add_f32_e32 v18, v18, v19
	v_mul_f32_e32 v19, v12, v17
	v_fmac_f32_e32 v19, v13, v16
	v_add_f32_e32 v26, v18, v19
	ds_read2_b64 v[18:21], v142 offset0:67 offset1:68
	v_fma_f32 v3, v4, v8, -v3
	v_add_f32_e32 v2, v2, v3
	v_mul_f32_e32 v3, v11, v15
	v_fma_f32 v3, v10, v14, -v3
	s_waitcnt vmcnt(19) lgkmcnt(0)
	v_mul_f32_e32 v27, v18, v23
	v_fmac_f32_e32 v27, v19, v22
	v_add_f32_e32 v26, v26, v27
	v_mul_f32_e32 v27, v20, v25
	v_fmac_f32_e32 v27, v21, v24
	v_add_f32_e32 v34, v26, v27
	ds_read2_b64 v[26:29], v142 offset0:69 offset1:70
	v_add_f32_e32 v2, v2, v3
	v_mul_f32_e32 v3, v13, v17
	v_fma_f32 v3, v12, v16, -v3
	v_add_f32_e32 v2, v2, v3
	s_waitcnt vmcnt(18) lgkmcnt(0)
	v_mul_f32_e32 v35, v26, v31
	v_fmac_f32_e32 v35, v27, v30
	v_add_f32_e32 v34, v34, v35
	v_mul_f32_e32 v35, v28, v33
	v_fmac_f32_e32 v35, v29, v32
	v_add_f32_e32 v42, v34, v35
	ds_read2_b64 v[34:37], v142 offset0:71 offset1:72
	v_mul_f32_e32 v3, v19, v23
	v_fma_f32 v3, v18, v22, -v3
	v_add_f32_e32 v2, v2, v3
	v_mul_f32_e32 v3, v21, v25
	s_waitcnt vmcnt(17) lgkmcnt(0)
	v_mul_f32_e32 v43, v34, v39
	v_fmac_f32_e32 v43, v35, v38
	v_add_f32_e32 v42, v42, v43
	v_mul_f32_e32 v43, v36, v41
	v_fmac_f32_e32 v43, v37, v40
	v_add_f32_e32 v50, v42, v43
	ds_read2_b64 v[42:45], v142 offset0:73 offset1:74
	v_fma_f32 v3, v20, v24, -v3
	v_add_f32_e32 v2, v2, v3
	v_mul_f32_e32 v3, v27, v31
	v_fma_f32 v3, v26, v30, -v3
	s_waitcnt vmcnt(16) lgkmcnt(0)
	v_mul_f32_e32 v51, v42, v47
	v_fmac_f32_e32 v51, v43, v46
	v_add_f32_e32 v50, v50, v51
	v_mul_f32_e32 v51, v44, v49
	v_fmac_f32_e32 v51, v45, v48
	v_add_f32_e32 v58, v50, v51
	ds_read2_b64 v[50:53], v142 offset0:75 offset1:76
	v_add_f32_e32 v2, v2, v3
	v_mul_f32_e32 v3, v29, v33
	v_fma_f32 v3, v28, v32, -v3
	v_add_f32_e32 v2, v2, v3
	s_waitcnt vmcnt(15) lgkmcnt(0)
	v_mul_f32_e32 v59, v50, v55
	v_fmac_f32_e32 v59, v51, v54
	v_add_f32_e32 v58, v58, v59
	v_mul_f32_e32 v59, v52, v57
	v_fmac_f32_e32 v59, v53, v56
	v_add_f32_e32 v66, v58, v59
	ds_read2_b64 v[58:61], v142 offset0:77 offset1:78
	v_mul_f32_e32 v3, v35, v39
	v_fma_f32 v3, v34, v38, -v3
	v_add_f32_e32 v2, v2, v3
	v_mul_f32_e32 v3, v37, v41
	s_waitcnt vmcnt(14) lgkmcnt(0)
	v_mul_f32_e32 v67, v58, v63
	v_fmac_f32_e32 v67, v59, v62
	v_add_f32_e32 v66, v66, v67
	v_mul_f32_e32 v67, v60, v65
	v_fmac_f32_e32 v67, v61, v64
	v_add_f32_e32 v74, v66, v67
	ds_read2_b64 v[66:69], v142 offset0:79 offset1:80
	v_fma_f32 v3, v36, v40, -v3
	v_add_f32_e32 v2, v2, v3
	v_mul_f32_e32 v3, v43, v47
	v_fma_f32 v3, v42, v46, -v3
	s_waitcnt vmcnt(13) lgkmcnt(0)
	v_mul_f32_e32 v75, v66, v71
	v_fmac_f32_e32 v75, v67, v70
	v_add_f32_e32 v74, v74, v75
	v_mul_f32_e32 v75, v68, v73
	v_fmac_f32_e32 v75, v69, v72
	v_add_f32_e32 v82, v74, v75
	ds_read2_b64 v[74:77], v142 offset0:81 offset1:82
	v_add_f32_e32 v2, v2, v3
	v_mul_f32_e32 v3, v45, v49
	v_fma_f32 v3, v44, v48, -v3
	v_add_f32_e32 v2, v2, v3
	s_waitcnt vmcnt(12) lgkmcnt(0)
	v_mul_f32_e32 v83, v74, v79
	v_fmac_f32_e32 v83, v75, v78
	v_add_f32_e32 v82, v82, v83
	v_mul_f32_e32 v83, v76, v81
	v_fmac_f32_e32 v83, v77, v80
	v_add_f32_e32 v90, v82, v83
	ds_read2_b64 v[82:85], v142 offset0:83 offset1:84
	v_mul_f32_e32 v3, v51, v55
	v_fma_f32 v3, v50, v54, -v3
	v_add_f32_e32 v2, v2, v3
	v_mul_f32_e32 v3, v53, v57
	s_waitcnt vmcnt(11) lgkmcnt(0)
	v_mul_f32_e32 v91, v82, v87
	v_fmac_f32_e32 v91, v83, v86
	v_add_f32_e32 v90, v90, v91
	v_mul_f32_e32 v91, v84, v89
	v_fmac_f32_e32 v91, v85, v88
	v_add_f32_e32 v98, v90, v91
	ds_read2_b64 v[90:93], v142 offset0:85 offset1:86
	v_fma_f32 v3, v52, v56, -v3
	v_add_f32_e32 v2, v2, v3
	v_mul_f32_e32 v3, v59, v63
	v_fma_f32 v3, v58, v62, -v3
	s_waitcnt vmcnt(10) lgkmcnt(0)
	v_mul_f32_e32 v99, v90, v95
	v_fmac_f32_e32 v99, v91, v94
	v_add_f32_e32 v98, v98, v99
	v_mul_f32_e32 v99, v92, v97
	v_fmac_f32_e32 v99, v93, v96
	v_add_f32_e32 v106, v98, v99
	ds_read2_b64 v[98:101], v142 offset0:87 offset1:88
	v_add_f32_e32 v2, v2, v3
	v_mul_f32_e32 v3, v61, v65
	v_fma_f32 v3, v60, v64, -v3
	v_add_f32_e32 v2, v2, v3
	s_waitcnt vmcnt(9) lgkmcnt(0)
	v_mul_f32_e32 v107, v98, v103
	v_fmac_f32_e32 v107, v99, v102
	v_add_f32_e32 v106, v106, v107
	v_mul_f32_e32 v107, v100, v105
	v_fmac_f32_e32 v107, v101, v104
	v_add_f32_e32 v114, v106, v107
	ds_read2_b64 v[106:109], v142 offset0:89 offset1:90
	v_mul_f32_e32 v3, v67, v71
	v_fma_f32 v3, v66, v70, -v3
	v_add_f32_e32 v2, v2, v3
	v_mul_f32_e32 v3, v69, v73
	s_waitcnt vmcnt(8) lgkmcnt(0)
	v_mul_f32_e32 v115, v106, v111
	v_fmac_f32_e32 v115, v107, v110
	v_add_f32_e32 v114, v114, v115
	v_mul_f32_e32 v115, v108, v113
	v_fmac_f32_e32 v115, v109, v112
	v_add_f32_e32 v122, v114, v115
	ds_read2_b64 v[114:117], v142 offset0:91 offset1:92
	v_fma_f32 v3, v68, v72, -v3
	v_add_f32_e32 v2, v2, v3
	v_mul_f32_e32 v3, v75, v79
	v_fma_f32 v3, v74, v78, -v3
	s_waitcnt vmcnt(7) lgkmcnt(0)
	v_mul_f32_e32 v123, v114, v119
	v_fmac_f32_e32 v123, v115, v118
	v_add_f32_e32 v122, v122, v123
	v_mul_f32_e32 v123, v116, v121
	v_fmac_f32_e32 v123, v117, v120
	v_add_f32_e32 v130, v122, v123
	ds_read2_b64 v[122:125], v142 offset0:93 offset1:94
	v_add_f32_e32 v2, v2, v3
	v_mul_f32_e32 v3, v77, v81
	v_fma_f32 v3, v76, v80, -v3
	v_add_f32_e32 v2, v2, v3
	s_waitcnt vmcnt(6) lgkmcnt(0)
	v_mul_f32_e32 v131, v122, v127
	v_fmac_f32_e32 v131, v123, v126
	v_add_f32_e32 v130, v130, v131
	v_mul_f32_e32 v131, v124, v129
	v_fmac_f32_e32 v131, v125, v128
	v_add_f32_e32 v138, v130, v131
	ds_read2_b64 v[130:133], v142 offset0:95 offset1:96
	v_mul_f32_e32 v3, v83, v87
	v_fma_f32 v3, v82, v86, -v3
	v_add_f32_e32 v2, v2, v3
	v_mul_f32_e32 v3, v85, v89
	s_waitcnt vmcnt(5) lgkmcnt(0)
	v_mul_f32_e32 v139, v130, v135
	v_fmac_f32_e32 v139, v131, v134
	v_add_f32_e32 v138, v138, v139
	v_mul_f32_e32 v139, v132, v137
	v_fmac_f32_e32 v139, v133, v136
	v_add_f32_e32 v143, v138, v139
	ds_read2_b64 v[138:141], v142 offset0:97 offset1:98
	scratch_load_dwordx4 v[190:193], off, off offset:392
	scratch_load_dwordx4 v[194:197], off, off offset:408
	scratch_load_dwordx4 v[198:201], off, off offset:424
	scratch_load_dwordx4 v[202:205], off, off offset:440
	v_fma_f32 v3, v84, v88, -v3
	v_add_f32_e32 v2, v2, v3
	v_mul_f32_e32 v3, v91, v95
	v_fma_f32 v3, v90, v94, -v3
	v_add_f32_e32 v2, v2, v3
	v_mul_f32_e32 v3, v93, v97
	;; [unrolled: 3-line block ×12, first 2 shown]
	v_fma_f32 v3, v132, v136, -v3
	s_waitcnt vmcnt(8) lgkmcnt(0)
	v_mul_f32_e32 v148, v138, v145
	v_add_f32_e32 v2, v2, v3
	v_mul_f32_e32 v3, v139, v145
	v_fmac_f32_e32 v148, v139, v144
	v_fma_f32 v3, v138, v144, -v3
	v_add_f32_e32 v143, v143, v148
	v_mul_f32_e32 v148, v140, v147
	v_add_f32_e32 v2, v2, v3
	v_mul_f32_e32 v3, v141, v147
	v_fmac_f32_e32 v148, v141, v146
	v_fma_f32 v3, v140, v146, -v3
	v_add_f32_e32 v143, v143, v148
	s_waitcnt vmcnt(7)
	v_mul_f32_e32 v148, v158, v163
	v_add_f32_e32 v2, v2, v3
	v_mul_f32_e32 v3, v159, v163
	v_fmac_f32_e32 v148, v159, v162
	v_fma_f32 v3, v158, v162, -v3
	v_add_f32_e32 v143, v143, v148
	v_mul_f32_e32 v148, v160, v165
	v_add_f32_e32 v2, v2, v3
	v_mul_f32_e32 v3, v161, v165
	v_fmac_f32_e32 v148, v161, v164
	v_fma_f32 v3, v160, v164, -v3
	v_add_f32_e32 v143, v143, v148
	s_waitcnt vmcnt(6)
	;; [unrolled: 13-line block ×3, first 2 shown]
	v_mul_f32_e32 v148, v174, v179
	v_add_f32_e32 v2, v2, v3
	v_mul_f32_e32 v3, v175, v179
	v_fmac_f32_e32 v148, v175, v178
	v_fma_f32 v3, v174, v178, -v3
	v_add_f32_e32 v143, v143, v148
	v_mul_f32_e32 v148, v176, v181
	v_add_f32_e32 v2, v2, v3
	v_mul_f32_e32 v3, v177, v181
	v_fmac_f32_e32 v148, v177, v180
	v_fma_f32 v3, v176, v180, -v3
	v_add_f32_e32 v149, v143, v148
	v_add_f32_e32 v148, v2, v3
	s_waitcnt vmcnt(4)
	v_mul_f32_e32 v2, v183, v187
	v_fma_f32 v206, v182, v186, -v2
	v_mul_f32_e32 v2, v185, v189
	v_fma_f32 v208, v184, v188, -v2
	ds_read2_b64 v[2:5], v142 offset0:107 offset1:108
	ds_read2_b64 v[6:9], v142 offset0:109 offset1:110
	;; [unrolled: 1-line block ×4, first 2 shown]
	v_mul_f32_e32 v207, v182, v187
	v_fmac_f32_e32 v207, v183, v186
	v_mul_f32_e32 v209, v184, v189
	s_waitcnt vmcnt(3) lgkmcnt(3)
	v_pk_mul_f32 v[20:21], v[2:3], v[190:191] op_sel:[1,1] op_sel_hi:[0,1]
	v_fmac_f32_e32 v209, v185, v188
	v_pk_add_f32 v[18:19], v[148:149], v[206:207]
	v_pk_fma_f32 v[22:23], v[2:3], v[190:191], v[20:21] neg_lo:[0,0,1] neg_hi:[0,0,1]
	v_pk_fma_f32 v[2:3], v[2:3], v[190:191], v[20:21] op_sel_hi:[1,0,1]
	v_pk_add_f32 v[18:19], v[18:19], v[208:209]
	v_mov_b32_e32 v23, v3
	v_pk_add_f32 v[2:3], v[18:19], v[22:23]
	v_mov_b32_e32 v18, v193
	v_pk_mul_f32 v[18:19], v[4:5], v[18:19] op_sel:[1,0] op_sel_hi:[0,0]
	v_pk_fma_f32 v[20:21], v[4:5], v[192:193], v[18:19] neg_lo:[0,0,1] neg_hi:[0,0,1]
	v_pk_fma_f32 v[4:5], v[4:5], v[192:193], v[18:19] op_sel_hi:[1,0,1]
	s_nop 0
	v_mov_b32_e32 v21, v5
	s_waitcnt vmcnt(2) lgkmcnt(2)
	v_pk_mul_f32 v[4:5], v[6:7], v[194:195] op_sel:[1,1] op_sel_hi:[0,1]
	v_pk_fma_f32 v[18:19], v[6:7], v[194:195], v[4:5] neg_lo:[0,0,1] neg_hi:[0,0,1]
	v_pk_fma_f32 v[4:5], v[6:7], v[194:195], v[4:5] op_sel_hi:[1,0,1]
	v_pk_add_f32 v[2:3], v[2:3], v[20:21]
	v_mov_b32_e32 v4, v197
	v_mov_b32_e32 v19, v5
	v_pk_mul_f32 v[4:5], v[8:9], v[4:5] op_sel:[1,0] op_sel_hi:[0,0]
	v_pk_fma_f32 v[6:7], v[8:9], v[196:197], v[4:5] neg_lo:[0,0,1] neg_hi:[0,0,1]
	v_pk_fma_f32 v[4:5], v[8:9], v[196:197], v[4:5] op_sel_hi:[1,0,1]
	v_pk_add_f32 v[2:3], v[2:3], v[18:19]
	v_mov_b32_e32 v7, v5
	s_waitcnt vmcnt(1) lgkmcnt(1)
	v_pk_mul_f32 v[4:5], v[10:11], v[198:199] op_sel:[1,1] op_sel_hi:[0,1]
	v_pk_add_f32 v[2:3], v[2:3], v[6:7]
	v_pk_fma_f32 v[6:7], v[10:11], v[198:199], v[4:5] neg_lo:[0,0,1] neg_hi:[0,0,1]
	v_pk_fma_f32 v[4:5], v[10:11], v[198:199], v[4:5] op_sel_hi:[1,0,1]
	s_nop 0
	v_mov_b32_e32 v4, v201
	v_mov_b32_e32 v7, v5
	v_pk_mul_f32 v[4:5], v[12:13], v[4:5] op_sel:[1,0] op_sel_hi:[0,0]
	v_pk_add_f32 v[2:3], v[2:3], v[6:7]
	v_pk_fma_f32 v[6:7], v[12:13], v[200:201], v[4:5] neg_lo:[0,0,1] neg_hi:[0,0,1]
	v_pk_fma_f32 v[4:5], v[12:13], v[200:201], v[4:5] op_sel_hi:[1,0,1]
	s_nop 0
	v_mov_b32_e32 v7, v5
	s_waitcnt vmcnt(0) lgkmcnt(0)
	v_pk_mul_f32 v[4:5], v[14:15], v[202:203] op_sel:[1,1] op_sel_hi:[0,1]
	v_pk_add_f32 v[2:3], v[2:3], v[6:7]
	v_pk_fma_f32 v[6:7], v[14:15], v[202:203], v[4:5] neg_lo:[0,0,1] neg_hi:[0,0,1]
	v_pk_fma_f32 v[4:5], v[14:15], v[202:203], v[4:5] op_sel_hi:[1,0,1]
	s_nop 0
	v_mov_b32_e32 v4, v205
	v_mov_b32_e32 v7, v5
	v_pk_mul_f32 v[4:5], v[16:17], v[4:5] op_sel:[1,0] op_sel_hi:[0,0]
	v_pk_add_f32 v[2:3], v[2:3], v[6:7]
	v_pk_fma_f32 v[6:7], v[16:17], v[204:205], v[4:5] neg_lo:[0,0,1] neg_hi:[0,0,1]
	v_pk_fma_f32 v[4:5], v[16:17], v[204:205], v[4:5] op_sel_hi:[1,0,1]
	s_nop 0
	v_mov_b32_e32 v7, v5
	scratch_load_dwordx2 v[4:5], off, off offset:32
	v_pk_add_f32 v[2:3], v[2:3], v[6:7]
	s_waitcnt vmcnt(0)
	v_pk_add_f32 v[2:3], v[4:5], v[2:3] neg_lo:[0,1] neg_hi:[0,1]
	scratch_store_dwordx2 off, v[2:3], off offset:32
	s_and_saveexec_b64 s[0:1], vcc
	s_cbranch_execz .LBB56_349
; %bb.348:
	scratch_load_dwordx2 v[2:3], off, off offset:24
	v_mov_b32_e32 v4, 0
	v_mov_b32_e32 v5, v4
	scratch_store_dwordx2 off, v[4:5], off offset:24
	s_waitcnt vmcnt(1)
	ds_write_b64 v1, v[2:3]
.LBB56_349:
	s_or_b64 exec, exec, s[0:1]
	v_mov_b32_e32 v158, 0
	s_waitcnt lgkmcnt(0)
	; wave barrier
	ds_read_b128 v[14:17], v158 offset:496
	ds_read_b128 v[10:13], v158 offset:512
	;; [unrolled: 1-line block ×4, first 2 shown]
	scratch_load_dwordx4 v[18:21], off, off offset:32
	scratch_load_dwordx4 v[38:41], off, off offset:96
	;; [unrolled: 1-line block ×17, first 2 shown]
	v_cmp_lt_u32_e32 vcc, 2, v0
	scratch_load_dwordx4 v[46:49], off, off offset:112
	scratch_load_dwordx4 v[54:57], off, off offset:128
	;; [unrolled: 1-line block ×3, first 2 shown]
	s_waitcnt vmcnt(19) lgkmcnt(3)
	v_mul_f32_e32 v22, v14, v19
	v_fmac_f32_e32 v22, v15, v18
	v_mul_f32_e32 v23, v16, v21
	v_add_f32_e32 v22, 0, v22
	v_fmac_f32_e32 v23, v17, v20
	v_add_f32_e32 v26, v22, v23
	scratch_load_dwordx4 v[22:25], off, off offset:48
	v_mul_f32_e32 v15, v15, v19
	v_fma_f32 v14, v14, v18, -v15
	v_mul_f32_e32 v15, v17, v21
	v_add_f32_e32 v14, 0, v14
	v_fma_f32 v15, v16, v20, -v15
	v_add_f32_e32 v14, v14, v15
	s_waitcnt vmcnt(4)
	v_mov_b32_e32 v18, v195
	s_waitcnt vmcnt(0) lgkmcnt(2)
	v_mul_f32_e32 v27, v10, v23
	v_fmac_f32_e32 v27, v11, v22
	v_add_f32_e32 v26, v26, v27
	v_mul_f32_e32 v27, v12, v25
	v_fmac_f32_e32 v27, v13, v24
	v_add_f32_e32 v30, v26, v27
	scratch_load_dwordx4 v[26:29], off, off offset:64
	v_mul_f32_e32 v11, v11, v23
	v_fma_f32 v10, v10, v22, -v11
	v_mul_f32_e32 v11, v13, v25
	v_add_f32_e32 v10, v14, v10
	v_fma_f32 v11, v12, v24, -v11
	v_add_f32_e32 v10, v10, v11
	s_waitcnt vmcnt(0) lgkmcnt(1)
	v_mul_f32_e32 v31, v6, v27
	v_fmac_f32_e32 v31, v7, v26
	v_add_f32_e32 v30, v30, v31
	v_mul_f32_e32 v31, v8, v29
	v_fmac_f32_e32 v31, v9, v28
	v_add_f32_e32 v34, v30, v31
	scratch_load_dwordx4 v[30:33], off, off offset:80
	v_mul_f32_e32 v7, v7, v27
	v_fma_f32 v6, v6, v26, -v7
	v_mul_f32_e32 v7, v9, v29
	v_add_f32_e32 v6, v10, v6
	v_fma_f32 v7, v8, v28, -v7
	v_add_f32_e32 v6, v6, v7
	s_waitcnt vmcnt(0) lgkmcnt(0)
	v_mul_f32_e32 v35, v2, v31
	v_fmac_f32_e32 v35, v3, v30
	v_add_f32_e32 v34, v34, v35
	v_mul_f32_e32 v35, v4, v33
	v_fmac_f32_e32 v35, v5, v32
	v_add_f32_e32 v42, v34, v35
	ds_read_b128 v[34:37], v158 offset:560
	v_mul_f32_e32 v3, v3, v31
	v_fma_f32 v2, v2, v30, -v3
	v_mul_f32_e32 v3, v5, v33
	v_add_f32_e32 v2, v6, v2
	s_waitcnt lgkmcnt(0)
	v_mul_f32_e32 v43, v34, v39
	v_fmac_f32_e32 v43, v35, v38
	v_add_f32_e32 v42, v42, v43
	v_mul_f32_e32 v43, v36, v41
	v_fmac_f32_e32 v43, v37, v40
	v_add_f32_e32 v50, v42, v43
	ds_read_b128 v[42:45], v158 offset:576
	v_fma_f32 v3, v4, v32, -v3
	v_add_f32_e32 v2, v2, v3
	v_mul_f32_e32 v3, v35, v39
	v_fma_f32 v3, v34, v38, -v3
	s_waitcnt lgkmcnt(0)
	v_mul_f32_e32 v51, v42, v47
	v_fmac_f32_e32 v51, v43, v46
	v_add_f32_e32 v50, v50, v51
	v_mul_f32_e32 v51, v44, v49
	v_fmac_f32_e32 v51, v45, v48
	v_add_f32_e32 v58, v50, v51
	ds_read_b128 v[50:53], v158 offset:592
	v_add_f32_e32 v2, v2, v3
	v_mul_f32_e32 v3, v37, v41
	v_fma_f32 v3, v36, v40, -v3
	v_add_f32_e32 v2, v2, v3
	s_waitcnt lgkmcnt(0)
	v_mul_f32_e32 v59, v50, v55
	v_fmac_f32_e32 v59, v51, v54
	v_add_f32_e32 v58, v58, v59
	v_mul_f32_e32 v59, v52, v57
	v_fmac_f32_e32 v59, v53, v56
	v_add_f32_e32 v66, v58, v59
	ds_read_b128 v[58:61], v158 offset:608
	v_mul_f32_e32 v3, v43, v47
	v_fma_f32 v3, v42, v46, -v3
	v_add_f32_e32 v2, v2, v3
	v_mul_f32_e32 v3, v45, v49
	s_waitcnt lgkmcnt(0)
	v_mul_f32_e32 v67, v58, v63
	v_fmac_f32_e32 v67, v59, v62
	v_add_f32_e32 v66, v66, v67
	v_mul_f32_e32 v67, v60, v65
	v_fmac_f32_e32 v67, v61, v64
	v_add_f32_e32 v74, v66, v67
	ds_read_b128 v[66:69], v158 offset:624
	v_fma_f32 v3, v44, v48, -v3
	v_add_f32_e32 v2, v2, v3
	v_mul_f32_e32 v3, v51, v55
	v_fma_f32 v3, v50, v54, -v3
	s_waitcnt lgkmcnt(0)
	v_mul_f32_e32 v75, v66, v71
	v_fmac_f32_e32 v75, v67, v70
	v_add_f32_e32 v74, v74, v75
	v_mul_f32_e32 v75, v68, v73
	v_fmac_f32_e32 v75, v69, v72
	v_add_f32_e32 v82, v74, v75
	ds_read_b128 v[74:77], v158 offset:640
	v_add_f32_e32 v2, v2, v3
	v_mul_f32_e32 v3, v53, v57
	v_fma_f32 v3, v52, v56, -v3
	v_add_f32_e32 v2, v2, v3
	s_waitcnt lgkmcnt(0)
	v_mul_f32_e32 v83, v74, v79
	v_fmac_f32_e32 v83, v75, v78
	v_add_f32_e32 v82, v82, v83
	v_mul_f32_e32 v83, v76, v81
	v_fmac_f32_e32 v83, v77, v80
	v_add_f32_e32 v90, v82, v83
	ds_read_b128 v[82:85], v158 offset:656
	v_mul_f32_e32 v3, v59, v63
	v_fma_f32 v3, v58, v62, -v3
	v_add_f32_e32 v2, v2, v3
	v_mul_f32_e32 v3, v61, v65
	;; [unrolled: 36-line block ×5, first 2 shown]
	s_waitcnt lgkmcnt(0)
	v_mul_f32_e32 v172, v164, v169
	v_fmac_f32_e32 v172, v165, v168
	v_add_f32_e32 v159, v159, v172
	v_mul_f32_e32 v172, v166, v171
	v_fmac_f32_e32 v172, v167, v170
	v_add_f32_e32 v159, v159, v172
	ds_read_b128 v[172:175], v158 offset:816
	v_fma_f32 v3, v108, v112, -v3
	v_add_f32_e32 v2, v2, v3
	v_mul_f32_e32 v3, v115, v119
	v_fma_f32 v3, v114, v118, -v3
	s_waitcnt lgkmcnt(0)
	v_mul_f32_e32 v180, v172, v177
	v_fmac_f32_e32 v180, v173, v176
	v_add_f32_e32 v159, v159, v180
	v_mul_f32_e32 v180, v174, v179
	v_fmac_f32_e32 v180, v175, v178
	v_add_f32_e32 v159, v159, v180
	ds_read_b128 v[180:183], v158 offset:832
	v_add_f32_e32 v2, v2, v3
	v_mul_f32_e32 v3, v117, v121
	v_fma_f32 v3, v116, v120, -v3
	v_add_f32_e32 v2, v2, v3
	s_waitcnt lgkmcnt(0)
	v_mul_f32_e32 v188, v180, v185
	v_fmac_f32_e32 v188, v181, v184
	v_add_f32_e32 v209, v159, v188
	ds_read_b128 v[188:191], v158 offset:848
	scratch_load_dwordx4 v[196:199], off, off offset:400
	scratch_load_dwordx4 v[200:203], off, off offset:416
	;; [unrolled: 1-line block ×3, first 2 shown]
	scratch_load_dwordx2 v[214:215], off, off offset:448
	v_mul_f32_e32 v3, v123, v127
	v_fma_f32 v3, v122, v126, -v3
	v_add_f32_e32 v2, v2, v3
	v_mul_f32_e32 v3, v125, v129
	v_fma_f32 v3, v124, v128, -v3
	v_add_f32_e32 v2, v2, v3
	;; [unrolled: 3-line block ×13, first 2 shown]
	v_mul_f32_e32 v2, v183, v187
	v_mul_f32_e32 v211, v182, v187
	v_fma_f32 v210, v182, v186, -v2
	s_waitcnt lgkmcnt(0)
	v_mul_f32_e32 v2, v189, v193
	v_fmac_f32_e32 v211, v183, v186
	v_mul_f32_e32 v213, v188, v193
	v_fma_f32 v212, v188, v192, -v2
	ds_read_b128 v[2:5], v158 offset:864
	ds_read_b128 v[6:9], v158 offset:880
	;; [unrolled: 1-line block ×3, first 2 shown]
	ds_read_b64 v[14:15], v158 offset:912
	v_pk_mul_f32 v[18:19], v[190:191], v[18:19] op_sel:[1,0] op_sel_hi:[0,0]
	v_fmac_f32_e32 v213, v189, v192
	v_pk_add_f32 v[16:17], v[208:209], v[210:211]
	v_pk_fma_f32 v[20:21], v[190:191], v[194:195], v[18:19] neg_lo:[0,0,1] neg_hi:[0,0,1]
	v_pk_fma_f32 v[18:19], v[190:191], v[194:195], v[18:19] op_sel_hi:[1,0,1]
	v_pk_add_f32 v[16:17], v[16:17], v[212:213]
	v_mov_b32_e32 v21, v19
	v_pk_add_f32 v[16:17], v[16:17], v[20:21]
	s_waitcnt vmcnt(3) lgkmcnt(3)
	v_pk_mul_f32 v[18:19], v[2:3], v[196:197] op_sel:[1,1] op_sel_hi:[0,1]
	v_pk_fma_f32 v[20:21], v[2:3], v[196:197], v[18:19] neg_lo:[0,0,1] neg_hi:[0,0,1]
	v_pk_fma_f32 v[2:3], v[2:3], v[196:197], v[18:19] op_sel_hi:[1,0,1]
	s_nop 0
	v_mov_b32_e32 v21, v3
	v_pk_add_f32 v[2:3], v[16:17], v[20:21]
	v_mov_b32_e32 v16, v199
	v_pk_mul_f32 v[16:17], v[4:5], v[16:17] op_sel:[1,0] op_sel_hi:[0,0]
	v_pk_fma_f32 v[18:19], v[4:5], v[198:199], v[16:17] neg_lo:[0,0,1] neg_hi:[0,0,1]
	v_pk_fma_f32 v[4:5], v[4:5], v[198:199], v[16:17] op_sel_hi:[1,0,1]
	s_nop 0
	v_mov_b32_e32 v19, v5
	s_waitcnt vmcnt(2) lgkmcnt(2)
	v_pk_mul_f32 v[4:5], v[6:7], v[200:201] op_sel:[1,1] op_sel_hi:[0,1]
	v_pk_fma_f32 v[16:17], v[6:7], v[200:201], v[4:5] neg_lo:[0,0,1] neg_hi:[0,0,1]
	v_pk_fma_f32 v[4:5], v[6:7], v[200:201], v[4:5] op_sel_hi:[1,0,1]
	v_pk_add_f32 v[2:3], v[2:3], v[18:19]
	v_mov_b32_e32 v4, v203
	v_mov_b32_e32 v17, v5
	v_pk_mul_f32 v[4:5], v[8:9], v[4:5] op_sel:[1,0] op_sel_hi:[0,0]
	v_pk_fma_f32 v[6:7], v[8:9], v[202:203], v[4:5] neg_lo:[0,0,1] neg_hi:[0,0,1]
	v_pk_fma_f32 v[4:5], v[8:9], v[202:203], v[4:5] op_sel_hi:[1,0,1]
	v_pk_add_f32 v[2:3], v[2:3], v[16:17]
	v_mov_b32_e32 v7, v5
	s_waitcnt vmcnt(1) lgkmcnt(1)
	v_pk_mul_f32 v[4:5], v[10:11], v[204:205] op_sel:[1,1] op_sel_hi:[0,1]
	v_pk_add_f32 v[2:3], v[2:3], v[6:7]
	v_pk_fma_f32 v[6:7], v[10:11], v[204:205], v[4:5] neg_lo:[0,0,1] neg_hi:[0,0,1]
	v_pk_fma_f32 v[4:5], v[10:11], v[204:205], v[4:5] op_sel_hi:[1,0,1]
	s_nop 0
	v_mov_b32_e32 v4, v207
	v_mov_b32_e32 v7, v5
	v_pk_mul_f32 v[4:5], v[12:13], v[4:5] op_sel:[1,0] op_sel_hi:[0,0]
	v_pk_add_f32 v[2:3], v[2:3], v[6:7]
	v_pk_fma_f32 v[6:7], v[12:13], v[206:207], v[4:5] neg_lo:[0,0,1] neg_hi:[0,0,1]
	v_pk_fma_f32 v[4:5], v[12:13], v[206:207], v[4:5] op_sel_hi:[1,0,1]
	s_nop 0
	v_mov_b32_e32 v7, v5
	s_waitcnt vmcnt(0) lgkmcnt(0)
	v_pk_mul_f32 v[4:5], v[14:15], v[214:215] op_sel:[1,1] op_sel_hi:[0,1]
	v_pk_add_f32 v[2:3], v[2:3], v[6:7]
	v_pk_fma_f32 v[6:7], v[14:15], v[214:215], v[4:5] neg_lo:[0,0,1] neg_hi:[0,0,1]
	v_pk_fma_f32 v[4:5], v[14:15], v[214:215], v[4:5] op_sel_hi:[1,0,1]
	s_nop 0
	v_mov_b32_e32 v7, v5
	scratch_load_dwordx2 v[4:5], off, off offset:24
	v_pk_add_f32 v[2:3], v[2:3], v[6:7]
	s_waitcnt vmcnt(0)
	v_pk_add_f32 v[2:3], v[4:5], v[2:3] neg_lo:[0,1] neg_hi:[0,1]
	scratch_store_dwordx2 off, v[2:3], off offset:24
	s_and_saveexec_b64 s[0:1], vcc
	s_cbranch_execz .LBB56_351
; %bb.350:
	scratch_load_dwordx2 v[2:3], off, off offset:16
	v_mov_b32_e32 v159, v158
	scratch_store_dwordx2 off, v[158:159], off offset:16
	s_waitcnt vmcnt(1)
	ds_write_b64 v1, v[2:3]
.LBB56_351:
	s_or_b64 exec, exec, s[0:1]
	s_waitcnt lgkmcnt(0)
	; wave barrier
	scratch_load_dwordx4 v[6:9], off, off offset:24
	scratch_load_dwordx4 v[14:17], off, off offset:40
	;; [unrolled: 1-line block ×10, first 2 shown]
	ds_read2_b64 v[2:5], v158 offset0:61 offset1:62
	scratch_load_dwordx4 v[86:89], off, off offset:184
	scratch_load_dwordx4 v[94:97], off, off offset:200
	;; [unrolled: 1-line block ×13, first 2 shown]
	v_cmp_lt_u32_e32 vcc, 1, v0
	s_waitcnt vmcnt(22) lgkmcnt(0)
	v_mul_f32_e32 v10, v2, v7
	v_fmac_f32_e32 v10, v3, v6
	v_mul_f32_e32 v11, v4, v9
	v_add_f32_e32 v10, 0, v10
	v_fmac_f32_e32 v11, v5, v8
	v_add_f32_e32 v18, v10, v11
	ds_read2_b64 v[10:13], v158 offset0:63 offset1:64
	v_mul_f32_e32 v3, v3, v7
	v_fma_f32 v2, v2, v6, -v3
	v_mul_f32_e32 v3, v5, v9
	v_add_f32_e32 v2, 0, v2
	s_waitcnt vmcnt(21) lgkmcnt(0)
	v_mul_f32_e32 v19, v10, v15
	v_fmac_f32_e32 v19, v11, v14
	v_add_f32_e32 v18, v18, v19
	v_mul_f32_e32 v19, v12, v17
	v_fmac_f32_e32 v19, v13, v16
	v_add_f32_e32 v26, v18, v19
	ds_read2_b64 v[18:21], v158 offset0:65 offset1:66
	v_fma_f32 v3, v4, v8, -v3
	v_add_f32_e32 v2, v2, v3
	v_mul_f32_e32 v3, v11, v15
	v_fma_f32 v3, v10, v14, -v3
	s_waitcnt vmcnt(20) lgkmcnt(0)
	v_mul_f32_e32 v27, v18, v23
	v_fmac_f32_e32 v27, v19, v22
	v_add_f32_e32 v26, v26, v27
	v_mul_f32_e32 v27, v20, v25
	v_fmac_f32_e32 v27, v21, v24
	v_add_f32_e32 v34, v26, v27
	ds_read2_b64 v[26:29], v158 offset0:67 offset1:68
	v_add_f32_e32 v2, v2, v3
	v_mul_f32_e32 v3, v13, v17
	v_fma_f32 v3, v12, v16, -v3
	v_add_f32_e32 v2, v2, v3
	s_waitcnt vmcnt(19) lgkmcnt(0)
	v_mul_f32_e32 v35, v26, v31
	v_fmac_f32_e32 v35, v27, v30
	v_add_f32_e32 v34, v34, v35
	v_mul_f32_e32 v35, v28, v33
	v_fmac_f32_e32 v35, v29, v32
	v_add_f32_e32 v42, v34, v35
	ds_read2_b64 v[34:37], v158 offset0:69 offset1:70
	v_mul_f32_e32 v3, v19, v23
	v_fma_f32 v3, v18, v22, -v3
	v_add_f32_e32 v2, v2, v3
	v_mul_f32_e32 v3, v21, v25
	s_waitcnt vmcnt(18) lgkmcnt(0)
	v_mul_f32_e32 v43, v34, v39
	v_fmac_f32_e32 v43, v35, v38
	v_add_f32_e32 v42, v42, v43
	v_mul_f32_e32 v43, v36, v41
	v_fmac_f32_e32 v43, v37, v40
	v_add_f32_e32 v50, v42, v43
	ds_read2_b64 v[42:45], v158 offset0:71 offset1:72
	v_fma_f32 v3, v20, v24, -v3
	v_add_f32_e32 v2, v2, v3
	v_mul_f32_e32 v3, v27, v31
	v_fma_f32 v3, v26, v30, -v3
	s_waitcnt vmcnt(17) lgkmcnt(0)
	v_mul_f32_e32 v51, v42, v47
	v_fmac_f32_e32 v51, v43, v46
	v_add_f32_e32 v50, v50, v51
	v_mul_f32_e32 v51, v44, v49
	v_fmac_f32_e32 v51, v45, v48
	v_add_f32_e32 v58, v50, v51
	ds_read2_b64 v[50:53], v158 offset0:73 offset1:74
	v_add_f32_e32 v2, v2, v3
	v_mul_f32_e32 v3, v29, v33
	v_fma_f32 v3, v28, v32, -v3
	v_add_f32_e32 v2, v2, v3
	s_waitcnt vmcnt(16) lgkmcnt(0)
	v_mul_f32_e32 v59, v50, v55
	v_fmac_f32_e32 v59, v51, v54
	v_add_f32_e32 v58, v58, v59
	v_mul_f32_e32 v59, v52, v57
	v_fmac_f32_e32 v59, v53, v56
	v_add_f32_e32 v66, v58, v59
	ds_read2_b64 v[58:61], v158 offset0:75 offset1:76
	v_mul_f32_e32 v3, v35, v39
	v_fma_f32 v3, v34, v38, -v3
	v_add_f32_e32 v2, v2, v3
	v_mul_f32_e32 v3, v37, v41
	;; [unrolled: 36-line block ×6, first 2 shown]
	s_waitcnt vmcnt(3) lgkmcnt(0)
	v_mul_f32_e32 v172, v164, v169
	v_fmac_f32_e32 v172, v165, v168
	v_add_f32_e32 v159, v159, v172
	v_mul_f32_e32 v172, v166, v171
	v_fmac_f32_e32 v172, v167, v170
	v_add_f32_e32 v159, v159, v172
	ds_read2_b64 v[172:175], v158 offset0:101 offset1:102
	v_fma_f32 v3, v100, v104, -v3
	v_add_f32_e32 v2, v2, v3
	v_mul_f32_e32 v3, v107, v111
	v_fma_f32 v3, v106, v110, -v3
	s_waitcnt vmcnt(2) lgkmcnt(0)
	v_mul_f32_e32 v180, v172, v177
	v_fmac_f32_e32 v180, v173, v176
	v_add_f32_e32 v159, v159, v180
	v_mul_f32_e32 v180, v174, v179
	v_fmac_f32_e32 v180, v175, v178
	v_add_f32_e32 v159, v159, v180
	ds_read2_b64 v[180:183], v158 offset0:103 offset1:104
	v_add_f32_e32 v2, v2, v3
	v_mul_f32_e32 v3, v109, v113
	v_fma_f32 v3, v108, v112, -v3
	v_add_f32_e32 v2, v2, v3
	s_waitcnt vmcnt(1) lgkmcnt(0)
	v_mul_f32_e32 v188, v180, v185
	v_fmac_f32_e32 v188, v181, v184
	v_add_f32_e32 v159, v159, v188
	v_mul_f32_e32 v188, v182, v187
	v_fmac_f32_e32 v188, v183, v186
	v_add_f32_e32 v213, v159, v188
	ds_read2_b64 v[188:191], v158 offset0:105 offset1:106
	scratch_load_dwordx4 v[196:199], off, off offset:392
	scratch_load_dwordx4 v[200:203], off, off offset:408
	;; [unrolled: 1-line block ×4, first 2 shown]
	v_mul_f32_e32 v3, v115, v119
	v_fma_f32 v3, v114, v118, -v3
	v_add_f32_e32 v2, v2, v3
	v_mul_f32_e32 v3, v117, v121
	v_fma_f32 v3, v116, v120, -v3
	v_add_f32_e32 v2, v2, v3
	;; [unrolled: 3-line block ×16, first 2 shown]
	s_waitcnt vmcnt(4) lgkmcnt(0)
	v_mul_f32_e32 v2, v189, v193
	v_fma_f32 v214, v188, v192, -v2
	v_mul_f32_e32 v2, v191, v195
	v_fma_f32 v216, v190, v194, -v2
	ds_read2_b64 v[2:5], v158 offset0:107 offset1:108
	ds_read2_b64 v[6:9], v158 offset0:109 offset1:110
	;; [unrolled: 1-line block ×4, first 2 shown]
	v_mul_f32_e32 v215, v188, v193
	v_fmac_f32_e32 v215, v189, v192
	v_mul_f32_e32 v217, v190, v195
	v_fmac_f32_e32 v217, v191, v194
	v_pk_add_f32 v[18:19], v[212:213], v[214:215]
	s_waitcnt vmcnt(3) lgkmcnt(3)
	v_pk_mul_f32 v[20:21], v[2:3], v[196:197] op_sel:[1,1] op_sel_hi:[0,1]
	v_pk_fma_f32 v[22:23], v[2:3], v[196:197], v[20:21] neg_lo:[0,0,1] neg_hi:[0,0,1]
	v_pk_fma_f32 v[2:3], v[2:3], v[196:197], v[20:21] op_sel_hi:[1,0,1]
	v_pk_add_f32 v[18:19], v[18:19], v[216:217]
	v_mov_b32_e32 v23, v3
	v_pk_add_f32 v[2:3], v[18:19], v[22:23]
	v_mov_b32_e32 v18, v199
	v_pk_mul_f32 v[18:19], v[4:5], v[18:19] op_sel:[1,0] op_sel_hi:[0,0]
	v_pk_fma_f32 v[20:21], v[4:5], v[198:199], v[18:19] neg_lo:[0,0,1] neg_hi:[0,0,1]
	v_pk_fma_f32 v[4:5], v[4:5], v[198:199], v[18:19] op_sel_hi:[1,0,1]
	s_nop 0
	v_mov_b32_e32 v21, v5
	s_waitcnt vmcnt(2) lgkmcnt(2)
	v_pk_mul_f32 v[4:5], v[6:7], v[200:201] op_sel:[1,1] op_sel_hi:[0,1]
	v_pk_fma_f32 v[18:19], v[6:7], v[200:201], v[4:5] neg_lo:[0,0,1] neg_hi:[0,0,1]
	v_pk_fma_f32 v[4:5], v[6:7], v[200:201], v[4:5] op_sel_hi:[1,0,1]
	v_pk_add_f32 v[2:3], v[2:3], v[20:21]
	v_mov_b32_e32 v4, v203
	v_mov_b32_e32 v19, v5
	v_pk_mul_f32 v[4:5], v[8:9], v[4:5] op_sel:[1,0] op_sel_hi:[0,0]
	v_pk_fma_f32 v[6:7], v[8:9], v[202:203], v[4:5] neg_lo:[0,0,1] neg_hi:[0,0,1]
	v_pk_fma_f32 v[4:5], v[8:9], v[202:203], v[4:5] op_sel_hi:[1,0,1]
	v_pk_add_f32 v[2:3], v[2:3], v[18:19]
	v_mov_b32_e32 v7, v5
	s_waitcnt vmcnt(1) lgkmcnt(1)
	v_pk_mul_f32 v[4:5], v[10:11], v[204:205] op_sel:[1,1] op_sel_hi:[0,1]
	v_pk_add_f32 v[2:3], v[2:3], v[6:7]
	v_pk_fma_f32 v[6:7], v[10:11], v[204:205], v[4:5] neg_lo:[0,0,1] neg_hi:[0,0,1]
	v_pk_fma_f32 v[4:5], v[10:11], v[204:205], v[4:5] op_sel_hi:[1,0,1]
	s_nop 0
	v_mov_b32_e32 v4, v207
	v_mov_b32_e32 v7, v5
	v_pk_mul_f32 v[4:5], v[12:13], v[4:5] op_sel:[1,0] op_sel_hi:[0,0]
	v_pk_add_f32 v[2:3], v[2:3], v[6:7]
	v_pk_fma_f32 v[6:7], v[12:13], v[206:207], v[4:5] neg_lo:[0,0,1] neg_hi:[0,0,1]
	v_pk_fma_f32 v[4:5], v[12:13], v[206:207], v[4:5] op_sel_hi:[1,0,1]
	s_nop 0
	v_mov_b32_e32 v7, v5
	s_waitcnt vmcnt(0) lgkmcnt(0)
	v_pk_mul_f32 v[4:5], v[14:15], v[208:209] op_sel:[1,1] op_sel_hi:[0,1]
	v_pk_add_f32 v[2:3], v[2:3], v[6:7]
	v_pk_fma_f32 v[6:7], v[14:15], v[208:209], v[4:5] neg_lo:[0,0,1] neg_hi:[0,0,1]
	v_pk_fma_f32 v[4:5], v[14:15], v[208:209], v[4:5] op_sel_hi:[1,0,1]
	s_nop 0
	v_mov_b32_e32 v4, v211
	v_mov_b32_e32 v7, v5
	v_pk_mul_f32 v[4:5], v[16:17], v[4:5] op_sel:[1,0] op_sel_hi:[0,0]
	v_pk_add_f32 v[2:3], v[2:3], v[6:7]
	v_pk_fma_f32 v[6:7], v[16:17], v[210:211], v[4:5] neg_lo:[0,0,1] neg_hi:[0,0,1]
	v_pk_fma_f32 v[4:5], v[16:17], v[210:211], v[4:5] op_sel_hi:[1,0,1]
	s_nop 0
	v_mov_b32_e32 v7, v5
	scratch_load_dwordx2 v[4:5], off, off offset:16
	v_pk_add_f32 v[2:3], v[2:3], v[6:7]
	s_waitcnt vmcnt(0)
	v_pk_add_f32 v[2:3], v[4:5], v[2:3] neg_lo:[0,1] neg_hi:[0,1]
	scratch_store_dwordx2 off, v[2:3], off offset:16
	s_and_saveexec_b64 s[0:1], vcc
	s_cbranch_execz .LBB56_353
; %bb.352:
	scratch_load_dwordx2 v[2:3], off, off offset:8
	v_mov_b32_e32 v4, 0
	v_mov_b32_e32 v5, v4
	scratch_store_dwordx2 off, v[4:5], off offset:8
	s_waitcnt vmcnt(1)
	ds_write_b64 v1, v[2:3]
.LBB56_353:
	s_or_b64 exec, exec, s[0:1]
	v_mov_b32_e32 v148, 0
	s_waitcnt lgkmcnt(0)
	; wave barrier
	ds_read_b128 v[14:17], v148 offset:480
	ds_read_b128 v[10:13], v148 offset:496
	;; [unrolled: 1-line block ×4, first 2 shown]
	scratch_load_dwordx4 v[18:21], off, off offset:16
	scratch_load_dwordx4 v[38:41], off, off offset:80
	;; [unrolled: 1-line block ×18, first 2 shown]
	v_cmp_ne_u32_e32 vcc, 0, v0
	scratch_load_dwordx4 v[46:49], off, off offset:96
	scratch_load_dwordx4 v[54:57], off, off offset:112
	;; [unrolled: 1-line block ×3, first 2 shown]
	ds_read_b128 v[158:161], v148 offset:768
	ds_read_b128 v[166:169], v148 offset:784
	ds_read_b128 v[174:177], v148 offset:800
	ds_read_b128 v[182:185], v148 offset:816
	ds_read_b128 v[190:193], v148 offset:832
	ds_read_b128 v[198:201], v148 offset:848
	s_waitcnt vmcnt(20) lgkmcnt(9)
	v_mul_f32_e32 v22, v14, v19
	v_fmac_f32_e32 v22, v15, v18
	v_mul_f32_e32 v23, v16, v21
	v_add_f32_e32 v22, 0, v22
	v_fmac_f32_e32 v23, v17, v20
	v_add_f32_e32 v26, v22, v23
	scratch_load_dwordx4 v[22:25], off, off offset:32
	v_mul_f32_e32 v15, v15, v19
	v_fma_f32 v14, v14, v18, -v15
	v_mul_f32_e32 v15, v17, v21
	v_add_f32_e32 v14, 0, v14
	v_fma_f32 v15, v16, v20, -v15
	v_add_f32_e32 v14, v14, v15
	s_waitcnt vmcnt(5) lgkmcnt(1)
	v_mul_f32_e32 v219, v192, v197
	s_waitcnt vmcnt(4)
	v_mov_b32_e32 v18, v205
	v_fmac_f32_e32 v219, v193, v196
	s_waitcnt lgkmcnt(0)
	v_mul_f32_e32 v221, v198, v203
	v_pk_mul_f32 v[18:19], v[200:201], v[18:19] op_sel:[1,0] op_sel_hi:[0,0]
	v_fmac_f32_e32 v221, v199, v202
	v_pk_fma_f32 v[20:21], v[200:201], v[204:205], v[18:19] neg_lo:[0,0,1] neg_hi:[0,0,1]
	v_pk_fma_f32 v[18:19], v[200:201], v[204:205], v[18:19] op_sel_hi:[1,0,1]
	s_waitcnt vmcnt(0)
	v_mul_f32_e32 v27, v10, v23
	v_fmac_f32_e32 v27, v11, v22
	v_add_f32_e32 v26, v26, v27
	v_mul_f32_e32 v27, v12, v25
	v_fmac_f32_e32 v27, v13, v24
	v_add_f32_e32 v30, v26, v27
	scratch_load_dwordx4 v[26:29], off, off offset:48
	v_mul_f32_e32 v11, v11, v23
	v_fma_f32 v10, v10, v22, -v11
	v_mul_f32_e32 v11, v13, v25
	v_add_f32_e32 v10, v14, v10
	v_fma_f32 v11, v12, v24, -v11
	v_add_f32_e32 v10, v10, v11
	v_mov_b32_e32 v21, v19
	s_waitcnt vmcnt(0)
	v_mul_f32_e32 v31, v6, v27
	v_fmac_f32_e32 v31, v7, v26
	v_add_f32_e32 v30, v30, v31
	v_mul_f32_e32 v31, v8, v29
	v_fmac_f32_e32 v31, v9, v28
	v_add_f32_e32 v34, v30, v31
	scratch_load_dwordx4 v[30:33], off, off offset:64
	v_mul_f32_e32 v7, v7, v27
	v_fma_f32 v6, v6, v26, -v7
	v_mul_f32_e32 v7, v9, v29
	v_add_f32_e32 v6, v10, v6
	v_fma_f32 v7, v8, v28, -v7
	v_add_f32_e32 v6, v6, v7
	s_waitcnt vmcnt(0)
	v_mul_f32_e32 v35, v2, v31
	v_fmac_f32_e32 v35, v3, v30
	v_add_f32_e32 v34, v34, v35
	v_mul_f32_e32 v35, v4, v33
	v_fmac_f32_e32 v35, v5, v32
	v_add_f32_e32 v42, v34, v35
	ds_read_b128 v[34:37], v148 offset:544
	v_mul_f32_e32 v3, v3, v31
	v_fma_f32 v2, v2, v30, -v3
	v_mul_f32_e32 v3, v5, v33
	v_add_f32_e32 v2, v6, v2
	s_waitcnt lgkmcnt(0)
	v_mul_f32_e32 v43, v34, v39
	v_fmac_f32_e32 v43, v35, v38
	v_add_f32_e32 v42, v42, v43
	v_mul_f32_e32 v43, v36, v41
	v_fmac_f32_e32 v43, v37, v40
	v_add_f32_e32 v50, v42, v43
	ds_read_b128 v[42:45], v148 offset:560
	v_fma_f32 v3, v4, v32, -v3
	v_add_f32_e32 v2, v2, v3
	v_mul_f32_e32 v3, v35, v39
	v_fma_f32 v3, v34, v38, -v3
	s_waitcnt lgkmcnt(0)
	v_mul_f32_e32 v51, v42, v47
	v_fmac_f32_e32 v51, v43, v46
	v_add_f32_e32 v50, v50, v51
	v_mul_f32_e32 v51, v44, v49
	v_fmac_f32_e32 v51, v45, v48
	v_add_f32_e32 v58, v50, v51
	ds_read_b128 v[50:53], v148 offset:576
	v_add_f32_e32 v2, v2, v3
	v_mul_f32_e32 v3, v37, v41
	v_fma_f32 v3, v36, v40, -v3
	v_add_f32_e32 v2, v2, v3
	s_waitcnt lgkmcnt(0)
	v_mul_f32_e32 v59, v50, v55
	v_fmac_f32_e32 v59, v51, v54
	v_add_f32_e32 v58, v58, v59
	v_mul_f32_e32 v59, v52, v57
	v_fmac_f32_e32 v59, v53, v56
	v_add_f32_e32 v66, v58, v59
	ds_read_b128 v[58:61], v148 offset:592
	v_mul_f32_e32 v3, v43, v47
	v_fma_f32 v3, v42, v46, -v3
	v_add_f32_e32 v2, v2, v3
	v_mul_f32_e32 v3, v45, v49
	s_waitcnt lgkmcnt(0)
	v_mul_f32_e32 v67, v58, v63
	v_fmac_f32_e32 v67, v59, v62
	v_add_f32_e32 v66, v66, v67
	v_mul_f32_e32 v67, v60, v65
	v_fmac_f32_e32 v67, v61, v64
	v_add_f32_e32 v74, v66, v67
	ds_read_b128 v[66:69], v148 offset:608
	v_fma_f32 v3, v44, v48, -v3
	v_add_f32_e32 v2, v2, v3
	v_mul_f32_e32 v3, v51, v55
	v_fma_f32 v3, v50, v54, -v3
	s_waitcnt lgkmcnt(0)
	v_mul_f32_e32 v75, v66, v71
	v_fmac_f32_e32 v75, v67, v70
	v_add_f32_e32 v74, v74, v75
	v_mul_f32_e32 v75, v68, v73
	v_fmac_f32_e32 v75, v69, v72
	v_add_f32_e32 v82, v74, v75
	ds_read_b128 v[74:77], v148 offset:624
	v_add_f32_e32 v2, v2, v3
	v_mul_f32_e32 v3, v53, v57
	v_fma_f32 v3, v52, v56, -v3
	v_add_f32_e32 v2, v2, v3
	s_waitcnt lgkmcnt(0)
	v_mul_f32_e32 v83, v74, v79
	v_fmac_f32_e32 v83, v75, v78
	v_add_f32_e32 v82, v82, v83
	v_mul_f32_e32 v83, v76, v81
	v_fmac_f32_e32 v83, v77, v80
	v_add_f32_e32 v90, v82, v83
	ds_read_b128 v[82:85], v148 offset:640
	v_mul_f32_e32 v3, v59, v63
	v_fma_f32 v3, v58, v62, -v3
	v_add_f32_e32 v2, v2, v3
	v_mul_f32_e32 v3, v61, v65
	;; [unrolled: 36-line block ×4, first 2 shown]
	s_waitcnt lgkmcnt(0)
	v_mul_f32_e32 v139, v130, v135
	v_fmac_f32_e32 v139, v131, v134
	v_add_f32_e32 v138, v138, v139
	v_mul_f32_e32 v139, v132, v137
	v_fmac_f32_e32 v139, v133, v136
	v_add_f32_e32 v146, v138, v139
	ds_read_b128 v[138:141], v148 offset:752
	scratch_load_dwordx4 v[206:209], off, off offset:400
	scratch_load_dwordx4 v[210:213], off, off offset:416
	;; [unrolled: 1-line block ×3, first 2 shown]
	scratch_load_dwordx2 v[222:223], off, off offset:448
	v_fma_f32 v3, v92, v96, -v3
	v_add_f32_e32 v2, v2, v3
	v_mul_f32_e32 v3, v99, v103
	v_fma_f32 v3, v98, v102, -v3
	v_add_f32_e32 v2, v2, v3
	v_mul_f32_e32 v3, v101, v105
	;; [unrolled: 3-line block ×10, first 2 shown]
	v_fma_f32 v3, v132, v136, -v3
	s_waitcnt lgkmcnt(0)
	v_mul_f32_e32 v147, v138, v143
	v_add_f32_e32 v2, v2, v3
	v_mul_f32_e32 v3, v139, v143
	v_fmac_f32_e32 v147, v139, v142
	v_fma_f32 v3, v138, v142, -v3
	v_add_f32_e32 v146, v146, v147
	v_mul_f32_e32 v147, v140, v145
	v_add_f32_e32 v2, v2, v3
	v_mul_f32_e32 v3, v141, v145
	v_fmac_f32_e32 v147, v141, v144
	v_fma_f32 v3, v140, v144, -v3
	v_add_f32_e32 v146, v146, v147
	v_mul_f32_e32 v147, v158, v163
	v_add_f32_e32 v2, v2, v3
	v_mul_f32_e32 v3, v159, v163
	v_fmac_f32_e32 v147, v159, v162
	v_fma_f32 v3, v158, v162, -v3
	v_add_f32_e32 v146, v146, v147
	v_mul_f32_e32 v147, v160, v165
	v_add_f32_e32 v2, v2, v3
	v_mul_f32_e32 v3, v161, v165
	v_fmac_f32_e32 v147, v161, v164
	v_fma_f32 v3, v160, v164, -v3
	v_add_f32_e32 v146, v146, v147
	v_mul_f32_e32 v147, v166, v171
	v_add_f32_e32 v2, v2, v3
	v_mul_f32_e32 v3, v167, v171
	v_fmac_f32_e32 v147, v167, v170
	v_fma_f32 v3, v166, v170, -v3
	v_add_f32_e32 v146, v146, v147
	v_mul_f32_e32 v147, v168, v173
	v_add_f32_e32 v2, v2, v3
	v_mul_f32_e32 v3, v169, v173
	v_fmac_f32_e32 v147, v169, v172
	v_fma_f32 v3, v168, v172, -v3
	v_add_f32_e32 v146, v146, v147
	v_mul_f32_e32 v147, v174, v179
	v_add_f32_e32 v2, v2, v3
	v_mul_f32_e32 v3, v175, v179
	v_fmac_f32_e32 v147, v175, v178
	v_fma_f32 v3, v174, v178, -v3
	v_add_f32_e32 v146, v146, v147
	v_mul_f32_e32 v147, v176, v181
	v_add_f32_e32 v2, v2, v3
	v_mul_f32_e32 v3, v177, v181
	v_fmac_f32_e32 v147, v177, v180
	v_fma_f32 v3, v176, v180, -v3
	v_add_f32_e32 v146, v146, v147
	v_mul_f32_e32 v147, v182, v187
	v_add_f32_e32 v2, v2, v3
	v_mul_f32_e32 v3, v183, v187
	v_fmac_f32_e32 v147, v183, v186
	v_fma_f32 v3, v182, v186, -v3
	v_add_f32_e32 v146, v146, v147
	v_mul_f32_e32 v147, v184, v189
	v_add_f32_e32 v2, v2, v3
	v_mul_f32_e32 v3, v185, v189
	v_fmac_f32_e32 v147, v185, v188
	v_fma_f32 v3, v184, v188, -v3
	v_add_f32_e32 v146, v146, v147
	v_mul_f32_e32 v147, v190, v195
	v_add_f32_e32 v2, v2, v3
	v_mul_f32_e32 v3, v191, v195
	v_fmac_f32_e32 v147, v191, v194
	v_fma_f32 v3, v190, v194, -v3
	v_add_f32_e32 v147, v146, v147
	v_add_f32_e32 v146, v2, v3
	v_mul_f32_e32 v2, v193, v197
	v_fma_f32 v218, v192, v196, -v2
	v_mul_f32_e32 v2, v199, v203
	v_fma_f32 v220, v198, v202, -v2
	ds_read_b128 v[2:5], v148 offset:864
	ds_read_b128 v[6:9], v148 offset:880
	ds_read_b128 v[10:13], v148 offset:896
	ds_read_b64 v[14:15], v148 offset:912
	v_pk_add_f32 v[16:17], v[146:147], v[218:219]
	s_waitcnt vmcnt(3) lgkmcnt(3)
	v_pk_mul_f32 v[18:19], v[2:3], v[206:207] op_sel:[1,1] op_sel_hi:[0,1]
	v_pk_add_f32 v[16:17], v[16:17], v[220:221]
	s_nop 0
	v_pk_add_f32 v[16:17], v[16:17], v[20:21]
	v_pk_fma_f32 v[20:21], v[2:3], v[206:207], v[18:19] neg_lo:[0,0,1] neg_hi:[0,0,1]
	v_pk_fma_f32 v[2:3], v[2:3], v[206:207], v[18:19] op_sel_hi:[1,0,1]
	s_nop 0
	v_mov_b32_e32 v21, v3
	v_pk_add_f32 v[2:3], v[16:17], v[20:21]
	v_mov_b32_e32 v16, v209
	v_pk_mul_f32 v[16:17], v[4:5], v[16:17] op_sel:[1,0] op_sel_hi:[0,0]
	v_pk_fma_f32 v[18:19], v[4:5], v[208:209], v[16:17] neg_lo:[0,0,1] neg_hi:[0,0,1]
	v_pk_fma_f32 v[4:5], v[4:5], v[208:209], v[16:17] op_sel_hi:[1,0,1]
	s_nop 0
	v_mov_b32_e32 v19, v5
	s_waitcnt vmcnt(2) lgkmcnt(2)
	v_pk_mul_f32 v[4:5], v[6:7], v[210:211] op_sel:[1,1] op_sel_hi:[0,1]
	v_pk_fma_f32 v[16:17], v[6:7], v[210:211], v[4:5] neg_lo:[0,0,1] neg_hi:[0,0,1]
	v_pk_fma_f32 v[4:5], v[6:7], v[210:211], v[4:5] op_sel_hi:[1,0,1]
	v_pk_add_f32 v[2:3], v[2:3], v[18:19]
	v_mov_b32_e32 v4, v213
	v_mov_b32_e32 v17, v5
	v_pk_mul_f32 v[4:5], v[8:9], v[4:5] op_sel:[1,0] op_sel_hi:[0,0]
	v_pk_fma_f32 v[6:7], v[8:9], v[212:213], v[4:5] neg_lo:[0,0,1] neg_hi:[0,0,1]
	v_pk_fma_f32 v[4:5], v[8:9], v[212:213], v[4:5] op_sel_hi:[1,0,1]
	v_pk_add_f32 v[2:3], v[2:3], v[16:17]
	v_mov_b32_e32 v7, v5
	s_waitcnt vmcnt(1) lgkmcnt(1)
	v_pk_mul_f32 v[4:5], v[10:11], v[214:215] op_sel:[1,1] op_sel_hi:[0,1]
	v_pk_add_f32 v[2:3], v[2:3], v[6:7]
	v_pk_fma_f32 v[6:7], v[10:11], v[214:215], v[4:5] neg_lo:[0,0,1] neg_hi:[0,0,1]
	v_pk_fma_f32 v[4:5], v[10:11], v[214:215], v[4:5] op_sel_hi:[1,0,1]
	s_nop 0
	v_mov_b32_e32 v4, v217
	v_mov_b32_e32 v7, v5
	v_pk_mul_f32 v[4:5], v[12:13], v[4:5] op_sel:[1,0] op_sel_hi:[0,0]
	v_pk_add_f32 v[2:3], v[2:3], v[6:7]
	v_pk_fma_f32 v[6:7], v[12:13], v[216:217], v[4:5] neg_lo:[0,0,1] neg_hi:[0,0,1]
	v_pk_fma_f32 v[4:5], v[12:13], v[216:217], v[4:5] op_sel_hi:[1,0,1]
	s_nop 0
	v_mov_b32_e32 v7, v5
	s_waitcnt vmcnt(0) lgkmcnt(0)
	v_pk_mul_f32 v[4:5], v[14:15], v[222:223] op_sel:[1,1] op_sel_hi:[0,1]
	v_pk_add_f32 v[2:3], v[2:3], v[6:7]
	v_pk_fma_f32 v[6:7], v[14:15], v[222:223], v[4:5] neg_lo:[0,0,1] neg_hi:[0,0,1]
	v_pk_fma_f32 v[4:5], v[14:15], v[222:223], v[4:5] op_sel_hi:[1,0,1]
	s_nop 0
	v_mov_b32_e32 v7, v5
	scratch_load_dwordx2 v[4:5], off, off offset:8
	v_pk_add_f32 v[2:3], v[2:3], v[6:7]
	s_waitcnt vmcnt(0)
	v_pk_add_f32 v[2:3], v[4:5], v[2:3] neg_lo:[0,1] neg_hi:[0,1]
	scratch_store_dwordx2 off, v[2:3], off offset:8
	s_and_saveexec_b64 s[0:1], vcc
	s_cbranch_execz .LBB56_355
; %bb.354:
	scratch_load_dwordx2 v[2:3], off, off
	v_mov_b32_e32 v149, v148
	scratch_store_dwordx2 off, v[148:149], off
	s_waitcnt vmcnt(1)
	ds_write_b64 v1, v[2:3]
.LBB56_355:
	s_or_b64 exec, exec, s[0:1]
	s_waitcnt lgkmcnt(0)
	; wave barrier
	scratch_load_dwordx4 v[4:7], off, off offset:8
	scratch_load_dwordx4 v[12:15], off, off offset:24
	scratch_load_dwordx4 v[20:23], off, off offset:40
	scratch_load_dwordx4 v[28:31], off, off offset:56
	scratch_load_dwordx4 v[36:39], off, off offset:72
	scratch_load_dwordx4 v[44:47], off, off offset:88
	scratch_load_dwordx4 v[52:55], off, off offset:104
	scratch_load_dwordx4 v[60:63], off, off offset:120
	scratch_load_dwordx4 v[68:71], off, off offset:136
	scratch_load_dwordx4 v[76:79], off, off offset:152
	ds_read2_b64 v[0:3], v148 offset0:59 offset1:60
	scratch_load_dwordx4 v[84:87], off, off offset:168
	scratch_load_dwordx4 v[92:95], off, off offset:184
	;; [unrolled: 1-line block ×14, first 2 shown]
	s_and_b64 vcc, exec, s[18:19]
	s_waitcnt vmcnt(23) lgkmcnt(0)
	v_mul_f32_e32 v8, v0, v5
	v_fmac_f32_e32 v8, v1, v4
	v_mul_f32_e32 v9, v2, v7
	v_add_f32_e32 v8, 0, v8
	v_fmac_f32_e32 v9, v3, v6
	v_add_f32_e32 v16, v8, v9
	ds_read2_b64 v[8:11], v148 offset0:61 offset1:62
	v_mul_f32_e32 v1, v1, v5
	v_fma_f32 v0, v0, v4, -v1
	v_mul_f32_e32 v1, v3, v7
	v_add_f32_e32 v0, 0, v0
	s_waitcnt vmcnt(22) lgkmcnt(0)
	v_mul_f32_e32 v17, v8, v13
	v_fmac_f32_e32 v17, v9, v12
	v_add_f32_e32 v16, v16, v17
	v_mul_f32_e32 v17, v10, v15
	v_fmac_f32_e32 v17, v11, v14
	v_add_f32_e32 v24, v16, v17
	ds_read2_b64 v[16:19], v148 offset0:63 offset1:64
	v_fma_f32 v1, v2, v6, -v1
	v_add_f32_e32 v0, v0, v1
	v_mul_f32_e32 v1, v9, v13
	v_fma_f32 v1, v8, v12, -v1
	s_waitcnt vmcnt(21) lgkmcnt(0)
	v_mul_f32_e32 v25, v16, v21
	v_fmac_f32_e32 v25, v17, v20
	v_add_f32_e32 v24, v24, v25
	v_mul_f32_e32 v25, v18, v23
	v_fmac_f32_e32 v25, v19, v22
	v_add_f32_e32 v32, v24, v25
	ds_read2_b64 v[24:27], v148 offset0:65 offset1:66
	v_add_f32_e32 v0, v0, v1
	v_mul_f32_e32 v1, v11, v15
	v_fma_f32 v1, v10, v14, -v1
	v_add_f32_e32 v0, v0, v1
	s_waitcnt vmcnt(20) lgkmcnt(0)
	v_mul_f32_e32 v33, v24, v29
	v_fmac_f32_e32 v33, v25, v28
	v_add_f32_e32 v32, v32, v33
	v_mul_f32_e32 v33, v26, v31
	v_fmac_f32_e32 v33, v27, v30
	v_add_f32_e32 v40, v32, v33
	ds_read2_b64 v[32:35], v148 offset0:67 offset1:68
	v_mul_f32_e32 v1, v17, v21
	v_fma_f32 v1, v16, v20, -v1
	v_add_f32_e32 v0, v0, v1
	v_mul_f32_e32 v1, v19, v23
	s_waitcnt vmcnt(19) lgkmcnt(0)
	v_mul_f32_e32 v41, v32, v37
	v_fmac_f32_e32 v41, v33, v36
	v_add_f32_e32 v40, v40, v41
	v_mul_f32_e32 v41, v34, v39
	v_fmac_f32_e32 v41, v35, v38
	v_add_f32_e32 v48, v40, v41
	ds_read2_b64 v[40:43], v148 offset0:69 offset1:70
	v_fma_f32 v1, v18, v22, -v1
	v_add_f32_e32 v0, v0, v1
	v_mul_f32_e32 v1, v25, v29
	v_fma_f32 v1, v24, v28, -v1
	s_waitcnt vmcnt(18) lgkmcnt(0)
	v_mul_f32_e32 v49, v40, v45
	v_fmac_f32_e32 v49, v41, v44
	v_add_f32_e32 v48, v48, v49
	v_mul_f32_e32 v49, v42, v47
	v_fmac_f32_e32 v49, v43, v46
	v_add_f32_e32 v56, v48, v49
	ds_read2_b64 v[48:51], v148 offset0:71 offset1:72
	v_add_f32_e32 v0, v0, v1
	v_mul_f32_e32 v1, v27, v31
	v_fma_f32 v1, v26, v30, -v1
	v_add_f32_e32 v0, v0, v1
	s_waitcnt vmcnt(17) lgkmcnt(0)
	v_mul_f32_e32 v57, v48, v53
	v_fmac_f32_e32 v57, v49, v52
	v_add_f32_e32 v56, v56, v57
	v_mul_f32_e32 v57, v50, v55
	v_fmac_f32_e32 v57, v51, v54
	v_add_f32_e32 v64, v56, v57
	ds_read2_b64 v[56:59], v148 offset0:73 offset1:74
	v_mul_f32_e32 v1, v33, v37
	v_fma_f32 v1, v32, v36, -v1
	v_add_f32_e32 v0, v0, v1
	v_mul_f32_e32 v1, v35, v39
	;; [unrolled: 36-line block ×7, first 2 shown]
	s_waitcnt vmcnt(1) lgkmcnt(0)
	v_mul_f32_e32 v194, v186, v191
	v_fmac_f32_e32 v194, v187, v190
	v_add_f32_e32 v149, v149, v194
	v_mul_f32_e32 v194, v188, v193
	v_fmac_f32_e32 v194, v189, v192
	v_add_f32_e32 v219, v149, v194
	ds_read2_b64 v[194:197], v148 offset0:105 offset1:106
	scratch_load_dwordx4 v[202:205], off, off offset:392
	scratch_load_dwordx4 v[206:209], off, off offset:408
	;; [unrolled: 1-line block ×4, first 2 shown]
	v_fma_f32 v1, v114, v118, -v1
	v_add_f32_e32 v0, v0, v1
	v_mul_f32_e32 v1, v121, v125
	v_fma_f32 v1, v120, v124, -v1
	v_add_f32_e32 v0, v0, v1
	v_mul_f32_e32 v1, v123, v127
	;; [unrolled: 3-line block ×16, first 2 shown]
	v_fma_f32 v1, v188, v192, -v1
	v_add_f32_e32 v218, v0, v1
	s_waitcnt vmcnt(4) lgkmcnt(0)
	v_mul_f32_e32 v0, v195, v199
	v_fma_f32 v220, v194, v198, -v0
	v_mul_f32_e32 v0, v197, v201
	v_fma_f32 v222, v196, v200, -v0
	ds_read2_b64 v[0:3], v148 offset0:107 offset1:108
	ds_read2_b64 v[4:7], v148 offset0:109 offset1:110
	;; [unrolled: 1-line block ×4, first 2 shown]
	v_mul_f32_e32 v221, v194, v199
	v_fmac_f32_e32 v221, v195, v198
	v_mul_f32_e32 v223, v196, v201
	v_fmac_f32_e32 v223, v197, v200
	v_pk_add_f32 v[16:17], v[218:219], v[220:221]
	s_waitcnt vmcnt(3) lgkmcnt(3)
	v_pk_mul_f32 v[18:19], v[0:1], v[202:203] op_sel:[1,1] op_sel_hi:[0,1]
	v_pk_fma_f32 v[20:21], v[0:1], v[202:203], v[18:19] neg_lo:[0,0,1] neg_hi:[0,0,1]
	v_pk_fma_f32 v[0:1], v[0:1], v[202:203], v[18:19] op_sel_hi:[1,0,1]
	v_pk_add_f32 v[16:17], v[16:17], v[222:223]
	v_mov_b32_e32 v21, v1
	v_pk_add_f32 v[0:1], v[16:17], v[20:21]
	v_mov_b32_e32 v16, v205
	v_pk_mul_f32 v[16:17], v[2:3], v[16:17] op_sel:[1,0] op_sel_hi:[0,0]
	v_pk_fma_f32 v[18:19], v[2:3], v[204:205], v[16:17] neg_lo:[0,0,1] neg_hi:[0,0,1]
	v_pk_fma_f32 v[2:3], v[2:3], v[204:205], v[16:17] op_sel_hi:[1,0,1]
	s_nop 0
	v_mov_b32_e32 v19, v3
	s_waitcnt vmcnt(2) lgkmcnt(2)
	v_pk_mul_f32 v[2:3], v[4:5], v[206:207] op_sel:[1,1] op_sel_hi:[0,1]
	v_pk_fma_f32 v[16:17], v[4:5], v[206:207], v[2:3] neg_lo:[0,0,1] neg_hi:[0,0,1]
	v_pk_fma_f32 v[2:3], v[4:5], v[206:207], v[2:3] op_sel_hi:[1,0,1]
	v_pk_add_f32 v[0:1], v[0:1], v[18:19]
	v_mov_b32_e32 v2, v209
	v_mov_b32_e32 v17, v3
	v_pk_mul_f32 v[2:3], v[6:7], v[2:3] op_sel:[1,0] op_sel_hi:[0,0]
	v_pk_fma_f32 v[4:5], v[6:7], v[208:209], v[2:3] neg_lo:[0,0,1] neg_hi:[0,0,1]
	v_pk_fma_f32 v[2:3], v[6:7], v[208:209], v[2:3] op_sel_hi:[1,0,1]
	v_pk_add_f32 v[0:1], v[0:1], v[16:17]
	v_mov_b32_e32 v5, v3
	s_waitcnt vmcnt(1) lgkmcnt(1)
	v_pk_mul_f32 v[2:3], v[8:9], v[210:211] op_sel:[1,1] op_sel_hi:[0,1]
	v_pk_add_f32 v[0:1], v[0:1], v[4:5]
	v_pk_fma_f32 v[4:5], v[8:9], v[210:211], v[2:3] neg_lo:[0,0,1] neg_hi:[0,0,1]
	v_pk_fma_f32 v[2:3], v[8:9], v[210:211], v[2:3] op_sel_hi:[1,0,1]
	s_nop 0
	v_mov_b32_e32 v2, v213
	v_mov_b32_e32 v5, v3
	v_pk_mul_f32 v[2:3], v[10:11], v[2:3] op_sel:[1,0] op_sel_hi:[0,0]
	v_pk_add_f32 v[0:1], v[0:1], v[4:5]
	v_pk_fma_f32 v[4:5], v[10:11], v[212:213], v[2:3] neg_lo:[0,0,1] neg_hi:[0,0,1]
	v_pk_fma_f32 v[2:3], v[10:11], v[212:213], v[2:3] op_sel_hi:[1,0,1]
	s_nop 0
	v_mov_b32_e32 v5, v3
	s_waitcnt vmcnt(0) lgkmcnt(0)
	v_pk_mul_f32 v[2:3], v[12:13], v[214:215] op_sel:[1,1] op_sel_hi:[0,1]
	v_pk_add_f32 v[0:1], v[0:1], v[4:5]
	v_pk_fma_f32 v[4:5], v[12:13], v[214:215], v[2:3] neg_lo:[0,0,1] neg_hi:[0,0,1]
	v_pk_fma_f32 v[2:3], v[12:13], v[214:215], v[2:3] op_sel_hi:[1,0,1]
	s_nop 0
	v_mov_b32_e32 v2, v217
	v_mov_b32_e32 v5, v3
	v_pk_mul_f32 v[2:3], v[14:15], v[2:3] op_sel:[1,0] op_sel_hi:[0,0]
	v_pk_add_f32 v[0:1], v[0:1], v[4:5]
	v_pk_fma_f32 v[4:5], v[14:15], v[216:217], v[2:3] neg_lo:[0,0,1] neg_hi:[0,0,1]
	v_pk_fma_f32 v[2:3], v[14:15], v[216:217], v[2:3] op_sel_hi:[1,0,1]
	s_nop 0
	v_mov_b32_e32 v5, v3
	scratch_load_dwordx2 v[2:3], off, off
	v_pk_add_f32 v[0:1], v[0:1], v[4:5]
	s_waitcnt vmcnt(0)
	v_pk_add_f32 v[0:1], v[2:3], v[0:1] neg_lo:[0,1] neg_hi:[0,1]
	scratch_store_dwordx2 off, v[0:1], off
	s_cbranch_vccz .LBB56_468
; %bb.356:
	v_mov_b32_e32 v0, 0
	global_load_dword v1, v0, s[16:17] offset:220
	s_waitcnt vmcnt(0)
	v_readfirstlane_b32 s0, v1
	s_add_i32 s0, s0, -1
	s_cmp_lg_u32 s0, 55
	s_cbranch_scc0 .LBB56_358
; %bb.357:
	s_lshl_b32 s0, s0, 3
	s_nop 0
	scratch_load_dwordx2 v[2:3], off, s0
	scratch_load_dwordx2 v[4:5], off, off offset:440
	s_waitcnt vmcnt(1)
	scratch_store_dwordx2 off, v[2:3], off offset:440
	s_waitcnt vmcnt(1)
	scratch_store_dwordx2 off, v[4:5], s0
.LBB56_358:
	global_load_dword v0, v0, s[16:17] offset:216
	s_waitcnt vmcnt(0)
	v_readfirstlane_b32 s0, v0
	s_add_i32 s0, s0, -1
	s_cmp_eq_u32 s0, 54
	s_cbranch_scc1 .LBB56_360
; %bb.359:
	s_lshl_b32 s0, s0, 3
	s_nop 0
	scratch_load_dwordx2 v[0:1], off, s0
	scratch_load_dwordx2 v[2:3], off, off offset:432
	s_waitcnt vmcnt(1)
	scratch_store_dwordx2 off, v[0:1], off offset:432
	s_waitcnt vmcnt(1)
	scratch_store_dwordx2 off, v[2:3], s0
.LBB56_360:
	v_mov_b32_e32 v0, 0
	global_load_dword v1, v0, s[16:17] offset:212
	s_waitcnt vmcnt(0)
	v_readfirstlane_b32 s0, v1
	s_add_i32 s0, s0, -1
	s_cmp_eq_u32 s0, 53
	s_cbranch_scc1 .LBB56_362
; %bb.361:
	s_lshl_b32 s0, s0, 3
	s_nop 0
	scratch_load_dwordx2 v[2:3], off, s0
	scratch_load_dwordx2 v[4:5], off, off offset:424
	s_waitcnt vmcnt(1)
	scratch_store_dwordx2 off, v[2:3], off offset:424
	s_waitcnt vmcnt(1)
	scratch_store_dwordx2 off, v[4:5], s0
.LBB56_362:
	global_load_dword v0, v0, s[16:17] offset:208
	s_waitcnt vmcnt(0)
	v_readfirstlane_b32 s0, v0
	s_add_i32 s0, s0, -1
	s_cmp_eq_u32 s0, 52
	s_cbranch_scc1 .LBB56_364
; %bb.363:
	s_lshl_b32 s0, s0, 3
	s_nop 0
	scratch_load_dwordx2 v[0:1], off, s0
	scratch_load_dwordx2 v[2:3], off, off offset:416
	s_waitcnt vmcnt(1)
	scratch_store_dwordx2 off, v[0:1], off offset:416
	s_waitcnt vmcnt(1)
	scratch_store_dwordx2 off, v[2:3], s0
.LBB56_364:
	v_mov_b32_e32 v0, 0
	global_load_dword v1, v0, s[16:17] offset:204
	s_waitcnt vmcnt(0)
	v_readfirstlane_b32 s0, v1
	s_add_i32 s0, s0, -1
	s_cmp_eq_u32 s0, 51
	s_cbranch_scc1 .LBB56_366
; %bb.365:
	s_lshl_b32 s0, s0, 3
	s_nop 0
	scratch_load_dwordx2 v[2:3], off, s0
	scratch_load_dwordx2 v[4:5], off, off offset:408
	s_waitcnt vmcnt(1)
	scratch_store_dwordx2 off, v[2:3], off offset:408
	s_waitcnt vmcnt(1)
	scratch_store_dwordx2 off, v[4:5], s0
.LBB56_366:
	;; [unrolled: 33-line block ×27, first 2 shown]
	global_load_dword v2, v0, s[16:17]
	s_nop 0
	scratch_load_dwordx2 v[0:1], off, off
	s_waitcnt vmcnt(1)
	v_readfirstlane_b32 s0, v2
	s_add_i32 s0, s0, -1
	s_cmp_eq_u32 s0, 0
	s_cbranch_scc1 .LBB56_468
; %bb.467:
	s_lshl_b32 s0, s0, 3
	s_nop 0
	scratch_load_dwordx2 v[2:3], off, s0
	s_waitcnt vmcnt(0)
	scratch_store_dwordx2 off, v[2:3], off
	scratch_store_dwordx2 off, v[0:1], s0
	scratch_load_dwordx2 v[0:1], off, off
.LBB56_468:
	s_nop 0
	scratch_load_dwordx4 v[2:5], off, off offset:8
	scratch_load_dwordx4 v[6:9], off, off offset:24
	;; [unrolled: 1-line block ×28, first 2 shown]
	v_accvgpr_read_b32 v115, a1
	v_accvgpr_read_b32 v114, a0
	s_waitcnt vmcnt(28)
	global_store_dwordx2 v[114:115], v[0:1], off
	v_accvgpr_read_b32 v0, a2
	v_accvgpr_read_b32 v1, a3
	s_waitcnt vmcnt(28)
	global_store_dwordx2 v[0:1], v[2:3], off
	v_accvgpr_read_b32 v0, a4
	v_accvgpr_read_b32 v1, a5
	global_store_dwordx2 v[0:1], v[4:5], off
	v_accvgpr_read_b32 v0, a6
	v_accvgpr_read_b32 v1, a7
	s_waitcnt vmcnt(29)
	global_store_dwordx2 v[0:1], v[6:7], off
	v_accvgpr_read_b32 v0, a8
	v_accvgpr_read_b32 v1, a9
	;; [unrolled: 7-line block ×18, first 2 shown]
	global_store_dwordx2 v[0:1], v[72:73], off
	s_waitcnt vmcnt(46)
	global_store_dwordx2 v[224:225], v[74:75], off
	global_store_dwordx2 v[226:227], v[76:77], off
	s_waitcnt vmcnt(47)
	global_store_dwordx2 v[228:229], v[78:79], off
	;; [unrolled: 3-line block ×10, first 2 shown]
	global_store_dwordx2 v[156:157], v[112:113], off
	s_endpgm
	.section	.rodata,"a",@progbits
	.p2align	6, 0x0
	.amdhsa_kernel _ZN9rocsolver6v33100L18getri_kernel_smallILi57E19rocblas_complex_numIfEPS3_EEvT1_iilPiilS6_bb
		.amdhsa_group_segment_fixed_size 920
		.amdhsa_private_segment_fixed_size 464
		.amdhsa_kernarg_size 60
		.amdhsa_user_sgpr_count 2
		.amdhsa_user_sgpr_dispatch_ptr 0
		.amdhsa_user_sgpr_queue_ptr 0
		.amdhsa_user_sgpr_kernarg_segment_ptr 1
		.amdhsa_user_sgpr_dispatch_id 0
		.amdhsa_user_sgpr_kernarg_preload_length 0
		.amdhsa_user_sgpr_kernarg_preload_offset 0
		.amdhsa_user_sgpr_private_segment_size 0
		.amdhsa_uses_dynamic_stack 0
		.amdhsa_enable_private_segment 1
		.amdhsa_system_sgpr_workgroup_id_x 1
		.amdhsa_system_sgpr_workgroup_id_y 0
		.amdhsa_system_sgpr_workgroup_id_z 0
		.amdhsa_system_sgpr_workgroup_info 0
		.amdhsa_system_vgpr_workitem_id 0
		.amdhsa_next_free_vgpr 330
		.amdhsa_next_free_sgpr 20
		.amdhsa_accum_offset 256
		.amdhsa_reserve_vcc 1
		.amdhsa_float_round_mode_32 0
		.amdhsa_float_round_mode_16_64 0
		.amdhsa_float_denorm_mode_32 3
		.amdhsa_float_denorm_mode_16_64 3
		.amdhsa_dx10_clamp 1
		.amdhsa_ieee_mode 1
		.amdhsa_fp16_overflow 0
		.amdhsa_tg_split 0
		.amdhsa_exception_fp_ieee_invalid_op 0
		.amdhsa_exception_fp_denorm_src 0
		.amdhsa_exception_fp_ieee_div_zero 0
		.amdhsa_exception_fp_ieee_overflow 0
		.amdhsa_exception_fp_ieee_underflow 0
		.amdhsa_exception_fp_ieee_inexact 0
		.amdhsa_exception_int_div_zero 0
	.end_amdhsa_kernel
	.section	.text._ZN9rocsolver6v33100L18getri_kernel_smallILi57E19rocblas_complex_numIfEPS3_EEvT1_iilPiilS6_bb,"axG",@progbits,_ZN9rocsolver6v33100L18getri_kernel_smallILi57E19rocblas_complex_numIfEPS3_EEvT1_iilPiilS6_bb,comdat
.Lfunc_end56:
	.size	_ZN9rocsolver6v33100L18getri_kernel_smallILi57E19rocblas_complex_numIfEPS3_EEvT1_iilPiilS6_bb, .Lfunc_end56-_ZN9rocsolver6v33100L18getri_kernel_smallILi57E19rocblas_complex_numIfEPS3_EEvT1_iilPiilS6_bb
                                        ; -- End function
	.set _ZN9rocsolver6v33100L18getri_kernel_smallILi57E19rocblas_complex_numIfEPS3_EEvT1_iilPiilS6_bb.num_vgpr, 256
	.set _ZN9rocsolver6v33100L18getri_kernel_smallILi57E19rocblas_complex_numIfEPS3_EEvT1_iilPiilS6_bb.num_agpr, 74
	.set _ZN9rocsolver6v33100L18getri_kernel_smallILi57E19rocblas_complex_numIfEPS3_EEvT1_iilPiilS6_bb.numbered_sgpr, 20
	.set _ZN9rocsolver6v33100L18getri_kernel_smallILi57E19rocblas_complex_numIfEPS3_EEvT1_iilPiilS6_bb.num_named_barrier, 0
	.set _ZN9rocsolver6v33100L18getri_kernel_smallILi57E19rocblas_complex_numIfEPS3_EEvT1_iilPiilS6_bb.private_seg_size, 464
	.set _ZN9rocsolver6v33100L18getri_kernel_smallILi57E19rocblas_complex_numIfEPS3_EEvT1_iilPiilS6_bb.uses_vcc, 1
	.set _ZN9rocsolver6v33100L18getri_kernel_smallILi57E19rocblas_complex_numIfEPS3_EEvT1_iilPiilS6_bb.uses_flat_scratch, 0
	.set _ZN9rocsolver6v33100L18getri_kernel_smallILi57E19rocblas_complex_numIfEPS3_EEvT1_iilPiilS6_bb.has_dyn_sized_stack, 0
	.set _ZN9rocsolver6v33100L18getri_kernel_smallILi57E19rocblas_complex_numIfEPS3_EEvT1_iilPiilS6_bb.has_recursion, 0
	.set _ZN9rocsolver6v33100L18getri_kernel_smallILi57E19rocblas_complex_numIfEPS3_EEvT1_iilPiilS6_bb.has_indirect_call, 0
	.section	.AMDGPU.csdata,"",@progbits
; Kernel info:
; codeLenInByte = 91844
; TotalNumSgprs: 26
; NumVgprs: 256
; NumAgprs: 74
; TotalNumVgprs: 330
; ScratchSize: 464
; MemoryBound: 0
; FloatMode: 240
; IeeeMode: 1
; LDSByteSize: 920 bytes/workgroup (compile time only)
; SGPRBlocks: 3
; VGPRBlocks: 41
; NumSGPRsForWavesPerEU: 26
; NumVGPRsForWavesPerEU: 330
; AccumOffset: 256
; Occupancy: 1
; WaveLimiterHint : 1
; COMPUTE_PGM_RSRC2:SCRATCH_EN: 1
; COMPUTE_PGM_RSRC2:USER_SGPR: 2
; COMPUTE_PGM_RSRC2:TRAP_HANDLER: 0
; COMPUTE_PGM_RSRC2:TGID_X_EN: 1
; COMPUTE_PGM_RSRC2:TGID_Y_EN: 0
; COMPUTE_PGM_RSRC2:TGID_Z_EN: 0
; COMPUTE_PGM_RSRC2:TIDIG_COMP_CNT: 0
; COMPUTE_PGM_RSRC3_GFX90A:ACCUM_OFFSET: 63
; COMPUTE_PGM_RSRC3_GFX90A:TG_SPLIT: 0
	.section	.text._ZN9rocsolver6v33100L18getri_kernel_smallILi58E19rocblas_complex_numIfEPS3_EEvT1_iilPiilS6_bb,"axG",@progbits,_ZN9rocsolver6v33100L18getri_kernel_smallILi58E19rocblas_complex_numIfEPS3_EEvT1_iilPiilS6_bb,comdat
	.globl	_ZN9rocsolver6v33100L18getri_kernel_smallILi58E19rocblas_complex_numIfEPS3_EEvT1_iilPiilS6_bb ; -- Begin function _ZN9rocsolver6v33100L18getri_kernel_smallILi58E19rocblas_complex_numIfEPS3_EEvT1_iilPiilS6_bb
	.p2align	8
	.type	_ZN9rocsolver6v33100L18getri_kernel_smallILi58E19rocblas_complex_numIfEPS3_EEvT1_iilPiilS6_bb,@function
_ZN9rocsolver6v33100L18getri_kernel_smallILi58E19rocblas_complex_numIfEPS3_EEvT1_iilPiilS6_bb: ; @_ZN9rocsolver6v33100L18getri_kernel_smallILi58E19rocblas_complex_numIfEPS3_EEvT1_iilPiilS6_bb
; %bb.0:
	v_cmp_gt_u32_e32 vcc, 58, v0
	s_and_saveexec_b64 s[4:5], vcc
	s_cbranch_execz .LBB57_246
; %bb.1:
	s_load_dword s8, s[0:1], 0x38
	s_load_dwordx4 s[12:15], s[0:1], 0x10
	s_load_dwordx4 s[4:7], s[0:1], 0x28
                                        ; implicit-def: $sgpr16_sgpr17
	s_waitcnt lgkmcnt(0)
	s_bitcmp1_b32 s8, 8
	s_cselect_b64 s[18:19], -1, 0
	s_ashr_i32 s3, s2, 31
	s_bfe_u32 s8, s8, 0x10008
	s_cmp_eq_u32 s8, 0
	s_cbranch_scc1 .LBB57_3
; %bb.2:
	s_load_dword s8, s[0:1], 0x20
	s_mul_i32 s9, s4, s3
	s_mul_hi_u32 s10, s4, s2
	s_mul_i32 s5, s5, s2
	s_add_i32 s10, s10, s9
	s_add_i32 s5, s10, s5
	s_mul_i32 s4, s4, s2
	s_waitcnt lgkmcnt(0)
	s_ashr_i32 s9, s8, 31
	s_lshl_b64 s[4:5], s[4:5], 2
	s_add_u32 s10, s14, s4
	s_addc_u32 s11, s15, s5
	s_lshl_b64 s[4:5], s[8:9], 2
	s_add_u32 s16, s10, s4
	s_addc_u32 s17, s11, s5
.LBB57_3:
	s_load_dwordx4 s[8:11], s[0:1], 0x0
	s_load_dword s4, s[0:1], 0x38
	s_mul_i32 s5, s12, s3
	s_mul_hi_u32 s14, s12, s2
	s_add_i32 s5, s14, s5
	s_waitcnt lgkmcnt(0)
	s_ashr_i32 s1, s10, 31
	s_mov_b32 s0, s10
	s_mul_i32 s10, s13, s2
	s_add_i32 s13, s5, s10
	s_mul_i32 s12, s12, s2
	s_lshl_b64 s[12:13], s[12:13], 3
	s_add_u32 s5, s8, s12
	s_addc_u32 s8, s9, s13
	s_lshl_b64 s[0:1], s[0:1], 3
	s_add_u32 s0, s5, s0
	s_addc_u32 s1, s8, s1
	v_lshlrev_b32_e32 v2, 3, v0
	v_mov_b32_e32 v3, 0
	v_lshl_add_u64 v[6:7], s[0:1], 0, v[2:3]
	s_ashr_i32 s9, s11, 31
	s_mov_b32 s8, s11
	v_accvgpr_write_b32 a0, v6
	s_add_i32 s5, s11, s11
	v_accvgpr_write_b32 a1, v7
	v_lshl_add_u64 v[8:9], s[8:9], 3, v[6:7]
	v_add_u32_e32 v6, s5, v0
	v_ashrrev_i32_e32 v7, 31, v6
	v_lshl_add_u64 v[10:11], v[6:7], 3, s[0:1]
	v_add_u32_e32 v6, s11, v6
	v_add_u32_e32 v14, s11, v6
	v_ashrrev_i32_e32 v7, 31, v6
	v_ashrrev_i32_e32 v15, 31, v14
	v_lshl_add_u64 v[12:13], v[6:7], 3, s[0:1]
	v_lshl_add_u64 v[16:17], v[14:15], 3, s[0:1]
	v_add_u32_e32 v14, s11, v14
	v_accvgpr_write_b32 a2, v8
	v_accvgpr_write_b32 a4, v10
	;; [unrolled: 1-line block ×4, first 2 shown]
	v_ashrrev_i32_e32 v15, 31, v14
	global_load_dwordx2 v[4:5], v2, s[0:1]
	global_load_dwordx2 v[6:7], v[8:9], off
	v_accvgpr_write_b32 a3, v9
	v_accvgpr_write_b32 a5, v11
	global_load_dwordx2 v[8:9], v[10:11], off
	v_accvgpr_write_b32 a7, v13
	global_load_dwordx2 v[10:11], v[12:13], off
	;; [unrolled: 2-line block ×3, first 2 shown]
	v_lshl_add_u64 v[16:17], v[14:15], 3, s[0:1]
	v_add_u32_e32 v14, s11, v14
	v_ashrrev_i32_e32 v15, 31, v14
	v_lshl_add_u64 v[18:19], v[14:15], 3, s[0:1]
	v_add_u32_e32 v14, s11, v14
	v_add_u32_e32 v20, s11, v14
	v_ashrrev_i32_e32 v15, 31, v14
	v_ashrrev_i32_e32 v21, 31, v20
	v_lshl_add_u64 v[22:23], v[14:15], 3, s[0:1]
	v_lshl_add_u64 v[24:25], v[20:21], 3, s[0:1]
	v_add_u32_e32 v20, s11, v20
	v_accvgpr_write_b32 a10, v16
	v_accvgpr_write_b32 a12, v18
	;; [unrolled: 1-line block ×4, first 2 shown]
	v_ashrrev_i32_e32 v21, 31, v20
	v_accvgpr_write_b32 a11, v17
	global_load_dwordx2 v[14:15], v[16:17], off
	v_accvgpr_write_b32 a13, v19
	global_load_dwordx2 v[16:17], v[18:19], off
	;; [unrolled: 2-line block ×4, first 2 shown]
	v_lshl_add_u64 v[24:25], v[20:21], 3, s[0:1]
	v_add_u32_e32 v20, s11, v20
	v_ashrrev_i32_e32 v21, 31, v20
	v_lshl_add_u64 v[26:27], v[20:21], 3, s[0:1]
	v_add_u32_e32 v20, s11, v20
	v_ashrrev_i32_e32 v21, 31, v20
	;; [unrolled: 3-line block ×46, first 2 shown]
	v_lshl_add_u64 v[154:155], v[20:21], 3, s[0:1]
	v_add_u32_e32 v20, s11, v20
	v_accvgpr_write_b32 a18, v24
	v_accvgpr_write_b32 a20, v26
	;; [unrolled: 1-line block ×32, first 2 shown]
	v_ashrrev_i32_e32 v21, 31, v20
	v_accvgpr_write_b32 a19, v25
	global_load_dwordx2 v[24:25], v[24:25], off
	v_accvgpr_write_b32 a21, v27
	global_load_dwordx2 v[26:27], v[26:27], off
	;; [unrolled: 2-line block ×32, first 2 shown]
	s_nop 0
	global_load_dwordx2 v[88:89], v[232:233], off
	global_load_dwordx2 v[90:91], v[234:235], off
	;; [unrolled: 1-line block ×12, first 2 shown]
	v_lshl_add_u64 v[156:157], v[20:21], 3, s[0:1]
	global_load_dwordx2 v[112:113], v[150:151], off
	global_load_dwordx2 v[114:115], v[152:153], off
	;; [unrolled: 1-line block ×4, first 2 shown]
	v_add_u32_e32 v20, s11, v20
	v_ashrrev_i32_e32 v21, 31, v20
	v_lshl_add_u64 v[158:159], v[20:21], 3, s[0:1]
	global_load_dwordx2 v[120:121], v[158:159], off
	s_bitcmp0_b32 s4, 0
	s_mov_b64 s[4:5], -1
	s_waitcnt vmcnt(56)
	scratch_store_dwordx4 off, v[4:7], off
	s_waitcnt vmcnt(55)
	scratch_store_dwordx4 off, v[8:11], off offset:16
	s_waitcnt vmcnt(54)
	scratch_store_dwordx4 off, v[12:15], off offset:32
	s_waitcnt vmcnt(53)
	scratch_store_dwordx4 off, v[16:19], off offset:48
	s_waitcnt vmcnt(52)
	scratch_store_dwordx4 off, v[22:25], off offset:64
	s_waitcnt vmcnt(51)
	scratch_store_dwordx4 off, v[26:29], off offset:80
	s_waitcnt vmcnt(50)
	scratch_store_dwordx4 off, v[30:33], off offset:96
	s_waitcnt vmcnt(49)
	scratch_store_dwordx4 off, v[34:37], off offset:112
	s_waitcnt vmcnt(48)
	scratch_store_dwordx4 off, v[38:41], off offset:128
	s_waitcnt vmcnt(47)
	scratch_store_dwordx4 off, v[42:45], off offset:144
	s_waitcnt vmcnt(46)
	scratch_store_dwordx4 off, v[46:49], off offset:160
	s_waitcnt vmcnt(45)
	scratch_store_dwordx4 off, v[50:53], off offset:176
	s_waitcnt vmcnt(44)
	scratch_store_dwordx4 off, v[54:57], off offset:192
	s_waitcnt vmcnt(43)
	scratch_store_dwordx4 off, v[58:61], off offset:208
	s_waitcnt vmcnt(42)
	scratch_store_dwordx4 off, v[62:65], off offset:224
	s_waitcnt vmcnt(41)
	scratch_store_dwordx4 off, v[66:69], off offset:240
	s_waitcnt vmcnt(40)
	scratch_store_dwordx4 off, v[70:73], off offset:256
	s_waitcnt vmcnt(39)
	scratch_store_dwordx4 off, v[74:77], off offset:272
	s_waitcnt vmcnt(38)
	scratch_store_dwordx4 off, v[78:81], off offset:288
	s_waitcnt vmcnt(37)
	scratch_store_dwordx4 off, v[82:85], off offset:304
	s_waitcnt vmcnt(36)
	scratch_store_dwordx4 off, v[86:89], off offset:320
	s_waitcnt vmcnt(35)
	scratch_store_dwordx4 off, v[90:93], off offset:336
	s_waitcnt vmcnt(34)
	scratch_store_dwordx4 off, v[94:97], off offset:352
	s_waitcnt vmcnt(33)
	scratch_store_dwordx4 off, v[98:101], off offset:368
	s_waitcnt vmcnt(32)
	scratch_store_dwordx4 off, v[102:105], off offset:384
	s_waitcnt vmcnt(31)
	scratch_store_dwordx4 off, v[106:109], off offset:400
	s_waitcnt vmcnt(30)
	scratch_store_dwordx4 off, v[110:113], off offset:416
	s_waitcnt vmcnt(29)
	scratch_store_dwordx4 off, v[114:117], off offset:432
	s_waitcnt vmcnt(28)
	scratch_store_dwordx4 off, v[118:121], off offset:448
	s_cbranch_scc1 .LBB57_244
; %bb.4:
	v_cmp_eq_u32_e64 s[0:1], 0, v0
	s_and_saveexec_b64 s[4:5], s[0:1]
; %bb.5:
	v_mov_b32_e32 v1, 0
	ds_write_b32 v1, v1 offset:928
; %bb.6:
	s_or_b64 exec, exec, s[4:5]
	s_waitcnt lgkmcnt(0)
	; wave barrier
	scratch_load_dwordx2 v[4:5], v2, off
	s_waitcnt vmcnt(0)
	v_cmp_eq_f32_e32 vcc, 0, v4
	v_cmp_eq_f32_e64 s[4:5], 0, v5
	s_and_b64 s[4:5], vcc, s[4:5]
	s_and_saveexec_b64 s[8:9], s[4:5]
	s_cbranch_execz .LBB57_10
; %bb.7:
	v_mov_b32_e32 v1, 0
	ds_read_b32 v4, v1 offset:928
	v_add_u32_e32 v3, 1, v0
	s_waitcnt lgkmcnt(0)
	v_readfirstlane_b32 s4, v4
	s_cmp_eq_u32 s4, 0
	s_cselect_b64 s[10:11], -1, 0
	v_cmp_gt_i32_e32 vcc, s4, v3
	s_or_b64 s[10:11], s[10:11], vcc
	s_and_b64 exec, exec, s[10:11]
	s_cbranch_execz .LBB57_10
; %bb.8:
	s_mov_b64 s[10:11], 0
	v_mov_b32_e32 v4, s4
.LBB57_9:                               ; =>This Inner Loop Header: Depth=1
	ds_cmpst_rtn_b32 v4, v1, v4, v3 offset:928
	s_waitcnt lgkmcnt(0)
	v_cmp_ne_u32_e32 vcc, 0, v4
	v_cmp_le_i32_e64 s[4:5], v4, v3
	s_and_b64 s[4:5], vcc, s[4:5]
	s_and_b64 s[4:5], exec, s[4:5]
	s_or_b64 s[10:11], s[4:5], s[10:11]
	s_andn2_b64 exec, exec, s[10:11]
	s_cbranch_execnz .LBB57_9
.LBB57_10:
	s_or_b64 exec, exec, s[8:9]
	v_mov_b32_e32 v3, 0
	; wave barrier
	ds_read_b32 v1, v3 offset:928
	s_and_saveexec_b64 s[4:5], s[0:1]
	s_cbranch_execz .LBB57_12
; %bb.11:
	s_lshl_b64 s[8:9], s[2:3], 2
	s_add_u32 s8, s6, s8
	s_addc_u32 s9, s7, s9
	s_waitcnt lgkmcnt(0)
	global_store_dword v3, v1, s[8:9]
.LBB57_12:
	s_or_b64 exec, exec, s[4:5]
	s_waitcnt lgkmcnt(0)
	v_cmp_ne_u32_e32 vcc, 0, v1
	s_mov_b64 s[4:5], 0
	s_cbranch_vccnz .LBB57_244
; %bb.13:
	v_mov_b32_e32 v3, v2
	scratch_load_dwordx2 v[4:5], v3, off
                                        ; implicit-def: $vgpr7
                                        ; implicit-def: $vgpr8
	s_waitcnt vmcnt(0)
	v_cmp_ngt_f32_e64 s[4:5], |v4|, |v5|
	s_and_saveexec_b64 s[8:9], s[4:5]
	s_xor_b64 s[4:5], exec, s[8:9]
	s_cbranch_execz .LBB57_15
; %bb.14:
	v_div_scale_f32 v1, s[8:9], v5, v5, v4
	v_rcp_f32_e32 v6, v1
	v_div_scale_f32 v7, vcc, v4, v5, v4
	v_fma_f32 v8, -v1, v6, 1.0
	v_fmac_f32_e32 v6, v8, v6
	v_mul_f32_e32 v8, v7, v6
	v_fma_f32 v9, -v1, v8, v7
	v_fmac_f32_e32 v8, v9, v6
	v_fma_f32 v1, -v1, v8, v7
	v_div_fmas_f32 v1, v1, v6, v8
	v_div_fixup_f32 v1, v1, v5, v4
	v_fmac_f32_e32 v5, v4, v1
	v_div_scale_f32 v4, s[8:9], v5, v5, -1.0
	v_rcp_f32_e32 v6, v4
	s_nop 0
	v_fma_f32 v7, -v4, v6, 1.0
	v_fmac_f32_e32 v6, v7, v6
	v_div_scale_f32 v7, vcc, -1.0, v5, -1.0
	v_mul_f32_e32 v8, v7, v6
	v_fma_f32 v9, -v4, v8, v7
	v_fmac_f32_e32 v8, v9, v6
	v_fma_f32 v4, -v4, v8, v7
	v_div_fmas_f32 v4, v4, v6, v8
	v_div_fixup_f32 v7, v4, v5, -1.0
	v_mul_f32_e32 v8, v1, v7
	v_xor_b32_e32 v6, 0x80000000, v8
                                        ; implicit-def: $vgpr4_vgpr5
.LBB57_15:
	s_andn2_saveexec_b64 s[4:5], s[4:5]
	s_cbranch_execz .LBB57_17
; %bb.16:
	v_div_scale_f32 v1, s[8:9], v4, v4, v5
	v_rcp_f32_e32 v6, v1
	v_div_scale_f32 v7, vcc, v5, v4, v5
	v_fma_f32 v8, -v1, v6, 1.0
	v_fmac_f32_e32 v6, v8, v6
	v_mul_f32_e32 v8, v7, v6
	v_fma_f32 v9, -v1, v8, v7
	v_fmac_f32_e32 v8, v9, v6
	v_fma_f32 v1, -v1, v8, v7
	v_div_fmas_f32 v1, v1, v6, v8
	v_div_fixup_f32 v1, v1, v4, v5
	v_fmac_f32_e32 v4, v5, v1
	v_div_scale_f32 v5, s[8:9], v4, v4, 1.0
	v_rcp_f32_e32 v6, v5
	s_nop 0
	v_fma_f32 v7, -v5, v6, 1.0
	v_fmac_f32_e32 v6, v7, v6
	v_div_scale_f32 v7, vcc, 1.0, v4, 1.0
	v_mul_f32_e32 v8, v7, v6
	v_fma_f32 v9, -v5, v8, v7
	v_fmac_f32_e32 v8, v9, v6
	v_fma_f32 v5, -v5, v8, v7
	v_div_fmas_f32 v5, v5, v6, v8
	v_div_fixup_f32 v6, v5, v4, 1.0
	v_xor_b32_e32 v8, 0x80000000, v6
	v_mul_f32_e64 v7, v1, -v6
.LBB57_17:
	s_or_b64 exec, exec, s[4:5]
	scratch_store_dwordx2 v3, v[6:7], off
	scratch_load_dwordx2 v[4:5], off, off offset:8
	v_xor_b32_e32 v9, 0x80000000, v7
	v_add_u32_e32 v1, 0x1d0, v2
	s_waitcnt vmcnt(0)
	ds_write2_b64 v2, v[8:9], v[4:5] offset1:58
	s_waitcnt lgkmcnt(0)
	; wave barrier
	s_and_saveexec_b64 s[4:5], s[0:1]
	s_cbranch_execz .LBB57_19
; %bb.18:
	scratch_load_dwordx2 v[4:5], v3, off
	ds_read_b64 v[6:7], v1
	v_mov_b32_e32 v8, 0
	ds_read_b64 v[8:9], v8 offset:8
	s_waitcnt vmcnt(0) lgkmcnt(1)
	v_pk_mul_f32 v[10:11], v[6:7], v[4:5] op_sel:[1,1] op_sel_hi:[0,1]
	v_pk_fma_f32 v[12:13], v[6:7], v[4:5], v[10:11] neg_lo:[0,0,1] neg_hi:[0,0,1]
	v_pk_fma_f32 v[4:5], v[6:7], v[4:5], v[10:11] op_sel_hi:[1,0,1]
	s_nop 0
	v_mov_b32_e32 v13, v5
	v_pk_add_f32 v[4:5], v[12:13], 0 op_sel_hi:[1,0]
	s_waitcnt lgkmcnt(0)
	v_pk_mul_f32 v[6:7], v[4:5], v[8:9] op_sel:[1,1] op_sel_hi:[0,1]
	v_pk_fma_f32 v[10:11], v[4:5], v[8:9], v[6:7] neg_lo:[0,0,1] neg_hi:[0,0,1]
	v_pk_fma_f32 v[4:5], v[4:5], v[8:9], v[6:7] op_sel_hi:[1,0,1]
	s_nop 0
	v_mov_b32_e32 v11, v5
	scratch_store_dwordx2 off, v[10:11], off offset:8
.LBB57_19:
	s_or_b64 exec, exec, s[4:5]
	; wave barrier
	scratch_load_dwordx2 v[4:5], off, off offset:16
	v_cmp_gt_u32_e32 vcc, 2, v0
	s_waitcnt vmcnt(0)
	ds_write_b64 v1, v[4:5]
	s_waitcnt lgkmcnt(0)
	; wave barrier
	s_and_saveexec_b64 s[4:5], vcc
	s_cbranch_execz .LBB57_23
; %bb.20:
	scratch_load_dwordx2 v[4:5], v3, off
	ds_read_b64 v[6:7], v1
	s_waitcnt vmcnt(0) lgkmcnt(0)
	v_pk_mul_f32 v[8:9], v[6:7], v[4:5] op_sel:[1,1] op_sel_hi:[0,1]
	v_pk_fma_f32 v[10:11], v[6:7], v[4:5], v[8:9] neg_lo:[0,0,1] neg_hi:[0,0,1]
	v_pk_fma_f32 v[4:5], v[6:7], v[4:5], v[8:9] op_sel_hi:[1,0,1]
	s_nop 0
	v_mov_b32_e32 v11, v5
	v_pk_add_f32 v[4:5], v[10:11], 0 op_sel_hi:[1,0]
	s_and_saveexec_b64 s[8:9], s[0:1]
	s_cbranch_execz .LBB57_22
; %bb.21:
	scratch_load_dwordx2 v[6:7], off, off offset:8
	v_mov_b32_e32 v3, 0
	ds_read_b64 v[8:9], v3 offset:472
	s_waitcnt vmcnt(0) lgkmcnt(0)
	v_pk_mul_f32 v[10:11], v[8:9], v[6:7] op_sel:[1,1] op_sel_hi:[0,1]
	v_pk_fma_f32 v[12:13], v[8:9], v[6:7], v[10:11] neg_lo:[0,0,1] neg_hi:[0,0,1]
	v_pk_fma_f32 v[6:7], v[8:9], v[6:7], v[10:11] op_sel_hi:[1,0,1]
	s_nop 0
	v_mov_b32_e32 v13, v7
	v_pk_add_f32 v[4:5], v[4:5], v[12:13]
.LBB57_22:
	s_or_b64 exec, exec, s[8:9]
	v_mov_b32_e32 v3, 0
	ds_read_b64 v[6:7], v3 offset:16
	s_waitcnt lgkmcnt(0)
	v_pk_mul_f32 v[8:9], v[4:5], v[6:7] op_sel:[1,1] op_sel_hi:[0,1]
	v_pk_fma_f32 v[10:11], v[4:5], v[6:7], v[8:9] neg_lo:[0,0,1] neg_hi:[0,0,1]
	v_pk_fma_f32 v[4:5], v[4:5], v[6:7], v[8:9] op_sel_hi:[1,0,1]
	s_nop 0
	v_mov_b32_e32 v11, v5
	scratch_store_dwordx2 off, v[10:11], off offset:16
.LBB57_23:
	s_or_b64 exec, exec, s[4:5]
	; wave barrier
	scratch_load_dwordx2 v[4:5], off, off offset:24
	v_cmp_gt_u32_e32 vcc, 3, v0
	v_add_u32_e32 v6, -1, v0
	s_waitcnt vmcnt(0)
	ds_write_b64 v1, v[4:5]
	s_waitcnt lgkmcnt(0)
	; wave barrier
	s_and_saveexec_b64 s[0:1], vcc
	s_cbranch_execz .LBB57_27
; %bb.24:
	v_mov_b32_e32 v4, 0
	v_add_u32_e32 v3, -1, v0
	v_add_u32_e32 v7, 0x1d0, v2
	v_mov_b32_e32 v8, v2
	s_mov_b64 s[4:5], 0
	v_mov_b32_e32 v5, v4
.LBB57_25:                              ; =>This Inner Loop Header: Depth=1
	scratch_load_dwordx2 v[10:11], v8, off
	ds_read_b64 v[12:13], v7
	v_add_u32_e32 v3, 1, v3
	v_cmp_lt_u32_e32 vcc, 1, v3
	v_add_u32_e32 v7, 8, v7
	v_add_u32_e32 v8, 8, v8
	s_or_b64 s[4:5], vcc, s[4:5]
	s_waitcnt vmcnt(0) lgkmcnt(0)
	v_pk_mul_f32 v[14:15], v[12:13], v[10:11] op_sel:[1,1] op_sel_hi:[0,1]
	v_pk_fma_f32 v[16:17], v[12:13], v[10:11], v[14:15] neg_lo:[0,0,1] neg_hi:[0,0,1]
	v_pk_fma_f32 v[10:11], v[12:13], v[10:11], v[14:15] op_sel_hi:[1,0,1]
	s_nop 0
	v_mov_b32_e32 v17, v11
	v_pk_add_f32 v[4:5], v[4:5], v[16:17]
	s_andn2_b64 exec, exec, s[4:5]
	s_cbranch_execnz .LBB57_25
; %bb.26:
	s_or_b64 exec, exec, s[4:5]
	v_mov_b32_e32 v3, 0
	ds_read_b64 v[8:9], v3 offset:24
	s_waitcnt lgkmcnt(0)
	v_pk_mul_f32 v[10:11], v[4:5], v[8:9] op_sel:[1,1] op_sel_hi:[0,1]
	v_pk_fma_f32 v[12:13], v[4:5], v[8:9], v[10:11] neg_lo:[0,0,1] neg_hi:[0,0,1]
	v_pk_fma_f32 v[4:5], v[4:5], v[8:9], v[10:11] op_sel_hi:[1,0,1]
	s_nop 0
	v_mov_b32_e32 v13, v5
	scratch_store_dwordx2 off, v[12:13], off offset:24
.LBB57_27:
	s_or_b64 exec, exec, s[0:1]
	; wave barrier
	scratch_load_dwordx2 v[4:5], off, off offset:32
	v_cmp_gt_u32_e32 vcc, 4, v0
	s_waitcnt vmcnt(0)
	ds_write_b64 v1, v[4:5]
	s_waitcnt lgkmcnt(0)
	; wave barrier
	s_and_saveexec_b64 s[0:1], vcc
	s_cbranch_execz .LBB57_31
; %bb.28:
	v_mov_b32_e32 v4, 0
	v_add_u32_e32 v3, -1, v0
	v_add_u32_e32 v7, 0x1d0, v2
	v_mov_b32_e32 v8, v2
	s_mov_b64 s[4:5], 0
	v_mov_b32_e32 v5, v4
.LBB57_29:                              ; =>This Inner Loop Header: Depth=1
	scratch_load_dwordx2 v[10:11], v8, off
	ds_read_b64 v[12:13], v7
	v_add_u32_e32 v3, 1, v3
	v_cmp_lt_u32_e32 vcc, 2, v3
	v_add_u32_e32 v7, 8, v7
	v_add_u32_e32 v8, 8, v8
	s_or_b64 s[4:5], vcc, s[4:5]
	s_waitcnt vmcnt(0) lgkmcnt(0)
	v_pk_mul_f32 v[14:15], v[12:13], v[10:11] op_sel:[1,1] op_sel_hi:[0,1]
	v_pk_fma_f32 v[16:17], v[12:13], v[10:11], v[14:15] neg_lo:[0,0,1] neg_hi:[0,0,1]
	v_pk_fma_f32 v[10:11], v[12:13], v[10:11], v[14:15] op_sel_hi:[1,0,1]
	s_nop 0
	v_mov_b32_e32 v17, v11
	v_pk_add_f32 v[4:5], v[4:5], v[16:17]
	s_andn2_b64 exec, exec, s[4:5]
	s_cbranch_execnz .LBB57_29
; %bb.30:
	s_or_b64 exec, exec, s[4:5]
	v_mov_b32_e32 v3, 0
	ds_read_b64 v[8:9], v3 offset:32
	s_waitcnt lgkmcnt(0)
	v_pk_mul_f32 v[10:11], v[4:5], v[8:9] op_sel:[1,1] op_sel_hi:[0,1]
	v_pk_fma_f32 v[12:13], v[4:5], v[8:9], v[10:11] neg_lo:[0,0,1] neg_hi:[0,0,1]
	v_pk_fma_f32 v[4:5], v[4:5], v[8:9], v[10:11] op_sel_hi:[1,0,1]
	s_nop 0
	v_mov_b32_e32 v13, v5
	scratch_store_dwordx2 off, v[12:13], off offset:32
.LBB57_31:
	s_or_b64 exec, exec, s[0:1]
	; wave barrier
	scratch_load_dwordx2 v[4:5], off, off offset:40
	v_cmp_gt_u32_e32 vcc, 5, v0
	;; [unrolled: 46-line block ×19, first 2 shown]
	s_waitcnt vmcnt(0)
	ds_write_b64 v1, v[4:5]
	s_waitcnt lgkmcnt(0)
	; wave barrier
	s_and_saveexec_b64 s[0:1], vcc
	s_cbranch_execz .LBB57_103
; %bb.100:
	v_mov_b32_e32 v4, 0
	v_add_u32_e32 v3, -1, v0
	v_add_u32_e32 v7, 0x1d0, v2
	v_mov_b32_e32 v8, v2
	s_mov_b64 s[4:5], 0
	v_mov_b32_e32 v5, v4
.LBB57_101:                             ; =>This Inner Loop Header: Depth=1
	scratch_load_dwordx2 v[10:11], v8, off
	ds_read_b64 v[12:13], v7
	v_add_u32_e32 v3, 1, v3
	v_cmp_lt_u32_e32 vcc, 20, v3
	v_add_u32_e32 v7, 8, v7
	v_add_u32_e32 v8, 8, v8
	s_or_b64 s[4:5], vcc, s[4:5]
	s_waitcnt vmcnt(0) lgkmcnt(0)
	v_pk_mul_f32 v[14:15], v[12:13], v[10:11] op_sel:[1,1] op_sel_hi:[0,1]
	v_pk_fma_f32 v[16:17], v[12:13], v[10:11], v[14:15] neg_lo:[0,0,1] neg_hi:[0,0,1]
	v_pk_fma_f32 v[10:11], v[12:13], v[10:11], v[14:15] op_sel_hi:[1,0,1]
	s_nop 0
	v_mov_b32_e32 v17, v11
	v_pk_add_f32 v[4:5], v[4:5], v[16:17]
	s_andn2_b64 exec, exec, s[4:5]
	s_cbranch_execnz .LBB57_101
; %bb.102:
	s_or_b64 exec, exec, s[4:5]
	v_mov_b32_e32 v3, 0
	ds_read_b64 v[8:9], v3 offset:176
	s_waitcnt lgkmcnt(0)
	v_pk_mul_f32 v[10:11], v[4:5], v[8:9] op_sel:[1,1] op_sel_hi:[0,1]
	v_pk_fma_f32 v[12:13], v[4:5], v[8:9], v[10:11] neg_lo:[0,0,1] neg_hi:[0,0,1]
	v_pk_fma_f32 v[4:5], v[4:5], v[8:9], v[10:11] op_sel_hi:[1,0,1]
	s_nop 0
	v_mov_b32_e32 v13, v5
	scratch_store_dwordx2 off, v[12:13], off offset:176
.LBB57_103:
	s_or_b64 exec, exec, s[0:1]
	; wave barrier
	scratch_load_dwordx2 v[4:5], off, off offset:184
	v_cmp_gt_u32_e32 vcc, 23, v0
	s_waitcnt vmcnt(0)
	ds_write_b64 v1, v[4:5]
	s_waitcnt lgkmcnt(0)
	; wave barrier
	s_and_saveexec_b64 s[0:1], vcc
	s_cbranch_execz .LBB57_107
; %bb.104:
	v_mov_b32_e32 v4, 0
	v_add_u32_e32 v3, -1, v0
	v_add_u32_e32 v7, 0x1d0, v2
	v_mov_b32_e32 v8, v2
	s_mov_b64 s[4:5], 0
	v_mov_b32_e32 v5, v4
.LBB57_105:                             ; =>This Inner Loop Header: Depth=1
	scratch_load_dwordx2 v[10:11], v8, off
	ds_read_b64 v[12:13], v7
	v_add_u32_e32 v3, 1, v3
	v_cmp_lt_u32_e32 vcc, 21, v3
	v_add_u32_e32 v7, 8, v7
	v_add_u32_e32 v8, 8, v8
	s_or_b64 s[4:5], vcc, s[4:5]
	s_waitcnt vmcnt(0) lgkmcnt(0)
	v_pk_mul_f32 v[14:15], v[12:13], v[10:11] op_sel:[1,1] op_sel_hi:[0,1]
	v_pk_fma_f32 v[16:17], v[12:13], v[10:11], v[14:15] neg_lo:[0,0,1] neg_hi:[0,0,1]
	v_pk_fma_f32 v[10:11], v[12:13], v[10:11], v[14:15] op_sel_hi:[1,0,1]
	s_nop 0
	v_mov_b32_e32 v17, v11
	v_pk_add_f32 v[4:5], v[4:5], v[16:17]
	s_andn2_b64 exec, exec, s[4:5]
	s_cbranch_execnz .LBB57_105
; %bb.106:
	s_or_b64 exec, exec, s[4:5]
	v_mov_b32_e32 v3, 0
	ds_read_b64 v[8:9], v3 offset:184
	s_waitcnt lgkmcnt(0)
	v_pk_mul_f32 v[10:11], v[4:5], v[8:9] op_sel:[1,1] op_sel_hi:[0,1]
	v_pk_fma_f32 v[12:13], v[4:5], v[8:9], v[10:11] neg_lo:[0,0,1] neg_hi:[0,0,1]
	v_pk_fma_f32 v[4:5], v[4:5], v[8:9], v[10:11] op_sel_hi:[1,0,1]
	s_nop 0
	v_mov_b32_e32 v13, v5
	scratch_store_dwordx2 off, v[12:13], off offset:184
.LBB57_107:
	s_or_b64 exec, exec, s[0:1]
	; wave barrier
	scratch_load_dwordx2 v[4:5], off, off offset:192
	v_cmp_gt_u32_e32 vcc, 24, v0
	;; [unrolled: 46-line block ×34, first 2 shown]
	s_waitcnt vmcnt(0)
	ds_write_b64 v1, v[4:5]
	s_waitcnt lgkmcnt(0)
	; wave barrier
	s_and_saveexec_b64 s[0:1], vcc
	s_cbranch_execz .LBB57_239
; %bb.236:
	v_mov_b32_e32 v4, 0
	v_add_u32_e32 v3, -1, v0
	v_add_u32_e32 v7, 0x1d0, v2
	v_mov_b32_e32 v8, v2
	s_mov_b64 s[4:5], 0
	v_mov_b32_e32 v5, v4
.LBB57_237:                             ; =>This Inner Loop Header: Depth=1
	scratch_load_dwordx2 v[10:11], v8, off
	ds_read_b64 v[12:13], v7
	v_add_u32_e32 v3, 1, v3
	v_cmp_lt_u32_e32 vcc, 54, v3
	v_add_u32_e32 v7, 8, v7
	v_add_u32_e32 v8, 8, v8
	s_or_b64 s[4:5], vcc, s[4:5]
	s_waitcnt vmcnt(0) lgkmcnt(0)
	v_pk_mul_f32 v[14:15], v[12:13], v[10:11] op_sel:[1,1] op_sel_hi:[0,1]
	v_pk_fma_f32 v[16:17], v[12:13], v[10:11], v[14:15] neg_lo:[0,0,1] neg_hi:[0,0,1]
	v_pk_fma_f32 v[10:11], v[12:13], v[10:11], v[14:15] op_sel_hi:[1,0,1]
	s_nop 0
	v_mov_b32_e32 v17, v11
	v_pk_add_f32 v[4:5], v[4:5], v[16:17]
	s_andn2_b64 exec, exec, s[4:5]
	s_cbranch_execnz .LBB57_237
; %bb.238:
	s_or_b64 exec, exec, s[4:5]
	v_mov_b32_e32 v3, 0
	ds_read_b64 v[8:9], v3 offset:448
	s_waitcnt lgkmcnt(0)
	v_pk_mul_f32 v[10:11], v[4:5], v[8:9] op_sel:[1,1] op_sel_hi:[0,1]
	v_pk_fma_f32 v[12:13], v[4:5], v[8:9], v[10:11] neg_lo:[0,0,1] neg_hi:[0,0,1]
	v_pk_fma_f32 v[4:5], v[4:5], v[8:9], v[10:11] op_sel_hi:[1,0,1]
	s_nop 0
	v_mov_b32_e32 v13, v5
	scratch_store_dwordx2 off, v[12:13], off offset:448
.LBB57_239:
	s_or_b64 exec, exec, s[0:1]
	; wave barrier
	scratch_load_dwordx2 v[4:5], off, off offset:456
	v_cmp_ne_u32_e32 vcc, 57, v0
	s_waitcnt vmcnt(0)
	ds_write_b64 v1, v[4:5]
	s_waitcnt lgkmcnt(0)
	; wave barrier
	s_and_saveexec_b64 s[0:1], vcc
	s_cbranch_execz .LBB57_243
; %bb.240:
	v_add_u32_e32 v1, 0x1d0, v2
	v_mov_b32_e32 v4, v2
	v_mov_b32_e32 v2, 0
	s_mov_b64 s[4:5], 0
	v_mov_b32_e32 v3, v2
.LBB57_241:                             ; =>This Inner Loop Header: Depth=1
	scratch_load_dwordx2 v[8:9], v4, off
	ds_read_b64 v[10:11], v1
	v_add_u32_e32 v6, 1, v6
	v_cmp_lt_u32_e32 vcc, 55, v6
	v_add_u32_e32 v1, 8, v1
	v_add_u32_e32 v4, 8, v4
	s_or_b64 s[4:5], vcc, s[4:5]
	s_waitcnt vmcnt(0) lgkmcnt(0)
	v_pk_mul_f32 v[12:13], v[10:11], v[8:9] op_sel:[1,1] op_sel_hi:[0,1]
	v_pk_fma_f32 v[14:15], v[10:11], v[8:9], v[12:13] neg_lo:[0,0,1] neg_hi:[0,0,1]
	v_pk_fma_f32 v[8:9], v[10:11], v[8:9], v[12:13] op_sel_hi:[1,0,1]
	s_nop 0
	v_mov_b32_e32 v15, v9
	v_pk_add_f32 v[2:3], v[2:3], v[14:15]
	s_andn2_b64 exec, exec, s[4:5]
	s_cbranch_execnz .LBB57_241
; %bb.242:
	s_or_b64 exec, exec, s[4:5]
	v_mov_b32_e32 v1, 0
	ds_read_b64 v[4:5], v1 offset:456
	s_waitcnt lgkmcnt(0)
	v_pk_mul_f32 v[6:7], v[2:3], v[4:5] op_sel:[1,1] op_sel_hi:[0,1]
	v_pk_fma_f32 v[8:9], v[2:3], v[4:5], v[6:7] neg_lo:[0,0,1] neg_hi:[0,0,1]
	v_pk_fma_f32 v[2:3], v[2:3], v[4:5], v[6:7] op_sel_hi:[1,0,1]
	s_nop 0
	v_mov_b32_e32 v9, v3
	scratch_store_dwordx2 off, v[8:9], off offset:456
.LBB57_243:
	s_or_b64 exec, exec, s[0:1]
	s_mov_b64 s[4:5], -1
	; wave barrier
.LBB57_244:
	s_and_b64 vcc, exec, s[4:5]
	s_cbranch_vccz .LBB57_246
; %bb.245:
	s_lshl_b64 s[0:1], s[2:3], 2
	s_add_u32 s0, s6, s0
	s_addc_u32 s1, s7, s1
	v_mov_b32_e32 v1, 0
	global_load_dword v1, v1, s[0:1]
	s_waitcnt vmcnt(0)
	v_cmp_ne_u32_e32 vcc, 0, v1
	s_cbranch_vccz .LBB57_247
.LBB57_246:
	s_endpgm
.LBB57_247:
	v_mov_b32_e32 v1, 0x1d0
	v_lshl_add_u32 v1, v0, 3, v1
	v_cmp_eq_u32_e32 vcc, 57, v0
	s_and_saveexec_b64 s[0:1], vcc
	s_cbranch_execz .LBB57_249
; %bb.248:
	scratch_load_dwordx2 v[2:3], off, off offset:448
	v_mov_b32_e32 v4, 0
	v_mov_b32_e32 v5, v4
	scratch_store_dwordx2 off, v[4:5], off offset:448
	s_waitcnt vmcnt(1)
	ds_write_b64 v1, v[2:3]
.LBB57_249:
	s_or_b64 exec, exec, s[0:1]
	s_waitcnt lgkmcnt(0)
	; wave barrier
	scratch_load_dwordx2 v[4:5], off, off offset:456
	scratch_load_dwordx2 v[6:7], off, off offset:448
	v_mov_b32_e32 v2, 0
	ds_read_b64 v[8:9], v2 offset:920
	v_cmp_lt_u32_e32 vcc, 55, v0
	s_waitcnt vmcnt(1) lgkmcnt(0)
	v_pk_mul_f32 v[10:11], v[8:9], v[4:5] op_sel:[1,1] op_sel_hi:[0,1]
	v_pk_fma_f32 v[12:13], v[8:9], v[4:5], v[10:11] neg_lo:[0,0,1] neg_hi:[0,0,1]
	v_pk_fma_f32 v[4:5], v[8:9], v[4:5], v[10:11] op_sel_hi:[1,0,1]
	s_nop 0
	v_mov_b32_e32 v13, v5
	v_pk_add_f32 v[4:5], v[12:13], 0 op_sel_hi:[1,0]
	s_waitcnt vmcnt(0)
	v_pk_add_f32 v[4:5], v[6:7], v[4:5] neg_lo:[0,1] neg_hi:[0,1]
	scratch_store_dwordx2 off, v[4:5], off offset:448
	s_and_saveexec_b64 s[0:1], vcc
	s_cbranch_execz .LBB57_251
; %bb.250:
	scratch_load_dwordx2 v[4:5], off, off offset:440
	v_mov_b32_e32 v3, v2
	scratch_store_dwordx2 off, v[2:3], off offset:440
	s_waitcnt vmcnt(1)
	ds_write_b64 v1, v[4:5]
.LBB57_251:
	s_or_b64 exec, exec, s[0:1]
	s_waitcnt lgkmcnt(0)
	; wave barrier
	scratch_load_dwordx4 v[4:7], off, off offset:448
	scratch_load_dwordx2 v[12:13], off, off offset:440
	ds_read_b128 v[8:11], v2 offset:912
	v_cmp_lt_u32_e32 vcc, 54, v0
	s_waitcnt vmcnt(1) lgkmcnt(0)
	v_pk_mul_f32 v[2:3], v[8:9], v[4:5] op_sel:[1,1] op_sel_hi:[0,1]
	v_mov_b32_e32 v14, v7
	v_pk_fma_f32 v[16:17], v[8:9], v[4:5], v[2:3] neg_lo:[0,0,1] neg_hi:[0,0,1]
	v_pk_fma_f32 v[2:3], v[8:9], v[4:5], v[2:3] op_sel_hi:[1,0,1]
	v_pk_mul_f32 v[4:5], v[10:11], v[14:15] op_sel:[1,0] op_sel_hi:[0,0]
	v_mov_b32_e32 v17, v3
	v_pk_fma_f32 v[2:3], v[10:11], v[6:7], v[4:5] neg_lo:[0,0,1] neg_hi:[0,0,1]
	v_pk_fma_f32 v[4:5], v[10:11], v[6:7], v[4:5] op_sel_hi:[1,0,1]
	v_pk_add_f32 v[6:7], v[16:17], 0 op_sel_hi:[1,0]
	v_mov_b32_e32 v3, v5
	v_pk_add_f32 v[2:3], v[6:7], v[2:3]
	s_waitcnt vmcnt(0)
	v_pk_add_f32 v[2:3], v[12:13], v[2:3] neg_lo:[0,1] neg_hi:[0,1]
	scratch_store_dwordx2 off, v[2:3], off offset:440
	s_and_saveexec_b64 s[0:1], vcc
	s_cbranch_execz .LBB57_253
; %bb.252:
	scratch_load_dwordx2 v[2:3], off, off offset:432
	v_mov_b32_e32 v4, 0
	v_mov_b32_e32 v5, v4
	scratch_store_dwordx2 off, v[4:5], off offset:432
	s_waitcnt vmcnt(1)
	ds_write_b64 v1, v[2:3]
.LBB57_253:
	s_or_b64 exec, exec, s[0:1]
	s_waitcnt lgkmcnt(0)
	; wave barrier
	scratch_load_dwordx4 v[4:7], off, off offset:440
	scratch_load_dwordx2 v[12:13], off, off offset:456
	scratch_load_dwordx2 v[14:15], off, off offset:432
	v_mov_b32_e32 v2, 0
	ds_read2_b64 v[8:11], v2 offset0:113 offset1:114
	ds_read_b64 v[16:17], v2 offset:920
	v_cmp_lt_u32_e32 vcc, 53, v0
	s_waitcnt vmcnt(2) lgkmcnt(1)
	v_pk_mul_f32 v[18:19], v[8:9], v[4:5] op_sel:[1,1] op_sel_hi:[0,1]
	v_mov_b32_e32 v20, v7
	v_pk_fma_f32 v[24:25], v[8:9], v[4:5], v[18:19] neg_lo:[0,0,1] neg_hi:[0,0,1]
	v_pk_fma_f32 v[4:5], v[8:9], v[4:5], v[18:19] op_sel_hi:[1,0,1]
	v_pk_mul_f32 v[8:9], v[10:11], v[20:21] op_sel:[1,0] op_sel_hi:[0,0]
	s_waitcnt vmcnt(1) lgkmcnt(0)
	v_pk_mul_f32 v[22:23], v[16:17], v[12:13] op_sel:[1,1] op_sel_hi:[0,1]
	v_mov_b32_e32 v25, v5
	v_pk_fma_f32 v[4:5], v[10:11], v[6:7], v[8:9] neg_lo:[0,0,1] neg_hi:[0,0,1]
	v_pk_fma_f32 v[6:7], v[10:11], v[6:7], v[8:9] op_sel_hi:[1,0,1]
	v_pk_fma_f32 v[18:19], v[16:17], v[12:13], v[22:23] neg_lo:[0,0,1] neg_hi:[0,0,1]
	v_pk_fma_f32 v[12:13], v[16:17], v[12:13], v[22:23] op_sel_hi:[1,0,1]
	v_pk_add_f32 v[8:9], v[24:25], 0 op_sel_hi:[1,0]
	v_mov_b32_e32 v5, v7
	v_mov_b32_e32 v19, v13
	v_pk_add_f32 v[4:5], v[8:9], v[4:5]
	s_nop 0
	v_pk_add_f32 v[4:5], v[4:5], v[18:19]
	s_waitcnt vmcnt(0)
	v_pk_add_f32 v[4:5], v[14:15], v[4:5] neg_lo:[0,1] neg_hi:[0,1]
	scratch_store_dwordx2 off, v[4:5], off offset:432
	s_and_saveexec_b64 s[0:1], vcc
	s_cbranch_execz .LBB57_255
; %bb.254:
	scratch_load_dwordx2 v[4:5], off, off offset:424
	v_mov_b32_e32 v3, v2
	scratch_store_dwordx2 off, v[2:3], off offset:424
	s_waitcnt vmcnt(1)
	ds_write_b64 v1, v[4:5]
.LBB57_255:
	s_or_b64 exec, exec, s[0:1]
	s_waitcnt lgkmcnt(0)
	; wave barrier
	scratch_load_dwordx4 v[4:7], off, off offset:432
	scratch_load_dwordx4 v[8:11], off, off offset:448
	scratch_load_dwordx2 v[20:21], off, off offset:424
	ds_read_b128 v[12:15], v2 offset:896
	ds_read_b128 v[16:19], v2 offset:912
	v_cmp_lt_u32_e32 vcc, 52, v0
	s_waitcnt vmcnt(2) lgkmcnt(1)
	v_pk_mul_f32 v[2:3], v[12:13], v[4:5] op_sel:[1,1] op_sel_hi:[0,1]
	v_mov_b32_e32 v22, v7
	s_waitcnt vmcnt(1) lgkmcnt(0)
	v_pk_mul_f32 v[24:25], v[16:17], v[8:9] op_sel:[1,1] op_sel_hi:[0,1]
	v_mov_b32_e32 v26, v11
	v_pk_fma_f32 v[28:29], v[12:13], v[4:5], v[2:3] neg_lo:[0,0,1] neg_hi:[0,0,1]
	v_pk_fma_f32 v[2:3], v[12:13], v[4:5], v[2:3] op_sel_hi:[1,0,1]
	v_pk_mul_f32 v[4:5], v[14:15], v[22:23] op_sel:[1,0] op_sel_hi:[0,0]
	v_pk_fma_f32 v[12:13], v[16:17], v[8:9], v[24:25] neg_lo:[0,0,1] neg_hi:[0,0,1]
	v_pk_fma_f32 v[8:9], v[16:17], v[8:9], v[24:25] op_sel_hi:[1,0,1]
	v_pk_mul_f32 v[16:17], v[18:19], v[26:27] op_sel:[1,0] op_sel_hi:[0,0]
	v_mov_b32_e32 v29, v3
	v_pk_fma_f32 v[2:3], v[14:15], v[6:7], v[4:5] neg_lo:[0,0,1] neg_hi:[0,0,1]
	v_pk_fma_f32 v[4:5], v[14:15], v[6:7], v[4:5] op_sel_hi:[1,0,1]
	v_mov_b32_e32 v13, v9
	v_pk_fma_f32 v[6:7], v[18:19], v[10:11], v[16:17] neg_lo:[0,0,1] neg_hi:[0,0,1]
	v_pk_fma_f32 v[8:9], v[18:19], v[10:11], v[16:17] op_sel_hi:[1,0,1]
	v_pk_add_f32 v[10:11], v[28:29], 0 op_sel_hi:[1,0]
	v_mov_b32_e32 v3, v5
	v_pk_add_f32 v[2:3], v[10:11], v[2:3]
	v_mov_b32_e32 v7, v9
	v_pk_add_f32 v[2:3], v[2:3], v[12:13]
	s_nop 0
	v_pk_add_f32 v[2:3], v[2:3], v[6:7]
	s_waitcnt vmcnt(0)
	v_pk_add_f32 v[2:3], v[20:21], v[2:3] neg_lo:[0,1] neg_hi:[0,1]
	scratch_store_dwordx2 off, v[2:3], off offset:424
	s_and_saveexec_b64 s[0:1], vcc
	s_cbranch_execz .LBB57_257
; %bb.256:
	scratch_load_dwordx2 v[2:3], off, off offset:416
	v_mov_b32_e32 v4, 0
	v_mov_b32_e32 v5, v4
	scratch_store_dwordx2 off, v[4:5], off offset:416
	s_waitcnt vmcnt(1)
	ds_write_b64 v1, v[2:3]
.LBB57_257:
	s_or_b64 exec, exec, s[0:1]
	s_waitcnt lgkmcnt(0)
	; wave barrier
	scratch_load_dwordx4 v[4:7], off, off offset:424
	scratch_load_dwordx4 v[8:11], off, off offset:440
	scratch_load_dwordx2 v[20:21], off, off offset:456
	scratch_load_dwordx2 v[22:23], off, off offset:416
	v_mov_b32_e32 v2, 0
	ds_read2_b64 v[12:15], v2 offset0:111 offset1:112
	ds_read2_b64 v[16:19], v2 offset0:113 offset1:114
	ds_read_b64 v[24:25], v2 offset:920
	v_cmp_lt_u32_e32 vcc, 51, v0
	s_waitcnt vmcnt(3) lgkmcnt(2)
	v_pk_mul_f32 v[26:27], v[12:13], v[4:5] op_sel:[1,1] op_sel_hi:[0,1]
	v_mov_b32_e32 v28, v7
	v_pk_fma_f32 v[36:37], v[12:13], v[4:5], v[26:27] neg_lo:[0,0,1] neg_hi:[0,0,1]
	v_pk_fma_f32 v[4:5], v[12:13], v[4:5], v[26:27] op_sel_hi:[1,0,1]
	v_pk_mul_f32 v[12:13], v[14:15], v[28:29] op_sel:[1,0] op_sel_hi:[0,0]
	s_waitcnt vmcnt(2) lgkmcnt(1)
	v_pk_mul_f32 v[30:31], v[16:17], v[8:9] op_sel:[1,1] op_sel_hi:[0,1]
	v_mov_b32_e32 v32, v11
	v_mov_b32_e32 v37, v5
	v_pk_fma_f32 v[4:5], v[14:15], v[6:7], v[12:13] neg_lo:[0,0,1] neg_hi:[0,0,1]
	v_pk_fma_f32 v[6:7], v[14:15], v[6:7], v[12:13] op_sel_hi:[1,0,1]
	v_pk_fma_f32 v[26:27], v[16:17], v[8:9], v[30:31] neg_lo:[0,0,1] neg_hi:[0,0,1]
	v_pk_fma_f32 v[8:9], v[16:17], v[8:9], v[30:31] op_sel_hi:[1,0,1]
	v_pk_mul_f32 v[16:17], v[18:19], v[32:33] op_sel:[1,0] op_sel_hi:[0,0]
	v_pk_add_f32 v[12:13], v[36:37], 0 op_sel_hi:[1,0]
	v_mov_b32_e32 v5, v7
	s_waitcnt vmcnt(1) lgkmcnt(0)
	v_pk_mul_f32 v[34:35], v[24:25], v[20:21] op_sel:[1,1] op_sel_hi:[0,1]
	v_mov_b32_e32 v27, v9
	v_pk_fma_f32 v[8:9], v[18:19], v[10:11], v[16:17] neg_lo:[0,0,1] neg_hi:[0,0,1]
	v_pk_fma_f32 v[10:11], v[18:19], v[10:11], v[16:17] op_sel_hi:[1,0,1]
	v_pk_add_f32 v[4:5], v[12:13], v[4:5]
	v_pk_fma_f32 v[28:29], v[24:25], v[20:21], v[34:35] neg_lo:[0,0,1] neg_hi:[0,0,1]
	v_pk_fma_f32 v[20:21], v[24:25], v[20:21], v[34:35] op_sel_hi:[1,0,1]
	v_mov_b32_e32 v9, v11
	v_pk_add_f32 v[4:5], v[4:5], v[26:27]
	v_mov_b32_e32 v29, v21
	v_pk_add_f32 v[4:5], v[4:5], v[8:9]
	s_nop 0
	v_pk_add_f32 v[4:5], v[4:5], v[28:29]
	s_waitcnt vmcnt(0)
	v_pk_add_f32 v[4:5], v[22:23], v[4:5] neg_lo:[0,1] neg_hi:[0,1]
	scratch_store_dwordx2 off, v[4:5], off offset:416
	s_and_saveexec_b64 s[0:1], vcc
	s_cbranch_execz .LBB57_259
; %bb.258:
	scratch_load_dwordx2 v[4:5], off, off offset:408
	v_mov_b32_e32 v3, v2
	scratch_store_dwordx2 off, v[2:3], off offset:408
	s_waitcnt vmcnt(1)
	ds_write_b64 v1, v[4:5]
.LBB57_259:
	s_or_b64 exec, exec, s[0:1]
	s_waitcnt lgkmcnt(0)
	; wave barrier
	scratch_load_dwordx4 v[4:7], off, off offset:416
	scratch_load_dwordx4 v[8:11], off, off offset:432
	;; [unrolled: 1-line block ×3, first 2 shown]
	scratch_load_dwordx2 v[28:29], off, off offset:408
	ds_read_b128 v[16:19], v2 offset:880
	ds_read_b128 v[20:23], v2 offset:896
	;; [unrolled: 1-line block ×3, first 2 shown]
	v_cmp_lt_u32_e32 vcc, 50, v0
	s_waitcnt vmcnt(3) lgkmcnt(2)
	v_pk_mul_f32 v[2:3], v[16:17], v[4:5] op_sel:[1,1] op_sel_hi:[0,1]
	v_mov_b32_e32 v30, v7
	s_waitcnt vmcnt(2) lgkmcnt(1)
	v_pk_mul_f32 v[32:33], v[20:21], v[8:9] op_sel:[1,1] op_sel_hi:[0,1]
	v_mov_b32_e32 v34, v11
	;; [unrolled: 3-line block ×3, first 2 shown]
	v_pk_fma_f32 v[40:41], v[16:17], v[4:5], v[2:3] neg_lo:[0,0,1] neg_hi:[0,0,1]
	v_pk_fma_f32 v[2:3], v[16:17], v[4:5], v[2:3] op_sel_hi:[1,0,1]
	v_pk_mul_f32 v[4:5], v[18:19], v[30:31] op_sel:[1,0] op_sel_hi:[0,0]
	v_pk_fma_f32 v[16:17], v[20:21], v[8:9], v[32:33] neg_lo:[0,0,1] neg_hi:[0,0,1]
	v_pk_fma_f32 v[8:9], v[20:21], v[8:9], v[32:33] op_sel_hi:[1,0,1]
	v_pk_mul_f32 v[20:21], v[22:23], v[34:35] op_sel:[1,0] op_sel_hi:[0,0]
	;; [unrolled: 3-line block ×3, first 2 shown]
	v_mov_b32_e32 v41, v3
	v_pk_fma_f32 v[2:3], v[18:19], v[6:7], v[4:5] neg_lo:[0,0,1] neg_hi:[0,0,1]
	v_pk_fma_f32 v[4:5], v[18:19], v[6:7], v[4:5] op_sel_hi:[1,0,1]
	v_mov_b32_e32 v17, v9
	v_pk_fma_f32 v[6:7], v[22:23], v[10:11], v[20:21] neg_lo:[0,0,1] neg_hi:[0,0,1]
	v_pk_fma_f32 v[8:9], v[22:23], v[10:11], v[20:21] op_sel_hi:[1,0,1]
	;; [unrolled: 3-line block ×3, first 2 shown]
	v_pk_add_f32 v[14:15], v[40:41], 0 op_sel_hi:[1,0]
	v_mov_b32_e32 v3, v5
	v_pk_add_f32 v[2:3], v[14:15], v[2:3]
	v_mov_b32_e32 v7, v9
	v_pk_add_f32 v[2:3], v[2:3], v[16:17]
	;; [unrolled: 2-line block ×3, first 2 shown]
	s_nop 0
	v_pk_add_f32 v[2:3], v[2:3], v[30:31]
	s_nop 0
	v_pk_add_f32 v[2:3], v[2:3], v[10:11]
	s_waitcnt vmcnt(0)
	v_pk_add_f32 v[2:3], v[28:29], v[2:3] neg_lo:[0,1] neg_hi:[0,1]
	scratch_store_dwordx2 off, v[2:3], off offset:408
	s_and_saveexec_b64 s[0:1], vcc
	s_cbranch_execz .LBB57_261
; %bb.260:
	scratch_load_dwordx2 v[2:3], off, off offset:400
	v_mov_b32_e32 v4, 0
	v_mov_b32_e32 v5, v4
	scratch_store_dwordx2 off, v[4:5], off offset:400
	s_waitcnt vmcnt(1)
	ds_write_b64 v1, v[2:3]
.LBB57_261:
	s_or_b64 exec, exec, s[0:1]
	s_waitcnt lgkmcnt(0)
	; wave barrier
	scratch_load_dwordx4 v[4:7], off, off offset:408
	scratch_load_dwordx4 v[8:11], off, off offset:424
	;; [unrolled: 1-line block ×3, first 2 shown]
	scratch_load_dwordx2 v[28:29], off, off offset:456
	scratch_load_dwordx2 v[30:31], off, off offset:400
	v_mov_b32_e32 v2, 0
	ds_read2_b64 v[16:19], v2 offset0:109 offset1:110
	ds_read2_b64 v[20:23], v2 offset0:111 offset1:112
	;; [unrolled: 1-line block ×3, first 2 shown]
	ds_read_b64 v[32:33], v2 offset:920
	v_cmp_lt_u32_e32 vcc, 49, v0
	s_waitcnt vmcnt(4) lgkmcnt(3)
	v_pk_mul_f32 v[34:35], v[16:17], v[4:5] op_sel:[1,1] op_sel_hi:[0,1]
	v_mov_b32_e32 v36, v7
	v_pk_fma_f32 v[48:49], v[16:17], v[4:5], v[34:35] neg_lo:[0,0,1] neg_hi:[0,0,1]
	v_pk_fma_f32 v[4:5], v[16:17], v[4:5], v[34:35] op_sel_hi:[1,0,1]
	v_pk_mul_f32 v[16:17], v[18:19], v[36:37] op_sel:[1,0] op_sel_hi:[0,0]
	s_waitcnt vmcnt(3) lgkmcnt(2)
	v_pk_mul_f32 v[38:39], v[20:21], v[8:9] op_sel:[1,1] op_sel_hi:[0,1]
	v_mov_b32_e32 v40, v11
	v_mov_b32_e32 v49, v5
	v_pk_fma_f32 v[4:5], v[18:19], v[6:7], v[16:17] neg_lo:[0,0,1] neg_hi:[0,0,1]
	v_pk_fma_f32 v[6:7], v[18:19], v[6:7], v[16:17] op_sel_hi:[1,0,1]
	v_pk_fma_f32 v[34:35], v[20:21], v[8:9], v[38:39] neg_lo:[0,0,1] neg_hi:[0,0,1]
	v_pk_fma_f32 v[8:9], v[20:21], v[8:9], v[38:39] op_sel_hi:[1,0,1]
	v_pk_mul_f32 v[20:21], v[22:23], v[40:41] op_sel:[1,0] op_sel_hi:[0,0]
	v_pk_add_f32 v[16:17], v[48:49], 0 op_sel_hi:[1,0]
	v_mov_b32_e32 v5, v7
	s_waitcnt vmcnt(2) lgkmcnt(1)
	v_pk_mul_f32 v[42:43], v[24:25], v[12:13] op_sel:[1,1] op_sel_hi:[0,1]
	v_mov_b32_e32 v44, v15
	v_mov_b32_e32 v35, v9
	v_pk_fma_f32 v[8:9], v[22:23], v[10:11], v[20:21] neg_lo:[0,0,1] neg_hi:[0,0,1]
	v_pk_fma_f32 v[10:11], v[22:23], v[10:11], v[20:21] op_sel_hi:[1,0,1]
	v_pk_add_f32 v[4:5], v[16:17], v[4:5]
	v_pk_fma_f32 v[36:37], v[24:25], v[12:13], v[42:43] neg_lo:[0,0,1] neg_hi:[0,0,1]
	v_pk_fma_f32 v[12:13], v[24:25], v[12:13], v[42:43] op_sel_hi:[1,0,1]
	v_pk_mul_f32 v[24:25], v[26:27], v[44:45] op_sel:[1,0] op_sel_hi:[0,0]
	v_mov_b32_e32 v9, v11
	v_pk_add_f32 v[4:5], v[4:5], v[34:35]
	s_waitcnt vmcnt(1) lgkmcnt(0)
	v_pk_mul_f32 v[46:47], v[32:33], v[28:29] op_sel:[1,1] op_sel_hi:[0,1]
	v_mov_b32_e32 v37, v13
	v_pk_fma_f32 v[12:13], v[26:27], v[14:15], v[24:25] neg_lo:[0,0,1] neg_hi:[0,0,1]
	v_pk_fma_f32 v[14:15], v[26:27], v[14:15], v[24:25] op_sel_hi:[1,0,1]
	v_pk_add_f32 v[4:5], v[4:5], v[8:9]
	v_pk_fma_f32 v[38:39], v[32:33], v[28:29], v[46:47] neg_lo:[0,0,1] neg_hi:[0,0,1]
	v_pk_fma_f32 v[28:29], v[32:33], v[28:29], v[46:47] op_sel_hi:[1,0,1]
	v_mov_b32_e32 v13, v15
	v_pk_add_f32 v[4:5], v[4:5], v[36:37]
	v_mov_b32_e32 v39, v29
	v_pk_add_f32 v[4:5], v[4:5], v[12:13]
	s_nop 0
	v_pk_add_f32 v[4:5], v[4:5], v[38:39]
	s_waitcnt vmcnt(0)
	v_pk_add_f32 v[4:5], v[30:31], v[4:5] neg_lo:[0,1] neg_hi:[0,1]
	scratch_store_dwordx2 off, v[4:5], off offset:400
	s_and_saveexec_b64 s[0:1], vcc
	s_cbranch_execz .LBB57_263
; %bb.262:
	scratch_load_dwordx2 v[4:5], off, off offset:392
	v_mov_b32_e32 v3, v2
	scratch_store_dwordx2 off, v[2:3], off offset:392
	s_waitcnt vmcnt(1)
	ds_write_b64 v1, v[4:5]
.LBB57_263:
	s_or_b64 exec, exec, s[0:1]
	s_waitcnt lgkmcnt(0)
	; wave barrier
	scratch_load_dwordx4 v[4:7], off, off offset:400
	scratch_load_dwordx4 v[8:11], off, off offset:416
	;; [unrolled: 1-line block ×4, first 2 shown]
	scratch_load_dwordx2 v[36:37], off, off offset:392
	ds_read_b128 v[20:23], v2 offset:864
	ds_read_b128 v[24:27], v2 offset:880
	;; [unrolled: 1-line block ×4, first 2 shown]
	v_cmp_lt_u32_e32 vcc, 48, v0
	s_waitcnt vmcnt(4) lgkmcnt(3)
	v_pk_mul_f32 v[2:3], v[20:21], v[4:5] op_sel:[1,1] op_sel_hi:[0,1]
	v_mov_b32_e32 v38, v7
	s_waitcnt vmcnt(3) lgkmcnt(2)
	v_pk_mul_f32 v[40:41], v[24:25], v[8:9] op_sel:[1,1] op_sel_hi:[0,1]
	v_mov_b32_e32 v42, v11
	;; [unrolled: 3-line block ×4, first 2 shown]
	v_pk_fma_f32 v[52:53], v[20:21], v[4:5], v[2:3] neg_lo:[0,0,1] neg_hi:[0,0,1]
	v_pk_fma_f32 v[2:3], v[20:21], v[4:5], v[2:3] op_sel_hi:[1,0,1]
	v_pk_mul_f32 v[4:5], v[22:23], v[38:39] op_sel:[1,0] op_sel_hi:[0,0]
	v_pk_fma_f32 v[20:21], v[24:25], v[8:9], v[40:41] neg_lo:[0,0,1] neg_hi:[0,0,1]
	v_pk_fma_f32 v[8:9], v[24:25], v[8:9], v[40:41] op_sel_hi:[1,0,1]
	v_pk_mul_f32 v[24:25], v[26:27], v[42:43] op_sel:[1,0] op_sel_hi:[0,0]
	;; [unrolled: 3-line block ×4, first 2 shown]
	v_mov_b32_e32 v53, v3
	v_pk_fma_f32 v[2:3], v[22:23], v[6:7], v[4:5] neg_lo:[0,0,1] neg_hi:[0,0,1]
	v_pk_fma_f32 v[4:5], v[22:23], v[6:7], v[4:5] op_sel_hi:[1,0,1]
	v_mov_b32_e32 v21, v9
	v_pk_fma_f32 v[6:7], v[26:27], v[10:11], v[24:25] neg_lo:[0,0,1] neg_hi:[0,0,1]
	v_pk_fma_f32 v[8:9], v[26:27], v[10:11], v[24:25] op_sel_hi:[1,0,1]
	;; [unrolled: 3-line block ×4, first 2 shown]
	v_pk_add_f32 v[18:19], v[52:53], 0 op_sel_hi:[1,0]
	v_mov_b32_e32 v3, v5
	v_pk_add_f32 v[2:3], v[18:19], v[2:3]
	v_mov_b32_e32 v7, v9
	v_pk_add_f32 v[2:3], v[2:3], v[20:21]
	v_mov_b32_e32 v11, v13
	v_pk_add_f32 v[2:3], v[2:3], v[6:7]
	v_mov_b32_e32 v15, v17
	v_pk_add_f32 v[2:3], v[2:3], v[38:39]
	s_nop 0
	v_pk_add_f32 v[2:3], v[2:3], v[10:11]
	s_nop 0
	v_pk_add_f32 v[2:3], v[2:3], v[40:41]
	;; [unrolled: 2-line block ×3, first 2 shown]
	s_waitcnt vmcnt(0)
	v_pk_add_f32 v[2:3], v[36:37], v[2:3] neg_lo:[0,1] neg_hi:[0,1]
	scratch_store_dwordx2 off, v[2:3], off offset:392
	s_and_saveexec_b64 s[0:1], vcc
	s_cbranch_execz .LBB57_265
; %bb.264:
	scratch_load_dwordx2 v[2:3], off, off offset:384
	v_mov_b32_e32 v4, 0
	v_mov_b32_e32 v5, v4
	scratch_store_dwordx2 off, v[4:5], off offset:384
	s_waitcnt vmcnt(1)
	ds_write_b64 v1, v[2:3]
.LBB57_265:
	s_or_b64 exec, exec, s[0:1]
	s_waitcnt lgkmcnt(0)
	; wave barrier
	scratch_load_dwordx4 v[8:11], off, off offset:392
	v_mov_b32_e32 v2, 0
	ds_read2_b64 v[4:7], v2 offset0:107 offset1:108
	scratch_load_dwordx4 v[12:15], off, off offset:408
	scratch_load_dwordx4 v[16:19], off, off offset:424
	;; [unrolled: 1-line block ×3, first 2 shown]
	scratch_load_dwordx2 v[38:39], off, off offset:456
	v_cmp_lt_u32_e32 vcc, 47, v0
	s_waitcnt vmcnt(4) lgkmcnt(0)
	v_mul_f32_e32 v37, v4, v9
	v_mul_f32_e32 v3, v5, v9
	v_fmac_f32_e32 v37, v5, v8
	v_fma_f32 v36, v4, v8, -v3
	v_pk_add_f32 v[8:9], v[36:37], 0 op_sel_hi:[1,0]
	v_mov_b32_e32 v36, v11
	v_pk_mul_f32 v[36:37], v[6:7], v[36:37] op_sel:[1,0] op_sel_hi:[0,0]
	ds_read2_b64 v[24:27], v2 offset0:109 offset1:110
	ds_read2_b64 v[28:31], v2 offset0:111 offset1:112
	;; [unrolled: 1-line block ×3, first 2 shown]
	ds_read_b64 v[4:5], v2 offset:920
	v_pk_fma_f32 v[40:41], v[6:7], v[10:11], v[36:37] neg_lo:[0,0,1] neg_hi:[0,0,1]
	v_pk_fma_f32 v[6:7], v[6:7], v[10:11], v[36:37] op_sel_hi:[1,0,1]
	s_nop 0
	v_mov_b32_e32 v41, v7
	v_pk_add_f32 v[6:7], v[8:9], v[40:41]
	s_waitcnt vmcnt(3) lgkmcnt(3)
	v_pk_mul_f32 v[8:9], v[24:25], v[12:13] op_sel:[1,1] op_sel_hi:[0,1]
	v_pk_fma_f32 v[10:11], v[24:25], v[12:13], v[8:9] neg_lo:[0,0,1] neg_hi:[0,0,1]
	v_pk_fma_f32 v[8:9], v[24:25], v[12:13], v[8:9] op_sel_hi:[1,0,1]
	s_nop 0
	v_mov_b32_e32 v8, v15
	v_mov_b32_e32 v11, v9
	v_pk_mul_f32 v[8:9], v[26:27], v[8:9] op_sel:[1,0] op_sel_hi:[0,0]
	v_pk_add_f32 v[6:7], v[6:7], v[10:11]
	v_pk_fma_f32 v[10:11], v[26:27], v[14:15], v[8:9] neg_lo:[0,0,1] neg_hi:[0,0,1]
	v_pk_fma_f32 v[8:9], v[26:27], v[14:15], v[8:9] op_sel_hi:[1,0,1]
	s_nop 0
	v_mov_b32_e32 v11, v9
	s_waitcnt vmcnt(2) lgkmcnt(2)
	v_pk_mul_f32 v[8:9], v[28:29], v[16:17] op_sel:[1,1] op_sel_hi:[0,1]
	v_pk_add_f32 v[6:7], v[6:7], v[10:11]
	v_pk_fma_f32 v[10:11], v[28:29], v[16:17], v[8:9] neg_lo:[0,0,1] neg_hi:[0,0,1]
	v_pk_fma_f32 v[8:9], v[28:29], v[16:17], v[8:9] op_sel_hi:[1,0,1]
	s_nop 0
	v_mov_b32_e32 v8, v19
	v_mov_b32_e32 v11, v9
	v_pk_mul_f32 v[8:9], v[30:31], v[8:9] op_sel:[1,0] op_sel_hi:[0,0]
	v_pk_add_f32 v[6:7], v[6:7], v[10:11]
	v_pk_fma_f32 v[10:11], v[30:31], v[18:19], v[8:9] neg_lo:[0,0,1] neg_hi:[0,0,1]
	v_pk_fma_f32 v[8:9], v[30:31], v[18:19], v[8:9] op_sel_hi:[1,0,1]
	s_nop 0
	v_mov_b32_e32 v11, v9
	s_waitcnt vmcnt(1) lgkmcnt(1)
	v_pk_mul_f32 v[8:9], v[32:33], v[20:21] op_sel:[1,1] op_sel_hi:[0,1]
	v_pk_add_f32 v[6:7], v[6:7], v[10:11]
	;; [unrolled: 14-line block ×3, first 2 shown]
	v_pk_fma_f32 v[10:11], v[4:5], v[38:39], v[8:9] neg_lo:[0,0,1] neg_hi:[0,0,1]
	v_pk_fma_f32 v[4:5], v[4:5], v[38:39], v[8:9] op_sel_hi:[1,0,1]
	s_nop 0
	v_mov_b32_e32 v11, v5
	v_pk_add_f32 v[4:5], v[6:7], v[10:11]
	scratch_load_dwordx2 v[6:7], off, off offset:384
	s_waitcnt vmcnt(0)
	v_pk_add_f32 v[4:5], v[6:7], v[4:5] neg_lo:[0,1] neg_hi:[0,1]
	scratch_store_dwordx2 off, v[4:5], off offset:384
	s_and_saveexec_b64 s[0:1], vcc
	s_cbranch_execz .LBB57_267
; %bb.266:
	scratch_load_dwordx2 v[4:5], off, off offset:376
	v_mov_b32_e32 v3, v2
	scratch_store_dwordx2 off, v[2:3], off offset:376
	s_waitcnt vmcnt(1)
	ds_write_b64 v1, v[4:5]
.LBB57_267:
	s_or_b64 exec, exec, s[0:1]
	s_waitcnt lgkmcnt(0)
	; wave barrier
	ds_read_b128 v[4:7], v2 offset:848
	ds_read_b128 v[8:11], v2 offset:864
	;; [unrolled: 1-line block ×4, first 2 shown]
	scratch_load_dwordx4 v[20:23], off, off offset:384
	scratch_load_dwordx4 v[24:27], off, off offset:400
	;; [unrolled: 1-line block ×5, first 2 shown]
	v_cmp_lt_u32_e32 vcc, 46, v0
	s_waitcnt vmcnt(4) lgkmcnt(3)
	v_mul_f32_e32 v41, v4, v21
	v_mul_f32_e32 v3, v5, v21
	v_fmac_f32_e32 v41, v5, v20
	v_mul_f32_e32 v43, v6, v23
	v_fma_f32 v40, v4, v20, -v3
	v_mul_f32_e32 v3, v7, v23
	s_waitcnt vmcnt(3) lgkmcnt(2)
	v_pk_mul_f32 v[20:21], v[8:9], v[24:25] op_sel:[1,1] op_sel_hi:[0,1]
	v_fmac_f32_e32 v43, v7, v22
	v_fma_f32 v42, v6, v22, -v3
	v_pk_fma_f32 v[22:23], v[8:9], v[24:25], v[20:21] neg_lo:[0,0,1] neg_hi:[0,0,1]
	v_pk_fma_f32 v[8:9], v[8:9], v[24:25], v[20:21] op_sel_hi:[1,0,1]
	v_pk_add_f32 v[6:7], v[40:41], 0 op_sel_hi:[1,0]
	v_mov_b32_e32 v8, v27
	v_mov_b32_e32 v23, v9
	v_pk_mul_f32 v[8:9], v[10:11], v[8:9] op_sel:[1,0] op_sel_hi:[0,0]
	v_pk_fma_f32 v[20:21], v[10:11], v[26:27], v[8:9] neg_lo:[0,0,1] neg_hi:[0,0,1]
	v_pk_fma_f32 v[8:9], v[10:11], v[26:27], v[8:9] op_sel_hi:[1,0,1]
	v_pk_add_f32 v[6:7], v[6:7], v[42:43]
	v_mov_b32_e32 v21, v9
	s_waitcnt vmcnt(2) lgkmcnt(1)
	v_pk_mul_f32 v[8:9], v[12:13], v[28:29] op_sel:[1,1] op_sel_hi:[0,1]
	v_pk_fma_f32 v[10:11], v[12:13], v[28:29], v[8:9] neg_lo:[0,0,1] neg_hi:[0,0,1]
	v_pk_fma_f32 v[8:9], v[12:13], v[28:29], v[8:9] op_sel_hi:[1,0,1]
	v_pk_add_f32 v[6:7], v[6:7], v[22:23]
	v_mov_b32_e32 v8, v31
	v_pk_add_f32 v[6:7], v[6:7], v[20:21]
	v_mov_b32_e32 v11, v9
	v_pk_mul_f32 v[8:9], v[14:15], v[8:9] op_sel:[1,0] op_sel_hi:[0,0]
	v_pk_add_f32 v[6:7], v[6:7], v[10:11]
	v_pk_fma_f32 v[10:11], v[14:15], v[30:31], v[8:9] neg_lo:[0,0,1] neg_hi:[0,0,1]
	v_pk_fma_f32 v[8:9], v[14:15], v[30:31], v[8:9] op_sel_hi:[1,0,1]
	ds_read_b128 v[2:5], v2 offset:912
	v_mov_b32_e32 v11, v9
	s_waitcnt vmcnt(1) lgkmcnt(1)
	v_pk_mul_f32 v[8:9], v[16:17], v[32:33] op_sel:[1,1] op_sel_hi:[0,1]
	v_pk_add_f32 v[6:7], v[6:7], v[10:11]
	v_pk_fma_f32 v[10:11], v[16:17], v[32:33], v[8:9] neg_lo:[0,0,1] neg_hi:[0,0,1]
	v_pk_fma_f32 v[8:9], v[16:17], v[32:33], v[8:9] op_sel_hi:[1,0,1]
	s_nop 0
	v_mov_b32_e32 v8, v35
	v_mov_b32_e32 v11, v9
	v_pk_mul_f32 v[8:9], v[18:19], v[8:9] op_sel:[1,0] op_sel_hi:[0,0]
	v_pk_add_f32 v[6:7], v[6:7], v[10:11]
	v_pk_fma_f32 v[10:11], v[18:19], v[34:35], v[8:9] neg_lo:[0,0,1] neg_hi:[0,0,1]
	v_pk_fma_f32 v[8:9], v[18:19], v[34:35], v[8:9] op_sel_hi:[1,0,1]
	s_nop 0
	v_mov_b32_e32 v11, v9
	s_waitcnt vmcnt(0) lgkmcnt(0)
	v_pk_mul_f32 v[8:9], v[2:3], v[36:37] op_sel:[1,1] op_sel_hi:[0,1]
	v_pk_add_f32 v[6:7], v[6:7], v[10:11]
	v_pk_fma_f32 v[10:11], v[2:3], v[36:37], v[8:9] neg_lo:[0,0,1] neg_hi:[0,0,1]
	v_pk_fma_f32 v[2:3], v[2:3], v[36:37], v[8:9] op_sel_hi:[1,0,1]
	s_nop 0
	v_mov_b32_e32 v11, v3
	v_pk_add_f32 v[2:3], v[6:7], v[10:11]
	v_mov_b32_e32 v6, v39
	v_pk_mul_f32 v[6:7], v[4:5], v[6:7] op_sel:[1,0] op_sel_hi:[0,0]
	v_pk_fma_f32 v[8:9], v[4:5], v[38:39], v[6:7] neg_lo:[0,0,1] neg_hi:[0,0,1]
	v_pk_fma_f32 v[4:5], v[4:5], v[38:39], v[6:7] op_sel_hi:[1,0,1]
	s_nop 0
	v_mov_b32_e32 v9, v5
	scratch_load_dwordx2 v[4:5], off, off offset:376
	v_pk_add_f32 v[2:3], v[2:3], v[8:9]
	s_waitcnt vmcnt(0)
	v_pk_add_f32 v[2:3], v[4:5], v[2:3] neg_lo:[0,1] neg_hi:[0,1]
	scratch_store_dwordx2 off, v[2:3], off offset:376
	s_and_saveexec_b64 s[0:1], vcc
	s_cbranch_execz .LBB57_269
; %bb.268:
	scratch_load_dwordx2 v[2:3], off, off offset:368
	v_mov_b32_e32 v4, 0
	v_mov_b32_e32 v5, v4
	scratch_store_dwordx2 off, v[4:5], off offset:368
	s_waitcnt vmcnt(1)
	ds_write_b64 v1, v[2:3]
.LBB57_269:
	s_or_b64 exec, exec, s[0:1]
	s_waitcnt lgkmcnt(0)
	; wave barrier
	scratch_load_dwordx4 v[8:11], off, off offset:376
	scratch_load_dwordx4 v[16:19], off, off offset:392
	v_mov_b32_e32 v2, 0
	ds_read2_b64 v[4:7], v2 offset0:105 offset1:106
	ds_read2_b64 v[12:15], v2 offset0:107 offset1:108
	scratch_load_dwordx4 v[20:23], off, off offset:408
	scratch_load_dwordx4 v[24:27], off, off offset:424
	;; [unrolled: 1-line block ×3, first 2 shown]
	scratch_load_dwordx2 v[42:43], off, off offset:456
	v_cmp_lt_u32_e32 vcc, 45, v0
	s_waitcnt vmcnt(5) lgkmcnt(1)
	v_mul_f32_e32 v3, v4, v9
	v_fmac_f32_e32 v3, v5, v8
	v_add_f32_e32 v37, 0, v3
	v_mul_f32_e32 v3, v5, v9
	v_fma_f32 v3, v4, v8, -v3
	v_mul_f32_e32 v39, v6, v11
	v_add_f32_e32 v36, 0, v3
	v_mul_f32_e32 v3, v7, v11
	v_fmac_f32_e32 v39, v7, v10
	s_waitcnt vmcnt(4) lgkmcnt(0)
	v_mul_f32_e32 v41, v12, v17
	v_fma_f32 v38, v6, v10, -v3
	v_mul_f32_e32 v3, v13, v17
	v_fmac_f32_e32 v41, v13, v16
	v_fma_f32 v40, v12, v16, -v3
	v_pk_add_f32 v[16:17], v[36:37], v[38:39]
	v_mov_b32_e32 v36, v19
	v_pk_mul_f32 v[36:37], v[14:15], v[36:37] op_sel:[1,0] op_sel_hi:[0,0]
	ds_read2_b64 v[4:7], v2 offset0:109 offset1:110
	ds_read2_b64 v[8:11], v2 offset0:111 offset1:112
	ds_read2_b64 v[32:35], v2 offset0:113 offset1:114
	ds_read_b64 v[12:13], v2 offset:920
	v_pk_fma_f32 v[38:39], v[14:15], v[18:19], v[36:37] neg_lo:[0,0,1] neg_hi:[0,0,1]
	v_pk_fma_f32 v[14:15], v[14:15], v[18:19], v[36:37] op_sel_hi:[1,0,1]
	v_pk_add_f32 v[16:17], v[16:17], v[40:41]
	v_mov_b32_e32 v39, v15
	v_pk_add_f32 v[14:15], v[16:17], v[38:39]
	s_waitcnt vmcnt(3) lgkmcnt(3)
	v_pk_mul_f32 v[16:17], v[4:5], v[20:21] op_sel:[1,1] op_sel_hi:[0,1]
	v_pk_fma_f32 v[18:19], v[4:5], v[20:21], v[16:17] neg_lo:[0,0,1] neg_hi:[0,0,1]
	v_pk_fma_f32 v[4:5], v[4:5], v[20:21], v[16:17] op_sel_hi:[1,0,1]
	s_nop 0
	v_mov_b32_e32 v19, v5
	v_pk_add_f32 v[4:5], v[14:15], v[18:19]
	v_mov_b32_e32 v14, v23
	v_pk_mul_f32 v[14:15], v[6:7], v[14:15] op_sel:[1,0] op_sel_hi:[0,0]
	v_pk_fma_f32 v[16:17], v[6:7], v[22:23], v[14:15] neg_lo:[0,0,1] neg_hi:[0,0,1]
	v_pk_fma_f32 v[6:7], v[6:7], v[22:23], v[14:15] op_sel_hi:[1,0,1]
	s_nop 0
	v_mov_b32_e32 v17, v7
	s_waitcnt vmcnt(2) lgkmcnt(2)
	v_pk_mul_f32 v[6:7], v[8:9], v[24:25] op_sel:[1,1] op_sel_hi:[0,1]
	v_pk_fma_f32 v[14:15], v[8:9], v[24:25], v[6:7] neg_lo:[0,0,1] neg_hi:[0,0,1]
	v_pk_fma_f32 v[6:7], v[8:9], v[24:25], v[6:7] op_sel_hi:[1,0,1]
	v_pk_add_f32 v[4:5], v[4:5], v[16:17]
	v_mov_b32_e32 v6, v27
	v_mov_b32_e32 v15, v7
	v_pk_mul_f32 v[6:7], v[10:11], v[6:7] op_sel:[1,0] op_sel_hi:[0,0]
	v_pk_fma_f32 v[8:9], v[10:11], v[26:27], v[6:7] neg_lo:[0,0,1] neg_hi:[0,0,1]
	v_pk_fma_f32 v[6:7], v[10:11], v[26:27], v[6:7] op_sel_hi:[1,0,1]
	v_pk_add_f32 v[4:5], v[4:5], v[14:15]
	v_mov_b32_e32 v9, v7
	s_waitcnt vmcnt(1) lgkmcnt(1)
	v_pk_mul_f32 v[6:7], v[32:33], v[28:29] op_sel:[1,1] op_sel_hi:[0,1]
	v_pk_add_f32 v[4:5], v[4:5], v[8:9]
	v_pk_fma_f32 v[8:9], v[32:33], v[28:29], v[6:7] neg_lo:[0,0,1] neg_hi:[0,0,1]
	v_pk_fma_f32 v[6:7], v[32:33], v[28:29], v[6:7] op_sel_hi:[1,0,1]
	s_nop 0
	v_mov_b32_e32 v6, v31
	v_mov_b32_e32 v9, v7
	v_pk_mul_f32 v[6:7], v[34:35], v[6:7] op_sel:[1,0] op_sel_hi:[0,0]
	v_pk_add_f32 v[4:5], v[4:5], v[8:9]
	v_pk_fma_f32 v[8:9], v[34:35], v[30:31], v[6:7] neg_lo:[0,0,1] neg_hi:[0,0,1]
	v_pk_fma_f32 v[6:7], v[34:35], v[30:31], v[6:7] op_sel_hi:[1,0,1]
	s_nop 0
	v_mov_b32_e32 v9, v7
	s_waitcnt vmcnt(0) lgkmcnt(0)
	v_pk_mul_f32 v[6:7], v[12:13], v[42:43] op_sel:[1,1] op_sel_hi:[0,1]
	v_pk_add_f32 v[4:5], v[4:5], v[8:9]
	v_pk_fma_f32 v[8:9], v[12:13], v[42:43], v[6:7] neg_lo:[0,0,1] neg_hi:[0,0,1]
	v_pk_fma_f32 v[6:7], v[12:13], v[42:43], v[6:7] op_sel_hi:[1,0,1]
	s_nop 0
	v_mov_b32_e32 v9, v7
	scratch_load_dwordx2 v[6:7], off, off offset:368
	v_pk_add_f32 v[4:5], v[4:5], v[8:9]
	s_waitcnt vmcnt(0)
	v_pk_add_f32 v[4:5], v[6:7], v[4:5] neg_lo:[0,1] neg_hi:[0,1]
	scratch_store_dwordx2 off, v[4:5], off offset:368
	s_and_saveexec_b64 s[0:1], vcc
	s_cbranch_execz .LBB57_271
; %bb.270:
	scratch_load_dwordx2 v[4:5], off, off offset:360
	v_mov_b32_e32 v3, v2
	scratch_store_dwordx2 off, v[2:3], off offset:360
	s_waitcnt vmcnt(1)
	ds_write_b64 v1, v[4:5]
.LBB57_271:
	s_or_b64 exec, exec, s[0:1]
	s_waitcnt lgkmcnt(0)
	; wave barrier
	ds_read_b128 v[4:7], v2 offset:832
	ds_read_b128 v[8:11], v2 offset:848
	;; [unrolled: 1-line block ×4, first 2 shown]
	scratch_load_dwordx4 v[20:23], off, off offset:368
	v_cmp_lt_u32_e32 vcc, 44, v0
	s_waitcnt vmcnt(0) lgkmcnt(3)
	v_mul_f32_e32 v3, v4, v21
	v_fmac_f32_e32 v3, v5, v20
	v_mul_f32_e32 v24, v6, v23
	v_add_f32_e32 v3, 0, v3
	v_fmac_f32_e32 v24, v7, v22
	v_add_f32_e32 v45, v3, v24
	scratch_load_dwordx4 v[24:27], off, off offset:384
	scratch_load_dwordx4 v[28:31], off, off offset:400
	;; [unrolled: 1-line block ×5, first 2 shown]
	v_mul_f32_e32 v3, v5, v21
	v_fma_f32 v3, v4, v20, -v3
	v_mul_f32_e32 v4, v7, v23
	v_fma_f32 v4, v6, v22, -v4
	v_add_f32_e32 v3, 0, v3
	v_add_f32_e32 v44, v3, v4
	s_waitcnt vmcnt(3) lgkmcnt(1)
	v_pk_mul_f32 v[20:21], v[12:13], v[28:29] op_sel:[1,1] op_sel_hi:[0,1]
	v_pk_fma_f32 v[22:23], v[12:13], v[28:29], v[20:21] neg_lo:[0,0,1] neg_hi:[0,0,1]
	v_pk_fma_f32 v[12:13], v[12:13], v[28:29], v[20:21] op_sel_hi:[1,0,1]
	v_mul_f32_e32 v47, v8, v25
	v_mov_b32_e32 v12, v31
	v_mul_f32_e32 v3, v9, v25
	v_mov_b32_e32 v23, v13
	v_pk_mul_f32 v[12:13], v[14:15], v[12:13] op_sel:[1,0] op_sel_hi:[0,0]
	v_fmac_f32_e32 v47, v9, v24
	v_mul_f32_e32 v49, v10, v27
	v_fma_f32 v46, v8, v24, -v3
	v_mul_f32_e32 v3, v11, v27
	v_pk_fma_f32 v[20:21], v[14:15], v[30:31], v[12:13] neg_lo:[0,0,1] neg_hi:[0,0,1]
	v_pk_fma_f32 v[12:13], v[14:15], v[30:31], v[12:13] op_sel_hi:[1,0,1]
	v_fmac_f32_e32 v49, v11, v26
	v_fma_f32 v48, v10, v26, -v3
	ds_read_b128 v[4:7], v2 offset:896
	ds_read_b128 v[8:11], v2 offset:912
	v_pk_add_f32 v[2:3], v[44:45], v[46:47]
	v_mov_b32_e32 v21, v13
	s_waitcnt vmcnt(2) lgkmcnt(2)
	v_pk_mul_f32 v[12:13], v[16:17], v[32:33] op_sel:[1,1] op_sel_hi:[0,1]
	v_pk_add_f32 v[2:3], v[2:3], v[48:49]
	v_pk_fma_f32 v[14:15], v[16:17], v[32:33], v[12:13] neg_lo:[0,0,1] neg_hi:[0,0,1]
	v_pk_fma_f32 v[12:13], v[16:17], v[32:33], v[12:13] op_sel_hi:[1,0,1]
	v_pk_add_f32 v[2:3], v[2:3], v[22:23]
	v_mov_b32_e32 v12, v35
	v_pk_add_f32 v[2:3], v[2:3], v[20:21]
	v_mov_b32_e32 v15, v13
	v_pk_mul_f32 v[12:13], v[18:19], v[12:13] op_sel:[1,0] op_sel_hi:[0,0]
	v_pk_add_f32 v[2:3], v[2:3], v[14:15]
	v_pk_fma_f32 v[14:15], v[18:19], v[34:35], v[12:13] neg_lo:[0,0,1] neg_hi:[0,0,1]
	v_pk_fma_f32 v[12:13], v[18:19], v[34:35], v[12:13] op_sel_hi:[1,0,1]
	s_nop 0
	v_mov_b32_e32 v15, v13
	s_waitcnt vmcnt(1) lgkmcnt(1)
	v_pk_mul_f32 v[12:13], v[4:5], v[36:37] op_sel:[1,1] op_sel_hi:[0,1]
	v_pk_add_f32 v[2:3], v[2:3], v[14:15]
	v_pk_fma_f32 v[14:15], v[4:5], v[36:37], v[12:13] neg_lo:[0,0,1] neg_hi:[0,0,1]
	v_pk_fma_f32 v[4:5], v[4:5], v[36:37], v[12:13] op_sel_hi:[1,0,1]
	s_nop 0
	v_mov_b32_e32 v4, v39
	v_mov_b32_e32 v15, v5
	v_pk_mul_f32 v[4:5], v[6:7], v[4:5] op_sel:[1,0] op_sel_hi:[0,0]
	v_pk_fma_f32 v[12:13], v[6:7], v[38:39], v[4:5] neg_lo:[0,0,1] neg_hi:[0,0,1]
	v_pk_fma_f32 v[4:5], v[6:7], v[38:39], v[4:5] op_sel_hi:[1,0,1]
	v_pk_add_f32 v[2:3], v[2:3], v[14:15]
	v_mov_b32_e32 v13, v5
	s_waitcnt vmcnt(0) lgkmcnt(0)
	v_pk_mul_f32 v[4:5], v[8:9], v[40:41] op_sel:[1,1] op_sel_hi:[0,1]
	v_pk_fma_f32 v[6:7], v[8:9], v[40:41], v[4:5] neg_lo:[0,0,1] neg_hi:[0,0,1]
	v_pk_fma_f32 v[4:5], v[8:9], v[40:41], v[4:5] op_sel_hi:[1,0,1]
	v_pk_add_f32 v[2:3], v[2:3], v[12:13]
	v_mov_b32_e32 v4, v43
	v_mov_b32_e32 v7, v5
	v_pk_mul_f32 v[4:5], v[10:11], v[4:5] op_sel:[1,0] op_sel_hi:[0,0]
	v_pk_add_f32 v[2:3], v[2:3], v[6:7]
	v_pk_fma_f32 v[6:7], v[10:11], v[42:43], v[4:5] neg_lo:[0,0,1] neg_hi:[0,0,1]
	v_pk_fma_f32 v[4:5], v[10:11], v[42:43], v[4:5] op_sel_hi:[1,0,1]
	s_nop 0
	v_mov_b32_e32 v7, v5
	scratch_load_dwordx2 v[4:5], off, off offset:360
	v_pk_add_f32 v[2:3], v[2:3], v[6:7]
	s_waitcnt vmcnt(0)
	v_pk_add_f32 v[2:3], v[4:5], v[2:3] neg_lo:[0,1] neg_hi:[0,1]
	scratch_store_dwordx2 off, v[2:3], off offset:360
	s_and_saveexec_b64 s[0:1], vcc
	s_cbranch_execz .LBB57_273
; %bb.272:
	scratch_load_dwordx2 v[2:3], off, off offset:352
	v_mov_b32_e32 v4, 0
	v_mov_b32_e32 v5, v4
	scratch_store_dwordx2 off, v[4:5], off offset:352
	s_waitcnt vmcnt(1)
	ds_write_b64 v1, v[2:3]
.LBB57_273:
	s_or_b64 exec, exec, s[0:1]
	s_waitcnt lgkmcnt(0)
	; wave barrier
	scratch_load_dwordx4 v[8:11], off, off offset:360
	scratch_load_dwordx4 v[16:19], off, off offset:376
	v_mov_b32_e32 v2, 0
	ds_read2_b64 v[4:7], v2 offset0:103 offset1:104
	scratch_load_dwordx4 v[24:27], off, off offset:392
	v_cmp_lt_u32_e32 vcc, 43, v0
	s_waitcnt vmcnt(2) lgkmcnt(0)
	v_mul_f32_e32 v3, v4, v9
	v_fmac_f32_e32 v3, v5, v8
	v_mul_f32_e32 v12, v6, v11
	v_add_f32_e32 v3, 0, v3
	v_fmac_f32_e32 v12, v7, v10
	v_add_f32_e32 v3, v3, v12
	ds_read2_b64 v[12:15], v2 offset0:105 offset1:106
	s_waitcnt vmcnt(1) lgkmcnt(0)
	v_mul_f32_e32 v20, v12, v17
	v_fmac_f32_e32 v20, v13, v16
	v_add_f32_e32 v41, v3, v20
	ds_read2_b64 v[20:23], v2 offset0:107 offset1:108
	scratch_load_dwordx4 v[28:31], off, off offset:408
	scratch_load_dwordx4 v[32:35], off, off offset:424
	;; [unrolled: 1-line block ×3, first 2 shown]
	scratch_load_dwordx2 v[46:47], off, off offset:456
	v_mul_f32_e32 v3, v5, v9
	v_fma_f32 v3, v4, v8, -v3
	v_mul_f32_e32 v4, v7, v11
	v_add_f32_e32 v3, 0, v3
	v_fma_f32 v4, v6, v10, -v4
	v_add_f32_e32 v3, v3, v4
	v_mul_f32_e32 v4, v13, v17
	v_fma_f32 v4, v12, v16, -v4
	v_add_f32_e32 v40, v3, v4
	v_mul_f32_e32 v3, v15, v19
	v_fma_f32 v42, v14, v18, -v3
	s_waitcnt vmcnt(4) lgkmcnt(0)
	v_mul_f32_e32 v3, v21, v25
	v_mul_f32_e32 v43, v14, v19
	;; [unrolled: 1-line block ×3, first 2 shown]
	v_fma_f32 v44, v20, v24, -v3
	v_mov_b32_e32 v20, v27
	v_fmac_f32_e32 v43, v15, v18
	v_fmac_f32_e32 v45, v21, v24
	ds_read2_b64 v[4:7], v2 offset0:109 offset1:110
	ds_read2_b64 v[8:11], v2 offset0:111 offset1:112
	;; [unrolled: 1-line block ×3, first 2 shown]
	ds_read_b64 v[16:17], v2 offset:920
	v_pk_mul_f32 v[20:21], v[22:23], v[20:21] op_sel:[1,0] op_sel_hi:[0,0]
	v_pk_fma_f32 v[24:25], v[22:23], v[26:27], v[20:21] neg_lo:[0,0,1] neg_hi:[0,0,1]
	v_pk_fma_f32 v[20:21], v[22:23], v[26:27], v[20:21] op_sel_hi:[1,0,1]
	v_pk_add_f32 v[18:19], v[40:41], v[42:43]
	v_mov_b32_e32 v25, v21
	v_pk_add_f32 v[18:19], v[18:19], v[44:45]
	s_waitcnt vmcnt(3) lgkmcnt(3)
	v_pk_mul_f32 v[20:21], v[4:5], v[28:29] op_sel:[1,1] op_sel_hi:[0,1]
	v_pk_fma_f32 v[22:23], v[4:5], v[28:29], v[20:21] neg_lo:[0,0,1] neg_hi:[0,0,1]
	v_pk_fma_f32 v[4:5], v[4:5], v[28:29], v[20:21] op_sel_hi:[1,0,1]
	v_pk_add_f32 v[18:19], v[18:19], v[24:25]
	v_mov_b32_e32 v23, v5
	v_pk_add_f32 v[4:5], v[18:19], v[22:23]
	v_mov_b32_e32 v18, v31
	v_pk_mul_f32 v[18:19], v[6:7], v[18:19] op_sel:[1,0] op_sel_hi:[0,0]
	v_pk_fma_f32 v[20:21], v[6:7], v[30:31], v[18:19] neg_lo:[0,0,1] neg_hi:[0,0,1]
	v_pk_fma_f32 v[6:7], v[6:7], v[30:31], v[18:19] op_sel_hi:[1,0,1]
	s_nop 0
	v_mov_b32_e32 v21, v7
	s_waitcnt vmcnt(2) lgkmcnt(2)
	v_pk_mul_f32 v[6:7], v[8:9], v[32:33] op_sel:[1,1] op_sel_hi:[0,1]
	v_pk_fma_f32 v[18:19], v[8:9], v[32:33], v[6:7] neg_lo:[0,0,1] neg_hi:[0,0,1]
	v_pk_fma_f32 v[6:7], v[8:9], v[32:33], v[6:7] op_sel_hi:[1,0,1]
	v_pk_add_f32 v[4:5], v[4:5], v[20:21]
	v_mov_b32_e32 v6, v35
	v_mov_b32_e32 v19, v7
	v_pk_mul_f32 v[6:7], v[10:11], v[6:7] op_sel:[1,0] op_sel_hi:[0,0]
	v_pk_fma_f32 v[8:9], v[10:11], v[34:35], v[6:7] neg_lo:[0,0,1] neg_hi:[0,0,1]
	v_pk_fma_f32 v[6:7], v[10:11], v[34:35], v[6:7] op_sel_hi:[1,0,1]
	v_pk_add_f32 v[4:5], v[4:5], v[18:19]
	v_mov_b32_e32 v9, v7
	s_waitcnt vmcnt(1) lgkmcnt(1)
	v_pk_mul_f32 v[6:7], v[12:13], v[36:37] op_sel:[1,1] op_sel_hi:[0,1]
	v_pk_add_f32 v[4:5], v[4:5], v[8:9]
	v_pk_fma_f32 v[8:9], v[12:13], v[36:37], v[6:7] neg_lo:[0,0,1] neg_hi:[0,0,1]
	v_pk_fma_f32 v[6:7], v[12:13], v[36:37], v[6:7] op_sel_hi:[1,0,1]
	s_nop 0
	v_mov_b32_e32 v6, v39
	v_mov_b32_e32 v9, v7
	v_pk_mul_f32 v[6:7], v[14:15], v[6:7] op_sel:[1,0] op_sel_hi:[0,0]
	v_pk_add_f32 v[4:5], v[4:5], v[8:9]
	v_pk_fma_f32 v[8:9], v[14:15], v[38:39], v[6:7] neg_lo:[0,0,1] neg_hi:[0,0,1]
	v_pk_fma_f32 v[6:7], v[14:15], v[38:39], v[6:7] op_sel_hi:[1,0,1]
	s_nop 0
	v_mov_b32_e32 v9, v7
	s_waitcnt vmcnt(0) lgkmcnt(0)
	v_pk_mul_f32 v[6:7], v[16:17], v[46:47] op_sel:[1,1] op_sel_hi:[0,1]
	v_pk_add_f32 v[4:5], v[4:5], v[8:9]
	v_pk_fma_f32 v[8:9], v[16:17], v[46:47], v[6:7] neg_lo:[0,0,1] neg_hi:[0,0,1]
	v_pk_fma_f32 v[6:7], v[16:17], v[46:47], v[6:7] op_sel_hi:[1,0,1]
	s_nop 0
	v_mov_b32_e32 v9, v7
	scratch_load_dwordx2 v[6:7], off, off offset:352
	v_pk_add_f32 v[4:5], v[4:5], v[8:9]
	s_waitcnt vmcnt(0)
	v_pk_add_f32 v[4:5], v[6:7], v[4:5] neg_lo:[0,1] neg_hi:[0,1]
	scratch_store_dwordx2 off, v[4:5], off offset:352
	s_and_saveexec_b64 s[0:1], vcc
	s_cbranch_execz .LBB57_275
; %bb.274:
	scratch_load_dwordx2 v[4:5], off, off offset:344
	v_mov_b32_e32 v3, v2
	scratch_store_dwordx2 off, v[2:3], off offset:344
	s_waitcnt vmcnt(1)
	ds_write_b64 v1, v[4:5]
.LBB57_275:
	s_or_b64 exec, exec, s[0:1]
	s_waitcnt lgkmcnt(0)
	; wave barrier
	ds_read_b128 v[4:7], v2 offset:816
	ds_read_b128 v[8:11], v2 offset:832
	;; [unrolled: 1-line block ×4, first 2 shown]
	scratch_load_dwordx4 v[20:23], off, off offset:352
	v_cmp_lt_u32_e32 vcc, 42, v0
	s_waitcnt vmcnt(0) lgkmcnt(3)
	v_mul_f32_e32 v3, v4, v21
	v_fmac_f32_e32 v3, v5, v20
	v_mul_f32_e32 v24, v6, v23
	v_add_f32_e32 v3, 0, v3
	v_fmac_f32_e32 v24, v7, v22
	v_add_f32_e32 v3, v3, v24
	scratch_load_dwordx4 v[24:27], off, off offset:368
	s_waitcnt vmcnt(0) lgkmcnt(2)
	v_mul_f32_e32 v28, v8, v25
	v_fmac_f32_e32 v28, v9, v24
	v_add_f32_e32 v3, v3, v28
	v_mul_f32_e32 v28, v10, v27
	v_fmac_f32_e32 v28, v11, v26
	v_add_f32_e32 v49, v3, v28
	scratch_load_dwordx4 v[28:31], off, off offset:384
	scratch_load_dwordx4 v[32:35], off, off offset:400
	;; [unrolled: 1-line block ×5, first 2 shown]
	v_mul_f32_e32 v3, v5, v21
	v_fma_f32 v3, v4, v20, -v3
	v_mul_f32_e32 v4, v7, v23
	v_add_f32_e32 v3, 0, v3
	v_fma_f32 v4, v6, v22, -v4
	v_add_f32_e32 v3, v3, v4
	v_mul_f32_e32 v4, v9, v25
	v_fma_f32 v4, v8, v24, -v4
	v_add_f32_e32 v3, v3, v4
	v_mul_f32_e32 v4, v11, v27
	v_fma_f32 v4, v10, v26, -v4
	v_add_f32_e32 v48, v3, v4
	s_waitcnt vmcnt(3) lgkmcnt(0)
	v_pk_mul_f32 v[20:21], v[16:17], v[32:33] op_sel:[1,1] op_sel_hi:[0,1]
	v_pk_fma_f32 v[22:23], v[16:17], v[32:33], v[20:21] neg_lo:[0,0,1] neg_hi:[0,0,1]
	v_mul_f32_e32 v3, v13, v29
	v_mul_f32_e32 v51, v12, v29
	;; [unrolled: 1-line block ×3, first 2 shown]
	v_fma_f32 v50, v12, v28, -v3
	v_mul_f32_e32 v3, v15, v31
	v_pk_fma_f32 v[16:17], v[16:17], v[32:33], v[20:21] op_sel_hi:[1,0,1]
	v_fmac_f32_e32 v51, v13, v28
	v_fmac_f32_e32 v53, v15, v30
	v_fma_f32 v52, v14, v30, -v3
	ds_read_b128 v[4:7], v2 offset:880
	ds_read_b128 v[8:11], v2 offset:896
	;; [unrolled: 1-line block ×3, first 2 shown]
	v_mov_b32_e32 v16, v35
	v_mov_b32_e32 v23, v17
	v_pk_mul_f32 v[16:17], v[18:19], v[16:17] op_sel:[1,0] op_sel_hi:[0,0]
	v_pk_fma_f32 v[20:21], v[18:19], v[34:35], v[16:17] neg_lo:[0,0,1] neg_hi:[0,0,1]
	v_pk_fma_f32 v[16:17], v[18:19], v[34:35], v[16:17] op_sel_hi:[1,0,1]
	v_pk_add_f32 v[2:3], v[48:49], v[50:51]
	v_mov_b32_e32 v21, v17
	s_waitcnt vmcnt(2) lgkmcnt(2)
	v_pk_mul_f32 v[16:17], v[4:5], v[36:37] op_sel:[1,1] op_sel_hi:[0,1]
	v_pk_fma_f32 v[18:19], v[4:5], v[36:37], v[16:17] neg_lo:[0,0,1] neg_hi:[0,0,1]
	v_pk_fma_f32 v[4:5], v[4:5], v[36:37], v[16:17] op_sel_hi:[1,0,1]
	v_pk_add_f32 v[2:3], v[2:3], v[52:53]
	v_mov_b32_e32 v4, v39
	v_mov_b32_e32 v19, v5
	v_pk_mul_f32 v[4:5], v[6:7], v[4:5] op_sel:[1,0] op_sel_hi:[0,0]
	v_pk_fma_f32 v[16:17], v[6:7], v[38:39], v[4:5] neg_lo:[0,0,1] neg_hi:[0,0,1]
	v_pk_fma_f32 v[4:5], v[6:7], v[38:39], v[4:5] op_sel_hi:[1,0,1]
	v_pk_add_f32 v[2:3], v[2:3], v[22:23]
	v_mov_b32_e32 v17, v5
	s_waitcnt vmcnt(1) lgkmcnt(1)
	v_pk_mul_f32 v[4:5], v[8:9], v[40:41] op_sel:[1,1] op_sel_hi:[0,1]
	v_pk_add_f32 v[2:3], v[2:3], v[20:21]
	v_pk_fma_f32 v[6:7], v[8:9], v[40:41], v[4:5] neg_lo:[0,0,1] neg_hi:[0,0,1]
	v_pk_fma_f32 v[4:5], v[8:9], v[40:41], v[4:5] op_sel_hi:[1,0,1]
	v_pk_add_f32 v[2:3], v[2:3], v[18:19]
	v_mov_b32_e32 v4, v43
	v_pk_add_f32 v[2:3], v[2:3], v[16:17]
	v_mov_b32_e32 v7, v5
	v_pk_mul_f32 v[4:5], v[10:11], v[4:5] op_sel:[1,0] op_sel_hi:[0,0]
	v_pk_add_f32 v[2:3], v[2:3], v[6:7]
	v_pk_fma_f32 v[6:7], v[10:11], v[42:43], v[4:5] neg_lo:[0,0,1] neg_hi:[0,0,1]
	v_pk_fma_f32 v[4:5], v[10:11], v[42:43], v[4:5] op_sel_hi:[1,0,1]
	s_nop 0
	v_mov_b32_e32 v7, v5
	s_waitcnt vmcnt(0) lgkmcnt(0)
	v_pk_mul_f32 v[4:5], v[12:13], v[44:45] op_sel:[1,1] op_sel_hi:[0,1]
	v_pk_add_f32 v[2:3], v[2:3], v[6:7]
	v_pk_fma_f32 v[6:7], v[12:13], v[44:45], v[4:5] neg_lo:[0,0,1] neg_hi:[0,0,1]
	v_pk_fma_f32 v[4:5], v[12:13], v[44:45], v[4:5] op_sel_hi:[1,0,1]
	s_nop 0
	v_mov_b32_e32 v4, v47
	v_mov_b32_e32 v7, v5
	v_pk_mul_f32 v[4:5], v[14:15], v[4:5] op_sel:[1,0] op_sel_hi:[0,0]
	v_pk_add_f32 v[2:3], v[2:3], v[6:7]
	v_pk_fma_f32 v[6:7], v[14:15], v[46:47], v[4:5] neg_lo:[0,0,1] neg_hi:[0,0,1]
	v_pk_fma_f32 v[4:5], v[14:15], v[46:47], v[4:5] op_sel_hi:[1,0,1]
	s_nop 0
	v_mov_b32_e32 v7, v5
	scratch_load_dwordx2 v[4:5], off, off offset:344
	v_pk_add_f32 v[2:3], v[2:3], v[6:7]
	s_waitcnt vmcnt(0)
	v_pk_add_f32 v[2:3], v[4:5], v[2:3] neg_lo:[0,1] neg_hi:[0,1]
	scratch_store_dwordx2 off, v[2:3], off offset:344
	s_and_saveexec_b64 s[0:1], vcc
	s_cbranch_execz .LBB57_277
; %bb.276:
	scratch_load_dwordx2 v[2:3], off, off offset:336
	v_mov_b32_e32 v4, 0
	v_mov_b32_e32 v5, v4
	scratch_store_dwordx2 off, v[4:5], off offset:336
	s_waitcnt vmcnt(1)
	ds_write_b64 v1, v[2:3]
.LBB57_277:
	s_or_b64 exec, exec, s[0:1]
	s_waitcnt lgkmcnt(0)
	; wave barrier
	scratch_load_dwordx4 v[4:7], off, off offset:344
	scratch_load_dwordx4 v[8:11], off, off offset:360
	;; [unrolled: 1-line block ×7, first 2 shown]
	scratch_load_dwordx2 v[60:61], off, off offset:456
	scratch_load_dwordx2 v[62:63], off, off offset:336
	v_mov_b32_e32 v2, 0
	ds_read2_b64 v[32:35], v2 offset0:101 offset1:102
	ds_read2_b64 v[36:39], v2 offset0:103 offset1:104
	;; [unrolled: 1-line block ×7, first 2 shown]
	ds_read_b64 v[64:65], v2 offset:920
	v_cmp_lt_u32_e32 vcc, 41, v0
	s_waitcnt vmcnt(8) lgkmcnt(7)
	v_mul_f32_e32 v71, v34, v7
	v_mul_f32_e32 v3, v32, v5
	s_waitcnt vmcnt(7) lgkmcnt(6)
	v_mul_f32_e32 v75, v36, v9
	s_waitcnt vmcnt(6) lgkmcnt(5)
	v_mul_f32_e32 v83, v40, v13
	v_mul_f32_e32 v67, v42, v15
	;; [unrolled: 1-line block ×5, first 2 shown]
	s_waitcnt vmcnt(5)
	v_mov_b32_e32 v70, v19
	s_waitcnt vmcnt(3) lgkmcnt(2)
	v_pk_mul_f32 v[76:77], v[52:53], v[24:25] op_sel:[1,1] op_sel_hi:[0,1]
	s_waitcnt vmcnt(2) lgkmcnt(1)
	v_pk_mul_f32 v[80:81], v[56:57], v[28:29] op_sel:[1,1] op_sel_hi:[0,1]
	v_fmac_f32_e32 v71, v35, v6
	v_mul_f32_e32 v7, v35, v7
	v_mul_f32_e32 v9, v37, v9
	v_fmac_f32_e32 v3, v33, v4
	v_fmac_f32_e32 v75, v37, v8
	;; [unrolled: 1-line block ×4, first 2 shown]
	v_fma_f32 v32, v32, v4, -v5
	v_fma_f32 v37, v40, v12, -v13
	v_fma_f32 v66, v42, v14, -v15
	v_pk_mul_f32 v[4:5], v[46:47], v[70:71] op_sel:[1,0] op_sel_hi:[0,0]
	v_pk_fma_f32 v[12:13], v[52:53], v[24:25], v[76:77] neg_lo:[0,0,1] neg_hi:[0,0,1]
	v_pk_fma_f32 v[14:15], v[52:53], v[24:25], v[76:77] op_sel_hi:[1,0,1]
	v_pk_fma_f32 v[24:25], v[56:57], v[28:29], v[80:81] op_sel_hi:[1,0,1]
	v_fma_f32 v34, v34, v6, -v7
	v_add_f32_e32 v3, 0, v3
	v_add_f32_e32 v24, 0, v32
	v_pk_fma_f32 v[32:33], v[46:47], v[18:19], v[4:5] neg_lo:[0,0,1] neg_hi:[0,0,1]
	v_pk_fma_f32 v[4:5], v[46:47], v[18:19], v[4:5] op_sel_hi:[1,0,1]
	v_mul_f32_e32 v79, v38, v11
	v_mul_f32_e32 v11, v39, v11
	v_fma_f32 v35, v36, v8, -v9
	v_add_f32_e32 v3, v3, v71
	v_add_f32_e32 v4, v24, v34
	v_fmac_f32_e32 v79, v39, v10
	v_fma_f32 v36, v38, v10, -v11
	v_add_f32_e32 v3, v3, v75
	v_add_f32_e32 v4, v4, v35
	;; [unrolled: 1-line block ×4, first 2 shown]
	v_mul_f32_e32 v69, v44, v17
	v_mul_f32_e32 v17, v45, v17
	v_mov_b32_e32 v33, v5
	v_add_f32_e32 v5, v3, v83
	v_add_f32_e32 v4, v4, v37
	v_pk_mul_f32 v[72:73], v[48:49], v[20:21] op_sel:[1,1] op_sel_hi:[0,1]
	v_mov_b32_e32 v74, v23
	v_fmac_f32_e32 v69, v45, v16
	v_fma_f32 v68, v44, v16, -v17
	v_pk_add_f32 v[4:5], v[4:5], v[66:67]
	v_pk_fma_f32 v[6:7], v[48:49], v[20:21], v[72:73] neg_lo:[0,0,1] neg_hi:[0,0,1]
	v_pk_fma_f32 v[8:9], v[48:49], v[20:21], v[72:73] op_sel_hi:[1,0,1]
	v_pk_mul_f32 v[10:11], v[50:51], v[74:75] op_sel:[1,0] op_sel_hi:[0,0]
	v_pk_add_f32 v[4:5], v[4:5], v[68:69]
	v_mov_b32_e32 v78, v27
	v_mov_b32_e32 v7, v9
	v_pk_fma_f32 v[8:9], v[50:51], v[22:23], v[10:11] neg_lo:[0,0,1] neg_hi:[0,0,1]
	v_pk_fma_f32 v[10:11], v[50:51], v[22:23], v[10:11] op_sel_hi:[1,0,1]
	v_pk_add_f32 v[4:5], v[4:5], v[32:33]
	v_pk_mul_f32 v[16:17], v[54:55], v[78:79] op_sel:[1,0] op_sel_hi:[0,0]
	v_mov_b32_e32 v9, v11
	v_pk_add_f32 v[4:5], v[4:5], v[6:7]
	v_mov_b32_e32 v82, v31
	v_mov_b32_e32 v13, v15
	v_pk_fma_f32 v[14:15], v[54:55], v[26:27], v[16:17] neg_lo:[0,0,1] neg_hi:[0,0,1]
	v_pk_fma_f32 v[16:17], v[54:55], v[26:27], v[16:17] op_sel_hi:[1,0,1]
	v_pk_add_f32 v[4:5], v[4:5], v[8:9]
	v_pk_fma_f32 v[20:21], v[56:57], v[28:29], v[80:81] neg_lo:[0,0,1] neg_hi:[0,0,1]
	v_pk_mul_f32 v[28:29], v[58:59], v[82:83] op_sel:[1,0] op_sel_hi:[0,0]
	v_mov_b32_e32 v15, v17
	v_pk_add_f32 v[4:5], v[4:5], v[12:13]
	v_mov_b32_e32 v21, v25
	v_pk_add_f32 v[4:5], v[4:5], v[14:15]
	v_pk_fma_f32 v[6:7], v[58:59], v[30:31], v[28:29] neg_lo:[0,0,1] neg_hi:[0,0,1]
	v_pk_fma_f32 v[8:9], v[58:59], v[30:31], v[28:29] op_sel_hi:[1,0,1]
	v_pk_add_f32 v[4:5], v[4:5], v[20:21]
	v_mov_b32_e32 v7, v9
	v_pk_add_f32 v[4:5], v[4:5], v[6:7]
	s_waitcnt vmcnt(1) lgkmcnt(0)
	v_pk_mul_f32 v[6:7], v[64:65], v[60:61] op_sel:[1,1] op_sel_hi:[0,1]
	v_pk_fma_f32 v[8:9], v[64:65], v[60:61], v[6:7] neg_lo:[0,0,1] neg_hi:[0,0,1]
	v_pk_fma_f32 v[6:7], v[64:65], v[60:61], v[6:7] op_sel_hi:[1,0,1]
	s_nop 0
	v_mov_b32_e32 v9, v7
	v_pk_add_f32 v[4:5], v[4:5], v[8:9]
	s_waitcnt vmcnt(0)
	v_pk_add_f32 v[4:5], v[62:63], v[4:5] neg_lo:[0,1] neg_hi:[0,1]
	scratch_store_dwordx2 off, v[4:5], off offset:336
	s_and_saveexec_b64 s[0:1], vcc
	s_cbranch_execz .LBB57_279
; %bb.278:
	scratch_load_dwordx2 v[4:5], off, off offset:328
	v_mov_b32_e32 v3, v2
	scratch_store_dwordx2 off, v[2:3], off offset:328
	s_waitcnt vmcnt(1)
	ds_write_b64 v1, v[4:5]
.LBB57_279:
	s_or_b64 exec, exec, s[0:1]
	s_waitcnt lgkmcnt(0)
	; wave barrier
	scratch_load_dwordx4 v[4:7], off, off offset:336
	scratch_load_dwordx4 v[8:11], off, off offset:352
	;; [unrolled: 1-line block ×7, first 2 shown]
	ds_read_b128 v[32:35], v2 offset:800
	ds_read_b128 v[36:39], v2 offset:816
	;; [unrolled: 1-line block ×4, first 2 shown]
	scratch_load_dwordx4 v[48:51], off, off offset:448
	ds_read_b128 v[52:55], v2 offset:864
	ds_read_b128 v[56:59], v2 offset:880
	;; [unrolled: 1-line block ×4, first 2 shown]
	scratch_load_dwordx2 v[2:3], off, off offset:328
	v_cmp_lt_u32_e32 vcc, 40, v0
	s_waitcnt vmcnt(8) lgkmcnt(7)
	v_mul_f32_e32 v75, v32, v5
	v_mul_f32_e32 v79, v34, v7
	s_waitcnt vmcnt(7) lgkmcnt(6)
	v_mul_f32_e32 v83, v36, v9
	v_mul_f32_e32 v84, v38, v11
	s_waitcnt vmcnt(6) lgkmcnt(5)
	v_mul_f32_e32 v85, v40, v13
	v_mul_f32_e32 v86, v42, v15
	v_mul_f32_e32 v5, v33, v5
	v_mul_f32_e32 v7, v35, v7
	;; [unrolled: 1-line block ×6, first 2 shown]
	s_waitcnt vmcnt(4) lgkmcnt(3)
	v_pk_mul_f32 v[72:73], v[52:53], v[20:21] op_sel:[1,1] op_sel_hi:[0,1]
	v_mov_b32_e32 v74, v23
	s_waitcnt vmcnt(3) lgkmcnt(2)
	v_pk_mul_f32 v[76:77], v[56:57], v[24:25] op_sel:[1,1] op_sel_hi:[0,1]
	v_mov_b32_e32 v78, v27
	v_fmac_f32_e32 v75, v33, v4
	v_fmac_f32_e32 v79, v35, v6
	;; [unrolled: 1-line block ×6, first 2 shown]
	v_fma_f32 v32, v32, v4, -v5
	v_fma_f32 v33, v34, v6, -v7
	;; [unrolled: 1-line block ×6, first 2 shown]
	v_pk_fma_f32 v[4:5], v[52:53], v[20:21], v[72:73] neg_lo:[0,0,1] neg_hi:[0,0,1]
	v_pk_fma_f32 v[6:7], v[52:53], v[20:21], v[72:73] op_sel_hi:[1,0,1]
	v_pk_mul_f32 v[8:9], v[54:55], v[74:75] op_sel:[1,0] op_sel_hi:[0,0]
	v_pk_fma_f32 v[10:11], v[56:57], v[24:25], v[76:77] neg_lo:[0,0,1] neg_hi:[0,0,1]
	v_pk_fma_f32 v[12:13], v[56:57], v[24:25], v[76:77] op_sel_hi:[1,0,1]
	v_pk_mul_f32 v[14:15], v[58:59], v[78:79] op_sel:[1,0] op_sel_hi:[0,0]
	v_add_f32_e32 v24, 0, v75
	v_add_f32_e32 v25, 0, v32
	v_mov_b32_e32 v5, v7
	v_pk_fma_f32 v[6:7], v[54:55], v[22:23], v[8:9] neg_lo:[0,0,1] neg_hi:[0,0,1]
	v_pk_fma_f32 v[8:9], v[54:55], v[22:23], v[8:9] op_sel_hi:[1,0,1]
	v_mov_b32_e32 v11, v13
	v_pk_fma_f32 v[12:13], v[58:59], v[26:27], v[14:15] neg_lo:[0,0,1] neg_hi:[0,0,1]
	v_pk_fma_f32 v[14:15], v[58:59], v[26:27], v[14:15] op_sel_hi:[1,0,1]
	v_add_f32_e32 v8, v24, v79
	v_add_f32_e32 v14, v25, v33
	v_mov_b32_e32 v7, v9
	v_add_f32_e32 v8, v8, v83
	v_add_f32_e32 v9, v14, v34
	;; [unrolled: 1-line block ×4, first 2 shown]
	v_mul_f32_e32 v69, v44, v17
	v_mul_f32_e32 v17, v45, v17
	v_add_f32_e32 v8, v8, v85
	v_add_f32_e32 v14, v9, v36
	v_mul_f32_e32 v71, v46, v19
	v_mul_f32_e32 v19, v47, v19
	v_fmac_f32_e32 v69, v45, v16
	v_fma_f32 v68, v44, v16, -v17
	v_add_f32_e32 v9, v8, v86
	v_add_f32_e32 v8, v14, v37
	v_fmac_f32_e32 v71, v47, v18
	v_fma_f32 v70, v46, v18, -v19
	v_pk_add_f32 v[8:9], v[8:9], v[68:69]
	s_waitcnt vmcnt(2) lgkmcnt(1)
	v_pk_mul_f32 v[80:81], v[60:61], v[28:29] op_sel:[1,1] op_sel_hi:[0,1]
	v_mov_b32_e32 v82, v31
	v_pk_add_f32 v[8:9], v[8:9], v[70:71]
	v_pk_fma_f32 v[16:17], v[60:61], v[28:29], v[80:81] neg_lo:[0,0,1] neg_hi:[0,0,1]
	v_pk_fma_f32 v[18:19], v[60:61], v[28:29], v[80:81] op_sel_hi:[1,0,1]
	v_pk_mul_f32 v[20:21], v[62:63], v[82:83] op_sel:[1,0] op_sel_hi:[0,0]
	v_pk_add_f32 v[4:5], v[8:9], v[4:5]
	v_mov_b32_e32 v17, v19
	v_pk_fma_f32 v[18:19], v[62:63], v[30:31], v[20:21] neg_lo:[0,0,1] neg_hi:[0,0,1]
	v_pk_add_f32 v[4:5], v[4:5], v[6:7]
	v_pk_fma_f32 v[6:7], v[62:63], v[30:31], v[20:21] op_sel_hi:[1,0,1]
	v_mov_b32_e32 v13, v15
	v_pk_add_f32 v[4:5], v[4:5], v[10:11]
	v_mov_b32_e32 v19, v7
	s_waitcnt vmcnt(1) lgkmcnt(0)
	v_pk_mul_f32 v[6:7], v[64:65], v[48:49] op_sel:[1,1] op_sel_hi:[0,1]
	v_pk_add_f32 v[4:5], v[4:5], v[12:13]
	v_pk_fma_f32 v[8:9], v[64:65], v[48:49], v[6:7] neg_lo:[0,0,1] neg_hi:[0,0,1]
	v_pk_fma_f32 v[6:7], v[64:65], v[48:49], v[6:7] op_sel_hi:[1,0,1]
	v_pk_add_f32 v[4:5], v[4:5], v[16:17]
	v_mov_b32_e32 v6, v51
	v_pk_add_f32 v[4:5], v[4:5], v[18:19]
	v_mov_b32_e32 v9, v7
	v_pk_mul_f32 v[6:7], v[66:67], v[6:7] op_sel:[1,0] op_sel_hi:[0,0]
	v_pk_add_f32 v[4:5], v[4:5], v[8:9]
	v_pk_fma_f32 v[8:9], v[66:67], v[50:51], v[6:7] neg_lo:[0,0,1] neg_hi:[0,0,1]
	v_pk_fma_f32 v[6:7], v[66:67], v[50:51], v[6:7] op_sel_hi:[1,0,1]
	s_nop 0
	v_mov_b32_e32 v9, v7
	v_pk_add_f32 v[4:5], v[4:5], v[8:9]
	s_waitcnt vmcnt(0)
	v_pk_add_f32 v[2:3], v[2:3], v[4:5] neg_lo:[0,1] neg_hi:[0,1]
	scratch_store_dwordx2 off, v[2:3], off offset:328
	s_and_saveexec_b64 s[0:1], vcc
	s_cbranch_execz .LBB57_281
; %bb.280:
	scratch_load_dwordx2 v[2:3], off, off offset:320
	v_mov_b32_e32 v4, 0
	v_mov_b32_e32 v5, v4
	scratch_store_dwordx2 off, v[4:5], off offset:320
	s_waitcnt vmcnt(1)
	ds_write_b64 v1, v[2:3]
.LBB57_281:
	s_or_b64 exec, exec, s[0:1]
	s_waitcnt lgkmcnt(0)
	; wave barrier
	scratch_load_dwordx4 v[4:7], off, off offset:328
	scratch_load_dwordx4 v[8:11], off, off offset:344
	;; [unrolled: 1-line block ×8, first 2 shown]
	scratch_load_dwordx2 v[68:69], off, off offset:456
	scratch_load_dwordx2 v[70:71], off, off offset:320
	v_mov_b32_e32 v2, 0
	ds_read2_b64 v[36:39], v2 offset0:99 offset1:100
	ds_read2_b64 v[40:43], v2 offset0:101 offset1:102
	;; [unrolled: 1-line block ×8, first 2 shown]
	ds_read_b64 v[72:73], v2 offset:920
	v_cmp_lt_u32_e32 vcc, 39, v0
	s_waitcnt vmcnt(9) lgkmcnt(8)
	v_mul_f32_e32 v79, v38, v7
	v_mul_f32_e32 v3, v36, v5
	s_waitcnt vmcnt(8) lgkmcnt(7)
	v_mul_f32_e32 v83, v40, v9
	s_waitcnt vmcnt(7) lgkmcnt(6)
	v_mul_f32_e32 v87, v44, v13
	v_mul_f32_e32 v5, v37, v5
	;; [unrolled: 1-line block ×5, first 2 shown]
	s_waitcnt vmcnt(5)
	v_mov_b32_e32 v78, v23
	s_waitcnt vmcnt(3) lgkmcnt(2)
	v_pk_mul_f32 v[84:85], v[60:61], v[28:29] op_sel:[1,1] op_sel_hi:[0,1]
	v_fmac_f32_e32 v79, v39, v6
	v_mul_f32_e32 v86, v42, v11
	v_mul_f32_e32 v89, v48, v17
	;; [unrolled: 1-line block ×4, first 2 shown]
	v_fmac_f32_e32 v3, v37, v4
	v_fmac_f32_e32 v87, v45, v12
	v_fma_f32 v36, v36, v4, -v5
	v_fma_f32 v37, v38, v6, -v7
	;; [unrolled: 1-line block ×4, first 2 shown]
	v_pk_mul_f32 v[4:5], v[54:55], v[78:79] op_sel:[1,0] op_sel_hi:[0,0]
	v_pk_fma_f32 v[12:13], v[60:61], v[28:29], v[84:85] neg_lo:[0,0,1] neg_hi:[0,0,1]
	v_fmac_f32_e32 v89, v49, v16
	v_fma_f32 v39, v42, v10, -v11
	v_fma_f32 v42, v48, v16, -v17
	v_add_f32_e32 v3, 0, v3
	v_add_f32_e32 v13, 0, v36
	v_pk_fma_f32 v[16:17], v[54:55], v[22:23], v[4:5] neg_lo:[0,0,1] neg_hi:[0,0,1]
	v_pk_fma_f32 v[4:5], v[54:55], v[22:23], v[4:5] op_sel_hi:[1,0,1]
	v_fmac_f32_e32 v83, v41, v8
	v_add_f32_e32 v3, v3, v79
	v_add_f32_e32 v4, v13, v37
	v_fmac_f32_e32 v86, v43, v10
	v_add_f32_e32 v3, v3, v83
	v_add_f32_e32 v4, v4, v38
	v_mul_f32_e32 v88, v46, v15
	v_mul_f32_e32 v15, v47, v15
	v_add_f32_e32 v3, v3, v86
	v_add_f32_e32 v4, v4, v39
	v_fmac_f32_e32 v88, v47, v14
	v_fma_f32 v41, v46, v14, -v15
	v_add_f32_e32 v3, v3, v87
	v_add_f32_e32 v4, v4, v40
	v_mul_f32_e32 v75, v50, v19
	v_mul_f32_e32 v19, v51, v19
	v_add_f32_e32 v3, v3, v88
	v_add_f32_e32 v4, v4, v41
	v_mul_f32_e32 v77, v52, v21
	v_mul_f32_e32 v21, v53, v21
	v_fmac_f32_e32 v75, v51, v18
	v_fma_f32 v74, v50, v18, -v19
	v_mov_b32_e32 v17, v5
	v_add_f32_e32 v5, v3, v89
	v_add_f32_e32 v4, v4, v42
	v_pk_mul_f32 v[80:81], v[56:57], v[24:25] op_sel:[1,1] op_sel_hi:[0,1]
	v_fmac_f32_e32 v77, v53, v20
	v_fma_f32 v76, v52, v20, -v21
	v_pk_add_f32 v[4:5], v[4:5], v[74:75]
	v_mov_b32_e32 v82, v27
	v_pk_fma_f32 v[6:7], v[56:57], v[24:25], v[80:81] neg_lo:[0,0,1] neg_hi:[0,0,1]
	v_pk_fma_f32 v[8:9], v[56:57], v[24:25], v[80:81] op_sel_hi:[1,0,1]
	v_pk_add_f32 v[4:5], v[4:5], v[76:77]
	v_pk_mul_f32 v[10:11], v[58:59], v[82:83] op_sel:[1,0] op_sel_hi:[0,0]
	v_mov_b32_e32 v7, v9
	v_pk_add_f32 v[4:5], v[4:5], v[16:17]
	v_pk_fma_f32 v[8:9], v[58:59], v[26:27], v[10:11] neg_lo:[0,0,1] neg_hi:[0,0,1]
	v_pk_fma_f32 v[10:11], v[58:59], v[26:27], v[10:11] op_sel_hi:[1,0,1]
	v_pk_add_f32 v[4:5], v[4:5], v[6:7]
	v_mov_b32_e32 v6, v31
	v_pk_fma_f32 v[14:15], v[60:61], v[28:29], v[84:85] op_sel_hi:[1,0,1]
	v_mov_b32_e32 v9, v11
	v_pk_mul_f32 v[6:7], v[62:63], v[6:7] op_sel:[1,0] op_sel_hi:[0,0]
	v_pk_add_f32 v[4:5], v[4:5], v[8:9]
	v_mov_b32_e32 v13, v15
	v_pk_fma_f32 v[8:9], v[62:63], v[30:31], v[6:7] neg_lo:[0,0,1] neg_hi:[0,0,1]
	v_pk_fma_f32 v[6:7], v[62:63], v[30:31], v[6:7] op_sel_hi:[1,0,1]
	v_pk_add_f32 v[4:5], v[4:5], v[12:13]
	v_mov_b32_e32 v9, v7
	s_waitcnt vmcnt(2) lgkmcnt(1)
	v_pk_mul_f32 v[6:7], v[64:65], v[32:33] op_sel:[1,1] op_sel_hi:[0,1]
	v_pk_add_f32 v[4:5], v[4:5], v[8:9]
	v_pk_fma_f32 v[8:9], v[64:65], v[32:33], v[6:7] neg_lo:[0,0,1] neg_hi:[0,0,1]
	v_pk_fma_f32 v[6:7], v[64:65], v[32:33], v[6:7] op_sel_hi:[1,0,1]
	s_nop 0
	v_mov_b32_e32 v6, v35
	v_mov_b32_e32 v9, v7
	v_pk_mul_f32 v[6:7], v[66:67], v[6:7] op_sel:[1,0] op_sel_hi:[0,0]
	v_pk_add_f32 v[4:5], v[4:5], v[8:9]
	v_pk_fma_f32 v[8:9], v[66:67], v[34:35], v[6:7] neg_lo:[0,0,1] neg_hi:[0,0,1]
	v_pk_fma_f32 v[6:7], v[66:67], v[34:35], v[6:7] op_sel_hi:[1,0,1]
	s_nop 0
	v_mov_b32_e32 v9, v7
	s_waitcnt vmcnt(1) lgkmcnt(0)
	v_pk_mul_f32 v[6:7], v[72:73], v[68:69] op_sel:[1,1] op_sel_hi:[0,1]
	v_pk_add_f32 v[4:5], v[4:5], v[8:9]
	v_pk_fma_f32 v[8:9], v[72:73], v[68:69], v[6:7] neg_lo:[0,0,1] neg_hi:[0,0,1]
	v_pk_fma_f32 v[6:7], v[72:73], v[68:69], v[6:7] op_sel_hi:[1,0,1]
	s_nop 0
	v_mov_b32_e32 v9, v7
	v_pk_add_f32 v[4:5], v[4:5], v[8:9]
	s_waitcnt vmcnt(0)
	v_pk_add_f32 v[4:5], v[70:71], v[4:5] neg_lo:[0,1] neg_hi:[0,1]
	scratch_store_dwordx2 off, v[4:5], off offset:320
	s_and_saveexec_b64 s[0:1], vcc
	s_cbranch_execz .LBB57_283
; %bb.282:
	scratch_load_dwordx2 v[4:5], off, off offset:312
	v_mov_b32_e32 v3, v2
	scratch_store_dwordx2 off, v[2:3], off offset:312
	s_waitcnt vmcnt(1)
	ds_write_b64 v1, v[4:5]
.LBB57_283:
	s_or_b64 exec, exec, s[0:1]
	s_waitcnt lgkmcnt(0)
	; wave barrier
	scratch_load_dwordx4 v[4:7], off, off offset:320
	scratch_load_dwordx4 v[8:11], off, off offset:336
	;; [unrolled: 1-line block ×7, first 2 shown]
	ds_read_b128 v[32:35], v2 offset:784
	ds_read_b128 v[36:39], v2 offset:800
	;; [unrolled: 1-line block ×4, first 2 shown]
	scratch_load_dwordx4 v[48:51], off, off offset:432
	scratch_load_dwordx4 v[52:55], off, off offset:448
	ds_read_b128 v[56:59], v2 offset:848
	ds_read_b128 v[60:63], v2 offset:864
	;; [unrolled: 1-line block ×5, first 2 shown]
	scratch_load_dwordx2 v[2:3], off, off offset:312
	v_cmp_lt_u32_e32 vcc, 38, v0
	s_waitcnt vmcnt(9) lgkmcnt(8)
	v_mul_f32_e32 v83, v32, v5
	v_mul_f32_e32 v86, v34, v7
	s_waitcnt vmcnt(8) lgkmcnt(7)
	v_mul_f32_e32 v87, v36, v9
	s_waitcnt vmcnt(7) lgkmcnt(6)
	v_mul_f32_e32 v89, v40, v13
	v_mul_f32_e32 v5, v33, v5
	;; [unrolled: 1-line block ×5, first 2 shown]
	s_waitcnt vmcnt(4) lgkmcnt(3)
	v_pk_mul_f32 v[80:81], v[60:61], v[24:25] op_sel:[1,1] op_sel_hi:[0,1]
	v_mov_b32_e32 v82, v27
	s_waitcnt vmcnt(3) lgkmcnt(2)
	v_pk_mul_f32 v[84:85], v[64:65], v[28:29] op_sel:[1,1] op_sel_hi:[0,1]
	v_fmac_f32_e32 v83, v33, v4
	v_mul_f32_e32 v90, v42, v15
	v_mul_f32_e32 v91, v44, v17
	;; [unrolled: 1-line block ×4, first 2 shown]
	v_fmac_f32_e32 v86, v35, v6
	v_fmac_f32_e32 v87, v37, v8
	;; [unrolled: 1-line block ×3, first 2 shown]
	v_fma_f32 v32, v32, v4, -v5
	v_fma_f32 v33, v34, v6, -v7
	v_fma_f32 v34, v36, v8, -v9
	v_fma_f32 v36, v40, v12, -v13
	v_pk_fma_f32 v[4:5], v[60:61], v[24:25], v[80:81] neg_lo:[0,0,1] neg_hi:[0,0,1]
	v_pk_fma_f32 v[6:7], v[60:61], v[24:25], v[80:81] op_sel_hi:[1,0,1]
	v_pk_mul_f32 v[8:9], v[62:63], v[82:83] op_sel:[1,0] op_sel_hi:[0,0]
	v_pk_fma_f32 v[12:13], v[64:65], v[28:29], v[84:85] op_sel_hi:[1,0,1]
	v_fmac_f32_e32 v90, v43, v14
	v_fma_f32 v14, v42, v14, -v15
	v_fma_f32 v15, v44, v16, -v17
	v_add_f32_e32 v12, 0, v83
	v_add_f32_e32 v17, 0, v32
	v_mov_b32_e32 v5, v7
	v_pk_fma_f32 v[6:7], v[62:63], v[26:27], v[8:9] neg_lo:[0,0,1] neg_hi:[0,0,1]
	v_pk_fma_f32 v[8:9], v[62:63], v[26:27], v[8:9] op_sel_hi:[1,0,1]
	v_mul_f32_e32 v88, v38, v11
	v_mul_f32_e32 v11, v39, v11
	v_add_f32_e32 v8, v12, v86
	v_add_f32_e32 v12, v17, v33
	v_fmac_f32_e32 v88, v39, v10
	v_fma_f32 v35, v38, v10, -v11
	v_mov_b32_e32 v7, v9
	v_add_f32_e32 v8, v8, v87
	v_add_f32_e32 v9, v12, v34
	;; [unrolled: 1-line block ×6, first 2 shown]
	v_mul_f32_e32 v92, v46, v19
	v_mul_f32_e32 v19, v47, v19
	v_fmac_f32_e32 v91, v45, v16
	v_add_f32_e32 v8, v8, v90
	v_add_f32_e32 v9, v9, v14
	v_mul_f32_e32 v77, v56, v21
	v_mul_f32_e32 v21, v57, v21
	v_fmac_f32_e32 v92, v47, v18
	v_fma_f32 v16, v46, v18, -v19
	v_add_f32_e32 v8, v8, v91
	v_add_f32_e32 v12, v9, v15
	v_mul_f32_e32 v79, v58, v23
	v_mul_f32_e32 v23, v59, v23
	v_fmac_f32_e32 v77, v57, v20
	v_fma_f32 v76, v56, v20, -v21
	v_add_f32_e32 v9, v8, v92
	v_add_f32_e32 v8, v12, v16
	v_fmac_f32_e32 v79, v59, v22
	v_fma_f32 v78, v58, v22, -v23
	v_pk_add_f32 v[8:9], v[8:9], v[76:77]
	v_pk_fma_f32 v[10:11], v[64:65], v[28:29], v[84:85] neg_lo:[0,0,1] neg_hi:[0,0,1]
	v_pk_add_f32 v[8:9], v[8:9], v[78:79]
	v_mov_b32_e32 v11, v13
	v_pk_add_f32 v[4:5], v[8:9], v[4:5]
	s_nop 0
	v_pk_add_f32 v[4:5], v[4:5], v[6:7]
	v_mov_b32_e32 v6, v31
	v_pk_mul_f32 v[6:7], v[66:67], v[6:7] op_sel:[1,0] op_sel_hi:[0,0]
	v_pk_fma_f32 v[8:9], v[66:67], v[30:31], v[6:7] neg_lo:[0,0,1] neg_hi:[0,0,1]
	v_pk_fma_f32 v[6:7], v[66:67], v[30:31], v[6:7] op_sel_hi:[1,0,1]
	v_pk_add_f32 v[4:5], v[4:5], v[10:11]
	v_mov_b32_e32 v9, v7
	s_waitcnt vmcnt(2) lgkmcnt(1)
	v_pk_mul_f32 v[6:7], v[68:69], v[48:49] op_sel:[1,1] op_sel_hi:[0,1]
	v_pk_add_f32 v[4:5], v[4:5], v[8:9]
	v_pk_fma_f32 v[8:9], v[68:69], v[48:49], v[6:7] neg_lo:[0,0,1] neg_hi:[0,0,1]
	v_pk_fma_f32 v[6:7], v[68:69], v[48:49], v[6:7] op_sel_hi:[1,0,1]
	s_nop 0
	v_mov_b32_e32 v6, v51
	v_mov_b32_e32 v9, v7
	v_pk_mul_f32 v[6:7], v[70:71], v[6:7] op_sel:[1,0] op_sel_hi:[0,0]
	v_pk_add_f32 v[4:5], v[4:5], v[8:9]
	v_pk_fma_f32 v[8:9], v[70:71], v[50:51], v[6:7] neg_lo:[0,0,1] neg_hi:[0,0,1]
	v_pk_fma_f32 v[6:7], v[70:71], v[50:51], v[6:7] op_sel_hi:[1,0,1]
	s_nop 0
	v_mov_b32_e32 v9, v7
	s_waitcnt vmcnt(1) lgkmcnt(0)
	v_pk_mul_f32 v[6:7], v[72:73], v[52:53] op_sel:[1,1] op_sel_hi:[0,1]
	v_pk_add_f32 v[4:5], v[4:5], v[8:9]
	v_pk_fma_f32 v[8:9], v[72:73], v[52:53], v[6:7] neg_lo:[0,0,1] neg_hi:[0,0,1]
	v_pk_fma_f32 v[6:7], v[72:73], v[52:53], v[6:7] op_sel_hi:[1,0,1]
	s_nop 0
	v_mov_b32_e32 v6, v55
	v_mov_b32_e32 v9, v7
	v_pk_mul_f32 v[6:7], v[74:75], v[6:7] op_sel:[1,0] op_sel_hi:[0,0]
	v_pk_add_f32 v[4:5], v[4:5], v[8:9]
	v_pk_fma_f32 v[8:9], v[74:75], v[54:55], v[6:7] neg_lo:[0,0,1] neg_hi:[0,0,1]
	v_pk_fma_f32 v[6:7], v[74:75], v[54:55], v[6:7] op_sel_hi:[1,0,1]
	s_nop 0
	v_mov_b32_e32 v9, v7
	v_pk_add_f32 v[4:5], v[4:5], v[8:9]
	s_waitcnt vmcnt(0)
	v_pk_add_f32 v[2:3], v[2:3], v[4:5] neg_lo:[0,1] neg_hi:[0,1]
	scratch_store_dwordx2 off, v[2:3], off offset:312
	s_and_saveexec_b64 s[0:1], vcc
	s_cbranch_execz .LBB57_285
; %bb.284:
	scratch_load_dwordx2 v[2:3], off, off offset:304
	v_mov_b32_e32 v4, 0
	v_mov_b32_e32 v5, v4
	scratch_store_dwordx2 off, v[4:5], off offset:304
	s_waitcnt vmcnt(1)
	ds_write_b64 v1, v[2:3]
.LBB57_285:
	s_or_b64 exec, exec, s[0:1]
	s_waitcnt lgkmcnt(0)
	; wave barrier
	scratch_load_dwordx4 v[4:7], off, off offset:312
	scratch_load_dwordx4 v[8:11], off, off offset:328
	;; [unrolled: 1-line block ×9, first 2 shown]
	scratch_load_dwordx2 v[76:77], off, off offset:456
	scratch_load_dwordx2 v[78:79], off, off offset:304
	v_mov_b32_e32 v2, 0
	ds_read2_b64 v[40:43], v2 offset0:97 offset1:98
	ds_read2_b64 v[44:47], v2 offset0:99 offset1:100
	;; [unrolled: 1-line block ×9, first 2 shown]
	ds_read_b64 v[80:81], v2 offset:920
	v_cmp_lt_u32_e32 vcc, 37, v0
	s_waitcnt vmcnt(10) lgkmcnt(9)
	v_mul_f32_e32 v87, v42, v7
	v_mul_f32_e32 v3, v40, v5
	;; [unrolled: 1-line block ×3, first 2 shown]
	v_fmac_f32_e32 v87, v43, v6
	s_waitcnt vmcnt(9) lgkmcnt(8)
	v_mul_f32_e32 v88, v44, v9
	s_waitcnt vmcnt(5)
	v_mov_b32_e32 v86, v27
	v_mul_f32_e32 v89, v46, v11
	s_waitcnt lgkmcnt(7)
	v_mul_f32_e32 v91, v50, v15
	v_mul_f32_e32 v7, v43, v7
	;; [unrolled: 1-line block ×5, first 2 shown]
	v_fmac_f32_e32 v3, v41, v4
	v_fma_f32 v40, v40, v4, -v5
	s_waitcnt lgkmcnt(4)
	v_pk_mul_f32 v[4:5], v[62:63], v[86:87] op_sel:[1,0] op_sel_hi:[0,0]
	v_fmac_f32_e32 v88, v45, v8
	v_fma_f32 v41, v42, v6, -v7
	v_fma_f32 v8, v44, v8, -v9
	;; [unrolled: 1-line block ×4, first 2 shown]
	v_add_f32_e32 v3, 0, v3
	v_add_f32_e32 v15, 0, v40
	v_pk_fma_f32 v[6:7], v[62:63], v[26:27], v[4:5] neg_lo:[0,0,1] neg_hi:[0,0,1]
	v_pk_fma_f32 v[4:5], v[62:63], v[26:27], v[4:5] op_sel_hi:[1,0,1]
	v_add_f32_e32 v3, v3, v87
	v_add_f32_e32 v4, v15, v41
	v_mul_f32_e32 v90, v48, v13
	v_mul_f32_e32 v13, v49, v13
	v_fmac_f32_e32 v89, v47, v10
	v_add_f32_e32 v3, v3, v88
	v_add_f32_e32 v4, v4, v8
	v_fmac_f32_e32 v90, v49, v12
	v_fma_f32 v10, v48, v12, -v13
	v_add_f32_e32 v3, v3, v89
	v_add_f32_e32 v4, v4, v9
	v_mul_f32_e32 v92, v52, v17
	v_mul_f32_e32 v17, v53, v17
	v_fmac_f32_e32 v91, v51, v14
	v_add_f32_e32 v3, v3, v90
	v_add_f32_e32 v4, v4, v10
	v_mul_f32_e32 v93, v54, v19
	v_mul_f32_e32 v19, v55, v19
	v_fmac_f32_e32 v92, v53, v16
	v_fma_f32 v12, v52, v16, -v17
	v_add_f32_e32 v3, v3, v91
	v_add_f32_e32 v4, v4, v11
	v_mul_f32_e32 v94, v56, v21
	v_mul_f32_e32 v21, v57, v21
	v_fmac_f32_e32 v93, v55, v18
	v_fma_f32 v13, v54, v18, -v19
	;; [unrolled: 6-line block ×4, first 2 shown]
	v_mov_b32_e32 v7, v5
	v_add_f32_e32 v5, v3, v94
	v_add_f32_e32 v4, v4, v14
	v_fmac_f32_e32 v85, v61, v24
	v_fma_f32 v84, v60, v24, -v25
	v_pk_add_f32 v[4:5], v[4:5], v[82:83]
	s_nop 0
	v_pk_add_f32 v[4:5], v[4:5], v[84:85]
	s_nop 0
	v_pk_add_f32 v[4:5], v[4:5], v[6:7]
	s_waitcnt vmcnt(4) lgkmcnt(3)
	v_pk_mul_f32 v[6:7], v[64:65], v[28:29] op_sel:[1,1] op_sel_hi:[0,1]
	v_pk_fma_f32 v[8:9], v[64:65], v[28:29], v[6:7] neg_lo:[0,0,1] neg_hi:[0,0,1]
	v_pk_fma_f32 v[6:7], v[64:65], v[28:29], v[6:7] op_sel_hi:[1,0,1]
	s_nop 0
	v_mov_b32_e32 v6, v31
	v_mov_b32_e32 v9, v7
	v_pk_mul_f32 v[6:7], v[66:67], v[6:7] op_sel:[1,0] op_sel_hi:[0,0]
	v_pk_add_f32 v[4:5], v[4:5], v[8:9]
	v_pk_fma_f32 v[8:9], v[66:67], v[30:31], v[6:7] neg_lo:[0,0,1] neg_hi:[0,0,1]
	v_pk_fma_f32 v[6:7], v[66:67], v[30:31], v[6:7] op_sel_hi:[1,0,1]
	s_nop 0
	v_mov_b32_e32 v9, v7
	s_waitcnt vmcnt(3) lgkmcnt(2)
	v_pk_mul_f32 v[6:7], v[68:69], v[32:33] op_sel:[1,1] op_sel_hi:[0,1]
	v_pk_add_f32 v[4:5], v[4:5], v[8:9]
	v_pk_fma_f32 v[8:9], v[68:69], v[32:33], v[6:7] neg_lo:[0,0,1] neg_hi:[0,0,1]
	v_pk_fma_f32 v[6:7], v[68:69], v[32:33], v[6:7] op_sel_hi:[1,0,1]
	s_nop 0
	v_mov_b32_e32 v6, v35
	v_mov_b32_e32 v9, v7
	v_pk_mul_f32 v[6:7], v[70:71], v[6:7] op_sel:[1,0] op_sel_hi:[0,0]
	v_pk_add_f32 v[4:5], v[4:5], v[8:9]
	v_pk_fma_f32 v[8:9], v[70:71], v[34:35], v[6:7] neg_lo:[0,0,1] neg_hi:[0,0,1]
	v_pk_fma_f32 v[6:7], v[70:71], v[34:35], v[6:7] op_sel_hi:[1,0,1]
	s_nop 0
	v_mov_b32_e32 v9, v7
	s_waitcnt vmcnt(2) lgkmcnt(1)
	v_pk_mul_f32 v[6:7], v[72:73], v[36:37] op_sel:[1,1] op_sel_hi:[0,1]
	v_pk_add_f32 v[4:5], v[4:5], v[8:9]
	;; [unrolled: 14-line block ×3, first 2 shown]
	v_pk_fma_f32 v[8:9], v[80:81], v[76:77], v[6:7] neg_lo:[0,0,1] neg_hi:[0,0,1]
	v_pk_fma_f32 v[6:7], v[80:81], v[76:77], v[6:7] op_sel_hi:[1,0,1]
	s_nop 0
	v_mov_b32_e32 v9, v7
	v_pk_add_f32 v[4:5], v[4:5], v[8:9]
	s_waitcnt vmcnt(0)
	v_pk_add_f32 v[4:5], v[78:79], v[4:5] neg_lo:[0,1] neg_hi:[0,1]
	scratch_store_dwordx2 off, v[4:5], off offset:304
	s_and_saveexec_b64 s[0:1], vcc
	s_cbranch_execz .LBB57_287
; %bb.286:
	scratch_load_dwordx2 v[4:5], off, off offset:296
	v_mov_b32_e32 v3, v2
	scratch_store_dwordx2 off, v[2:3], off offset:296
	s_waitcnt vmcnt(1)
	ds_write_b64 v1, v[4:5]
.LBB57_287:
	s_or_b64 exec, exec, s[0:1]
	s_waitcnt lgkmcnt(0)
	; wave barrier
	scratch_load_dwordx4 v[4:7], off, off offset:304
	scratch_load_dwordx4 v[8:11], off, off offset:320
	;; [unrolled: 1-line block ×7, first 2 shown]
	ds_read_b128 v[32:35], v2 offset:768
	ds_read_b128 v[36:39], v2 offset:784
	ds_read_b128 v[40:43], v2 offset:800
	ds_read_b128 v[44:47], v2 offset:816
	ds_read_b128 v[48:51], v2 offset:832
	ds_read_b128 v[52:55], v2 offset:848
	scratch_load_dwordx4 v[56:59], off, off offset:416
	scratch_load_dwordx4 v[60:63], off, off offset:432
	;; [unrolled: 1-line block ×3, first 2 shown]
	ds_read_b128 v[68:71], v2 offset:864
	ds_read_b128 v[72:75], v2 offset:880
	;; [unrolled: 1-line block ×4, first 2 shown]
	scratch_load_dwordx2 v[2:3], off, off offset:296
	v_cmp_lt_u32_e32 vcc, 36, v0
	s_waitcnt vmcnt(10) lgkmcnt(9)
	v_mul_f32_e32 v90, v32, v5
	v_mul_f32_e32 v5, v33, v5
	;; [unrolled: 1-line block ×3, first 2 shown]
	s_waitcnt vmcnt(9) lgkmcnt(8)
	v_mul_f32_e32 v92, v36, v9
	s_waitcnt vmcnt(8) lgkmcnt(7)
	v_mul_f32_e32 v95, v42, v15
	v_mul_f32_e32 v7, v35, v7
	;; [unrolled: 1-line block ×4, first 2 shown]
	v_fmac_f32_e32 v90, v33, v4
	v_fma_f32 v4, v32, v4, -v5
	v_fmac_f32_e32 v91, v35, v6
	v_fmac_f32_e32 v95, v43, v14
	v_fma_f32 v5, v34, v6, -v7
	v_fma_f32 v6, v36, v8, -v9
	;; [unrolled: 1-line block ×3, first 2 shown]
	v_add_f32_e32 v14, 0, v90
	v_add_f32_e32 v4, 0, v4
	v_mul_f32_e32 v93, v38, v11
	v_mul_f32_e32 v11, v39, v11
	v_fmac_f32_e32 v92, v37, v8
	v_add_f32_e32 v14, v14, v91
	v_add_f32_e32 v4, v4, v5
	v_mul_f32_e32 v94, v40, v13
	v_mul_f32_e32 v13, v41, v13
	v_fmac_f32_e32 v93, v39, v10
	v_fma_f32 v7, v38, v10, -v11
	v_add_f32_e32 v5, v14, v92
	v_add_f32_e32 v4, v4, v6
	v_fmac_f32_e32 v94, v41, v12
	v_fma_f32 v8, v40, v12, -v13
	v_add_f32_e32 v5, v5, v93
	v_add_f32_e32 v4, v4, v7
	s_waitcnt vmcnt(7) lgkmcnt(6)
	v_mul_f32_e32 v96, v44, v17
	v_mul_f32_e32 v17, v45, v17
	v_add_f32_e32 v5, v5, v94
	v_add_f32_e32 v4, v4, v8
	v_mul_f32_e32 v97, v46, v19
	v_mul_f32_e32 v19, v47, v19
	v_fmac_f32_e32 v96, v45, v16
	v_fma_f32 v10, v44, v16, -v17
	v_add_f32_e32 v5, v5, v95
	v_add_f32_e32 v4, v4, v9
	s_waitcnt vmcnt(6) lgkmcnt(5)
	v_mul_f32_e32 v98, v48, v21
	v_mul_f32_e32 v21, v49, v21
	v_fmac_f32_e32 v97, v47, v18
	v_fma_f32 v11, v46, v18, -v19
	v_add_f32_e32 v5, v5, v96
	v_add_f32_e32 v4, v4, v10
	v_mul_f32_e32 v99, v50, v23
	v_mul_f32_e32 v23, v51, v23
	v_fmac_f32_e32 v98, v49, v20
	v_fma_f32 v12, v48, v20, -v21
	v_add_f32_e32 v5, v5, v97
	v_add_f32_e32 v4, v4, v11
	s_waitcnt vmcnt(5) lgkmcnt(4)
	v_mul_f32_e32 v85, v52, v25
	v_mul_f32_e32 v25, v53, v25
	v_fmac_f32_e32 v99, v51, v22
	v_fma_f32 v13, v50, v22, -v23
	v_add_f32_e32 v5, v5, v98
	v_add_f32_e32 v4, v4, v12
	v_mul_f32_e32 v87, v54, v27
	v_mul_f32_e32 v27, v55, v27
	s_waitcnt vmcnt(4) lgkmcnt(3)
	v_pk_mul_f32 v[88:89], v[68:69], v[28:29] op_sel:[1,1] op_sel_hi:[0,1]
	v_fmac_f32_e32 v85, v53, v24
	v_fma_f32 v84, v52, v24, -v25
	v_add_f32_e32 v5, v5, v99
	v_add_f32_e32 v4, v4, v13
	v_fmac_f32_e32 v87, v55, v26
	v_fma_f32 v86, v54, v26, -v27
	v_pk_add_f32 v[4:5], v[4:5], v[84:85]
	v_pk_fma_f32 v[6:7], v[68:69], v[28:29], v[88:89] neg_lo:[0,0,1] neg_hi:[0,0,1]
	v_pk_fma_f32 v[8:9], v[68:69], v[28:29], v[88:89] op_sel_hi:[1,0,1]
	v_pk_add_f32 v[4:5], v[4:5], v[86:87]
	v_mov_b32_e32 v7, v9
	v_pk_add_f32 v[4:5], v[4:5], v[6:7]
	v_mov_b32_e32 v6, v31
	v_pk_mul_f32 v[6:7], v[70:71], v[6:7] op_sel:[1,0] op_sel_hi:[0,0]
	v_pk_fma_f32 v[8:9], v[70:71], v[30:31], v[6:7] neg_lo:[0,0,1] neg_hi:[0,0,1]
	v_pk_fma_f32 v[6:7], v[70:71], v[30:31], v[6:7] op_sel_hi:[1,0,1]
	s_nop 0
	v_mov_b32_e32 v9, v7
	s_waitcnt vmcnt(3) lgkmcnt(2)
	v_pk_mul_f32 v[6:7], v[72:73], v[56:57] op_sel:[1,1] op_sel_hi:[0,1]
	v_pk_add_f32 v[4:5], v[4:5], v[8:9]
	v_pk_fma_f32 v[8:9], v[72:73], v[56:57], v[6:7] neg_lo:[0,0,1] neg_hi:[0,0,1]
	v_pk_fma_f32 v[6:7], v[72:73], v[56:57], v[6:7] op_sel_hi:[1,0,1]
	s_nop 0
	v_mov_b32_e32 v6, v59
	v_mov_b32_e32 v9, v7
	v_pk_mul_f32 v[6:7], v[74:75], v[6:7] op_sel:[1,0] op_sel_hi:[0,0]
	v_pk_add_f32 v[4:5], v[4:5], v[8:9]
	v_pk_fma_f32 v[8:9], v[74:75], v[58:59], v[6:7] neg_lo:[0,0,1] neg_hi:[0,0,1]
	v_pk_fma_f32 v[6:7], v[74:75], v[58:59], v[6:7] op_sel_hi:[1,0,1]
	s_nop 0
	v_mov_b32_e32 v9, v7
	s_waitcnt vmcnt(2) lgkmcnt(1)
	v_pk_mul_f32 v[6:7], v[76:77], v[60:61] op_sel:[1,1] op_sel_hi:[0,1]
	v_pk_add_f32 v[4:5], v[4:5], v[8:9]
	v_pk_fma_f32 v[8:9], v[76:77], v[60:61], v[6:7] neg_lo:[0,0,1] neg_hi:[0,0,1]
	v_pk_fma_f32 v[6:7], v[76:77], v[60:61], v[6:7] op_sel_hi:[1,0,1]
	s_nop 0
	v_mov_b32_e32 v6, v63
	v_mov_b32_e32 v9, v7
	v_pk_mul_f32 v[6:7], v[78:79], v[6:7] op_sel:[1,0] op_sel_hi:[0,0]
	v_pk_add_f32 v[4:5], v[4:5], v[8:9]
	;; [unrolled: 14-line block ×3, first 2 shown]
	v_pk_fma_f32 v[8:9], v[82:83], v[66:67], v[6:7] neg_lo:[0,0,1] neg_hi:[0,0,1]
	v_pk_fma_f32 v[6:7], v[82:83], v[66:67], v[6:7] op_sel_hi:[1,0,1]
	s_nop 0
	v_mov_b32_e32 v9, v7
	v_pk_add_f32 v[4:5], v[4:5], v[8:9]
	s_waitcnt vmcnt(0)
	v_pk_add_f32 v[2:3], v[2:3], v[4:5] neg_lo:[0,1] neg_hi:[0,1]
	scratch_store_dwordx2 off, v[2:3], off offset:296
	s_and_saveexec_b64 s[0:1], vcc
	s_cbranch_execz .LBB57_289
; %bb.288:
	scratch_load_dwordx2 v[2:3], off, off offset:288
	v_mov_b32_e32 v4, 0
	v_mov_b32_e32 v5, v4
	scratch_store_dwordx2 off, v[4:5], off offset:288
	s_waitcnt vmcnt(1)
	ds_write_b64 v1, v[2:3]
.LBB57_289:
	s_or_b64 exec, exec, s[0:1]
	s_waitcnt lgkmcnt(0)
	; wave barrier
	scratch_load_dwordx4 v[2:5], off, off offset:296
	scratch_load_dwordx4 v[8:11], off, off offset:312
	;; [unrolled: 1-line block ×10, first 2 shown]
	scratch_load_dwordx2 v[76:77], off, off offset:456
	scratch_load_dwordx2 v[78:79], off, off offset:288
	v_mov_b32_e32 v6, 0
	ds_read2_b64 v[44:47], v6 offset0:95 offset1:96
	ds_read2_b64 v[48:51], v6 offset0:97 offset1:98
	;; [unrolled: 1-line block ×8, first 2 shown]
	v_cmp_lt_u32_e32 vcc, 35, v0
	s_waitcnt vmcnt(11) lgkmcnt(7)
	v_mul_f32_e32 v7, v44, v3
	v_mul_f32_e32 v3, v45, v3
	;; [unrolled: 1-line block ×4, first 2 shown]
	v_fmac_f32_e32 v7, v45, v2
	v_fma_f32 v2, v44, v2, -v3
	s_waitcnt vmcnt(10) lgkmcnt(6)
	v_mul_f32_e32 v82, v48, v9
	v_mul_f32_e32 v9, v49, v9
	v_fma_f32 v3, v46, v4, -v5
	v_add_f32_e32 v2, 0, v2
	v_mul_f32_e32 v84, v50, v11
	v_mul_f32_e32 v11, v51, v11
	v_fmac_f32_e32 v80, v47, v4
	v_fma_f32 v4, v48, v8, -v9
	v_add_f32_e32 v7, 0, v7
	v_add_f32_e32 v2, v2, v3
	s_waitcnt vmcnt(9) lgkmcnt(5)
	v_mul_f32_e32 v85, v52, v13
	v_mul_f32_e32 v13, v53, v13
	v_fmac_f32_e32 v82, v49, v8
	v_fma_f32 v5, v50, v10, -v11
	v_add_f32_e32 v7, v7, v80
	v_add_f32_e32 v2, v2, v4
	v_mul_f32_e32 v86, v54, v15
	v_mul_f32_e32 v15, v55, v15
	v_fmac_f32_e32 v84, v51, v10
	v_fma_f32 v8, v52, v12, -v13
	v_add_f32_e32 v3, v7, v82
	v_add_f32_e32 v2, v2, v5
	s_waitcnt vmcnt(8) lgkmcnt(4)
	v_mul_f32_e32 v87, v56, v17
	v_mul_f32_e32 v17, v57, v17
	v_fmac_f32_e32 v85, v53, v12
	v_fma_f32 v9, v54, v14, -v15
	v_add_f32_e32 v3, v3, v84
	v_add_f32_e32 v2, v2, v8
	v_mul_f32_e32 v88, v58, v19
	v_mul_f32_e32 v19, v59, v19
	v_fmac_f32_e32 v86, v55, v14
	v_fma_f32 v10, v56, v16, -v17
	v_add_f32_e32 v3, v3, v85
	v_add_f32_e32 v2, v2, v9
	s_waitcnt vmcnt(7) lgkmcnt(3)
	v_mul_f32_e32 v89, v60, v21
	v_mul_f32_e32 v21, v61, v21
	v_fmac_f32_e32 v87, v57, v16
	v_fma_f32 v11, v58, v18, -v19
	v_add_f32_e32 v3, v3, v86
	v_add_f32_e32 v2, v2, v10
	v_mul_f32_e32 v90, v62, v23
	v_mul_f32_e32 v23, v63, v23
	v_fmac_f32_e32 v88, v59, v18
	v_fma_f32 v12, v60, v20, -v21
	v_add_f32_e32 v3, v3, v87
	v_add_f32_e32 v2, v2, v11
	s_waitcnt vmcnt(6) lgkmcnt(2)
	v_mul_f32_e32 v91, v64, v25
	v_mul_f32_e32 v25, v65, v25
	v_fmac_f32_e32 v89, v61, v20
	v_fma_f32 v13, v62, v22, -v23
	v_add_f32_e32 v3, v3, v88
	v_add_f32_e32 v2, v2, v12
	v_fmac_f32_e32 v90, v63, v22
	v_fma_f32 v14, v64, v24, -v25
	v_add_f32_e32 v3, v3, v89
	v_add_f32_e32 v2, v2, v13
	v_mul_f32_e32 v81, v66, v27
	v_fmac_f32_e32 v91, v65, v24
	v_add_f32_e32 v3, v3, v90
	v_add_f32_e32 v12, v2, v14
	v_mul_f32_e32 v2, v67, v27
	s_waitcnt vmcnt(5)
	v_mov_b32_e32 v16, v31
	s_waitcnt lgkmcnt(1)
	v_mul_f32_e32 v83, v68, v29
	v_fmac_f32_e32 v81, v67, v26
	v_add_f32_e32 v13, v3, v91
	v_fma_f32 v80, v66, v26, -v2
	v_mul_f32_e32 v2, v69, v29
	v_pk_mul_f32 v[16:17], v[70:71], v[16:17] op_sel:[1,0] op_sel_hi:[0,0]
	v_fmac_f32_e32 v83, v69, v28
	v_fma_f32 v82, v68, v28, -v2
	v_pk_add_f32 v[12:13], v[12:13], v[80:81]
	v_pk_fma_f32 v[18:19], v[70:71], v[30:31], v[16:17] neg_lo:[0,0,1] neg_hi:[0,0,1]
	v_pk_fma_f32 v[16:17], v[70:71], v[30:31], v[16:17] op_sel_hi:[1,0,1]
	v_pk_add_f32 v[12:13], v[12:13], v[82:83]
	v_mov_b32_e32 v19, v17
	s_waitcnt vmcnt(4) lgkmcnt(0)
	v_pk_mul_f32 v[16:17], v[72:73], v[32:33] op_sel:[1,1] op_sel_hi:[0,1]
	v_pk_add_f32 v[12:13], v[12:13], v[18:19]
	v_pk_fma_f32 v[18:19], v[72:73], v[32:33], v[16:17] neg_lo:[0,0,1] neg_hi:[0,0,1]
	v_pk_fma_f32 v[16:17], v[72:73], v[32:33], v[16:17] op_sel_hi:[1,0,1]
	ds_read2_b64 v[2:5], v6 offset0:111 offset1:112
	ds_read2_b64 v[8:11], v6 offset0:113 offset1:114
	ds_read_b64 v[14:15], v6 offset:920
	v_mov_b32_e32 v16, v35
	v_mov_b32_e32 v19, v17
	v_pk_mul_f32 v[16:17], v[74:75], v[16:17] op_sel:[1,0] op_sel_hi:[0,0]
	v_pk_add_f32 v[12:13], v[12:13], v[18:19]
	v_pk_fma_f32 v[18:19], v[74:75], v[34:35], v[16:17] neg_lo:[0,0,1] neg_hi:[0,0,1]
	v_pk_fma_f32 v[16:17], v[74:75], v[34:35], v[16:17] op_sel_hi:[1,0,1]
	s_nop 0
	v_mov_b32_e32 v19, v17
	s_waitcnt vmcnt(3) lgkmcnt(2)
	v_pk_mul_f32 v[16:17], v[2:3], v[36:37] op_sel:[1,1] op_sel_hi:[0,1]
	v_pk_add_f32 v[12:13], v[12:13], v[18:19]
	v_pk_fma_f32 v[18:19], v[2:3], v[36:37], v[16:17] neg_lo:[0,0,1] neg_hi:[0,0,1]
	v_pk_fma_f32 v[2:3], v[2:3], v[36:37], v[16:17] op_sel_hi:[1,0,1]
	s_nop 0
	v_mov_b32_e32 v19, v3
	v_pk_add_f32 v[2:3], v[12:13], v[18:19]
	v_mov_b32_e32 v12, v39
	v_pk_mul_f32 v[12:13], v[4:5], v[12:13] op_sel:[1,0] op_sel_hi:[0,0]
	v_pk_fma_f32 v[16:17], v[4:5], v[38:39], v[12:13] neg_lo:[0,0,1] neg_hi:[0,0,1]
	v_pk_fma_f32 v[4:5], v[4:5], v[38:39], v[12:13] op_sel_hi:[1,0,1]
	s_nop 0
	v_mov_b32_e32 v17, v5
	s_waitcnt vmcnt(2) lgkmcnt(1)
	v_pk_mul_f32 v[4:5], v[8:9], v[40:41] op_sel:[1,1] op_sel_hi:[0,1]
	v_pk_fma_f32 v[12:13], v[8:9], v[40:41], v[4:5] neg_lo:[0,0,1] neg_hi:[0,0,1]
	v_pk_fma_f32 v[4:5], v[8:9], v[40:41], v[4:5] op_sel_hi:[1,0,1]
	v_pk_add_f32 v[2:3], v[2:3], v[16:17]
	v_mov_b32_e32 v4, v43
	v_mov_b32_e32 v13, v5
	v_pk_mul_f32 v[4:5], v[10:11], v[4:5] op_sel:[1,0] op_sel_hi:[0,0]
	v_pk_fma_f32 v[8:9], v[10:11], v[42:43], v[4:5] neg_lo:[0,0,1] neg_hi:[0,0,1]
	v_pk_fma_f32 v[4:5], v[10:11], v[42:43], v[4:5] op_sel_hi:[1,0,1]
	v_pk_add_f32 v[2:3], v[2:3], v[12:13]
	v_mov_b32_e32 v9, v5
	s_waitcnt vmcnt(1) lgkmcnt(0)
	v_pk_mul_f32 v[4:5], v[14:15], v[76:77] op_sel:[1,1] op_sel_hi:[0,1]
	v_pk_add_f32 v[2:3], v[2:3], v[8:9]
	v_pk_fma_f32 v[8:9], v[14:15], v[76:77], v[4:5] neg_lo:[0,0,1] neg_hi:[0,0,1]
	v_pk_fma_f32 v[4:5], v[14:15], v[76:77], v[4:5] op_sel_hi:[1,0,1]
	s_nop 0
	v_mov_b32_e32 v9, v5
	v_pk_add_f32 v[2:3], v[2:3], v[8:9]
	s_waitcnt vmcnt(0)
	v_pk_add_f32 v[2:3], v[78:79], v[2:3] neg_lo:[0,1] neg_hi:[0,1]
	scratch_store_dwordx2 off, v[2:3], off offset:288
	s_and_saveexec_b64 s[0:1], vcc
	s_cbranch_execz .LBB57_291
; %bb.290:
	scratch_load_dwordx2 v[2:3], off, off offset:280
	v_mov_b32_e32 v7, v6
	scratch_store_dwordx2 off, v[6:7], off offset:280
	s_waitcnt vmcnt(1)
	ds_write_b64 v1, v[2:3]
.LBB57_291:
	s_or_b64 exec, exec, s[0:1]
	s_waitcnt lgkmcnt(0)
	; wave barrier
	scratch_load_dwordx4 v[8:11], off, off offset:288
	scratch_load_dwordx4 v[12:15], off, off offset:304
	;; [unrolled: 1-line block ×7, first 2 shown]
	ds_read_b128 v[36:39], v6 offset:752
	ds_read_b128 v[40:43], v6 offset:768
	;; [unrolled: 1-line block ×6, first 2 shown]
	scratch_load_dwordx4 v[60:63], off, off offset:400
	scratch_load_dwordx4 v[64:67], off, off offset:416
	;; [unrolled: 1-line block ×4, first 2 shown]
	ds_read_b128 v[72:75], v6 offset:848
	ds_read_b128 v[76:79], v6 offset:864
	scratch_load_dwordx2 v[80:81], off, off offset:280
	v_cmp_lt_u32_e32 vcc, 34, v0
	s_waitcnt vmcnt(11) lgkmcnt(7)
	v_mul_f32_e32 v7, v36, v9
	v_mul_f32_e32 v82, v38, v11
	;; [unrolled: 1-line block ×3, first 2 shown]
	v_fmac_f32_e32 v7, v37, v8
	s_waitcnt vmcnt(10) lgkmcnt(6)
	v_mul_f32_e32 v84, v40, v13
	v_mul_f32_e32 v11, v39, v11
	v_fmac_f32_e32 v82, v39, v10
	v_fma_f32 v8, v36, v8, -v9
	v_add_f32_e32 v7, 0, v7
	v_mul_f32_e32 v86, v42, v15
	v_mul_f32_e32 v13, v41, v13
	v_fmac_f32_e32 v84, v41, v12
	v_fma_f32 v9, v38, v10, -v11
	v_add_f32_e32 v8, 0, v8
	v_add_f32_e32 v7, v7, v82
	s_waitcnt vmcnt(9) lgkmcnt(5)
	v_mul_f32_e32 v87, v44, v17
	v_mul_f32_e32 v15, v43, v15
	v_fmac_f32_e32 v86, v43, v14
	v_fma_f32 v10, v40, v12, -v13
	v_add_f32_e32 v8, v8, v9
	v_add_f32_e32 v7, v7, v84
	v_mul_f32_e32 v88, v46, v19
	v_mul_f32_e32 v17, v45, v17
	v_fmac_f32_e32 v87, v45, v16
	v_fma_f32 v11, v42, v14, -v15
	v_add_f32_e32 v8, v8, v10
	v_add_f32_e32 v7, v7, v86
	s_waitcnt vmcnt(8) lgkmcnt(4)
	v_mul_f32_e32 v89, v48, v21
	v_mul_f32_e32 v19, v47, v19
	v_fmac_f32_e32 v88, v47, v18
	v_fma_f32 v12, v44, v16, -v17
	v_add_f32_e32 v8, v8, v11
	;; [unrolled: 13-line block ×4, first 2 shown]
	v_add_f32_e32 v7, v7, v91
	v_mul_f32_e32 v94, v58, v31
	v_mul_f32_e32 v29, v57, v29
	v_fmac_f32_e32 v93, v57, v28
	v_fma_f32 v17, v54, v26, -v27
	v_add_f32_e32 v8, v8, v16
	v_add_f32_e32 v7, v7, v92
	v_fmac_f32_e32 v94, v59, v30
	v_fma_f32 v18, v56, v28, -v29
	v_add_f32_e32 v8, v8, v17
	v_add_f32_e32 v7, v7, v93
	;; [unrolled: 1-line block ×4, first 2 shown]
	v_mul_f32_e32 v8, v59, v31
	v_fma_f32 v8, v58, v30, -v8
	s_waitcnt vmcnt(5) lgkmcnt(1)
	v_mul_f32_e32 v83, v72, v33
	v_add_f32_e32 v20, v7, v8
	v_mul_f32_e32 v7, v73, v33
	v_fmac_f32_e32 v83, v73, v32
	v_fma_f32 v82, v72, v32, -v7
	v_mul_f32_e32 v7, v75, v35
	v_fma_f32 v84, v74, v34, -v7
	ds_read_b128 v[8:11], v6 offset:880
	ds_read_b128 v[12:15], v6 offset:896
	;; [unrolled: 1-line block ×3, first 2 shown]
	v_pk_add_f32 v[6:7], v[20:21], v[82:83]
	s_waitcnt vmcnt(4) lgkmcnt(3)
	v_pk_mul_f32 v[20:21], v[76:77], v[60:61] op_sel:[1,1] op_sel_hi:[0,1]
	v_mul_f32_e32 v85, v74, v35
	v_pk_fma_f32 v[22:23], v[76:77], v[60:61], v[20:21] neg_lo:[0,0,1] neg_hi:[0,0,1]
	v_pk_fma_f32 v[20:21], v[76:77], v[60:61], v[20:21] op_sel_hi:[1,0,1]
	v_fmac_f32_e32 v85, v75, v34
	v_mov_b32_e32 v20, v63
	v_pk_add_f32 v[6:7], v[6:7], v[84:85]
	v_mov_b32_e32 v23, v21
	v_pk_mul_f32 v[20:21], v[78:79], v[20:21] op_sel:[1,0] op_sel_hi:[0,0]
	v_pk_add_f32 v[6:7], v[6:7], v[22:23]
	v_pk_fma_f32 v[22:23], v[78:79], v[62:63], v[20:21] neg_lo:[0,0,1] neg_hi:[0,0,1]
	v_pk_fma_f32 v[20:21], v[78:79], v[62:63], v[20:21] op_sel_hi:[1,0,1]
	s_nop 0
	v_mov_b32_e32 v23, v21
	s_waitcnt vmcnt(3) lgkmcnt(2)
	v_pk_mul_f32 v[20:21], v[8:9], v[64:65] op_sel:[1,1] op_sel_hi:[0,1]
	v_pk_add_f32 v[6:7], v[6:7], v[22:23]
	v_pk_fma_f32 v[22:23], v[8:9], v[64:65], v[20:21] neg_lo:[0,0,1] neg_hi:[0,0,1]
	v_pk_fma_f32 v[8:9], v[8:9], v[64:65], v[20:21] op_sel_hi:[1,0,1]
	s_nop 0
	v_mov_b32_e32 v8, v67
	v_mov_b32_e32 v23, v9
	v_pk_mul_f32 v[8:9], v[10:11], v[8:9] op_sel:[1,0] op_sel_hi:[0,0]
	v_pk_fma_f32 v[20:21], v[10:11], v[66:67], v[8:9] neg_lo:[0,0,1] neg_hi:[0,0,1]
	v_pk_fma_f32 v[8:9], v[10:11], v[66:67], v[8:9] op_sel_hi:[1,0,1]
	v_pk_add_f32 v[6:7], v[6:7], v[22:23]
	v_mov_b32_e32 v21, v9
	s_waitcnt vmcnt(2) lgkmcnt(1)
	v_pk_mul_f32 v[8:9], v[12:13], v[68:69] op_sel:[1,1] op_sel_hi:[0,1]
	v_pk_fma_f32 v[10:11], v[12:13], v[68:69], v[8:9] neg_lo:[0,0,1] neg_hi:[0,0,1]
	v_pk_fma_f32 v[8:9], v[12:13], v[68:69], v[8:9] op_sel_hi:[1,0,1]
	v_pk_add_f32 v[6:7], v[6:7], v[20:21]
	v_mov_b32_e32 v8, v71
	v_mov_b32_e32 v11, v9
	v_pk_mul_f32 v[8:9], v[14:15], v[8:9] op_sel:[1,0] op_sel_hi:[0,0]
	v_pk_add_f32 v[6:7], v[6:7], v[10:11]
	v_pk_fma_f32 v[10:11], v[14:15], v[70:71], v[8:9] neg_lo:[0,0,1] neg_hi:[0,0,1]
	v_pk_fma_f32 v[8:9], v[14:15], v[70:71], v[8:9] op_sel_hi:[1,0,1]
	s_nop 0
	v_mov_b32_e32 v11, v9
	s_waitcnt vmcnt(1) lgkmcnt(0)
	v_pk_mul_f32 v[8:9], v[16:17], v[2:3] op_sel:[1,1] op_sel_hi:[0,1]
	v_pk_add_f32 v[6:7], v[6:7], v[10:11]
	v_pk_fma_f32 v[10:11], v[16:17], v[2:3], v[8:9] neg_lo:[0,0,1] neg_hi:[0,0,1]
	v_pk_fma_f32 v[2:3], v[16:17], v[2:3], v[8:9] op_sel_hi:[1,0,1]
	s_nop 0
	v_mov_b32_e32 v11, v3
	v_pk_add_f32 v[2:3], v[6:7], v[10:11]
	v_mov_b32_e32 v6, v5
	v_pk_mul_f32 v[6:7], v[18:19], v[6:7] op_sel:[1,0] op_sel_hi:[0,0]
	v_pk_fma_f32 v[8:9], v[18:19], v[4:5], v[6:7] neg_lo:[0,0,1] neg_hi:[0,0,1]
	v_pk_fma_f32 v[4:5], v[18:19], v[4:5], v[6:7] op_sel_hi:[1,0,1]
	s_nop 0
	v_mov_b32_e32 v9, v5
	v_pk_add_f32 v[2:3], v[2:3], v[8:9]
	s_waitcnt vmcnt(0)
	v_pk_add_f32 v[2:3], v[80:81], v[2:3] neg_lo:[0,1] neg_hi:[0,1]
	scratch_store_dwordx2 off, v[2:3], off offset:280
	s_and_saveexec_b64 s[0:1], vcc
	s_cbranch_execz .LBB57_293
; %bb.292:
	scratch_load_dwordx2 v[2:3], off, off offset:272
	v_mov_b32_e32 v4, 0
	v_mov_b32_e32 v5, v4
	scratch_store_dwordx2 off, v[4:5], off offset:272
	s_waitcnt vmcnt(1)
	ds_write_b64 v1, v[2:3]
.LBB57_293:
	s_or_b64 exec, exec, s[0:1]
	s_waitcnt lgkmcnt(0)
	; wave barrier
	scratch_load_dwordx4 v[2:5], off, off offset:280
	scratch_load_dwordx4 v[14:17], off, off offset:296
	;; [unrolled: 1-line block ×11, first 2 shown]
	scratch_load_dwordx2 v[22:23], off, off offset:456
	scratch_load_dwordx2 v[36:37], off, off offset:272
	v_mov_b32_e32 v38, 0
	ds_read2_b64 v[52:55], v38 offset0:93 offset1:94
	ds_read2_b64 v[56:59], v38 offset0:95 offset1:96
	;; [unrolled: 1-line block ×8, first 2 shown]
	v_cmp_lt_u32_e32 vcc, 33, v0
	s_waitcnt vmcnt(12) lgkmcnt(7)
	v_mul_f32_e32 v39, v52, v3
	v_mul_f32_e32 v84, v54, v5
	;; [unrolled: 1-line block ×3, first 2 shown]
	v_fmac_f32_e32 v39, v53, v2
	s_waitcnt vmcnt(8) lgkmcnt(3)
	v_mul_f32_e32 v93, v68, v19
	v_mul_f32_e32 v19, v69, v19
	;; [unrolled: 1-line block ×4, first 2 shown]
	v_fmac_f32_e32 v84, v55, v4
	v_fmac_f32_e32 v93, v69, v18
	v_fma_f32 v2, v52, v2, -v3
	v_fma_f32 v18, v68, v18, -v19
	v_add_f32_e32 v19, 0, v39
	v_mul_f32_e32 v88, v58, v17
	v_fmac_f32_e32 v86, v57, v14
	v_fma_f32 v3, v54, v4, -v5
	v_add_f32_e32 v2, 0, v2
	v_add_f32_e32 v19, v19, v84
	v_mul_f32_e32 v89, v60, v25
	v_fmac_f32_e32 v88, v59, v16
	v_add_f32_e32 v2, v2, v3
	v_add_f32_e32 v3, v19, v86
	v_mul_f32_e32 v90, v62, v27
	v_fmac_f32_e32 v89, v61, v24
	v_add_f32_e32 v3, v3, v88
	v_mul_f32_e32 v91, v64, v29
	v_mul_f32_e32 v15, v57, v15
	v_fmac_f32_e32 v90, v63, v26
	v_add_f32_e32 v3, v3, v89
	v_mul_f32_e32 v92, v66, v31
	v_mul_f32_e32 v17, v59, v17
	v_fmac_f32_e32 v91, v65, v28
	v_fma_f32 v4, v56, v14, -v15
	v_add_f32_e32 v3, v3, v90
	v_mul_f32_e32 v25, v61, v25
	v_fmac_f32_e32 v92, v67, v30
	v_fma_f32 v5, v58, v16, -v17
	v_add_f32_e32 v2, v2, v4
	v_add_f32_e32 v3, v3, v91
	v_mul_f32_e32 v94, v70, v21
	v_mul_f32_e32 v27, v63, v27
	v_fma_f32 v14, v60, v24, -v25
	v_add_f32_e32 v2, v2, v5
	v_add_f32_e32 v3, v3, v92
	s_waitcnt vmcnt(7) lgkmcnt(2)
	v_mul_f32_e32 v95, v72, v33
	v_mul_f32_e32 v29, v65, v29
	v_fmac_f32_e32 v94, v71, v20
	v_fma_f32 v15, v62, v26, -v27
	v_add_f32_e32 v2, v2, v14
	v_add_f32_e32 v3, v3, v93
	v_mul_f32_e32 v96, v74, v35
	v_mul_f32_e32 v31, v67, v31
	v_fmac_f32_e32 v95, v73, v32
	v_fma_f32 v16, v64, v28, -v29
	v_add_f32_e32 v2, v2, v15
	v_add_f32_e32 v3, v3, v94
	s_waitcnt vmcnt(6) lgkmcnt(1)
	v_mul_f32_e32 v97, v76, v41
	v_fmac_f32_e32 v96, v75, v34
	v_fma_f32 v17, v66, v30, -v31
	v_add_f32_e32 v2, v2, v16
	v_add_f32_e32 v3, v3, v95
	v_mul_f32_e32 v21, v71, v21
	v_fmac_f32_e32 v97, v77, v40
	v_add_f32_e32 v2, v2, v17
	v_add_f32_e32 v3, v3, v96
	;; [unrolled: 1-line block ×4, first 2 shown]
	v_fma_f32 v3, v70, v20, -v21
	v_add_f32_e32 v2, v2, v3
	v_mul_f32_e32 v3, v73, v33
	v_fma_f32 v3, v72, v32, -v3
	v_add_f32_e32 v2, v2, v3
	v_mul_f32_e32 v3, v75, v35
	;; [unrolled: 3-line block ×4, first 2 shown]
	v_mul_f32_e32 v85, v78, v43
	v_fma_f32 v84, v78, v42, -v2
	s_waitcnt vmcnt(5) lgkmcnt(0)
	v_mul_f32_e32 v2, v81, v45
	v_mov_b32_e32 v28, v47
	v_mul_f32_e32 v87, v80, v45
	v_fmac_f32_e32 v85, v79, v42
	v_fma_f32 v86, v80, v44, -v2
	ds_read2_b64 v[2:5], v38 offset0:109 offset1:110
	ds_read2_b64 v[14:17], v38 offset0:111 offset1:112
	;; [unrolled: 1-line block ×3, first 2 shown]
	ds_read_b64 v[26:27], v38 offset:920
	v_pk_mul_f32 v[28:29], v[82:83], v[28:29] op_sel:[1,0] op_sel_hi:[0,0]
	v_fmac_f32_e32 v87, v81, v44
	v_pk_add_f32 v[24:25], v[24:25], v[84:85]
	v_pk_fma_f32 v[30:31], v[82:83], v[46:47], v[28:29] neg_lo:[0,0,1] neg_hi:[0,0,1]
	v_pk_fma_f32 v[28:29], v[82:83], v[46:47], v[28:29] op_sel_hi:[1,0,1]
	v_pk_add_f32 v[24:25], v[24:25], v[86:87]
	v_mov_b32_e32 v31, v29
	s_waitcnt vmcnt(4) lgkmcnt(3)
	v_pk_mul_f32 v[28:29], v[2:3], v[48:49] op_sel:[1,1] op_sel_hi:[0,1]
	v_pk_add_f32 v[24:25], v[24:25], v[30:31]
	v_pk_fma_f32 v[30:31], v[2:3], v[48:49], v[28:29] neg_lo:[0,0,1] neg_hi:[0,0,1]
	v_pk_fma_f32 v[2:3], v[2:3], v[48:49], v[28:29] op_sel_hi:[1,0,1]
	s_nop 0
	v_mov_b32_e32 v31, v3
	v_pk_add_f32 v[2:3], v[24:25], v[30:31]
	v_mov_b32_e32 v24, v51
	v_pk_mul_f32 v[24:25], v[4:5], v[24:25] op_sel:[1,0] op_sel_hi:[0,0]
	v_pk_fma_f32 v[28:29], v[4:5], v[50:51], v[24:25] neg_lo:[0,0,1] neg_hi:[0,0,1]
	v_pk_fma_f32 v[4:5], v[4:5], v[50:51], v[24:25] op_sel_hi:[1,0,1]
	s_nop 0
	v_mov_b32_e32 v29, v5
	s_waitcnt vmcnt(3) lgkmcnt(2)
	v_pk_mul_f32 v[4:5], v[14:15], v[10:11] op_sel:[1,1] op_sel_hi:[0,1]
	v_pk_fma_f32 v[24:25], v[14:15], v[10:11], v[4:5] neg_lo:[0,0,1] neg_hi:[0,0,1]
	v_pk_fma_f32 v[4:5], v[14:15], v[10:11], v[4:5] op_sel_hi:[1,0,1]
	v_pk_add_f32 v[2:3], v[2:3], v[28:29]
	v_mov_b32_e32 v4, v13
	v_mov_b32_e32 v25, v5
	v_pk_mul_f32 v[4:5], v[16:17], v[4:5] op_sel:[1,0] op_sel_hi:[0,0]
	v_pk_fma_f32 v[10:11], v[16:17], v[12:13], v[4:5] neg_lo:[0,0,1] neg_hi:[0,0,1]
	v_pk_fma_f32 v[4:5], v[16:17], v[12:13], v[4:5] op_sel_hi:[1,0,1]
	v_pk_add_f32 v[2:3], v[2:3], v[24:25]
	v_mov_b32_e32 v11, v5
	s_waitcnt vmcnt(2) lgkmcnt(1)
	v_pk_mul_f32 v[4:5], v[18:19], v[6:7] op_sel:[1,1] op_sel_hi:[0,1]
	v_pk_add_f32 v[2:3], v[2:3], v[10:11]
	v_pk_fma_f32 v[10:11], v[18:19], v[6:7], v[4:5] neg_lo:[0,0,1] neg_hi:[0,0,1]
	v_pk_fma_f32 v[4:5], v[18:19], v[6:7], v[4:5] op_sel_hi:[1,0,1]
	s_nop 0
	v_mov_b32_e32 v4, v9
	v_mov_b32_e32 v11, v5
	v_pk_mul_f32 v[4:5], v[20:21], v[4:5] op_sel:[1,0] op_sel_hi:[0,0]
	v_pk_fma_f32 v[6:7], v[20:21], v[8:9], v[4:5] neg_lo:[0,0,1] neg_hi:[0,0,1]
	v_pk_fma_f32 v[4:5], v[20:21], v[8:9], v[4:5] op_sel_hi:[1,0,1]
	v_pk_add_f32 v[2:3], v[2:3], v[10:11]
	v_mov_b32_e32 v7, v5
	s_waitcnt vmcnt(1) lgkmcnt(0)
	v_pk_mul_f32 v[4:5], v[26:27], v[22:23] op_sel:[1,1] op_sel_hi:[0,1]
	v_pk_add_f32 v[2:3], v[2:3], v[6:7]
	v_pk_fma_f32 v[6:7], v[26:27], v[22:23], v[4:5] neg_lo:[0,0,1] neg_hi:[0,0,1]
	v_pk_fma_f32 v[4:5], v[26:27], v[22:23], v[4:5] op_sel_hi:[1,0,1]
	s_nop 0
	v_mov_b32_e32 v7, v5
	v_pk_add_f32 v[2:3], v[2:3], v[6:7]
	s_waitcnt vmcnt(0)
	v_pk_add_f32 v[2:3], v[36:37], v[2:3] neg_lo:[0,1] neg_hi:[0,1]
	scratch_store_dwordx2 off, v[2:3], off offset:272
	s_and_saveexec_b64 s[0:1], vcc
	s_cbranch_execz .LBB57_295
; %bb.294:
	scratch_load_dwordx2 v[2:3], off, off offset:264
	v_mov_b32_e32 v39, v38
	scratch_store_dwordx2 off, v[38:39], off offset:264
	s_waitcnt vmcnt(1)
	ds_write_b64 v1, v[2:3]
.LBB57_295:
	s_or_b64 exec, exec, s[0:1]
	s_waitcnt lgkmcnt(0)
	; wave barrier
	scratch_load_dwordx4 v[6:9], off, off offset:272
	scratch_load_dwordx4 v[18:21], off, off offset:288
	scratch_load_dwordx4 v[34:37], off, off offset:304
	scratch_load_dwordx4 v[40:43], off, off offset:320
	scratch_load_dwordx4 v[14:17], off, off offset:336
	scratch_load_dwordx4 v[22:25], off, off offset:352
	scratch_load_dwordx4 v[30:33], off, off offset:368
	scratch_load_dwordx4 v[44:47], off, off offset:384
	ds_read_b128 v[48:51], v38 offset:736
	ds_read_b128 v[52:55], v38 offset:752
	;; [unrolled: 1-line block ×8, first 2 shown]
	scratch_load_dwordx4 v[80:83], off, off offset:400
	scratch_load_dwordx4 v[26:29], off, off offset:416
	;; [unrolled: 1-line block ×4, first 2 shown]
	scratch_load_dwordx2 v[84:85], off, off offset:264
	v_cmp_lt_u32_e32 vcc, 32, v0
	s_waitcnt vmcnt(12) lgkmcnt(7)
	v_mul_f32_e32 v39, v48, v7
	v_mul_f32_e32 v86, v50, v9
	;; [unrolled: 1-line block ×3, first 2 shown]
	v_fmac_f32_e32 v39, v49, v6
	s_waitcnt vmcnt(8) lgkmcnt(3)
	v_mul_f32_e32 v95, v64, v15
	v_mul_f32_e32 v15, v65, v15
	;; [unrolled: 1-line block ×4, first 2 shown]
	v_fmac_f32_e32 v86, v51, v8
	v_fmac_f32_e32 v95, v65, v14
	v_fma_f32 v6, v48, v6, -v7
	v_fma_f32 v14, v64, v14, -v15
	v_add_f32_e32 v15, 0, v39
	v_mul_f32_e32 v90, v54, v21
	v_fmac_f32_e32 v88, v53, v18
	v_fma_f32 v7, v50, v8, -v9
	v_add_f32_e32 v6, 0, v6
	v_add_f32_e32 v15, v15, v86
	v_mul_f32_e32 v91, v56, v35
	v_fmac_f32_e32 v90, v55, v20
	v_add_f32_e32 v6, v6, v7
	v_add_f32_e32 v7, v15, v88
	v_mul_f32_e32 v92, v58, v37
	v_fmac_f32_e32 v91, v57, v34
	v_add_f32_e32 v7, v7, v90
	v_mul_f32_e32 v93, v60, v41
	v_fmac_f32_e32 v92, v59, v36
	;; [unrolled: 3-line block ×4, first 2 shown]
	v_add_f32_e32 v7, v7, v93
	v_mul_f32_e32 v96, v66, v17
	v_mul_f32_e32 v21, v55, v21
	v_fma_f32 v8, v52, v18, -v19
	v_add_f32_e32 v7, v7, v94
	s_waitcnt vmcnt(7) lgkmcnt(2)
	v_mul_f32_e32 v97, v68, v23
	v_mul_f32_e32 v35, v57, v35
	v_fmac_f32_e32 v96, v67, v16
	v_fma_f32 v9, v54, v20, -v21
	v_add_f32_e32 v6, v6, v8
	v_add_f32_e32 v7, v7, v95
	v_mul_f32_e32 v98, v70, v25
	v_mul_f32_e32 v37, v59, v37
	v_fmac_f32_e32 v97, v69, v22
	v_fma_f32 v18, v56, v34, -v35
	v_add_f32_e32 v6, v6, v9
	v_add_f32_e32 v7, v7, v96
	s_waitcnt vmcnt(6) lgkmcnt(1)
	v_mul_f32_e32 v99, v72, v31
	v_mul_f32_e32 v41, v61, v41
	v_fmac_f32_e32 v98, v71, v24
	v_fma_f32 v19, v58, v36, -v37
	v_add_f32_e32 v6, v6, v18
	v_add_f32_e32 v7, v7, v97
	v_mul_f32_e32 v100, v74, v33
	v_mul_f32_e32 v43, v63, v43
	v_fmac_f32_e32 v99, v73, v30
	v_fma_f32 v20, v60, v40, -v41
	v_add_f32_e32 v6, v6, v19
	v_add_f32_e32 v7, v7, v98
	v_fmac_f32_e32 v100, v75, v32
	v_fma_f32 v21, v62, v42, -v43
	v_add_f32_e32 v6, v6, v20
	v_add_f32_e32 v7, v7, v99
	v_add_f32_e32 v6, v6, v21
	v_add_f32_e32 v35, v7, v100
	v_mul_f32_e32 v7, v67, v17
	v_add_f32_e32 v6, v6, v14
	v_fma_f32 v7, v66, v16, -v7
	v_add_f32_e32 v6, v6, v7
	v_mul_f32_e32 v7, v69, v23
	v_fma_f32 v7, v68, v22, -v7
	v_add_f32_e32 v6, v6, v7
	v_mul_f32_e32 v7, v71, v25
	;; [unrolled: 3-line block ×4, first 2 shown]
	v_fma_f32 v7, v74, v32, -v7
	v_add_f32_e32 v34, v6, v7
	s_waitcnt vmcnt(5) lgkmcnt(0)
	v_mul_f32_e32 v6, v77, v45
	v_fma_f32 v86, v76, v44, -v6
	v_mul_f32_e32 v6, v79, v47
	v_fma_f32 v88, v78, v46, -v6
	ds_read_b128 v[6:9], v38 offset:864
	ds_read_b128 v[14:17], v38 offset:880
	;; [unrolled: 1-line block ×4, first 2 shown]
	v_mul_f32_e32 v87, v76, v45
	v_mul_f32_e32 v89, v78, v47
	v_fmac_f32_e32 v87, v77, v44
	s_waitcnt vmcnt(4) lgkmcnt(3)
	v_pk_mul_f32 v[32:33], v[6:7], v[80:81] op_sel:[1,1] op_sel_hi:[0,1]
	v_fmac_f32_e32 v89, v79, v46
	v_pk_add_f32 v[30:31], v[34:35], v[86:87]
	v_pk_fma_f32 v[34:35], v[6:7], v[80:81], v[32:33] neg_lo:[0,0,1] neg_hi:[0,0,1]
	v_pk_fma_f32 v[6:7], v[6:7], v[80:81], v[32:33] op_sel_hi:[1,0,1]
	v_pk_add_f32 v[30:31], v[30:31], v[88:89]
	v_mov_b32_e32 v35, v7
	v_pk_add_f32 v[6:7], v[30:31], v[34:35]
	v_mov_b32_e32 v30, v83
	v_pk_mul_f32 v[30:31], v[8:9], v[30:31] op_sel:[1,0] op_sel_hi:[0,0]
	v_pk_fma_f32 v[32:33], v[8:9], v[82:83], v[30:31] neg_lo:[0,0,1] neg_hi:[0,0,1]
	v_pk_fma_f32 v[8:9], v[8:9], v[82:83], v[30:31] op_sel_hi:[1,0,1]
	s_nop 0
	v_mov_b32_e32 v33, v9
	s_waitcnt vmcnt(3) lgkmcnt(2)
	v_pk_mul_f32 v[8:9], v[14:15], v[26:27] op_sel:[1,1] op_sel_hi:[0,1]
	v_pk_fma_f32 v[30:31], v[14:15], v[26:27], v[8:9] neg_lo:[0,0,1] neg_hi:[0,0,1]
	v_pk_fma_f32 v[8:9], v[14:15], v[26:27], v[8:9] op_sel_hi:[1,0,1]
	v_pk_add_f32 v[6:7], v[6:7], v[32:33]
	v_mov_b32_e32 v8, v29
	v_mov_b32_e32 v31, v9
	v_pk_mul_f32 v[8:9], v[16:17], v[8:9] op_sel:[1,0] op_sel_hi:[0,0]
	v_pk_fma_f32 v[14:15], v[16:17], v[28:29], v[8:9] neg_lo:[0,0,1] neg_hi:[0,0,1]
	v_pk_fma_f32 v[8:9], v[16:17], v[28:29], v[8:9] op_sel_hi:[1,0,1]
	v_pk_add_f32 v[6:7], v[6:7], v[30:31]
	v_mov_b32_e32 v15, v9
	s_waitcnt vmcnt(2) lgkmcnt(1)
	v_pk_mul_f32 v[8:9], v[18:19], v[10:11] op_sel:[1,1] op_sel_hi:[0,1]
	v_pk_add_f32 v[6:7], v[6:7], v[14:15]
	v_pk_fma_f32 v[14:15], v[18:19], v[10:11], v[8:9] neg_lo:[0,0,1] neg_hi:[0,0,1]
	v_pk_fma_f32 v[8:9], v[18:19], v[10:11], v[8:9] op_sel_hi:[1,0,1]
	s_nop 0
	v_mov_b32_e32 v8, v13
	v_mov_b32_e32 v15, v9
	v_pk_mul_f32 v[8:9], v[20:21], v[8:9] op_sel:[1,0] op_sel_hi:[0,0]
	v_pk_fma_f32 v[10:11], v[20:21], v[12:13], v[8:9] neg_lo:[0,0,1] neg_hi:[0,0,1]
	v_pk_fma_f32 v[8:9], v[20:21], v[12:13], v[8:9] op_sel_hi:[1,0,1]
	v_pk_add_f32 v[6:7], v[6:7], v[14:15]
	v_mov_b32_e32 v11, v9
	s_waitcnt vmcnt(1) lgkmcnt(0)
	v_pk_mul_f32 v[8:9], v[22:23], v[2:3] op_sel:[1,1] op_sel_hi:[0,1]
	v_pk_add_f32 v[6:7], v[6:7], v[10:11]
	v_pk_fma_f32 v[10:11], v[22:23], v[2:3], v[8:9] neg_lo:[0,0,1] neg_hi:[0,0,1]
	v_pk_fma_f32 v[2:3], v[22:23], v[2:3], v[8:9] op_sel_hi:[1,0,1]
	s_nop 0
	v_mov_b32_e32 v11, v3
	v_pk_add_f32 v[2:3], v[6:7], v[10:11]
	v_mov_b32_e32 v6, v5
	v_pk_mul_f32 v[6:7], v[24:25], v[6:7] op_sel:[1,0] op_sel_hi:[0,0]
	v_pk_fma_f32 v[8:9], v[24:25], v[4:5], v[6:7] neg_lo:[0,0,1] neg_hi:[0,0,1]
	v_pk_fma_f32 v[4:5], v[24:25], v[4:5], v[6:7] op_sel_hi:[1,0,1]
	s_nop 0
	v_mov_b32_e32 v9, v5
	v_pk_add_f32 v[2:3], v[2:3], v[8:9]
	s_waitcnt vmcnt(0)
	v_pk_add_f32 v[2:3], v[84:85], v[2:3] neg_lo:[0,1] neg_hi:[0,1]
	scratch_store_dwordx2 off, v[2:3], off offset:264
	s_and_saveexec_b64 s[0:1], vcc
	s_cbranch_execz .LBB57_297
; %bb.296:
	scratch_load_dwordx2 v[2:3], off, off offset:256
	v_mov_b32_e32 v4, 0
	v_mov_b32_e32 v5, v4
	scratch_store_dwordx2 off, v[4:5], off offset:256
	s_waitcnt vmcnt(1)
	ds_write_b64 v1, v[2:3]
.LBB57_297:
	s_or_b64 exec, exec, s[0:1]
	s_waitcnt lgkmcnt(0)
	; wave barrier
	scratch_load_dwordx4 v[2:5], off, off offset:264
	scratch_load_dwordx4 v[22:25], off, off offset:280
	;; [unrolled: 1-line block ×12, first 2 shown]
	scratch_load_dwordx2 v[50:51], off, off offset:456
	scratch_load_dwordx2 v[56:57], off, off offset:256
	v_mov_b32_e32 v58, 0
	ds_read2_b64 v[52:55], v58 offset0:91 offset1:92
	ds_read2_b64 v[60:63], v58 offset0:93 offset1:94
	;; [unrolled: 1-line block ×10, first 2 shown]
	v_cmp_lt_u32_e32 vcc, 31, v0
	s_waitcnt vmcnt(13) lgkmcnt(9)
	v_mul_f32_e32 v59, v52, v3
	v_mul_f32_e32 v96, v54, v5
	;; [unrolled: 1-line block ×3, first 2 shown]
	s_waitcnt vmcnt(10) lgkmcnt(6)
	v_mul_f32_e32 v103, v68, v11
	v_mul_f32_e32 v11, v69, v11
	v_fmac_f32_e32 v59, v53, v2
	v_mul_f32_e32 v98, v60, v23
	v_mul_f32_e32 v5, v55, v5
	v_fmac_f32_e32 v96, v55, v4
	v_fmac_f32_e32 v103, v69, v10
	v_fma_f32 v2, v52, v2, -v3
	v_fma_f32 v10, v68, v10, -v11
	v_add_f32_e32 v11, 0, v59
	v_mul_f32_e32 v100, v62, v25
	v_fmac_f32_e32 v98, v61, v22
	v_fma_f32 v3, v54, v4, -v5
	v_add_f32_e32 v2, 0, v2
	v_add_f32_e32 v11, v11, v96
	v_mul_f32_e32 v101, v64, v39
	v_fmac_f32_e32 v100, v63, v24
	v_add_f32_e32 v2, v2, v3
	v_add_f32_e32 v3, v11, v98
	v_mul_f32_e32 v102, v66, v41
	v_fmac_f32_e32 v101, v65, v38
	v_add_f32_e32 v3, v3, v100
	v_fmac_f32_e32 v102, v67, v40
	v_add_f32_e32 v3, v3, v101
	v_mul_f32_e32 v104, v70, v13
	v_add_f32_e32 v3, v3, v102
	s_waitcnt vmcnt(9) lgkmcnt(5)
	v_mul_f32_e32 v105, v72, v15
	v_fmac_f32_e32 v104, v71, v12
	v_add_f32_e32 v3, v3, v103
	v_mul_f32_e32 v106, v74, v17
	v_fmac_f32_e32 v105, v73, v14
	v_add_f32_e32 v3, v3, v104
	s_waitcnt vmcnt(8) lgkmcnt(4)
	v_mul_f32_e32 v107, v76, v27
	v_fmac_f32_e32 v106, v75, v16
	v_add_f32_e32 v3, v3, v105
	v_mul_f32_e32 v108, v78, v29
	v_mul_f32_e32 v23, v61, v23
	v_fmac_f32_e32 v107, v77, v26
	v_add_f32_e32 v3, v3, v106
	s_waitcnt vmcnt(7) lgkmcnt(3)
	v_mul_f32_e32 v109, v80, v31
	v_mul_f32_e32 v25, v63, v25
	v_fmac_f32_e32 v108, v79, v28
	v_fma_f32 v4, v60, v22, -v23
	v_add_f32_e32 v3, v3, v107
	v_mul_f32_e32 v110, v82, v33
	v_mul_f32_e32 v39, v65, v39
	v_fmac_f32_e32 v109, v81, v30
	v_fma_f32 v5, v62, v24, -v25
	v_add_f32_e32 v2, v2, v4
	v_add_f32_e32 v3, v3, v108
	s_waitcnt vmcnt(6) lgkmcnt(2)
	v_mul_f32_e32 v111, v84, v43
	v_mul_f32_e32 v41, v67, v41
	v_fmac_f32_e32 v110, v83, v32
	v_fma_f32 v22, v64, v38, -v39
	v_add_f32_e32 v2, v2, v5
	v_add_f32_e32 v3, v3, v109
	v_fmac_f32_e32 v111, v85, v42
	v_fma_f32 v23, v66, v40, -v41
	v_add_f32_e32 v2, v2, v22
	v_add_f32_e32 v3, v3, v110
	;; [unrolled: 1-line block ×4, first 2 shown]
	v_mul_f32_e32 v3, v71, v13
	v_add_f32_e32 v2, v2, v10
	v_fma_f32 v3, v70, v12, -v3
	v_add_f32_e32 v2, v2, v3
	v_mul_f32_e32 v3, v73, v15
	v_fma_f32 v3, v72, v14, -v3
	v_add_f32_e32 v2, v2, v3
	v_mul_f32_e32 v3, v75, v17
	v_fma_f32 v3, v74, v16, -v3
	v_add_f32_e32 v2, v2, v3
	v_mul_f32_e32 v3, v77, v27
	v_fma_f32 v3, v76, v26, -v3
	v_add_f32_e32 v2, v2, v3
	v_mul_f32_e32 v3, v79, v29
	v_fma_f32 v3, v78, v28, -v3
	v_add_f32_e32 v2, v2, v3
	v_mul_f32_e32 v3, v81, v31
	v_fma_f32 v3, v80, v30, -v3
	v_add_f32_e32 v2, v2, v3
	v_mul_f32_e32 v3, v83, v33
	v_fma_f32 v3, v82, v32, -v3
	v_add_f32_e32 v2, v2, v3
	v_mul_f32_e32 v3, v85, v43
	v_fma_f32 v3, v84, v42, -v3
	v_mul_f32_e32 v97, v86, v45
	v_add_f32_e32 v22, v2, v3
	v_mul_f32_e32 v2, v87, v45
	v_fmac_f32_e32 v97, v87, v44
	v_fma_f32 v96, v86, v44, -v2
	v_pk_add_f32 v[16:17], v[22:23], v[96:97]
	s_waitcnt vmcnt(5)
	v_mov_b32_e32 v22, v49
	s_waitcnt lgkmcnt(1)
	v_mul_f32_e32 v99, v88, v47
	v_mul_f32_e32 v2, v89, v47
	v_pk_mul_f32 v[22:23], v[90:91], v[22:23] op_sel:[1,0] op_sel_hi:[0,0]
	v_fmac_f32_e32 v99, v89, v46
	v_fma_f32 v98, v88, v46, -v2
	v_pk_fma_f32 v[24:25], v[90:91], v[48:49], v[22:23] neg_lo:[0,0,1] neg_hi:[0,0,1]
	v_pk_fma_f32 v[22:23], v[90:91], v[48:49], v[22:23] op_sel_hi:[1,0,1]
	v_pk_add_f32 v[16:17], v[16:17], v[98:99]
	v_mov_b32_e32 v25, v23
	s_waitcnt vmcnt(4) lgkmcnt(0)
	v_pk_mul_f32 v[22:23], v[92:93], v[34:35] op_sel:[1,1] op_sel_hi:[0,1]
	v_pk_add_f32 v[16:17], v[16:17], v[24:25]
	v_pk_fma_f32 v[24:25], v[92:93], v[34:35], v[22:23] neg_lo:[0,0,1] neg_hi:[0,0,1]
	v_pk_fma_f32 v[22:23], v[92:93], v[34:35], v[22:23] op_sel_hi:[1,0,1]
	ds_read2_b64 v[2:5], v58 offset0:111 offset1:112
	ds_read2_b64 v[10:13], v58 offset0:113 offset1:114
	ds_read_b64 v[14:15], v58 offset:920
	v_mov_b32_e32 v22, v37
	v_mov_b32_e32 v25, v23
	v_pk_mul_f32 v[22:23], v[94:95], v[22:23] op_sel:[1,0] op_sel_hi:[0,0]
	v_pk_add_f32 v[16:17], v[16:17], v[24:25]
	v_pk_fma_f32 v[24:25], v[94:95], v[36:37], v[22:23] neg_lo:[0,0,1] neg_hi:[0,0,1]
	v_pk_fma_f32 v[22:23], v[94:95], v[36:37], v[22:23] op_sel_hi:[1,0,1]
	s_nop 0
	v_mov_b32_e32 v25, v23
	s_waitcnt vmcnt(3) lgkmcnt(2)
	v_pk_mul_f32 v[22:23], v[2:3], v[18:19] op_sel:[1,1] op_sel_hi:[0,1]
	v_pk_add_f32 v[16:17], v[16:17], v[24:25]
	v_pk_fma_f32 v[24:25], v[2:3], v[18:19], v[22:23] neg_lo:[0,0,1] neg_hi:[0,0,1]
	v_pk_fma_f32 v[2:3], v[2:3], v[18:19], v[22:23] op_sel_hi:[1,0,1]
	s_nop 0
	v_mov_b32_e32 v25, v3
	v_pk_add_f32 v[2:3], v[16:17], v[24:25]
	v_mov_b32_e32 v16, v21
	v_pk_mul_f32 v[16:17], v[4:5], v[16:17] op_sel:[1,0] op_sel_hi:[0,0]
	v_pk_fma_f32 v[18:19], v[4:5], v[20:21], v[16:17] neg_lo:[0,0,1] neg_hi:[0,0,1]
	v_pk_fma_f32 v[4:5], v[4:5], v[20:21], v[16:17] op_sel_hi:[1,0,1]
	s_nop 0
	v_mov_b32_e32 v19, v5
	s_waitcnt vmcnt(2) lgkmcnt(1)
	v_pk_mul_f32 v[4:5], v[10:11], v[6:7] op_sel:[1,1] op_sel_hi:[0,1]
	v_pk_fma_f32 v[16:17], v[10:11], v[6:7], v[4:5] neg_lo:[0,0,1] neg_hi:[0,0,1]
	v_pk_fma_f32 v[4:5], v[10:11], v[6:7], v[4:5] op_sel_hi:[1,0,1]
	v_pk_add_f32 v[2:3], v[2:3], v[18:19]
	v_mov_b32_e32 v4, v9
	v_mov_b32_e32 v17, v5
	v_pk_mul_f32 v[4:5], v[12:13], v[4:5] op_sel:[1,0] op_sel_hi:[0,0]
	v_pk_fma_f32 v[6:7], v[12:13], v[8:9], v[4:5] neg_lo:[0,0,1] neg_hi:[0,0,1]
	v_pk_fma_f32 v[4:5], v[12:13], v[8:9], v[4:5] op_sel_hi:[1,0,1]
	v_pk_add_f32 v[2:3], v[2:3], v[16:17]
	v_mov_b32_e32 v7, v5
	s_waitcnt vmcnt(1) lgkmcnt(0)
	v_pk_mul_f32 v[4:5], v[14:15], v[50:51] op_sel:[1,1] op_sel_hi:[0,1]
	v_pk_add_f32 v[2:3], v[2:3], v[6:7]
	v_pk_fma_f32 v[6:7], v[14:15], v[50:51], v[4:5] neg_lo:[0,0,1] neg_hi:[0,0,1]
	v_pk_fma_f32 v[4:5], v[14:15], v[50:51], v[4:5] op_sel_hi:[1,0,1]
	s_nop 0
	v_mov_b32_e32 v7, v5
	v_pk_add_f32 v[2:3], v[2:3], v[6:7]
	s_waitcnt vmcnt(0)
	v_pk_add_f32 v[2:3], v[56:57], v[2:3] neg_lo:[0,1] neg_hi:[0,1]
	scratch_store_dwordx2 off, v[2:3], off offset:256
	s_and_saveexec_b64 s[0:1], vcc
	s_cbranch_execz .LBB57_299
; %bb.298:
	scratch_load_dwordx2 v[2:3], off, off offset:248
	v_mov_b32_e32 v59, v58
	scratch_store_dwordx2 off, v[58:59], off offset:248
	s_waitcnt vmcnt(1)
	ds_write_b64 v1, v[2:3]
.LBB57_299:
	s_or_b64 exec, exec, s[0:1]
	s_waitcnt lgkmcnt(0)
	; wave barrier
	scratch_load_dwordx4 v[10:13], off, off offset:256
	scratch_load_dwordx4 v[26:29], off, off offset:272
	;; [unrolled: 1-line block ×9, first 2 shown]
	ds_read_b128 v[60:63], v58 offset:720
	ds_read_b128 v[64:67], v58 offset:736
	;; [unrolled: 1-line block ×8, first 2 shown]
	scratch_load_dwordx4 v[50:53], off, off offset:400
	scratch_load_dwordx4 v[34:37], off, off offset:416
	;; [unrolled: 1-line block ×4, first 2 shown]
	ds_read_b128 v[88:91], v58 offset:848
	ds_read_b128 v[92:95], v58 offset:864
	scratch_load_dwordx2 v[96:97], off, off offset:248
	v_cmp_lt_u32_e32 vcc, 30, v0
	s_waitcnt vmcnt(13) lgkmcnt(9)
	v_mul_f32_e32 v59, v60, v11
	v_mul_f32_e32 v98, v62, v13
	v_fmac_f32_e32 v59, v61, v10
	s_waitcnt vmcnt(10) lgkmcnt(6)
	v_mul_f32_e32 v105, v72, v3
	v_mul_f32_e32 v3, v73, v3
	;; [unrolled: 1-line block ×3, first 2 shown]
	v_fmac_f32_e32 v98, v63, v12
	v_fmac_f32_e32 v105, v73, v2
	v_fma_f32 v2, v72, v2, -v3
	v_add_f32_e32 v3, 0, v59
	v_mul_f32_e32 v102, v66, v29
	v_fmac_f32_e32 v100, v65, v26
	v_add_f32_e32 v3, v3, v98
	v_mul_f32_e32 v103, v68, v43
	v_fmac_f32_e32 v102, v67, v28
	;; [unrolled: 3-line block ×3, first 2 shown]
	v_add_f32_e32 v3, v3, v102
	v_fmac_f32_e32 v104, v71, v44
	v_add_f32_e32 v3, v3, v103
	v_mul_f32_e32 v106, v74, v5
	v_add_f32_e32 v3, v3, v104
	s_waitcnt vmcnt(9) lgkmcnt(5)
	v_mul_f32_e32 v107, v76, v15
	v_fmac_f32_e32 v106, v75, v4
	v_add_f32_e32 v3, v3, v105
	v_mul_f32_e32 v108, v78, v17
	v_fmac_f32_e32 v107, v77, v14
	v_add_f32_e32 v3, v3, v106
	s_waitcnt vmcnt(8) lgkmcnt(4)
	v_mul_f32_e32 v109, v80, v19
	v_mul_f32_e32 v11, v61, v11
	v_fmac_f32_e32 v108, v79, v16
	v_add_f32_e32 v3, v3, v107
	v_mul_f32_e32 v110, v82, v21
	v_mul_f32_e32 v13, v63, v13
	v_fmac_f32_e32 v109, v81, v18
	v_fma_f32 v10, v60, v10, -v11
	v_add_f32_e32 v3, v3, v108
	s_waitcnt vmcnt(7) lgkmcnt(3)
	v_mul_f32_e32 v111, v84, v31
	v_mul_f32_e32 v27, v65, v27
	v_fmac_f32_e32 v110, v83, v20
	v_fma_f32 v11, v62, v12, -v13
	v_add_f32_e32 v10, 0, v10
	v_add_f32_e32 v3, v3, v109
	v_mul_f32_e32 v112, v86, v33
	v_mul_f32_e32 v29, v67, v29
	v_fmac_f32_e32 v111, v85, v30
	v_fma_f32 v12, v64, v26, -v27
	v_add_f32_e32 v10, v10, v11
	v_add_f32_e32 v3, v3, v110
	s_waitcnt vmcnt(6) lgkmcnt(2)
	v_mul_f32_e32 v113, v54, v39
	v_mul_f32_e32 v43, v69, v43
	v_fmac_f32_e32 v112, v87, v32
	v_fma_f32 v13, v66, v28, -v29
	v_add_f32_e32 v10, v10, v12
	v_add_f32_e32 v3, v3, v111
	v_mul_f32_e32 v114, v56, v41
	v_mul_f32_e32 v45, v71, v45
	v_fmac_f32_e32 v113, v55, v38
	v_fma_f32 v26, v68, v42, -v43
	v_add_f32_e32 v10, v10, v13
	v_add_f32_e32 v3, v3, v112
	v_fmac_f32_e32 v114, v57, v40
	v_fma_f32 v27, v70, v44, -v45
	v_add_f32_e32 v10, v10, v26
	v_add_f32_e32 v3, v3, v113
	;; [unrolled: 1-line block ×4, first 2 shown]
	v_mul_f32_e32 v3, v75, v5
	v_add_f32_e32 v2, v10, v2
	v_fma_f32 v3, v74, v4, -v3
	v_add_f32_e32 v2, v2, v3
	v_mul_f32_e32 v3, v77, v15
	v_fma_f32 v3, v76, v14, -v3
	v_add_f32_e32 v2, v2, v3
	v_mul_f32_e32 v3, v79, v17
	;; [unrolled: 3-line block ×8, first 2 shown]
	v_fma_f32 v3, v56, v40, -v3
	s_waitcnt vmcnt(5) lgkmcnt(1)
	v_mul_f32_e32 v99, v88, v47
	v_add_f32_e32 v26, v2, v3
	v_mul_f32_e32 v2, v89, v47
	v_fmac_f32_e32 v99, v89, v46
	v_fma_f32 v98, v88, v46, -v2
	s_waitcnt vmcnt(4) lgkmcnt(0)
	v_pk_mul_f32 v[20:21], v[92:93], v[50:51] op_sel:[1,1] op_sel_hi:[0,1]
	v_mul_f32_e32 v101, v90, v49
	v_mul_f32_e32 v2, v91, v49
	v_pk_add_f32 v[18:19], v[26:27], v[98:99]
	v_pk_fma_f32 v[26:27], v[92:93], v[50:51], v[20:21] neg_lo:[0,0,1] neg_hi:[0,0,1]
	v_pk_fma_f32 v[20:21], v[92:93], v[50:51], v[20:21] op_sel_hi:[1,0,1]
	v_fmac_f32_e32 v101, v91, v48
	v_fma_f32 v100, v90, v48, -v2
	ds_read_b128 v[2:5], v58 offset:880
	ds_read_b128 v[10:13], v58 offset:896
	;; [unrolled: 1-line block ×3, first 2 shown]
	v_mov_b32_e32 v20, v53
	v_pk_add_f32 v[18:19], v[18:19], v[100:101]
	v_mov_b32_e32 v27, v21
	v_pk_mul_f32 v[20:21], v[94:95], v[20:21] op_sel:[1,0] op_sel_hi:[0,0]
	v_pk_add_f32 v[18:19], v[18:19], v[26:27]
	v_pk_fma_f32 v[26:27], v[94:95], v[52:53], v[20:21] neg_lo:[0,0,1] neg_hi:[0,0,1]
	v_pk_fma_f32 v[20:21], v[94:95], v[52:53], v[20:21] op_sel_hi:[1,0,1]
	s_nop 0
	v_mov_b32_e32 v27, v21
	s_waitcnt vmcnt(3) lgkmcnt(2)
	v_pk_mul_f32 v[20:21], v[2:3], v[34:35] op_sel:[1,1] op_sel_hi:[0,1]
	v_pk_add_f32 v[18:19], v[18:19], v[26:27]
	v_pk_fma_f32 v[26:27], v[2:3], v[34:35], v[20:21] neg_lo:[0,0,1] neg_hi:[0,0,1]
	v_pk_fma_f32 v[2:3], v[2:3], v[34:35], v[20:21] op_sel_hi:[1,0,1]
	s_nop 0
	v_mov_b32_e32 v27, v3
	v_pk_add_f32 v[2:3], v[18:19], v[26:27]
	v_mov_b32_e32 v18, v37
	v_pk_mul_f32 v[18:19], v[4:5], v[18:19] op_sel:[1,0] op_sel_hi:[0,0]
	v_pk_fma_f32 v[20:21], v[4:5], v[36:37], v[18:19] neg_lo:[0,0,1] neg_hi:[0,0,1]
	v_pk_fma_f32 v[4:5], v[4:5], v[36:37], v[18:19] op_sel_hi:[1,0,1]
	s_nop 0
	v_mov_b32_e32 v21, v5
	s_waitcnt vmcnt(2) lgkmcnt(1)
	v_pk_mul_f32 v[4:5], v[10:11], v[22:23] op_sel:[1,1] op_sel_hi:[0,1]
	v_pk_fma_f32 v[18:19], v[10:11], v[22:23], v[4:5] neg_lo:[0,0,1] neg_hi:[0,0,1]
	v_pk_fma_f32 v[4:5], v[10:11], v[22:23], v[4:5] op_sel_hi:[1,0,1]
	v_pk_add_f32 v[2:3], v[2:3], v[20:21]
	v_mov_b32_e32 v4, v25
	v_mov_b32_e32 v19, v5
	v_pk_mul_f32 v[4:5], v[12:13], v[4:5] op_sel:[1,0] op_sel_hi:[0,0]
	v_pk_fma_f32 v[10:11], v[12:13], v[24:25], v[4:5] neg_lo:[0,0,1] neg_hi:[0,0,1]
	v_pk_fma_f32 v[4:5], v[12:13], v[24:25], v[4:5] op_sel_hi:[1,0,1]
	v_pk_add_f32 v[2:3], v[2:3], v[18:19]
	v_mov_b32_e32 v11, v5
	s_waitcnt vmcnt(1) lgkmcnt(0)
	v_pk_mul_f32 v[4:5], v[14:15], v[6:7] op_sel:[1,1] op_sel_hi:[0,1]
	v_pk_add_f32 v[2:3], v[2:3], v[10:11]
	v_pk_fma_f32 v[10:11], v[14:15], v[6:7], v[4:5] neg_lo:[0,0,1] neg_hi:[0,0,1]
	v_pk_fma_f32 v[4:5], v[14:15], v[6:7], v[4:5] op_sel_hi:[1,0,1]
	s_nop 0
	v_mov_b32_e32 v4, v9
	v_mov_b32_e32 v11, v5
	v_pk_mul_f32 v[4:5], v[16:17], v[4:5] op_sel:[1,0] op_sel_hi:[0,0]
	v_pk_fma_f32 v[6:7], v[16:17], v[8:9], v[4:5] neg_lo:[0,0,1] neg_hi:[0,0,1]
	v_pk_fma_f32 v[4:5], v[16:17], v[8:9], v[4:5] op_sel_hi:[1,0,1]
	v_pk_add_f32 v[2:3], v[2:3], v[10:11]
	v_mov_b32_e32 v7, v5
	v_pk_add_f32 v[2:3], v[2:3], v[6:7]
	s_waitcnt vmcnt(0)
	v_pk_add_f32 v[2:3], v[96:97], v[2:3] neg_lo:[0,1] neg_hi:[0,1]
	scratch_store_dwordx2 off, v[2:3], off offset:248
	s_and_saveexec_b64 s[0:1], vcc
	s_cbranch_execz .LBB57_301
; %bb.300:
	scratch_load_dwordx2 v[2:3], off, off offset:240
	v_mov_b32_e32 v4, 0
	v_mov_b32_e32 v5, v4
	scratch_store_dwordx2 off, v[4:5], off offset:240
	s_waitcnt vmcnt(1)
	ds_write_b64 v1, v[2:3]
.LBB57_301:
	s_or_b64 exec, exec, s[0:1]
	s_waitcnt lgkmcnt(0)
	; wave barrier
	scratch_load_dwordx4 v[10:13], off, off offset:248
	scratch_load_dwordx4 v[30:33], off, off offset:264
	scratch_load_dwordx4 v[2:5], off, off offset:280
	scratch_load_dwordx4 v[6:9], off, off offset:296
	scratch_load_dwordx4 v[18:21], off, off offset:312
	scratch_load_dwordx4 v[22:25], off, off offset:328
	scratch_load_dwordx4 v[34:37], off, off offset:344
	scratch_load_dwordx4 v[38:41], off, off offset:360
	scratch_load_dwordx4 v[50:53], off, off offset:376
	scratch_load_dwordx4 v[46:49], off, off offset:392
	scratch_load_dwordx4 v[42:45], off, off offset:408
	scratch_load_dwordx4 v[26:29], off, off offset:424
	scratch_load_dwordx4 v[14:17], off, off offset:440
	scratch_load_dwordx2 v[54:55], off, off offset:456
	scratch_load_dwordx2 v[80:81], off, off offset:240
	v_mov_b32_e32 v82, 0
	ds_read2_b64 v[56:59], v82 offset0:89 offset1:90
	ds_read2_b64 v[60:63], v82 offset0:91 offset1:92
	;; [unrolled: 1-line block ×10, first 2 shown]
	v_cmp_lt_u32_e32 vcc, 29, v0
	s_waitcnt vmcnt(14) lgkmcnt(9)
	v_mul_f32_e32 v83, v56, v11
	v_mul_f32_e32 v100, v58, v13
	s_waitcnt vmcnt(12) lgkmcnt(7)
	v_mul_f32_e32 v105, v64, v3
	v_mul_f32_e32 v3, v65, v3
	v_fmac_f32_e32 v83, v57, v10
	v_mul_f32_e32 v102, v60, v31
	v_fmac_f32_e32 v100, v59, v12
	v_fmac_f32_e32 v105, v65, v2
	v_fma_f32 v2, v64, v2, -v3
	v_add_f32_e32 v3, 0, v83
	v_mul_f32_e32 v104, v62, v33
	v_fmac_f32_e32 v102, v61, v30
	v_add_f32_e32 v3, v3, v100
	v_fmac_f32_e32 v104, v63, v32
	v_add_f32_e32 v3, v3, v102
	v_mul_f32_e32 v106, v66, v5
	v_add_f32_e32 v3, v3, v104
	s_waitcnt vmcnt(11) lgkmcnt(6)
	v_mul_f32_e32 v107, v68, v7
	v_fmac_f32_e32 v106, v67, v4
	v_add_f32_e32 v3, v3, v105
	v_mul_f32_e32 v108, v70, v9
	v_fmac_f32_e32 v107, v69, v6
	v_add_f32_e32 v3, v3, v106
	s_waitcnt vmcnt(10) lgkmcnt(5)
	v_mul_f32_e32 v109, v72, v19
	v_fmac_f32_e32 v108, v71, v8
	v_add_f32_e32 v3, v3, v107
	v_mul_f32_e32 v110, v74, v21
	v_fmac_f32_e32 v109, v73, v18
	;; [unrolled: 7-line block ×3, first 2 shown]
	v_add_f32_e32 v3, v3, v110
	s_waitcnt vmcnt(8) lgkmcnt(3)
	v_mul_f32_e32 v113, v84, v35
	v_mul_f32_e32 v11, v57, v11
	v_fmac_f32_e32 v112, v79, v24
	v_add_f32_e32 v3, v3, v111
	v_mul_f32_e32 v114, v86, v37
	v_mul_f32_e32 v13, v59, v13
	v_fmac_f32_e32 v113, v85, v34
	v_fma_f32 v10, v56, v10, -v11
	v_add_f32_e32 v3, v3, v112
	s_waitcnt vmcnt(7) lgkmcnt(2)
	v_mul_f32_e32 v115, v88, v39
	v_mul_f32_e32 v31, v61, v31
	v_fmac_f32_e32 v114, v87, v36
	v_fma_f32 v11, v58, v12, -v13
	v_add_f32_e32 v10, 0, v10
	v_add_f32_e32 v3, v3, v113
	v_mul_f32_e32 v116, v90, v41
	v_mul_f32_e32 v33, v63, v33
	v_fmac_f32_e32 v115, v89, v38
	v_fma_f32 v12, v60, v30, -v31
	v_add_f32_e32 v10, v10, v11
	v_add_f32_e32 v3, v3, v114
	s_waitcnt vmcnt(6) lgkmcnt(1)
	v_mul_f32_e32 v117, v92, v51
	v_fmac_f32_e32 v116, v91, v40
	v_fma_f32 v13, v62, v32, -v33
	v_add_f32_e32 v10, v10, v12
	v_add_f32_e32 v3, v3, v115
	v_mul_f32_e32 v5, v67, v5
	v_fmac_f32_e32 v117, v93, v50
	v_add_f32_e32 v10, v10, v13
	v_add_f32_e32 v3, v3, v116
	;; [unrolled: 1-line block ×4, first 2 shown]
	v_fma_f32 v3, v66, v4, -v5
	v_add_f32_e32 v2, v2, v3
	v_mul_f32_e32 v3, v69, v7
	v_fma_f32 v3, v68, v6, -v3
	v_add_f32_e32 v2, v2, v3
	v_mul_f32_e32 v3, v71, v9
	;; [unrolled: 3-line block ×12, first 2 shown]
	v_mul_f32_e32 v101, v94, v53
	v_fma_f32 v100, v94, v52, -v2
	s_waitcnt vmcnt(5) lgkmcnt(0)
	v_mul_f32_e32 v2, v97, v47
	v_mov_b32_e32 v22, v49
	v_mul_f32_e32 v103, v96, v47
	v_fmac_f32_e32 v101, v95, v52
	v_fma_f32 v102, v96, v46, -v2
	ds_read2_b64 v[2:5], v82 offset0:109 offset1:110
	ds_read2_b64 v[6:9], v82 offset0:111 offset1:112
	;; [unrolled: 1-line block ×3, first 2 shown]
	ds_read_b64 v[18:19], v82 offset:920
	v_pk_mul_f32 v[22:23], v[98:99], v[22:23] op_sel:[1,0] op_sel_hi:[0,0]
	v_fmac_f32_e32 v103, v97, v46
	v_pk_add_f32 v[20:21], v[30:31], v[100:101]
	v_pk_fma_f32 v[24:25], v[98:99], v[48:49], v[22:23] neg_lo:[0,0,1] neg_hi:[0,0,1]
	v_pk_fma_f32 v[22:23], v[98:99], v[48:49], v[22:23] op_sel_hi:[1,0,1]
	v_pk_add_f32 v[20:21], v[20:21], v[102:103]
	v_mov_b32_e32 v25, v23
	s_waitcnt vmcnt(4) lgkmcnt(3)
	v_pk_mul_f32 v[22:23], v[2:3], v[42:43] op_sel:[1,1] op_sel_hi:[0,1]
	v_pk_add_f32 v[20:21], v[20:21], v[24:25]
	v_pk_fma_f32 v[24:25], v[2:3], v[42:43], v[22:23] neg_lo:[0,0,1] neg_hi:[0,0,1]
	v_pk_fma_f32 v[2:3], v[2:3], v[42:43], v[22:23] op_sel_hi:[1,0,1]
	s_nop 0
	v_mov_b32_e32 v25, v3
	v_pk_add_f32 v[2:3], v[20:21], v[24:25]
	v_mov_b32_e32 v20, v45
	v_pk_mul_f32 v[20:21], v[4:5], v[20:21] op_sel:[1,0] op_sel_hi:[0,0]
	v_pk_fma_f32 v[22:23], v[4:5], v[44:45], v[20:21] neg_lo:[0,0,1] neg_hi:[0,0,1]
	v_pk_fma_f32 v[4:5], v[4:5], v[44:45], v[20:21] op_sel_hi:[1,0,1]
	s_nop 0
	v_mov_b32_e32 v23, v5
	s_waitcnt vmcnt(3) lgkmcnt(2)
	v_pk_mul_f32 v[4:5], v[6:7], v[26:27] op_sel:[1,1] op_sel_hi:[0,1]
	v_pk_fma_f32 v[20:21], v[6:7], v[26:27], v[4:5] neg_lo:[0,0,1] neg_hi:[0,0,1]
	v_pk_fma_f32 v[4:5], v[6:7], v[26:27], v[4:5] op_sel_hi:[1,0,1]
	v_pk_add_f32 v[2:3], v[2:3], v[22:23]
	v_mov_b32_e32 v4, v29
	v_mov_b32_e32 v21, v5
	v_pk_mul_f32 v[4:5], v[8:9], v[4:5] op_sel:[1,0] op_sel_hi:[0,0]
	v_pk_fma_f32 v[6:7], v[8:9], v[28:29], v[4:5] neg_lo:[0,0,1] neg_hi:[0,0,1]
	v_pk_fma_f32 v[4:5], v[8:9], v[28:29], v[4:5] op_sel_hi:[1,0,1]
	v_pk_add_f32 v[2:3], v[2:3], v[20:21]
	v_mov_b32_e32 v7, v5
	s_waitcnt vmcnt(2) lgkmcnt(1)
	v_pk_mul_f32 v[4:5], v[10:11], v[14:15] op_sel:[1,1] op_sel_hi:[0,1]
	v_pk_add_f32 v[2:3], v[2:3], v[6:7]
	v_pk_fma_f32 v[6:7], v[10:11], v[14:15], v[4:5] neg_lo:[0,0,1] neg_hi:[0,0,1]
	v_pk_fma_f32 v[4:5], v[10:11], v[14:15], v[4:5] op_sel_hi:[1,0,1]
	s_nop 0
	v_mov_b32_e32 v4, v17
	v_mov_b32_e32 v7, v5
	v_pk_mul_f32 v[4:5], v[12:13], v[4:5] op_sel:[1,0] op_sel_hi:[0,0]
	v_pk_add_f32 v[2:3], v[2:3], v[6:7]
	v_pk_fma_f32 v[6:7], v[12:13], v[16:17], v[4:5] neg_lo:[0,0,1] neg_hi:[0,0,1]
	v_pk_fma_f32 v[4:5], v[12:13], v[16:17], v[4:5] op_sel_hi:[1,0,1]
	s_nop 0
	v_mov_b32_e32 v7, v5
	s_waitcnt vmcnt(1) lgkmcnt(0)
	v_pk_mul_f32 v[4:5], v[18:19], v[54:55] op_sel:[1,1] op_sel_hi:[0,1]
	v_pk_add_f32 v[2:3], v[2:3], v[6:7]
	v_pk_fma_f32 v[6:7], v[18:19], v[54:55], v[4:5] neg_lo:[0,0,1] neg_hi:[0,0,1]
	v_pk_fma_f32 v[4:5], v[18:19], v[54:55], v[4:5] op_sel_hi:[1,0,1]
	s_nop 0
	v_mov_b32_e32 v7, v5
	v_pk_add_f32 v[2:3], v[2:3], v[6:7]
	s_waitcnt vmcnt(0)
	v_pk_add_f32 v[2:3], v[80:81], v[2:3] neg_lo:[0,1] neg_hi:[0,1]
	scratch_store_dwordx2 off, v[2:3], off offset:240
	s_and_saveexec_b64 s[0:1], vcc
	s_cbranch_execz .LBB57_303
; %bb.302:
	scratch_load_dwordx2 v[2:3], off, off offset:232
	v_mov_b32_e32 v83, v82
	scratch_store_dwordx2 off, v[82:83], off offset:232
	s_waitcnt vmcnt(1)
	ds_write_b64 v1, v[2:3]
.LBB57_303:
	s_or_b64 exec, exec, s[0:1]
	s_waitcnt lgkmcnt(0)
	; wave barrier
	scratch_load_dwordx4 v[18:21], off, off offset:240
	scratch_load_dwordx4 v[34:37], off, off offset:256
	;; [unrolled: 1-line block ×10, first 2 shown]
	ds_read_b128 v[84:87], v82 offset:704
	ds_read_b128 v[88:91], v82 offset:720
	;; [unrolled: 1-line block ×10, first 2 shown]
	scratch_load_dwordx4 v[54:57], off, off offset:400
	scratch_load_dwordx4 v[46:49], off, off offset:416
	;; [unrolled: 1-line block ×4, first 2 shown]
	scratch_load_dwordx2 v[100:101], off, off offset:232
	v_cmp_lt_u32_e32 vcc, 28, v0
	s_waitcnt vmcnt(14) lgkmcnt(9)
	v_mul_f32_e32 v83, v84, v19
	v_mul_f32_e32 v102, v86, v21
	s_waitcnt vmcnt(12) lgkmcnt(7)
	v_mul_f32_e32 v107, v92, v3
	v_mul_f32_e32 v3, v93, v3
	v_fmac_f32_e32 v83, v85, v18
	v_mul_f32_e32 v104, v88, v35
	v_fmac_f32_e32 v102, v87, v20
	v_fmac_f32_e32 v107, v93, v2
	v_fma_f32 v2, v92, v2, -v3
	v_add_f32_e32 v3, 0, v83
	v_mul_f32_e32 v106, v90, v37
	v_fmac_f32_e32 v104, v89, v34
	v_add_f32_e32 v3, v3, v102
	v_fmac_f32_e32 v106, v91, v36
	v_add_f32_e32 v3, v3, v104
	v_mul_f32_e32 v108, v94, v5
	v_add_f32_e32 v3, v3, v106
	s_waitcnt vmcnt(11) lgkmcnt(6)
	v_mul_f32_e32 v109, v96, v7
	v_fmac_f32_e32 v108, v95, v4
	v_add_f32_e32 v3, v3, v107
	v_mul_f32_e32 v110, v98, v9
	v_fmac_f32_e32 v109, v97, v6
	v_add_f32_e32 v3, v3, v108
	s_waitcnt vmcnt(10) lgkmcnt(5)
	v_mul_f32_e32 v111, v78, v11
	v_fmac_f32_e32 v110, v99, v8
	v_add_f32_e32 v3, v3, v109
	v_mul_f32_e32 v112, v80, v13
	v_fmac_f32_e32 v111, v79, v10
	;; [unrolled: 7-line block ×4, first 2 shown]
	v_add_f32_e32 v3, v3, v114
	s_waitcnt vmcnt(7) lgkmcnt(2)
	v_mul_f32_e32 v117, v66, v39
	v_mul_f32_e32 v19, v85, v19
	v_fmac_f32_e32 v116, v73, v28
	v_add_f32_e32 v3, v3, v115
	v_mul_f32_e32 v118, v68, v41
	v_mul_f32_e32 v21, v87, v21
	v_fmac_f32_e32 v117, v67, v38
	v_fma_f32 v18, v84, v18, -v19
	v_add_f32_e32 v3, v3, v116
	s_waitcnt vmcnt(6) lgkmcnt(1)
	v_mul_f32_e32 v119, v62, v43
	v_mul_f32_e32 v35, v89, v35
	v_fmac_f32_e32 v118, v69, v40
	v_fma_f32 v19, v86, v20, -v21
	v_add_f32_e32 v18, 0, v18
	v_add_f32_e32 v3, v3, v117
	v_mul_f32_e32 v120, v64, v45
	v_mul_f32_e32 v37, v91, v37
	v_fmac_f32_e32 v119, v63, v42
	v_fma_f32 v20, v88, v34, -v35
	v_add_f32_e32 v18, v18, v19
	v_add_f32_e32 v3, v3, v118
	v_fmac_f32_e32 v120, v65, v44
	v_fma_f32 v21, v90, v36, -v37
	v_add_f32_e32 v18, v18, v20
	v_add_f32_e32 v3, v3, v119
	;; [unrolled: 1-line block ×4, first 2 shown]
	v_mul_f32_e32 v3, v95, v5
	v_add_f32_e32 v2, v18, v2
	v_fma_f32 v3, v94, v4, -v3
	v_add_f32_e32 v2, v2, v3
	v_mul_f32_e32 v3, v97, v7
	v_fma_f32 v3, v96, v6, -v3
	v_add_f32_e32 v2, v2, v3
	v_mul_f32_e32 v3, v99, v9
	;; [unrolled: 3-line block ×12, first 2 shown]
	v_fma_f32 v3, v64, v44, -v3
	v_add_f32_e32 v34, v2, v3
	s_waitcnt vmcnt(5) lgkmcnt(0)
	v_mul_f32_e32 v2, v59, v51
	v_fma_f32 v102, v58, v50, -v2
	v_mul_f32_e32 v2, v61, v53
	v_fma_f32 v104, v60, v52, -v2
	ds_read_b128 v[2:5], v82 offset:864
	ds_read_b128 v[6:9], v82 offset:880
	;; [unrolled: 1-line block ×4, first 2 shown]
	v_mul_f32_e32 v103, v58, v51
	v_mul_f32_e32 v105, v60, v53
	v_fmac_f32_e32 v103, v59, v50
	s_waitcnt vmcnt(4) lgkmcnt(3)
	v_pk_mul_f32 v[24:25], v[2:3], v[54:55] op_sel:[1,1] op_sel_hi:[0,1]
	v_fmac_f32_e32 v105, v61, v52
	v_pk_add_f32 v[22:23], v[34:35], v[102:103]
	v_pk_fma_f32 v[26:27], v[2:3], v[54:55], v[24:25] neg_lo:[0,0,1] neg_hi:[0,0,1]
	v_pk_fma_f32 v[2:3], v[2:3], v[54:55], v[24:25] op_sel_hi:[1,0,1]
	v_pk_add_f32 v[22:23], v[22:23], v[104:105]
	v_mov_b32_e32 v27, v3
	v_pk_add_f32 v[2:3], v[22:23], v[26:27]
	v_mov_b32_e32 v22, v57
	v_pk_mul_f32 v[22:23], v[4:5], v[22:23] op_sel:[1,0] op_sel_hi:[0,0]
	v_pk_fma_f32 v[24:25], v[4:5], v[56:57], v[22:23] neg_lo:[0,0,1] neg_hi:[0,0,1]
	v_pk_fma_f32 v[4:5], v[4:5], v[56:57], v[22:23] op_sel_hi:[1,0,1]
	s_nop 0
	v_mov_b32_e32 v25, v5
	s_waitcnt vmcnt(3) lgkmcnt(2)
	v_pk_mul_f32 v[4:5], v[6:7], v[46:47] op_sel:[1,1] op_sel_hi:[0,1]
	v_pk_fma_f32 v[22:23], v[6:7], v[46:47], v[4:5] neg_lo:[0,0,1] neg_hi:[0,0,1]
	v_pk_fma_f32 v[4:5], v[6:7], v[46:47], v[4:5] op_sel_hi:[1,0,1]
	v_pk_add_f32 v[2:3], v[2:3], v[24:25]
	v_mov_b32_e32 v4, v49
	v_mov_b32_e32 v23, v5
	v_pk_mul_f32 v[4:5], v[8:9], v[4:5] op_sel:[1,0] op_sel_hi:[0,0]
	v_pk_fma_f32 v[6:7], v[8:9], v[48:49], v[4:5] neg_lo:[0,0,1] neg_hi:[0,0,1]
	v_pk_fma_f32 v[4:5], v[8:9], v[48:49], v[4:5] op_sel_hi:[1,0,1]
	v_pk_add_f32 v[2:3], v[2:3], v[22:23]
	v_mov_b32_e32 v7, v5
	s_waitcnt vmcnt(2) lgkmcnt(1)
	v_pk_mul_f32 v[4:5], v[10:11], v[30:31] op_sel:[1,1] op_sel_hi:[0,1]
	v_pk_add_f32 v[2:3], v[2:3], v[6:7]
	v_pk_fma_f32 v[6:7], v[10:11], v[30:31], v[4:5] neg_lo:[0,0,1] neg_hi:[0,0,1]
	v_pk_fma_f32 v[4:5], v[10:11], v[30:31], v[4:5] op_sel_hi:[1,0,1]
	s_nop 0
	v_mov_b32_e32 v4, v33
	v_mov_b32_e32 v7, v5
	v_pk_mul_f32 v[4:5], v[12:13], v[4:5] op_sel:[1,0] op_sel_hi:[0,0]
	v_pk_add_f32 v[2:3], v[2:3], v[6:7]
	v_pk_fma_f32 v[6:7], v[12:13], v[32:33], v[4:5] neg_lo:[0,0,1] neg_hi:[0,0,1]
	v_pk_fma_f32 v[4:5], v[12:13], v[32:33], v[4:5] op_sel_hi:[1,0,1]
	s_nop 0
	v_mov_b32_e32 v7, v5
	s_waitcnt vmcnt(1) lgkmcnt(0)
	v_pk_mul_f32 v[4:5], v[18:19], v[14:15] op_sel:[1,1] op_sel_hi:[0,1]
	v_pk_add_f32 v[2:3], v[2:3], v[6:7]
	v_pk_fma_f32 v[6:7], v[18:19], v[14:15], v[4:5] neg_lo:[0,0,1] neg_hi:[0,0,1]
	v_pk_fma_f32 v[4:5], v[18:19], v[14:15], v[4:5] op_sel_hi:[1,0,1]
	s_nop 0
	v_mov_b32_e32 v4, v17
	v_mov_b32_e32 v7, v5
	v_pk_mul_f32 v[4:5], v[20:21], v[4:5] op_sel:[1,0] op_sel_hi:[0,0]
	v_pk_add_f32 v[2:3], v[2:3], v[6:7]
	v_pk_fma_f32 v[6:7], v[20:21], v[16:17], v[4:5] neg_lo:[0,0,1] neg_hi:[0,0,1]
	v_pk_fma_f32 v[4:5], v[20:21], v[16:17], v[4:5] op_sel_hi:[1,0,1]
	s_nop 0
	v_mov_b32_e32 v7, v5
	v_pk_add_f32 v[2:3], v[2:3], v[6:7]
	s_waitcnt vmcnt(0)
	v_pk_add_f32 v[2:3], v[100:101], v[2:3] neg_lo:[0,1] neg_hi:[0,1]
	scratch_store_dwordx2 off, v[2:3], off offset:232
	s_and_saveexec_b64 s[0:1], vcc
	s_cbranch_execz .LBB57_305
; %bb.304:
	scratch_load_dwordx2 v[2:3], off, off offset:224
	v_mov_b32_e32 v4, 0
	v_mov_b32_e32 v5, v4
	scratch_store_dwordx2 off, v[4:5], off offset:224
	s_waitcnt vmcnt(1)
	ds_write_b64 v1, v[2:3]
.LBB57_305:
	s_or_b64 exec, exec, s[0:1]
	s_waitcnt lgkmcnt(0)
	; wave barrier
	scratch_load_dwordx4 v[18:21], off, off offset:232
	scratch_load_dwordx4 v[2:5], off, off offset:248
	;; [unrolled: 1-line block ×14, first 2 shown]
	scratch_load_dwordx2 v[58:59], off, off offset:456
	scratch_load_dwordx2 v[100:101], off, off offset:224
	v_mov_b32_e32 v102, 0
	ds_read2_b64 v[60:63], v102 offset0:87 offset1:88
	ds_read2_b64 v[64:67], v102 offset0:89 offset1:90
	;; [unrolled: 1-line block ×12, first 2 shown]
	v_cmp_lt_u32_e32 vcc, 27, v0
	s_waitcnt vmcnt(15) lgkmcnt(11)
	v_mul_f32_e32 v103, v60, v19
	v_mul_f32_e32 v112, v62, v21
	s_waitcnt vmcnt(14) lgkmcnt(10)
	v_mul_f32_e32 v114, v64, v3
	v_mul_f32_e32 v3, v65, v3
	v_fmac_f32_e32 v103, v61, v18
	v_fmac_f32_e32 v112, v63, v20
	;; [unrolled: 1-line block ×3, first 2 shown]
	v_fma_f32 v2, v64, v2, -v3
	v_add_f32_e32 v3, 0, v103
	v_mul_f32_e32 v116, v66, v5
	v_add_f32_e32 v3, v3, v112
	s_waitcnt vmcnt(13) lgkmcnt(9)
	v_mul_f32_e32 v117, v68, v7
	v_fmac_f32_e32 v116, v67, v4
	v_add_f32_e32 v3, v3, v114
	v_mul_f32_e32 v118, v70, v9
	v_fmac_f32_e32 v117, v69, v6
	v_add_f32_e32 v3, v3, v116
	s_waitcnt vmcnt(12) lgkmcnt(8)
	v_mul_f32_e32 v119, v72, v11
	v_fmac_f32_e32 v118, v71, v8
	v_add_f32_e32 v3, v3, v117
	v_mul_f32_e32 v120, v74, v13
	v_fmac_f32_e32 v119, v73, v10
	v_add_f32_e32 v3, v3, v118
	s_waitcnt vmcnt(11) lgkmcnt(7)
	v_mul_f32_e32 v121, v76, v15
	v_fmac_f32_e32 v120, v75, v12
	v_add_f32_e32 v3, v3, v119
	v_mul_f32_e32 v122, v78, v17
	v_fmac_f32_e32 v121, v77, v14
	v_add_f32_e32 v3, v3, v120
	s_waitcnt vmcnt(10) lgkmcnt(6)
	v_mul_f32_e32 v123, v80, v27
	v_fmac_f32_e32 v122, v79, v16
	v_add_f32_e32 v3, v3, v121
	v_mul_f32_e32 v124, v82, v29
	v_fmac_f32_e32 v123, v81, v26
	v_add_f32_e32 v3, v3, v122
	s_waitcnt vmcnt(9) lgkmcnt(5)
	v_mul_f32_e32 v125, v84, v31
	v_fmac_f32_e32 v124, v83, v28
	v_add_f32_e32 v3, v3, v123
	v_mul_f32_e32 v126, v86, v33
	v_fmac_f32_e32 v125, v85, v30
	v_add_f32_e32 v3, v3, v124
	s_waitcnt vmcnt(8) lgkmcnt(4)
	v_mul_f32_e32 v127, v88, v39
	v_fmac_f32_e32 v126, v87, v32
	v_add_f32_e32 v3, v3, v125
	v_mul_f32_e32 v128, v90, v41
	v_fmac_f32_e32 v127, v89, v38
	v_add_f32_e32 v3, v3, v126
	s_waitcnt vmcnt(7) lgkmcnt(3)
	v_mul_f32_e32 v129, v92, v43
	v_fmac_f32_e32 v128, v91, v40
	v_add_f32_e32 v3, v3, v127
	v_mul_f32_e32 v130, v94, v45
	v_mul_f32_e32 v19, v61, v19
	v_fmac_f32_e32 v129, v93, v42
	v_add_f32_e32 v3, v3, v128
	s_waitcnt vmcnt(6) lgkmcnt(2)
	v_mul_f32_e32 v131, v96, v51
	v_mul_f32_e32 v21, v63, v21
	v_fmac_f32_e32 v130, v95, v44
	v_fma_f32 v18, v60, v18, -v19
	v_add_f32_e32 v3, v3, v129
	v_fmac_f32_e32 v131, v97, v50
	v_fma_f32 v19, v62, v20, -v21
	v_add_f32_e32 v18, 0, v18
	v_add_f32_e32 v3, v3, v130
	;; [unrolled: 1-line block ×4, first 2 shown]
	v_mul_f32_e32 v3, v67, v5
	v_add_f32_e32 v2, v18, v2
	v_fma_f32 v3, v66, v4, -v3
	v_add_f32_e32 v2, v2, v3
	v_mul_f32_e32 v3, v69, v7
	v_fma_f32 v3, v68, v6, -v3
	v_add_f32_e32 v2, v2, v3
	v_mul_f32_e32 v3, v71, v9
	;; [unrolled: 3-line block ×15, first 2 shown]
	v_fma_f32 v3, v96, v50, -v3
	v_mul_f32_e32 v113, v98, v53
	v_add_f32_e32 v18, v2, v3
	v_mul_f32_e32 v2, v99, v53
	s_waitcnt vmcnt(5)
	v_mov_b32_e32 v14, v57
	s_waitcnt lgkmcnt(1)
	v_mul_f32_e32 v115, v104, v55
	v_fmac_f32_e32 v113, v99, v52
	v_fma_f32 v112, v98, v52, -v2
	v_mul_f32_e32 v2, v105, v55
	v_pk_mul_f32 v[14:15], v[106:107], v[14:15] op_sel:[1,0] op_sel_hi:[0,0]
	v_fmac_f32_e32 v115, v105, v54
	v_fma_f32 v114, v104, v54, -v2
	v_pk_add_f32 v[12:13], v[18:19], v[112:113]
	v_pk_fma_f32 v[16:17], v[106:107], v[56:57], v[14:15] neg_lo:[0,0,1] neg_hi:[0,0,1]
	v_pk_fma_f32 v[14:15], v[106:107], v[56:57], v[14:15] op_sel_hi:[1,0,1]
	v_pk_add_f32 v[12:13], v[12:13], v[114:115]
	v_mov_b32_e32 v17, v15
	s_waitcnt vmcnt(4) lgkmcnt(0)
	v_pk_mul_f32 v[14:15], v[108:109], v[46:47] op_sel:[1,1] op_sel_hi:[0,1]
	v_pk_add_f32 v[12:13], v[12:13], v[16:17]
	v_pk_fma_f32 v[16:17], v[108:109], v[46:47], v[14:15] neg_lo:[0,0,1] neg_hi:[0,0,1]
	v_pk_fma_f32 v[14:15], v[108:109], v[46:47], v[14:15] op_sel_hi:[1,0,1]
	ds_read2_b64 v[2:5], v102 offset0:111 offset1:112
	ds_read2_b64 v[6:9], v102 offset0:113 offset1:114
	ds_read_b64 v[10:11], v102 offset:920
	v_mov_b32_e32 v14, v49
	v_mov_b32_e32 v17, v15
	v_pk_mul_f32 v[14:15], v[110:111], v[14:15] op_sel:[1,0] op_sel_hi:[0,0]
	v_pk_add_f32 v[12:13], v[12:13], v[16:17]
	v_pk_fma_f32 v[16:17], v[110:111], v[48:49], v[14:15] neg_lo:[0,0,1] neg_hi:[0,0,1]
	v_pk_fma_f32 v[14:15], v[110:111], v[48:49], v[14:15] op_sel_hi:[1,0,1]
	s_nop 0
	v_mov_b32_e32 v17, v15
	s_waitcnt vmcnt(3) lgkmcnt(2)
	v_pk_mul_f32 v[14:15], v[2:3], v[34:35] op_sel:[1,1] op_sel_hi:[0,1]
	v_pk_add_f32 v[12:13], v[12:13], v[16:17]
	v_pk_fma_f32 v[16:17], v[2:3], v[34:35], v[14:15] neg_lo:[0,0,1] neg_hi:[0,0,1]
	v_pk_fma_f32 v[2:3], v[2:3], v[34:35], v[14:15] op_sel_hi:[1,0,1]
	s_nop 0
	v_mov_b32_e32 v17, v3
	v_pk_add_f32 v[2:3], v[12:13], v[16:17]
	v_mov_b32_e32 v12, v37
	v_pk_mul_f32 v[12:13], v[4:5], v[12:13] op_sel:[1,0] op_sel_hi:[0,0]
	v_pk_fma_f32 v[14:15], v[4:5], v[36:37], v[12:13] neg_lo:[0,0,1] neg_hi:[0,0,1]
	v_pk_fma_f32 v[4:5], v[4:5], v[36:37], v[12:13] op_sel_hi:[1,0,1]
	s_nop 0
	v_mov_b32_e32 v15, v5
	s_waitcnt vmcnt(2) lgkmcnt(1)
	v_pk_mul_f32 v[4:5], v[6:7], v[22:23] op_sel:[1,1] op_sel_hi:[0,1]
	v_pk_fma_f32 v[12:13], v[6:7], v[22:23], v[4:5] neg_lo:[0,0,1] neg_hi:[0,0,1]
	v_pk_fma_f32 v[4:5], v[6:7], v[22:23], v[4:5] op_sel_hi:[1,0,1]
	v_pk_add_f32 v[2:3], v[2:3], v[14:15]
	v_mov_b32_e32 v4, v25
	v_mov_b32_e32 v13, v5
	v_pk_mul_f32 v[4:5], v[8:9], v[4:5] op_sel:[1,0] op_sel_hi:[0,0]
	v_pk_fma_f32 v[6:7], v[8:9], v[24:25], v[4:5] neg_lo:[0,0,1] neg_hi:[0,0,1]
	v_pk_fma_f32 v[4:5], v[8:9], v[24:25], v[4:5] op_sel_hi:[1,0,1]
	v_pk_add_f32 v[2:3], v[2:3], v[12:13]
	v_mov_b32_e32 v7, v5
	s_waitcnt vmcnt(1) lgkmcnt(0)
	v_pk_mul_f32 v[4:5], v[10:11], v[58:59] op_sel:[1,1] op_sel_hi:[0,1]
	v_pk_add_f32 v[2:3], v[2:3], v[6:7]
	v_pk_fma_f32 v[6:7], v[10:11], v[58:59], v[4:5] neg_lo:[0,0,1] neg_hi:[0,0,1]
	v_pk_fma_f32 v[4:5], v[10:11], v[58:59], v[4:5] op_sel_hi:[1,0,1]
	s_nop 0
	v_mov_b32_e32 v7, v5
	v_pk_add_f32 v[2:3], v[2:3], v[6:7]
	s_waitcnt vmcnt(0)
	v_pk_add_f32 v[2:3], v[100:101], v[2:3] neg_lo:[0,1] neg_hi:[0,1]
	scratch_store_dwordx2 off, v[2:3], off offset:224
	s_and_saveexec_b64 s[0:1], vcc
	s_cbranch_execz .LBB57_307
; %bb.306:
	scratch_load_dwordx2 v[2:3], off, off offset:216
	v_mov_b32_e32 v103, v102
	scratch_store_dwordx2 off, v[102:103], off offset:216
	s_waitcnt vmcnt(1)
	ds_write_b64 v1, v[2:3]
.LBB57_307:
	s_or_b64 exec, exec, s[0:1]
	s_waitcnt lgkmcnt(0)
	; wave barrier
	scratch_load_dwordx4 v[22:25], off, off offset:224
	scratch_load_dwordx4 v[2:5], off, off offset:240
	;; [unrolled: 1-line block ×11, first 2 shown]
	ds_read_b128 v[104:107], v102 offset:688
	ds_read_b128 v[98:101], v102 offset:704
	;; [unrolled: 1-line block ×10, first 2 shown]
	scratch_load_dwordx4 v[58:61], off, off offset:400
	scratch_load_dwordx4 v[50:53], off, off offset:416
	;; [unrolled: 1-line block ×4, first 2 shown]
	ds_read_b128 v[78:81], v102 offset:848
	ds_read_b128 v[108:111], v102 offset:864
	scratch_load_dwordx2 v[112:113], off, off offset:216
	v_cmp_lt_u32_e32 vcc, 26, v0
	s_waitcnt vmcnt(15) lgkmcnt(11)
	v_mul_f32_e32 v103, v104, v23
	v_mul_f32_e32 v114, v106, v25
	s_waitcnt vmcnt(14) lgkmcnt(10)
	v_mul_f32_e32 v116, v98, v3
	v_mul_f32_e32 v3, v99, v3
	v_fmac_f32_e32 v103, v105, v22
	v_fmac_f32_e32 v114, v107, v24
	;; [unrolled: 1-line block ×3, first 2 shown]
	v_fma_f32 v2, v98, v2, -v3
	v_add_f32_e32 v3, 0, v103
	v_mul_f32_e32 v118, v100, v5
	v_add_f32_e32 v3, v3, v114
	s_waitcnt vmcnt(13) lgkmcnt(9)
	v_mul_f32_e32 v119, v94, v7
	v_fmac_f32_e32 v118, v101, v4
	v_add_f32_e32 v3, v3, v116
	v_mul_f32_e32 v120, v96, v9
	v_fmac_f32_e32 v119, v95, v6
	v_add_f32_e32 v3, v3, v118
	s_waitcnt vmcnt(12) lgkmcnt(8)
	v_mul_f32_e32 v121, v90, v11
	v_fmac_f32_e32 v120, v97, v8
	v_add_f32_e32 v3, v3, v119
	v_mul_f32_e32 v122, v92, v13
	v_fmac_f32_e32 v121, v91, v10
	;; [unrolled: 7-line block ×7, first 2 shown]
	v_add_f32_e32 v3, v3, v130
	s_waitcnt vmcnt(6) lgkmcnt(2)
	v_mul_f32_e32 v133, v62, v47
	v_mul_f32_e32 v23, v105, v23
	v_fmac_f32_e32 v132, v69, v44
	v_add_f32_e32 v3, v3, v131
	v_mul_f32_e32 v134, v64, v49
	v_mul_f32_e32 v25, v107, v25
	v_fmac_f32_e32 v133, v63, v46
	v_fma_f32 v22, v104, v22, -v23
	v_add_f32_e32 v3, v3, v132
	v_fmac_f32_e32 v134, v65, v48
	v_fma_f32 v23, v106, v24, -v25
	v_add_f32_e32 v22, 0, v22
	v_add_f32_e32 v3, v3, v133
	;; [unrolled: 1-line block ×4, first 2 shown]
	v_mul_f32_e32 v3, v101, v5
	v_add_f32_e32 v2, v22, v2
	v_fma_f32 v3, v100, v4, -v3
	v_add_f32_e32 v2, v2, v3
	v_mul_f32_e32 v3, v95, v7
	v_fma_f32 v3, v94, v6, -v3
	v_add_f32_e32 v2, v2, v3
	v_mul_f32_e32 v3, v97, v9
	;; [unrolled: 3-line block ×16, first 2 shown]
	v_fma_f32 v3, v64, v48, -v3
	s_waitcnt vmcnt(5) lgkmcnt(1)
	v_mul_f32_e32 v115, v78, v55
	v_add_f32_e32 v22, v2, v3
	v_mul_f32_e32 v2, v79, v55
	s_waitcnt vmcnt(4) lgkmcnt(0)
	v_pk_mul_f32 v[16:17], v[108:109], v[58:59] op_sel:[1,1] op_sel_hi:[0,1]
	v_mul_f32_e32 v117, v80, v57
	v_fmac_f32_e32 v115, v79, v54
	v_fma_f32 v114, v78, v54, -v2
	v_mul_f32_e32 v2, v81, v57
	v_pk_fma_f32 v[18:19], v[108:109], v[58:59], v[16:17] neg_lo:[0,0,1] neg_hi:[0,0,1]
	v_pk_fma_f32 v[16:17], v[108:109], v[58:59], v[16:17] op_sel_hi:[1,0,1]
	v_fmac_f32_e32 v117, v81, v56
	v_fma_f32 v116, v80, v56, -v2
	ds_read_b128 v[2:5], v102 offset:880
	ds_read_b128 v[6:9], v102 offset:896
	ds_read_b128 v[10:13], v102 offset:912
	v_pk_add_f32 v[14:15], v[22:23], v[114:115]
	v_mov_b32_e32 v16, v61
	v_pk_add_f32 v[14:15], v[14:15], v[116:117]
	v_mov_b32_e32 v19, v17
	v_pk_mul_f32 v[16:17], v[110:111], v[16:17] op_sel:[1,0] op_sel_hi:[0,0]
	v_pk_add_f32 v[14:15], v[14:15], v[18:19]
	v_pk_fma_f32 v[18:19], v[110:111], v[60:61], v[16:17] neg_lo:[0,0,1] neg_hi:[0,0,1]
	v_pk_fma_f32 v[16:17], v[110:111], v[60:61], v[16:17] op_sel_hi:[1,0,1]
	s_nop 0
	v_mov_b32_e32 v19, v17
	s_waitcnt vmcnt(3) lgkmcnt(2)
	v_pk_mul_f32 v[16:17], v[2:3], v[50:51] op_sel:[1,1] op_sel_hi:[0,1]
	v_pk_add_f32 v[14:15], v[14:15], v[18:19]
	v_pk_fma_f32 v[18:19], v[2:3], v[50:51], v[16:17] neg_lo:[0,0,1] neg_hi:[0,0,1]
	v_pk_fma_f32 v[2:3], v[2:3], v[50:51], v[16:17] op_sel_hi:[1,0,1]
	s_nop 0
	v_mov_b32_e32 v19, v3
	v_pk_add_f32 v[2:3], v[14:15], v[18:19]
	v_mov_b32_e32 v14, v53
	v_pk_mul_f32 v[14:15], v[4:5], v[14:15] op_sel:[1,0] op_sel_hi:[0,0]
	v_pk_fma_f32 v[16:17], v[4:5], v[52:53], v[14:15] neg_lo:[0,0,1] neg_hi:[0,0,1]
	v_pk_fma_f32 v[4:5], v[4:5], v[52:53], v[14:15] op_sel_hi:[1,0,1]
	s_nop 0
	v_mov_b32_e32 v17, v5
	s_waitcnt vmcnt(2) lgkmcnt(1)
	v_pk_mul_f32 v[4:5], v[6:7], v[38:39] op_sel:[1,1] op_sel_hi:[0,1]
	v_pk_fma_f32 v[14:15], v[6:7], v[38:39], v[4:5] neg_lo:[0,0,1] neg_hi:[0,0,1]
	v_pk_fma_f32 v[4:5], v[6:7], v[38:39], v[4:5] op_sel_hi:[1,0,1]
	v_pk_add_f32 v[2:3], v[2:3], v[16:17]
	v_mov_b32_e32 v4, v41
	v_mov_b32_e32 v15, v5
	v_pk_mul_f32 v[4:5], v[8:9], v[4:5] op_sel:[1,0] op_sel_hi:[0,0]
	v_pk_fma_f32 v[6:7], v[8:9], v[40:41], v[4:5] neg_lo:[0,0,1] neg_hi:[0,0,1]
	v_pk_fma_f32 v[4:5], v[8:9], v[40:41], v[4:5] op_sel_hi:[1,0,1]
	v_pk_add_f32 v[2:3], v[2:3], v[14:15]
	v_mov_b32_e32 v7, v5
	s_waitcnt vmcnt(1) lgkmcnt(0)
	v_pk_mul_f32 v[4:5], v[10:11], v[26:27] op_sel:[1,1] op_sel_hi:[0,1]
	v_pk_add_f32 v[2:3], v[2:3], v[6:7]
	v_pk_fma_f32 v[6:7], v[10:11], v[26:27], v[4:5] neg_lo:[0,0,1] neg_hi:[0,0,1]
	v_pk_fma_f32 v[4:5], v[10:11], v[26:27], v[4:5] op_sel_hi:[1,0,1]
	s_nop 0
	v_mov_b32_e32 v4, v29
	v_mov_b32_e32 v7, v5
	v_pk_mul_f32 v[4:5], v[12:13], v[4:5] op_sel:[1,0] op_sel_hi:[0,0]
	v_pk_add_f32 v[2:3], v[2:3], v[6:7]
	v_pk_fma_f32 v[6:7], v[12:13], v[28:29], v[4:5] neg_lo:[0,0,1] neg_hi:[0,0,1]
	v_pk_fma_f32 v[4:5], v[12:13], v[28:29], v[4:5] op_sel_hi:[1,0,1]
	s_nop 0
	v_mov_b32_e32 v7, v5
	v_pk_add_f32 v[2:3], v[2:3], v[6:7]
	s_waitcnt vmcnt(0)
	v_pk_add_f32 v[2:3], v[112:113], v[2:3] neg_lo:[0,1] neg_hi:[0,1]
	scratch_store_dwordx2 off, v[2:3], off offset:216
	s_and_saveexec_b64 s[0:1], vcc
	s_cbranch_execz .LBB57_309
; %bb.308:
	scratch_load_dwordx2 v[2:3], off, off offset:208
	v_mov_b32_e32 v4, 0
	v_mov_b32_e32 v5, v4
	scratch_store_dwordx2 off, v[4:5], off offset:208
	s_waitcnt vmcnt(1)
	ds_write_b64 v1, v[2:3]
.LBB57_309:
	s_or_b64 exec, exec, s[0:1]
	s_waitcnt lgkmcnt(0)
	; wave barrier
	scratch_load_dwordx4 v[2:5], off, off offset:216
	scratch_load_dwordx4 v[6:9], off, off offset:232
	;; [unrolled: 1-line block ×15, first 2 shown]
	scratch_load_dwordx2 v[62:63], off, off offset:456
	scratch_load_dwordx2 v[76:77], off, off offset:208
	v_mov_b32_e32 v78, 0
	ds_read2_b64 v[64:67], v78 offset0:85 offset1:86
	ds_read2_b64 v[68:71], v78 offset0:87 offset1:88
	;; [unrolled: 1-line block ×12, first 2 shown]
	v_cmp_lt_u32_e32 vcc, 25, v0
	s_waitcnt vmcnt(16) lgkmcnt(11)
	v_mul_f32_e32 v79, v64, v3
	v_mul_f32_e32 v116, v66, v5
	;; [unrolled: 1-line block ×3, first 2 shown]
	v_fmac_f32_e32 v79, v65, v2
	s_waitcnt vmcnt(15) lgkmcnt(10)
	v_mul_f32_e32 v118, v68, v7
	v_fmac_f32_e32 v116, v67, v4
	v_fma_f32 v2, v64, v2, -v3
	v_add_f32_e32 v3, 0, v79
	v_mul_f32_e32 v120, v70, v9
	v_fmac_f32_e32 v118, v69, v6
	v_add_f32_e32 v3, v3, v116
	s_waitcnt vmcnt(14) lgkmcnt(9)
	v_mul_f32_e32 v121, v72, v11
	v_fmac_f32_e32 v120, v71, v8
	v_add_f32_e32 v3, v3, v118
	v_mul_f32_e32 v122, v74, v13
	v_fmac_f32_e32 v121, v73, v10
	v_add_f32_e32 v3, v3, v120
	s_waitcnt vmcnt(13) lgkmcnt(8)
	v_mul_f32_e32 v123, v80, v15
	v_fmac_f32_e32 v122, v75, v12
	;; [unrolled: 7-line block ×9, first 2 shown]
	v_add_f32_e32 v3, v3, v135
	v_mul_f32_e32 v5, v67, v5
	v_fmac_f32_e32 v137, v109, v58
	v_add_f32_e32 v3, v3, v136
	v_add_f32_e32 v2, 0, v2
	;; [unrolled: 1-line block ×3, first 2 shown]
	v_fma_f32 v3, v66, v4, -v5
	v_add_f32_e32 v2, v2, v3
	v_mul_f32_e32 v3, v69, v7
	v_fma_f32 v3, v68, v6, -v3
	v_add_f32_e32 v2, v2, v3
	v_mul_f32_e32 v3, v71, v9
	;; [unrolled: 3-line block ×20, first 2 shown]
	v_mul_f32_e32 v117, v110, v61
	v_fma_f32 v116, v110, v60, -v2
	s_waitcnt vmcnt(5) lgkmcnt(0)
	v_mul_f32_e32 v2, v113, v55
	v_mov_b32_e32 v18, v57
	v_mul_f32_e32 v119, v112, v55
	v_fmac_f32_e32 v117, v111, v60
	v_fma_f32 v118, v112, v54, -v2
	ds_read2_b64 v[2:5], v78 offset0:109 offset1:110
	ds_read2_b64 v[6:9], v78 offset0:111 offset1:112
	;; [unrolled: 1-line block ×3, first 2 shown]
	ds_read_b64 v[14:15], v78 offset:920
	v_pk_mul_f32 v[18:19], v[114:115], v[18:19] op_sel:[1,0] op_sel_hi:[0,0]
	v_fmac_f32_e32 v119, v113, v54
	v_pk_add_f32 v[16:17], v[64:65], v[116:117]
	v_pk_fma_f32 v[20:21], v[114:115], v[56:57], v[18:19] neg_lo:[0,0,1] neg_hi:[0,0,1]
	v_pk_fma_f32 v[18:19], v[114:115], v[56:57], v[18:19] op_sel_hi:[1,0,1]
	v_pk_add_f32 v[16:17], v[16:17], v[118:119]
	v_mov_b32_e32 v21, v19
	s_waitcnt vmcnt(4) lgkmcnt(3)
	v_pk_mul_f32 v[18:19], v[2:3], v[50:51] op_sel:[1,1] op_sel_hi:[0,1]
	v_pk_add_f32 v[16:17], v[16:17], v[20:21]
	v_pk_fma_f32 v[20:21], v[2:3], v[50:51], v[18:19] neg_lo:[0,0,1] neg_hi:[0,0,1]
	v_pk_fma_f32 v[2:3], v[2:3], v[50:51], v[18:19] op_sel_hi:[1,0,1]
	s_nop 0
	v_mov_b32_e32 v21, v3
	v_pk_add_f32 v[2:3], v[16:17], v[20:21]
	v_mov_b32_e32 v16, v53
	v_pk_mul_f32 v[16:17], v[4:5], v[16:17] op_sel:[1,0] op_sel_hi:[0,0]
	v_pk_fma_f32 v[18:19], v[4:5], v[52:53], v[16:17] neg_lo:[0,0,1] neg_hi:[0,0,1]
	v_pk_fma_f32 v[4:5], v[4:5], v[52:53], v[16:17] op_sel_hi:[1,0,1]
	s_nop 0
	v_mov_b32_e32 v19, v5
	s_waitcnt vmcnt(3) lgkmcnt(2)
	v_pk_mul_f32 v[4:5], v[6:7], v[38:39] op_sel:[1,1] op_sel_hi:[0,1]
	v_pk_fma_f32 v[16:17], v[6:7], v[38:39], v[4:5] neg_lo:[0,0,1] neg_hi:[0,0,1]
	v_pk_fma_f32 v[4:5], v[6:7], v[38:39], v[4:5] op_sel_hi:[1,0,1]
	v_pk_add_f32 v[2:3], v[2:3], v[18:19]
	v_mov_b32_e32 v4, v41
	v_mov_b32_e32 v17, v5
	v_pk_mul_f32 v[4:5], v[8:9], v[4:5] op_sel:[1,0] op_sel_hi:[0,0]
	v_pk_fma_f32 v[6:7], v[8:9], v[40:41], v[4:5] neg_lo:[0,0,1] neg_hi:[0,0,1]
	v_pk_fma_f32 v[4:5], v[8:9], v[40:41], v[4:5] op_sel_hi:[1,0,1]
	v_pk_add_f32 v[2:3], v[2:3], v[16:17]
	v_mov_b32_e32 v7, v5
	s_waitcnt vmcnt(2) lgkmcnt(1)
	v_pk_mul_f32 v[4:5], v[10:11], v[26:27] op_sel:[1,1] op_sel_hi:[0,1]
	v_pk_add_f32 v[2:3], v[2:3], v[6:7]
	v_pk_fma_f32 v[6:7], v[10:11], v[26:27], v[4:5] neg_lo:[0,0,1] neg_hi:[0,0,1]
	v_pk_fma_f32 v[4:5], v[10:11], v[26:27], v[4:5] op_sel_hi:[1,0,1]
	s_nop 0
	v_mov_b32_e32 v4, v29
	v_mov_b32_e32 v7, v5
	v_pk_mul_f32 v[4:5], v[12:13], v[4:5] op_sel:[1,0] op_sel_hi:[0,0]
	v_pk_add_f32 v[2:3], v[2:3], v[6:7]
	v_pk_fma_f32 v[6:7], v[12:13], v[28:29], v[4:5] neg_lo:[0,0,1] neg_hi:[0,0,1]
	v_pk_fma_f32 v[4:5], v[12:13], v[28:29], v[4:5] op_sel_hi:[1,0,1]
	s_nop 0
	v_mov_b32_e32 v7, v5
	s_waitcnt vmcnt(1) lgkmcnt(0)
	v_pk_mul_f32 v[4:5], v[14:15], v[62:63] op_sel:[1,1] op_sel_hi:[0,1]
	v_pk_add_f32 v[2:3], v[2:3], v[6:7]
	v_pk_fma_f32 v[6:7], v[14:15], v[62:63], v[4:5] neg_lo:[0,0,1] neg_hi:[0,0,1]
	v_pk_fma_f32 v[4:5], v[14:15], v[62:63], v[4:5] op_sel_hi:[1,0,1]
	s_nop 0
	v_mov_b32_e32 v7, v5
	v_pk_add_f32 v[2:3], v[2:3], v[6:7]
	s_waitcnt vmcnt(0)
	v_pk_add_f32 v[2:3], v[76:77], v[2:3] neg_lo:[0,1] neg_hi:[0,1]
	scratch_store_dwordx2 off, v[2:3], off offset:208
	s_and_saveexec_b64 s[0:1], vcc
	s_cbranch_execz .LBB57_311
; %bb.310:
	scratch_load_dwordx2 v[2:3], off, off offset:200
	v_mov_b32_e32 v79, v78
	scratch_store_dwordx2 off, v[78:79], off offset:200
	s_waitcnt vmcnt(1)
	ds_write_b64 v1, v[2:3]
.LBB57_311:
	s_or_b64 exec, exec, s[0:1]
	s_waitcnt lgkmcnt(0)
	; wave barrier
	scratch_load_dwordx4 v[58:61], off, off offset:208
	scratch_load_dwordx4 v[62:65], off, off offset:224
	;; [unrolled: 1-line block ×12, first 2 shown]
	ds_read_b128 v[92:95], v78 offset:672
	ds_read_b128 v[96:99], v78 offset:688
	;; [unrolled: 1-line block ×12, first 2 shown]
	scratch_load_dwordx4 v[42:45], off, off offset:400
	scratch_load_dwordx4 v[34:37], off, off offset:416
	;; [unrolled: 1-line block ×4, first 2 shown]
	v_cmp_lt_u32_e32 vcc, 24, v0
	s_waitcnt vmcnt(15) lgkmcnt(11)
	v_mul_f32_e32 v79, v92, v59
	v_mul_f32_e32 v59, v93, v59
	;; [unrolled: 1-line block ×4, first 2 shown]
	v_fmac_f32_e32 v79, v93, v58
	v_fma_f32 v58, v92, v58, -v59
	v_fmac_f32_e32 v80, v95, v60
	v_add_f32_e32 v58, 0, v58
	v_fma_f32 v60, v94, v60, -v61
	v_add_f32_e32 v58, v58, v60
	s_waitcnt vmcnt(14) lgkmcnt(10)
	v_mul_f32_e32 v60, v97, v63
	v_fma_f32 v60, v96, v62, -v60
	v_add_f32_e32 v58, v58, v60
	v_mul_f32_e32 v60, v99, v65
	v_fma_f32 v60, v98, v64, -v60
	v_add_f32_e32 v58, v58, v60
	s_waitcnt vmcnt(13) lgkmcnt(9)
	v_mul_f32_e32 v60, v101, v67
	v_fma_f32 v60, v100, v66, -v60
	v_add_f32_e32 v58, v58, v60
	v_mul_f32_e32 v60, v103, v69
	;; [unrolled: 7-line block ×5, first 2 shown]
	v_fma_f32 v60, v114, v86, -v60
	v_add_f32_e32 v58, v58, v60
	s_waitcnt vmcnt(9) lgkmcnt(5)
	v_mul_f32_e32 v60, v117, v89
	v_fma_f32 v60, v116, v88, -v60
	v_mul_f32_e32 v82, v96, v63
	v_add_f32_e32 v58, v58, v60
	v_mul_f32_e32 v60, v119, v91
	v_fmac_f32_e32 v82, v97, v62
	v_fma_f32 v62, v118, v90, -v60
	scratch_load_dwordx2 v[60:61], off, off offset:200
	v_add_f32_e32 v59, 0, v79
	v_mul_f32_e32 v120, v98, v65
	v_add_f32_e32 v59, v59, v80
	v_mul_f32_e32 v121, v100, v67
	s_waitcnt vmcnt(9) lgkmcnt(4)
	v_mul_f32_e32 v131, v54, v3
	v_fmac_f32_e32 v120, v99, v64
	v_add_f32_e32 v59, v59, v82
	v_mul_f32_e32 v3, v55, v3
	v_mul_f32_e32 v122, v102, v69
	v_fmac_f32_e32 v121, v101, v66
	v_fmac_f32_e32 v131, v55, v2
	v_add_f32_e32 v59, v59, v120
	v_add_f32_e32 v58, v58, v62
	v_fma_f32 v2, v54, v2, -v3
	v_mul_f32_e32 v3, v57, v5
	v_mul_f32_e32 v123, v104, v71
	v_fmac_f32_e32 v122, v103, v68
	v_add_f32_e32 v59, v59, v121
	v_add_f32_e32 v2, v58, v2
	v_fma_f32 v3, v56, v4, -v3
	v_mul_f32_e32 v124, v106, v73
	v_fmac_f32_e32 v123, v105, v70
	v_add_f32_e32 v59, v59, v122
	v_add_f32_e32 v2, v2, v3
	s_waitcnt vmcnt(8) lgkmcnt(3)
	v_mul_f32_e32 v3, v51, v7
	v_mul_f32_e32 v125, v108, v75
	v_fmac_f32_e32 v124, v107, v72
	v_add_f32_e32 v59, v59, v123
	v_fma_f32 v3, v50, v6, -v3
	v_mul_f32_e32 v126, v110, v77
	v_fmac_f32_e32 v125, v109, v74
	v_add_f32_e32 v59, v59, v124
	v_add_f32_e32 v2, v2, v3
	v_mul_f32_e32 v3, v53, v9
	v_mul_f32_e32 v127, v112, v85
	v_fmac_f32_e32 v126, v111, v76
	v_add_f32_e32 v59, v59, v125
	v_fma_f32 v3, v52, v8, -v3
	v_mul_f32_e32 v128, v114, v87
	v_fmac_f32_e32 v127, v113, v84
	v_add_f32_e32 v59, v59, v126
	v_add_f32_e32 v2, v2, v3
	s_waitcnt vmcnt(7) lgkmcnt(2)
	v_mul_f32_e32 v3, v47, v11
	v_mul_f32_e32 v129, v116, v89
	v_fmac_f32_e32 v128, v115, v86
	v_add_f32_e32 v59, v59, v127
	v_fma_f32 v3, v46, v10, -v3
	v_mul_f32_e32 v130, v118, v91
	v_fmac_f32_e32 v129, v117, v88
	v_add_f32_e32 v59, v59, v128
	v_add_f32_e32 v2, v2, v3
	v_mul_f32_e32 v3, v49, v13
	v_fmac_f32_e32 v130, v119, v90
	v_add_f32_e32 v59, v59, v129
	v_fma_f32 v3, v48, v12, -v3
	v_mul_f32_e32 v132, v56, v5
	v_add_f32_e32 v59, v59, v130
	v_add_f32_e32 v2, v2, v3
	s_waitcnt vmcnt(6) lgkmcnt(1)
	v_mul_f32_e32 v3, v39, v15
	v_mul_f32_e32 v133, v50, v7
	v_fmac_f32_e32 v132, v57, v4
	v_add_f32_e32 v59, v59, v131
	v_fma_f32 v3, v38, v14, -v3
	v_mul_f32_e32 v134, v52, v9
	v_fmac_f32_e32 v133, v51, v6
	v_add_f32_e32 v59, v59, v132
	v_add_f32_e32 v2, v2, v3
	v_mul_f32_e32 v3, v41, v17
	v_mul_f32_e32 v135, v46, v11
	v_fmac_f32_e32 v134, v53, v8
	v_add_f32_e32 v59, v59, v133
	v_fma_f32 v3, v40, v16, -v3
	v_mul_f32_e32 v136, v48, v13
	v_fmac_f32_e32 v135, v47, v10
	v_add_f32_e32 v59, v59, v134
	v_add_f32_e32 v58, v2, v3
	s_waitcnt vmcnt(5) lgkmcnt(0)
	v_mul_f32_e32 v2, v31, v23
	v_mul_f32_e32 v137, v38, v15
	;; [unrolled: 1-line block ×3, first 2 shown]
	v_fmac_f32_e32 v136, v49, v12
	v_add_f32_e32 v59, v59, v135
	v_fma_f32 v82, v30, v22, -v2
	v_mul_f32_e32 v2, v33, v25
	v_fmac_f32_e32 v137, v39, v14
	v_fmac_f32_e32 v138, v41, v16
	v_add_f32_e32 v59, v59, v136
	v_fma_f32 v80, v32, v24, -v2
	ds_read_b128 v[2:5], v78 offset:864
	ds_read_b128 v[6:9], v78 offset:880
	;; [unrolled: 1-line block ×4, first 2 shown]
	v_mul_f32_e32 v83, v30, v23
	v_mul_f32_e32 v81, v32, v25
	v_add_f32_e32 v59, v59, v137
	v_fmac_f32_e32 v83, v31, v22
	v_fmac_f32_e32 v81, v33, v24
	v_add_f32_e32 v59, v59, v138
	s_waitcnt vmcnt(4) lgkmcnt(3)
	v_pk_mul_f32 v[24:25], v[2:3], v[42:43] op_sel:[1,1] op_sel_hi:[0,1]
	v_pk_add_f32 v[22:23], v[58:59], v[82:83]
	v_pk_fma_f32 v[30:31], v[2:3], v[42:43], v[24:25] neg_lo:[0,0,1] neg_hi:[0,0,1]
	v_pk_fma_f32 v[2:3], v[2:3], v[42:43], v[24:25] op_sel_hi:[1,0,1]
	v_pk_add_f32 v[22:23], v[22:23], v[80:81]
	v_mov_b32_e32 v31, v3
	v_pk_add_f32 v[2:3], v[22:23], v[30:31]
	v_mov_b32_e32 v22, v45
	v_pk_mul_f32 v[22:23], v[4:5], v[22:23] op_sel:[1,0] op_sel_hi:[0,0]
	v_pk_fma_f32 v[24:25], v[4:5], v[44:45], v[22:23] neg_lo:[0,0,1] neg_hi:[0,0,1]
	v_pk_fma_f32 v[4:5], v[4:5], v[44:45], v[22:23] op_sel_hi:[1,0,1]
	s_nop 0
	v_mov_b32_e32 v25, v5
	s_waitcnt vmcnt(3) lgkmcnt(2)
	v_pk_mul_f32 v[4:5], v[6:7], v[34:35] op_sel:[1,1] op_sel_hi:[0,1]
	v_pk_fma_f32 v[22:23], v[6:7], v[34:35], v[4:5] neg_lo:[0,0,1] neg_hi:[0,0,1]
	v_pk_fma_f32 v[4:5], v[6:7], v[34:35], v[4:5] op_sel_hi:[1,0,1]
	v_pk_add_f32 v[2:3], v[2:3], v[24:25]
	v_mov_b32_e32 v4, v37
	v_mov_b32_e32 v23, v5
	v_pk_mul_f32 v[4:5], v[8:9], v[4:5] op_sel:[1,0] op_sel_hi:[0,0]
	v_pk_fma_f32 v[6:7], v[8:9], v[36:37], v[4:5] neg_lo:[0,0,1] neg_hi:[0,0,1]
	v_pk_fma_f32 v[4:5], v[8:9], v[36:37], v[4:5] op_sel_hi:[1,0,1]
	v_pk_add_f32 v[2:3], v[2:3], v[22:23]
	v_mov_b32_e32 v7, v5
	s_waitcnt vmcnt(2) lgkmcnt(1)
	v_pk_mul_f32 v[4:5], v[10:11], v[26:27] op_sel:[1,1] op_sel_hi:[0,1]
	v_pk_add_f32 v[2:3], v[2:3], v[6:7]
	v_pk_fma_f32 v[6:7], v[10:11], v[26:27], v[4:5] neg_lo:[0,0,1] neg_hi:[0,0,1]
	v_pk_fma_f32 v[4:5], v[10:11], v[26:27], v[4:5] op_sel_hi:[1,0,1]
	s_nop 0
	v_mov_b32_e32 v4, v29
	v_mov_b32_e32 v7, v5
	v_pk_mul_f32 v[4:5], v[12:13], v[4:5] op_sel:[1,0] op_sel_hi:[0,0]
	v_pk_add_f32 v[2:3], v[2:3], v[6:7]
	v_pk_fma_f32 v[6:7], v[12:13], v[28:29], v[4:5] neg_lo:[0,0,1] neg_hi:[0,0,1]
	v_pk_fma_f32 v[4:5], v[12:13], v[28:29], v[4:5] op_sel_hi:[1,0,1]
	s_nop 0
	v_mov_b32_e32 v7, v5
	s_waitcnt vmcnt(1) lgkmcnt(0)
	v_pk_mul_f32 v[4:5], v[14:15], v[18:19] op_sel:[1,1] op_sel_hi:[0,1]
	v_pk_add_f32 v[2:3], v[2:3], v[6:7]
	v_pk_fma_f32 v[6:7], v[14:15], v[18:19], v[4:5] neg_lo:[0,0,1] neg_hi:[0,0,1]
	v_pk_fma_f32 v[4:5], v[14:15], v[18:19], v[4:5] op_sel_hi:[1,0,1]
	s_nop 0
	v_mov_b32_e32 v4, v21
	v_mov_b32_e32 v7, v5
	v_pk_mul_f32 v[4:5], v[16:17], v[4:5] op_sel:[1,0] op_sel_hi:[0,0]
	v_pk_add_f32 v[2:3], v[2:3], v[6:7]
	v_pk_fma_f32 v[6:7], v[16:17], v[20:21], v[4:5] neg_lo:[0,0,1] neg_hi:[0,0,1]
	v_pk_fma_f32 v[4:5], v[16:17], v[20:21], v[4:5] op_sel_hi:[1,0,1]
	s_nop 0
	v_mov_b32_e32 v7, v5
	v_pk_add_f32 v[2:3], v[2:3], v[6:7]
	s_waitcnt vmcnt(0)
	v_pk_add_f32 v[2:3], v[60:61], v[2:3] neg_lo:[0,1] neg_hi:[0,1]
	scratch_store_dwordx2 off, v[2:3], off offset:200
	s_and_saveexec_b64 s[0:1], vcc
	s_cbranch_execz .LBB57_313
; %bb.312:
	scratch_load_dwordx2 v[2:3], off, off offset:192
	v_mov_b32_e32 v4, 0
	v_mov_b32_e32 v5, v4
	scratch_store_dwordx2 off, v[4:5], off offset:192
	s_waitcnt vmcnt(1)
	ds_write_b64 v1, v[2:3]
.LBB57_313:
	s_or_b64 exec, exec, s[0:1]
	s_waitcnt lgkmcnt(0)
	; wave barrier
	scratch_load_dwordx4 v[2:5], off, off offset:200
	scratch_load_dwordx4 v[6:9], off, off offset:216
	;; [unrolled: 1-line block ×13, first 2 shown]
	v_mov_b32_e32 v106, 0
	scratch_load_dwordx2 v[124:125], off, off offset:192
	ds_read2_b64 v[54:57], v106 offset0:83 offset1:84
	ds_read2_b64 v[58:61], v106 offset0:85 offset1:86
	;; [unrolled: 1-line block ×14, first 2 shown]
	v_cmp_lt_u32_e32 vcc, 23, v0
	s_waitcnt vmcnt(13) lgkmcnt(13)
	v_mul_f32_e32 v107, v54, v3
	v_mul_f32_e32 v112, v56, v5
	v_fmac_f32_e32 v107, v55, v2
	s_waitcnt vmcnt(12) lgkmcnt(12)
	v_mul_f32_e32 v113, v58, v7
	v_fmac_f32_e32 v112, v57, v4
	v_add_f32_e32 v107, 0, v107
	v_mul_f32_e32 v114, v60, v9
	v_fmac_f32_e32 v113, v59, v6
	v_add_f32_e32 v107, v107, v112
	s_waitcnt vmcnt(11) lgkmcnt(11)
	v_mul_f32_e32 v115, v62, v11
	v_fmac_f32_e32 v114, v61, v8
	v_add_f32_e32 v107, v107, v113
	v_mul_f32_e32 v116, v64, v13
	v_fmac_f32_e32 v115, v63, v10
	v_add_f32_e32 v107, v107, v114
	;; [unrolled: 7-line block ×8, first 2 shown]
	s_waitcnt vmcnt(4) lgkmcnt(4)
	v_mul_f32_e32 v133, v90, v39
	v_fmac_f32_e32 v132, v89, v36
	v_add_f32_e32 v107, v107, v131
	v_fmac_f32_e32 v133, v91, v38
	v_add_f32_e32 v107, v107, v132
	v_add_f32_e32 v107, v107, v133
	scratch_load_dwordx4 v[112:115], off, off offset:408
	scratch_load_dwordx4 v[116:119], off, off offset:424
	;; [unrolled: 1-line block ×3, first 2 shown]
	scratch_load_dwordx2 v[132:133], off, off offset:456
	v_mul_f32_e32 v3, v55, v3
	v_fma_f32 v2, v54, v2, -v3
	v_mul_f32_e32 v3, v57, v5
	v_add_f32_e32 v2, 0, v2
	v_fma_f32 v3, v56, v4, -v3
	v_add_f32_e32 v2, v2, v3
	v_mul_f32_e32 v3, v59, v7
	v_fma_f32 v3, v58, v6, -v3
	v_add_f32_e32 v2, v2, v3
	v_mul_f32_e32 v3, v61, v9
	v_fma_f32 v3, v60, v8, -v3
	v_add_f32_e32 v2, v2, v3
	v_mul_f32_e32 v3, v63, v11
	v_fma_f32 v3, v62, v10, -v3
	v_add_f32_e32 v2, v2, v3
	v_mul_f32_e32 v3, v65, v13
	v_fma_f32 v3, v64, v12, -v3
	v_add_f32_e32 v2, v2, v3
	v_mul_f32_e32 v3, v67, v15
	v_fma_f32 v3, v66, v14, -v3
	v_add_f32_e32 v2, v2, v3
	v_mul_f32_e32 v3, v69, v17
	v_fma_f32 v3, v68, v16, -v3
	v_add_f32_e32 v2, v2, v3
	v_mul_f32_e32 v3, v71, v19
	v_fma_f32 v3, v70, v18, -v3
	v_add_f32_e32 v2, v2, v3
	v_mul_f32_e32 v3, v73, v21
	v_fma_f32 v3, v72, v20, -v3
	v_add_f32_e32 v2, v2, v3
	v_mul_f32_e32 v3, v75, v23
	v_fma_f32 v3, v74, v22, -v3
	v_add_f32_e32 v2, v2, v3
	v_mul_f32_e32 v3, v77, v25
	v_fma_f32 v3, v76, v24, -v3
	v_add_f32_e32 v2, v2, v3
	v_mul_f32_e32 v3, v79, v27
	v_fma_f32 v3, v78, v26, -v3
	v_add_f32_e32 v2, v2, v3
	v_mul_f32_e32 v3, v81, v29
	v_fma_f32 v3, v80, v28, -v3
	v_add_f32_e32 v2, v2, v3
	v_mul_f32_e32 v3, v83, v31
	v_fma_f32 v3, v82, v30, -v3
	v_add_f32_e32 v2, v2, v3
	v_mul_f32_e32 v3, v85, v33
	v_fma_f32 v3, v84, v32, -v3
	v_add_f32_e32 v2, v2, v3
	v_mul_f32_e32 v3, v87, v35
	v_fma_f32 v3, v86, v34, -v3
	v_add_f32_e32 v2, v2, v3
	v_mul_f32_e32 v3, v89, v37
	v_fma_f32 v3, v88, v36, -v3
	v_add_f32_e32 v2, v2, v3
	v_mul_f32_e32 v3, v91, v39
	v_fma_f32 v3, v90, v38, -v3
	v_add_f32_e32 v2, v2, v3
	v_mul_f32_e32 v3, v93, v41
	v_fma_f32 v3, v92, v40, -v3
	v_add_f32_e32 v2, v2, v3
	s_waitcnt vmcnt(7) lgkmcnt(3)
	v_mul_f32_e32 v3, v95, v43
	v_fma_f32 v3, v94, v42, -v3
	v_mul_f32_e32 v134, v92, v41
	v_add_f32_e32 v2, v2, v3
	v_mul_f32_e32 v3, v97, v45
	v_mul_f32_e32 v135, v94, v43
	v_fmac_f32_e32 v134, v93, v40
	v_fma_f32 v3, v96, v44, -v3
	v_mul_f32_e32 v136, v96, v45
	v_fmac_f32_e32 v135, v95, v42
	v_add_f32_e32 v107, v107, v134
	v_add_f32_e32 v2, v2, v3
	s_waitcnt vmcnt(6) lgkmcnt(2)
	v_mul_f32_e32 v3, v99, v47
	v_mul_f32_e32 v137, v98, v47
	v_fmac_f32_e32 v136, v97, v44
	v_add_f32_e32 v107, v107, v135
	v_fma_f32 v3, v98, v46, -v3
	v_mul_f32_e32 v127, v100, v49
	v_fmac_f32_e32 v137, v99, v46
	v_add_f32_e32 v107, v107, v136
	v_add_f32_e32 v130, v2, v3
	v_mul_f32_e32 v2, v101, v49
	s_waitcnt vmcnt(5)
	v_mov_b32_e32 v14, v53
	s_waitcnt lgkmcnt(1)
	v_mul_f32_e32 v129, v102, v51
	v_fmac_f32_e32 v127, v101, v48
	v_add_f32_e32 v131, v107, v137
	v_fma_f32 v126, v100, v48, -v2
	v_mul_f32_e32 v2, v103, v51
	v_pk_mul_f32 v[14:15], v[104:105], v[14:15] op_sel:[1,0] op_sel_hi:[0,0]
	v_fmac_f32_e32 v129, v103, v50
	v_fma_f32 v128, v102, v50, -v2
	v_pk_add_f32 v[12:13], v[130:131], v[126:127]
	v_pk_fma_f32 v[16:17], v[104:105], v[52:53], v[14:15] neg_lo:[0,0,1] neg_hi:[0,0,1]
	v_pk_fma_f32 v[14:15], v[104:105], v[52:53], v[14:15] op_sel_hi:[1,0,1]
	v_pk_add_f32 v[12:13], v[12:13], v[128:129]
	v_mov_b32_e32 v17, v15
	s_waitcnt vmcnt(3) lgkmcnt(0)
	v_pk_mul_f32 v[14:15], v[108:109], v[112:113] op_sel:[1,1] op_sel_hi:[0,1]
	v_pk_add_f32 v[12:13], v[12:13], v[16:17]
	v_pk_fma_f32 v[16:17], v[108:109], v[112:113], v[14:15] neg_lo:[0,0,1] neg_hi:[0,0,1]
	v_pk_fma_f32 v[14:15], v[108:109], v[112:113], v[14:15] op_sel_hi:[1,0,1]
	ds_read2_b64 v[2:5], v106 offset0:111 offset1:112
	ds_read2_b64 v[6:9], v106 offset0:113 offset1:114
	ds_read_b64 v[10:11], v106 offset:920
	v_mov_b32_e32 v14, v115
	v_mov_b32_e32 v17, v15
	v_pk_mul_f32 v[14:15], v[110:111], v[14:15] op_sel:[1,0] op_sel_hi:[0,0]
	v_pk_add_f32 v[12:13], v[12:13], v[16:17]
	v_pk_fma_f32 v[16:17], v[110:111], v[114:115], v[14:15] neg_lo:[0,0,1] neg_hi:[0,0,1]
	v_pk_fma_f32 v[14:15], v[110:111], v[114:115], v[14:15] op_sel_hi:[1,0,1]
	s_nop 0
	v_mov_b32_e32 v17, v15
	s_waitcnt vmcnt(2) lgkmcnt(2)
	v_pk_mul_f32 v[14:15], v[2:3], v[116:117] op_sel:[1,1] op_sel_hi:[0,1]
	v_pk_add_f32 v[12:13], v[12:13], v[16:17]
	v_pk_fma_f32 v[16:17], v[2:3], v[116:117], v[14:15] neg_lo:[0,0,1] neg_hi:[0,0,1]
	v_pk_fma_f32 v[2:3], v[2:3], v[116:117], v[14:15] op_sel_hi:[1,0,1]
	s_nop 0
	v_mov_b32_e32 v17, v3
	v_pk_add_f32 v[2:3], v[12:13], v[16:17]
	v_mov_b32_e32 v12, v119
	v_pk_mul_f32 v[12:13], v[4:5], v[12:13] op_sel:[1,0] op_sel_hi:[0,0]
	v_pk_fma_f32 v[14:15], v[4:5], v[118:119], v[12:13] neg_lo:[0,0,1] neg_hi:[0,0,1]
	v_pk_fma_f32 v[4:5], v[4:5], v[118:119], v[12:13] op_sel_hi:[1,0,1]
	s_nop 0
	v_mov_b32_e32 v15, v5
	s_waitcnt vmcnt(1) lgkmcnt(1)
	v_pk_mul_f32 v[4:5], v[6:7], v[120:121] op_sel:[1,1] op_sel_hi:[0,1]
	v_pk_fma_f32 v[12:13], v[6:7], v[120:121], v[4:5] neg_lo:[0,0,1] neg_hi:[0,0,1]
	v_pk_fma_f32 v[4:5], v[6:7], v[120:121], v[4:5] op_sel_hi:[1,0,1]
	v_pk_add_f32 v[2:3], v[2:3], v[14:15]
	v_mov_b32_e32 v4, v123
	v_mov_b32_e32 v13, v5
	v_pk_mul_f32 v[4:5], v[8:9], v[4:5] op_sel:[1,0] op_sel_hi:[0,0]
	v_pk_fma_f32 v[6:7], v[8:9], v[122:123], v[4:5] neg_lo:[0,0,1] neg_hi:[0,0,1]
	v_pk_fma_f32 v[4:5], v[8:9], v[122:123], v[4:5] op_sel_hi:[1,0,1]
	v_pk_add_f32 v[2:3], v[2:3], v[12:13]
	v_mov_b32_e32 v7, v5
	s_waitcnt vmcnt(0) lgkmcnt(0)
	v_pk_mul_f32 v[4:5], v[10:11], v[132:133] op_sel:[1,1] op_sel_hi:[0,1]
	v_pk_add_f32 v[2:3], v[2:3], v[6:7]
	v_pk_fma_f32 v[6:7], v[10:11], v[132:133], v[4:5] neg_lo:[0,0,1] neg_hi:[0,0,1]
	v_pk_fma_f32 v[4:5], v[10:11], v[132:133], v[4:5] op_sel_hi:[1,0,1]
	s_nop 0
	v_mov_b32_e32 v7, v5
	v_pk_add_f32 v[2:3], v[2:3], v[6:7]
	s_nop 0
	v_pk_add_f32 v[2:3], v[124:125], v[2:3] neg_lo:[0,1] neg_hi:[0,1]
	scratch_store_dwordx2 off, v[2:3], off offset:192
	s_and_saveexec_b64 s[0:1], vcc
	s_cbranch_execz .LBB57_315
; %bb.314:
	scratch_load_dwordx2 v[2:3], off, off offset:184
	v_mov_b32_e32 v107, v106
	scratch_store_dwordx2 off, v[106:107], off offset:184
	s_waitcnt vmcnt(1)
	ds_write_b64 v1, v[2:3]
.LBB57_315:
	s_or_b64 exec, exec, s[0:1]
	s_waitcnt lgkmcnt(0)
	; wave barrier
	scratch_load_dwordx4 v[2:5], off, off offset:192
	scratch_load_dwordx4 v[6:9], off, off offset:208
	;; [unrolled: 1-line block ×13, first 2 shown]
	ds_read_b128 v[102:105], v106 offset:656
	ds_read_b128 v[98:101], v106 offset:672
	;; [unrolled: 1-line block ×14, first 2 shown]
	scratch_load_dwordx2 v[128:129], off, off offset:184
	v_cmp_lt_u32_e32 vcc, 22, v0
	s_waitcnt vmcnt(13) lgkmcnt(13)
	v_mul_f32_e32 v107, v102, v3
	v_mul_f32_e32 v112, v104, v5
	v_fmac_f32_e32 v107, v103, v2
	s_waitcnt vmcnt(12) lgkmcnt(12)
	v_mul_f32_e32 v113, v98, v7
	v_fmac_f32_e32 v112, v105, v4
	v_add_f32_e32 v107, 0, v107
	v_mul_f32_e32 v114, v100, v9
	v_fmac_f32_e32 v113, v99, v6
	v_add_f32_e32 v107, v107, v112
	s_waitcnt vmcnt(11) lgkmcnt(11)
	v_mul_f32_e32 v115, v94, v11
	v_fmac_f32_e32 v114, v101, v8
	v_add_f32_e32 v107, v107, v113
	v_mul_f32_e32 v116, v96, v13
	v_fmac_f32_e32 v115, v95, v10
	v_add_f32_e32 v107, v107, v114
	;; [unrolled: 7-line block ×7, first 2 shown]
	s_waitcnt vmcnt(5) lgkmcnt(5)
	v_mul_f32_e32 v127, v70, v35
	v_fmac_f32_e32 v126, v77, v32
	v_add_f32_e32 v107, v107, v125
	v_fmac_f32_e32 v127, v71, v34
	v_add_f32_e32 v107, v107, v126
	v_add_f32_e32 v107, v107, v127
	scratch_load_dwordx4 v[112:115], off, off offset:400
	scratch_load_dwordx4 v[116:119], off, off offset:416
	;; [unrolled: 1-line block ×4, first 2 shown]
	v_mul_f32_e32 v3, v103, v3
	v_fma_f32 v2, v102, v2, -v3
	v_mul_f32_e32 v3, v105, v5
	v_add_f32_e32 v2, 0, v2
	v_fma_f32 v3, v104, v4, -v3
	v_add_f32_e32 v2, v2, v3
	v_mul_f32_e32 v3, v99, v7
	v_fma_f32 v3, v98, v6, -v3
	v_add_f32_e32 v2, v2, v3
	v_mul_f32_e32 v3, v101, v9
	;; [unrolled: 3-line block ×16, first 2 shown]
	v_fma_f32 v3, v72, v36, -v3
	v_add_f32_e32 v2, v2, v3
	s_waitcnt vmcnt(8) lgkmcnt(4)
	v_mul_f32_e32 v3, v67, v39
	v_fma_f32 v3, v66, v38, -v3
	v_add_f32_e32 v2, v2, v3
	v_mul_f32_e32 v3, v69, v41
	v_fma_f32 v3, v68, v40, -v3
	v_add_f32_e32 v2, v2, v3
	s_waitcnt vmcnt(7) lgkmcnt(3)
	v_mul_f32_e32 v3, v63, v43
	v_mul_f32_e32 v130, v72, v37
	v_fma_f32 v3, v62, v42, -v3
	v_mul_f32_e32 v132, v66, v39
	v_fmac_f32_e32 v130, v73, v36
	v_add_f32_e32 v2, v2, v3
	v_mul_f32_e32 v3, v65, v45
	v_mul_f32_e32 v134, v68, v41
	v_fmac_f32_e32 v132, v67, v38
	v_add_f32_e32 v107, v107, v130
	v_fma_f32 v3, v64, v44, -v3
	v_mul_f32_e32 v135, v62, v43
	v_fmac_f32_e32 v134, v69, v40
	v_add_f32_e32 v107, v107, v132
	v_add_f32_e32 v2, v2, v3
	s_waitcnt vmcnt(6) lgkmcnt(2)
	v_mul_f32_e32 v3, v59, v47
	v_mul_f32_e32 v136, v64, v45
	v_fmac_f32_e32 v135, v63, v42
	v_add_f32_e32 v107, v107, v134
	v_fma_f32 v3, v58, v46, -v3
	v_mul_f32_e32 v137, v58, v47
	v_fmac_f32_e32 v136, v65, v44
	v_add_f32_e32 v107, v107, v135
	v_add_f32_e32 v2, v2, v3
	v_mul_f32_e32 v3, v61, v49
	v_mul_f32_e32 v138, v60, v49
	v_fmac_f32_e32 v137, v59, v46
	v_add_f32_e32 v107, v107, v136
	v_fma_f32 v3, v60, v48, -v3
	s_waitcnt vmcnt(5) lgkmcnt(1)
	v_mul_f32_e32 v131, v54, v51
	v_fmac_f32_e32 v138, v61, v48
	v_add_f32_e32 v107, v107, v137
	v_add_f32_e32 v134, v2, v3
	v_mul_f32_e32 v2, v55, v51
	s_waitcnt vmcnt(3) lgkmcnt(0)
	v_pk_mul_f32 v[16:17], v[108:109], v[112:113] op_sel:[1,1] op_sel_hi:[0,1]
	v_mul_f32_e32 v133, v56, v53
	v_fmac_f32_e32 v131, v55, v50
	v_add_f32_e32 v135, v107, v138
	v_fma_f32 v130, v54, v50, -v2
	v_mul_f32_e32 v2, v57, v53
	v_pk_fma_f32 v[18:19], v[108:109], v[112:113], v[16:17] neg_lo:[0,0,1] neg_hi:[0,0,1]
	v_pk_fma_f32 v[16:17], v[108:109], v[112:113], v[16:17] op_sel_hi:[1,0,1]
	v_fmac_f32_e32 v133, v57, v52
	v_fma_f32 v132, v56, v52, -v2
	ds_read_b128 v[2:5], v106 offset:880
	ds_read_b128 v[6:9], v106 offset:896
	;; [unrolled: 1-line block ×3, first 2 shown]
	v_pk_add_f32 v[14:15], v[134:135], v[130:131]
	v_mov_b32_e32 v16, v115
	v_pk_add_f32 v[14:15], v[14:15], v[132:133]
	v_mov_b32_e32 v19, v17
	v_pk_mul_f32 v[16:17], v[110:111], v[16:17] op_sel:[1,0] op_sel_hi:[0,0]
	v_pk_add_f32 v[14:15], v[14:15], v[18:19]
	v_pk_fma_f32 v[18:19], v[110:111], v[114:115], v[16:17] neg_lo:[0,0,1] neg_hi:[0,0,1]
	v_pk_fma_f32 v[16:17], v[110:111], v[114:115], v[16:17] op_sel_hi:[1,0,1]
	s_nop 0
	v_mov_b32_e32 v19, v17
	s_waitcnt vmcnt(2) lgkmcnt(2)
	v_pk_mul_f32 v[16:17], v[2:3], v[116:117] op_sel:[1,1] op_sel_hi:[0,1]
	v_pk_add_f32 v[14:15], v[14:15], v[18:19]
	v_pk_fma_f32 v[18:19], v[2:3], v[116:117], v[16:17] neg_lo:[0,0,1] neg_hi:[0,0,1]
	v_pk_fma_f32 v[2:3], v[2:3], v[116:117], v[16:17] op_sel_hi:[1,0,1]
	s_nop 0
	v_mov_b32_e32 v19, v3
	v_pk_add_f32 v[2:3], v[14:15], v[18:19]
	v_mov_b32_e32 v14, v119
	v_pk_mul_f32 v[14:15], v[4:5], v[14:15] op_sel:[1,0] op_sel_hi:[0,0]
	v_pk_fma_f32 v[16:17], v[4:5], v[118:119], v[14:15] neg_lo:[0,0,1] neg_hi:[0,0,1]
	v_pk_fma_f32 v[4:5], v[4:5], v[118:119], v[14:15] op_sel_hi:[1,0,1]
	s_nop 0
	v_mov_b32_e32 v17, v5
	s_waitcnt vmcnt(1) lgkmcnt(1)
	v_pk_mul_f32 v[4:5], v[6:7], v[120:121] op_sel:[1,1] op_sel_hi:[0,1]
	v_pk_fma_f32 v[14:15], v[6:7], v[120:121], v[4:5] neg_lo:[0,0,1] neg_hi:[0,0,1]
	v_pk_fma_f32 v[4:5], v[6:7], v[120:121], v[4:5] op_sel_hi:[1,0,1]
	v_pk_add_f32 v[2:3], v[2:3], v[16:17]
	v_mov_b32_e32 v4, v123
	v_mov_b32_e32 v15, v5
	v_pk_mul_f32 v[4:5], v[8:9], v[4:5] op_sel:[1,0] op_sel_hi:[0,0]
	v_pk_fma_f32 v[6:7], v[8:9], v[122:123], v[4:5] neg_lo:[0,0,1] neg_hi:[0,0,1]
	v_pk_fma_f32 v[4:5], v[8:9], v[122:123], v[4:5] op_sel_hi:[1,0,1]
	v_pk_add_f32 v[2:3], v[2:3], v[14:15]
	v_mov_b32_e32 v7, v5
	s_waitcnt vmcnt(0) lgkmcnt(0)
	v_pk_mul_f32 v[4:5], v[10:11], v[124:125] op_sel:[1,1] op_sel_hi:[0,1]
	v_pk_add_f32 v[2:3], v[2:3], v[6:7]
	v_pk_fma_f32 v[6:7], v[10:11], v[124:125], v[4:5] neg_lo:[0,0,1] neg_hi:[0,0,1]
	v_pk_fma_f32 v[4:5], v[10:11], v[124:125], v[4:5] op_sel_hi:[1,0,1]
	s_nop 0
	v_mov_b32_e32 v4, v127
	v_mov_b32_e32 v7, v5
	v_pk_mul_f32 v[4:5], v[12:13], v[4:5] op_sel:[1,0] op_sel_hi:[0,0]
	v_pk_add_f32 v[2:3], v[2:3], v[6:7]
	v_pk_fma_f32 v[6:7], v[12:13], v[126:127], v[4:5] neg_lo:[0,0,1] neg_hi:[0,0,1]
	v_pk_fma_f32 v[4:5], v[12:13], v[126:127], v[4:5] op_sel_hi:[1,0,1]
	s_nop 0
	v_mov_b32_e32 v7, v5
	v_pk_add_f32 v[2:3], v[2:3], v[6:7]
	s_nop 0
	v_pk_add_f32 v[2:3], v[128:129], v[2:3] neg_lo:[0,1] neg_hi:[0,1]
	scratch_store_dwordx2 off, v[2:3], off offset:184
	s_and_saveexec_b64 s[0:1], vcc
	s_cbranch_execz .LBB57_317
; %bb.316:
	scratch_load_dwordx2 v[2:3], off, off offset:176
	v_mov_b32_e32 v4, 0
	v_mov_b32_e32 v5, v4
	scratch_store_dwordx2 off, v[4:5], off offset:176
	s_waitcnt vmcnt(1)
	ds_write_b64 v1, v[2:3]
.LBB57_317:
	s_or_b64 exec, exec, s[0:1]
	s_waitcnt lgkmcnt(0)
	; wave barrier
	scratch_load_dwordx4 v[6:9], off, off offset:184
	scratch_load_dwordx4 v[14:17], off, off offset:200
	;; [unrolled: 1-line block ×10, first 2 shown]
	v_mov_b32_e32 v70, 0
	ds_read2_b64 v[2:5], v70 offset0:81 offset1:82
	scratch_load_dwordx4 v[88:91], off, off offset:344
	scratch_load_dwordx4 v[96:99], off, off offset:360
	;; [unrolled: 1-line block ×4, first 2 shown]
	v_cmp_lt_u32_e32 vcc, 21, v0
	s_waitcnt vmcnt(13) lgkmcnt(0)
	v_mul_f32_e32 v10, v2, v7
	v_fmac_f32_e32 v10, v3, v6
	v_mul_f32_e32 v11, v4, v9
	v_add_f32_e32 v10, 0, v10
	v_fmac_f32_e32 v11, v5, v8
	v_add_f32_e32 v18, v10, v11
	ds_read2_b64 v[10:13], v70 offset0:83 offset1:84
	v_mul_f32_e32 v3, v3, v7
	v_fma_f32 v2, v2, v6, -v3
	v_mul_f32_e32 v3, v5, v9
	v_add_f32_e32 v2, 0, v2
	s_waitcnt vmcnt(12) lgkmcnt(0)
	v_mul_f32_e32 v19, v10, v15
	v_fmac_f32_e32 v19, v11, v14
	v_add_f32_e32 v18, v18, v19
	v_mul_f32_e32 v19, v12, v17
	v_fmac_f32_e32 v19, v13, v16
	v_add_f32_e32 v26, v18, v19
	ds_read2_b64 v[18:21], v70 offset0:85 offset1:86
	v_fma_f32 v3, v4, v8, -v3
	v_add_f32_e32 v2, v2, v3
	v_mul_f32_e32 v3, v11, v15
	v_fma_f32 v3, v10, v14, -v3
	s_waitcnt vmcnt(11) lgkmcnt(0)
	v_mul_f32_e32 v27, v18, v23
	v_fmac_f32_e32 v27, v19, v22
	v_add_f32_e32 v26, v26, v27
	v_mul_f32_e32 v27, v20, v25
	v_fmac_f32_e32 v27, v21, v24
	v_add_f32_e32 v34, v26, v27
	ds_read2_b64 v[26:29], v70 offset0:87 offset1:88
	v_add_f32_e32 v2, v2, v3
	v_mul_f32_e32 v3, v13, v17
	v_fma_f32 v3, v12, v16, -v3
	v_add_f32_e32 v2, v2, v3
	s_waitcnt vmcnt(10) lgkmcnt(0)
	v_mul_f32_e32 v35, v26, v31
	v_fmac_f32_e32 v35, v27, v30
	v_add_f32_e32 v34, v34, v35
	v_mul_f32_e32 v35, v28, v33
	v_fmac_f32_e32 v35, v29, v32
	v_add_f32_e32 v42, v34, v35
	ds_read2_b64 v[34:37], v70 offset0:89 offset1:90
	v_mul_f32_e32 v3, v19, v23
	v_fma_f32 v3, v18, v22, -v3
	v_add_f32_e32 v2, v2, v3
	v_mul_f32_e32 v3, v21, v25
	s_waitcnt vmcnt(9) lgkmcnt(0)
	v_mul_f32_e32 v43, v34, v39
	v_fmac_f32_e32 v43, v35, v38
	v_add_f32_e32 v42, v42, v43
	v_mul_f32_e32 v43, v36, v41
	v_fmac_f32_e32 v43, v37, v40
	v_add_f32_e32 v50, v42, v43
	ds_read2_b64 v[42:45], v70 offset0:91 offset1:92
	v_fma_f32 v3, v20, v24, -v3
	v_add_f32_e32 v2, v2, v3
	v_mul_f32_e32 v3, v27, v31
	v_fma_f32 v3, v26, v30, -v3
	s_waitcnt vmcnt(8) lgkmcnt(0)
	v_mul_f32_e32 v51, v42, v47
	v_fmac_f32_e32 v51, v43, v46
	v_add_f32_e32 v50, v50, v51
	v_mul_f32_e32 v51, v44, v49
	v_fmac_f32_e32 v51, v45, v48
	v_add_f32_e32 v58, v50, v51
	ds_read2_b64 v[50:53], v70 offset0:93 offset1:94
	v_add_f32_e32 v2, v2, v3
	v_mul_f32_e32 v3, v29, v33
	v_fma_f32 v3, v28, v32, -v3
	v_add_f32_e32 v2, v2, v3
	s_waitcnt vmcnt(7) lgkmcnt(0)
	v_mul_f32_e32 v59, v50, v55
	v_fmac_f32_e32 v59, v51, v54
	v_add_f32_e32 v58, v58, v59
	v_mul_f32_e32 v59, v52, v57
	v_fmac_f32_e32 v59, v53, v56
	v_add_f32_e32 v66, v58, v59
	ds_read2_b64 v[58:61], v70 offset0:95 offset1:96
	v_mul_f32_e32 v3, v35, v39
	v_fma_f32 v3, v34, v38, -v3
	v_add_f32_e32 v2, v2, v3
	v_mul_f32_e32 v3, v37, v41
	;; [unrolled: 36-line block ×3, first 2 shown]
	s_waitcnt vmcnt(3) lgkmcnt(0)
	v_mul_f32_e32 v92, v84, v89
	v_fmac_f32_e32 v92, v85, v88
	v_add_f32_e32 v71, v71, v92
	v_mul_f32_e32 v92, v86, v91
	v_fmac_f32_e32 v92, v87, v90
	v_add_f32_e32 v71, v71, v92
	ds_read2_b64 v[92:95], v70 offset0:103 offset1:104
	v_fma_f32 v3, v52, v56, -v3
	v_add_f32_e32 v2, v2, v3
	v_mul_f32_e32 v3, v59, v63
	v_fma_f32 v3, v58, v62, -v3
	s_waitcnt vmcnt(2) lgkmcnt(0)
	v_mul_f32_e32 v100, v92, v97
	v_fmac_f32_e32 v100, v93, v96
	v_add_f32_e32 v71, v71, v100
	v_mul_f32_e32 v100, v94, v99
	v_fmac_f32_e32 v100, v95, v98
	v_add_f32_e32 v71, v71, v100
	ds_read2_b64 v[100:103], v70 offset0:105 offset1:106
	v_add_f32_e32 v2, v2, v3
	v_mul_f32_e32 v3, v61, v65
	v_fma_f32 v3, v60, v64, -v3
	v_add_f32_e32 v2, v2, v3
	s_waitcnt vmcnt(1) lgkmcnt(0)
	v_mul_f32_e32 v108, v100, v105
	v_fmac_f32_e32 v108, v101, v104
	v_add_f32_e32 v129, v71, v108
	ds_read2_b64 v[108:111], v70 offset0:107 offset1:108
	scratch_load_dwordx4 v[116:119], off, off offset:408
	scratch_load_dwordx4 v[120:123], off, off offset:424
	;; [unrolled: 1-line block ×3, first 2 shown]
	scratch_load_dwordx2 v[134:135], off, off offset:456
	v_mul_f32_e32 v3, v67, v73
	v_fma_f32 v3, v66, v72, -v3
	v_add_f32_e32 v2, v2, v3
	v_mul_f32_e32 v3, v69, v75
	v_fma_f32 v3, v68, v74, -v3
	v_add_f32_e32 v2, v2, v3
	;; [unrolled: 3-line block ×9, first 2 shown]
	v_mul_f32_e32 v2, v103, v107
	v_mul_f32_e32 v131, v102, v107
	v_fma_f32 v130, v102, v106, -v2
	s_waitcnt vmcnt(4) lgkmcnt(0)
	v_mul_f32_e32 v2, v109, v113
	v_mov_b32_e32 v18, v115
	v_fmac_f32_e32 v131, v103, v106
	v_mul_f32_e32 v133, v108, v113
	v_fma_f32 v132, v108, v112, -v2
	ds_read2_b64 v[2:5], v70 offset0:109 offset1:110
	ds_read2_b64 v[6:9], v70 offset0:111 offset1:112
	;; [unrolled: 1-line block ×3, first 2 shown]
	ds_read_b64 v[14:15], v70 offset:920
	v_pk_mul_f32 v[18:19], v[110:111], v[18:19] op_sel:[1,0] op_sel_hi:[0,0]
	v_fmac_f32_e32 v133, v109, v112
	v_pk_add_f32 v[16:17], v[128:129], v[130:131]
	v_pk_fma_f32 v[20:21], v[110:111], v[114:115], v[18:19] neg_lo:[0,0,1] neg_hi:[0,0,1]
	v_pk_fma_f32 v[18:19], v[110:111], v[114:115], v[18:19] op_sel_hi:[1,0,1]
	v_pk_add_f32 v[16:17], v[16:17], v[132:133]
	v_mov_b32_e32 v21, v19
	v_pk_add_f32 v[16:17], v[16:17], v[20:21]
	s_waitcnt vmcnt(3) lgkmcnt(3)
	v_pk_mul_f32 v[18:19], v[2:3], v[116:117] op_sel:[1,1] op_sel_hi:[0,1]
	v_pk_fma_f32 v[20:21], v[2:3], v[116:117], v[18:19] neg_lo:[0,0,1] neg_hi:[0,0,1]
	v_pk_fma_f32 v[2:3], v[2:3], v[116:117], v[18:19] op_sel_hi:[1,0,1]
	s_nop 0
	v_mov_b32_e32 v21, v3
	v_pk_add_f32 v[2:3], v[16:17], v[20:21]
	v_mov_b32_e32 v16, v119
	v_pk_mul_f32 v[16:17], v[4:5], v[16:17] op_sel:[1,0] op_sel_hi:[0,0]
	v_pk_fma_f32 v[18:19], v[4:5], v[118:119], v[16:17] neg_lo:[0,0,1] neg_hi:[0,0,1]
	v_pk_fma_f32 v[4:5], v[4:5], v[118:119], v[16:17] op_sel_hi:[1,0,1]
	s_nop 0
	v_mov_b32_e32 v19, v5
	s_waitcnt vmcnt(2) lgkmcnt(2)
	v_pk_mul_f32 v[4:5], v[6:7], v[120:121] op_sel:[1,1] op_sel_hi:[0,1]
	v_pk_fma_f32 v[16:17], v[6:7], v[120:121], v[4:5] neg_lo:[0,0,1] neg_hi:[0,0,1]
	v_pk_fma_f32 v[4:5], v[6:7], v[120:121], v[4:5] op_sel_hi:[1,0,1]
	v_pk_add_f32 v[2:3], v[2:3], v[18:19]
	v_mov_b32_e32 v4, v123
	v_mov_b32_e32 v17, v5
	v_pk_mul_f32 v[4:5], v[8:9], v[4:5] op_sel:[1,0] op_sel_hi:[0,0]
	v_pk_fma_f32 v[6:7], v[8:9], v[122:123], v[4:5] neg_lo:[0,0,1] neg_hi:[0,0,1]
	v_pk_fma_f32 v[4:5], v[8:9], v[122:123], v[4:5] op_sel_hi:[1,0,1]
	v_pk_add_f32 v[2:3], v[2:3], v[16:17]
	v_mov_b32_e32 v7, v5
	s_waitcnt vmcnt(1) lgkmcnt(1)
	v_pk_mul_f32 v[4:5], v[10:11], v[124:125] op_sel:[1,1] op_sel_hi:[0,1]
	v_pk_add_f32 v[2:3], v[2:3], v[6:7]
	v_pk_fma_f32 v[6:7], v[10:11], v[124:125], v[4:5] neg_lo:[0,0,1] neg_hi:[0,0,1]
	v_pk_fma_f32 v[4:5], v[10:11], v[124:125], v[4:5] op_sel_hi:[1,0,1]
	s_nop 0
	v_mov_b32_e32 v4, v127
	v_mov_b32_e32 v7, v5
	v_pk_mul_f32 v[4:5], v[12:13], v[4:5] op_sel:[1,0] op_sel_hi:[0,0]
	v_pk_add_f32 v[2:3], v[2:3], v[6:7]
	v_pk_fma_f32 v[6:7], v[12:13], v[126:127], v[4:5] neg_lo:[0,0,1] neg_hi:[0,0,1]
	v_pk_fma_f32 v[4:5], v[12:13], v[126:127], v[4:5] op_sel_hi:[1,0,1]
	s_nop 0
	v_mov_b32_e32 v7, v5
	s_waitcnt vmcnt(0) lgkmcnt(0)
	v_pk_mul_f32 v[4:5], v[14:15], v[134:135] op_sel:[1,1] op_sel_hi:[0,1]
	v_pk_add_f32 v[2:3], v[2:3], v[6:7]
	v_pk_fma_f32 v[6:7], v[14:15], v[134:135], v[4:5] neg_lo:[0,0,1] neg_hi:[0,0,1]
	v_pk_fma_f32 v[4:5], v[14:15], v[134:135], v[4:5] op_sel_hi:[1,0,1]
	s_nop 0
	v_mov_b32_e32 v7, v5
	scratch_load_dwordx2 v[4:5], off, off offset:176
	v_pk_add_f32 v[2:3], v[2:3], v[6:7]
	s_waitcnt vmcnt(0)
	v_pk_add_f32 v[2:3], v[4:5], v[2:3] neg_lo:[0,1] neg_hi:[0,1]
	scratch_store_dwordx2 off, v[2:3], off offset:176
	s_and_saveexec_b64 s[0:1], vcc
	s_cbranch_execz .LBB57_319
; %bb.318:
	scratch_load_dwordx2 v[2:3], off, off offset:168
	v_mov_b32_e32 v71, v70
	scratch_store_dwordx2 off, v[70:71], off offset:168
	s_waitcnt vmcnt(1)
	ds_write_b64 v1, v[2:3]
.LBB57_319:
	s_or_b64 exec, exec, s[0:1]
	s_waitcnt lgkmcnt(0)
	; wave barrier
	ds_read_b128 v[14:17], v70 offset:640
	ds_read_b128 v[10:13], v70 offset:656
	;; [unrolled: 1-line block ×4, first 2 shown]
	scratch_load_dwordx4 v[18:21], off, off offset:176
	scratch_load_dwordx4 v[38:41], off, off offset:240
	;; [unrolled: 1-line block ×8, first 2 shown]
	v_cmp_lt_u32_e32 vcc, 20, v0
	scratch_load_dwordx4 v[46:49], off, off offset:256
	scratch_load_dwordx4 v[54:57], off, off offset:272
	;; [unrolled: 1-line block ×3, first 2 shown]
	s_waitcnt vmcnt(10) lgkmcnt(3)
	v_mul_f32_e32 v22, v14, v19
	v_fmac_f32_e32 v22, v15, v18
	v_mul_f32_e32 v23, v16, v21
	v_add_f32_e32 v22, 0, v22
	v_fmac_f32_e32 v23, v17, v20
	v_add_f32_e32 v26, v22, v23
	scratch_load_dwordx4 v[22:25], off, off offset:192
	v_mul_f32_e32 v15, v15, v19
	v_fma_f32 v14, v14, v18, -v15
	v_mul_f32_e32 v15, v17, v21
	v_add_f32_e32 v14, 0, v14
	v_fma_f32 v15, v16, v20, -v15
	v_add_f32_e32 v14, v14, v15
	s_waitcnt vmcnt(0) lgkmcnt(2)
	v_mul_f32_e32 v27, v10, v23
	v_fmac_f32_e32 v27, v11, v22
	v_add_f32_e32 v26, v26, v27
	v_mul_f32_e32 v27, v12, v25
	v_fmac_f32_e32 v27, v13, v24
	v_add_f32_e32 v30, v26, v27
	scratch_load_dwordx4 v[26:29], off, off offset:208
	v_mul_f32_e32 v11, v11, v23
	v_fma_f32 v10, v10, v22, -v11
	v_mul_f32_e32 v11, v13, v25
	v_add_f32_e32 v10, v14, v10
	v_fma_f32 v11, v12, v24, -v11
	v_add_f32_e32 v10, v10, v11
	s_waitcnt vmcnt(0) lgkmcnt(1)
	v_mul_f32_e32 v31, v6, v27
	v_fmac_f32_e32 v31, v7, v26
	v_add_f32_e32 v30, v30, v31
	v_mul_f32_e32 v31, v8, v29
	;; [unrolled: 14-line block ×3, first 2 shown]
	v_fmac_f32_e32 v35, v5, v32
	v_add_f32_e32 v42, v34, v35
	ds_read_b128 v[34:37], v70 offset:704
	v_mul_f32_e32 v3, v3, v31
	v_fma_f32 v2, v2, v30, -v3
	v_mul_f32_e32 v3, v5, v33
	v_add_f32_e32 v2, v6, v2
	s_waitcnt lgkmcnt(0)
	v_mul_f32_e32 v43, v34, v39
	v_fmac_f32_e32 v43, v35, v38
	v_add_f32_e32 v42, v42, v43
	v_mul_f32_e32 v43, v36, v41
	v_fmac_f32_e32 v43, v37, v40
	v_add_f32_e32 v50, v42, v43
	ds_read_b128 v[42:45], v70 offset:720
	v_fma_f32 v3, v4, v32, -v3
	v_add_f32_e32 v2, v2, v3
	v_mul_f32_e32 v3, v35, v39
	v_fma_f32 v3, v34, v38, -v3
	s_waitcnt lgkmcnt(0)
	v_mul_f32_e32 v51, v42, v47
	v_fmac_f32_e32 v51, v43, v46
	v_add_f32_e32 v50, v50, v51
	v_mul_f32_e32 v51, v44, v49
	v_fmac_f32_e32 v51, v45, v48
	v_add_f32_e32 v58, v50, v51
	ds_read_b128 v[50:53], v70 offset:736
	v_add_f32_e32 v2, v2, v3
	v_mul_f32_e32 v3, v37, v41
	v_fma_f32 v3, v36, v40, -v3
	v_add_f32_e32 v2, v2, v3
	s_waitcnt lgkmcnt(0)
	v_mul_f32_e32 v59, v50, v55
	v_fmac_f32_e32 v59, v51, v54
	v_add_f32_e32 v58, v58, v59
	v_mul_f32_e32 v59, v52, v57
	v_fmac_f32_e32 v59, v53, v56
	v_add_f32_e32 v66, v58, v59
	ds_read_b128 v[58:61], v70 offset:752
	v_mul_f32_e32 v3, v43, v47
	v_fma_f32 v3, v42, v46, -v3
	v_add_f32_e32 v2, v2, v3
	v_mul_f32_e32 v3, v45, v49
	s_waitcnt lgkmcnt(0)
	v_mul_f32_e32 v67, v58, v63
	v_fmac_f32_e32 v67, v59, v62
	v_add_f32_e32 v66, v66, v67
	v_mul_f32_e32 v67, v60, v65
	v_fmac_f32_e32 v67, v61, v64
	v_add_f32_e32 v71, v66, v67
	ds_read_b128 v[66:69], v70 offset:768
	v_fma_f32 v3, v44, v48, -v3
	v_add_f32_e32 v2, v2, v3
	v_mul_f32_e32 v3, v51, v55
	v_fma_f32 v3, v50, v54, -v3
	s_waitcnt lgkmcnt(0)
	v_mul_f32_e32 v76, v66, v73
	v_fmac_f32_e32 v76, v67, v72
	v_add_f32_e32 v71, v71, v76
	v_mul_f32_e32 v76, v68, v75
	v_fmac_f32_e32 v76, v69, v74
	v_add_f32_e32 v71, v71, v76
	ds_read_b128 v[76:79], v70 offset:784
	v_add_f32_e32 v2, v2, v3
	v_mul_f32_e32 v3, v53, v57
	v_fma_f32 v3, v52, v56, -v3
	v_add_f32_e32 v2, v2, v3
	s_waitcnt lgkmcnt(0)
	v_mul_f32_e32 v84, v76, v81
	v_fmac_f32_e32 v84, v77, v80
	v_add_f32_e32 v71, v71, v84
	v_mul_f32_e32 v84, v78, v83
	v_fmac_f32_e32 v84, v79, v82
	v_add_f32_e32 v71, v71, v84
	ds_read_b128 v[84:87], v70 offset:800
	v_mul_f32_e32 v3, v59, v63
	v_fma_f32 v3, v58, v62, -v3
	v_add_f32_e32 v2, v2, v3
	v_mul_f32_e32 v3, v61, v65
	s_waitcnt lgkmcnt(0)
	v_mul_f32_e32 v92, v84, v89
	v_fmac_f32_e32 v92, v85, v88
	v_add_f32_e32 v71, v71, v92
	v_mul_f32_e32 v92, v86, v91
	v_fmac_f32_e32 v92, v87, v90
	v_add_f32_e32 v71, v71, v92
	ds_read_b128 v[92:95], v70 offset:816
	v_fma_f32 v3, v60, v64, -v3
	v_add_f32_e32 v2, v2, v3
	v_mul_f32_e32 v3, v67, v73
	v_fma_f32 v3, v66, v72, -v3
	s_waitcnt lgkmcnt(0)
	v_mul_f32_e32 v100, v92, v97
	v_fmac_f32_e32 v100, v93, v96
	v_add_f32_e32 v71, v71, v100
	v_mul_f32_e32 v100, v94, v99
	v_fmac_f32_e32 v100, v95, v98
	v_add_f32_e32 v71, v71, v100
	ds_read_b128 v[100:103], v70 offset:832
	v_add_f32_e32 v2, v2, v3
	v_mul_f32_e32 v3, v69, v75
	v_fma_f32 v3, v68, v74, -v3
	v_add_f32_e32 v2, v2, v3
	s_waitcnt lgkmcnt(0)
	v_mul_f32_e32 v108, v100, v105
	v_fmac_f32_e32 v108, v101, v104
	v_add_f32_e32 v71, v71, v108
	v_mul_f32_e32 v108, v102, v107
	v_fmac_f32_e32 v108, v103, v106
	v_add_f32_e32 v133, v71, v108
	ds_read_b128 v[108:111], v70 offset:848
	scratch_load_dwordx4 v[116:119], off, off offset:400
	scratch_load_dwordx4 v[120:123], off, off offset:416
	;; [unrolled: 1-line block ×4, first 2 shown]
	v_mul_f32_e32 v3, v77, v81
	v_fma_f32 v3, v76, v80, -v3
	v_add_f32_e32 v2, v2, v3
	v_mul_f32_e32 v3, v79, v83
	v_fma_f32 v3, v78, v82, -v3
	v_add_f32_e32 v2, v2, v3
	v_mul_f32_e32 v3, v85, v89
	v_fma_f32 v3, v84, v88, -v3
	v_add_f32_e32 v2, v2, v3
	v_mul_f32_e32 v3, v87, v91
	v_fma_f32 v3, v86, v90, -v3
	v_add_f32_e32 v2, v2, v3
	v_mul_f32_e32 v3, v93, v97
	v_fma_f32 v3, v92, v96, -v3
	v_add_f32_e32 v2, v2, v3
	v_mul_f32_e32 v3, v95, v99
	v_fma_f32 v3, v94, v98, -v3
	v_add_f32_e32 v2, v2, v3
	v_mul_f32_e32 v3, v101, v105
	v_fma_f32 v3, v100, v104, -v3
	v_add_f32_e32 v2, v2, v3
	v_mul_f32_e32 v3, v103, v107
	v_fma_f32 v3, v102, v106, -v3
	v_add_f32_e32 v132, v2, v3
	s_waitcnt lgkmcnt(0)
	v_mul_f32_e32 v2, v109, v113
	v_fma_f32 v134, v108, v112, -v2
	v_mul_f32_e32 v2, v111, v115
	v_fma_f32 v136, v110, v114, -v2
	ds_read_b128 v[2:5], v70 offset:864
	ds_read_b128 v[6:9], v70 offset:880
	;; [unrolled: 1-line block ×4, first 2 shown]
	v_mul_f32_e32 v135, v108, v113
	v_fmac_f32_e32 v135, v109, v112
	v_mul_f32_e32 v137, v110, v115
	v_fmac_f32_e32 v137, v111, v114
	v_pk_add_f32 v[18:19], v[132:133], v[134:135]
	s_waitcnt vmcnt(3) lgkmcnt(3)
	v_pk_mul_f32 v[20:21], v[2:3], v[116:117] op_sel:[1,1] op_sel_hi:[0,1]
	v_pk_fma_f32 v[22:23], v[2:3], v[116:117], v[20:21] neg_lo:[0,0,1] neg_hi:[0,0,1]
	v_pk_fma_f32 v[2:3], v[2:3], v[116:117], v[20:21] op_sel_hi:[1,0,1]
	v_pk_add_f32 v[18:19], v[18:19], v[136:137]
	v_mov_b32_e32 v23, v3
	v_pk_add_f32 v[2:3], v[18:19], v[22:23]
	v_mov_b32_e32 v18, v119
	v_pk_mul_f32 v[18:19], v[4:5], v[18:19] op_sel:[1,0] op_sel_hi:[0,0]
	v_pk_fma_f32 v[20:21], v[4:5], v[118:119], v[18:19] neg_lo:[0,0,1] neg_hi:[0,0,1]
	v_pk_fma_f32 v[4:5], v[4:5], v[118:119], v[18:19] op_sel_hi:[1,0,1]
	s_nop 0
	v_mov_b32_e32 v21, v5
	s_waitcnt vmcnt(2) lgkmcnt(2)
	v_pk_mul_f32 v[4:5], v[6:7], v[120:121] op_sel:[1,1] op_sel_hi:[0,1]
	v_pk_fma_f32 v[18:19], v[6:7], v[120:121], v[4:5] neg_lo:[0,0,1] neg_hi:[0,0,1]
	v_pk_fma_f32 v[4:5], v[6:7], v[120:121], v[4:5] op_sel_hi:[1,0,1]
	v_pk_add_f32 v[2:3], v[2:3], v[20:21]
	v_mov_b32_e32 v4, v123
	v_mov_b32_e32 v19, v5
	v_pk_mul_f32 v[4:5], v[8:9], v[4:5] op_sel:[1,0] op_sel_hi:[0,0]
	v_pk_fma_f32 v[6:7], v[8:9], v[122:123], v[4:5] neg_lo:[0,0,1] neg_hi:[0,0,1]
	v_pk_fma_f32 v[4:5], v[8:9], v[122:123], v[4:5] op_sel_hi:[1,0,1]
	v_pk_add_f32 v[2:3], v[2:3], v[18:19]
	v_mov_b32_e32 v7, v5
	s_waitcnt vmcnt(1) lgkmcnt(1)
	v_pk_mul_f32 v[4:5], v[10:11], v[124:125] op_sel:[1,1] op_sel_hi:[0,1]
	v_pk_add_f32 v[2:3], v[2:3], v[6:7]
	v_pk_fma_f32 v[6:7], v[10:11], v[124:125], v[4:5] neg_lo:[0,0,1] neg_hi:[0,0,1]
	v_pk_fma_f32 v[4:5], v[10:11], v[124:125], v[4:5] op_sel_hi:[1,0,1]
	s_nop 0
	v_mov_b32_e32 v4, v127
	v_mov_b32_e32 v7, v5
	v_pk_mul_f32 v[4:5], v[12:13], v[4:5] op_sel:[1,0] op_sel_hi:[0,0]
	v_pk_add_f32 v[2:3], v[2:3], v[6:7]
	v_pk_fma_f32 v[6:7], v[12:13], v[126:127], v[4:5] neg_lo:[0,0,1] neg_hi:[0,0,1]
	v_pk_fma_f32 v[4:5], v[12:13], v[126:127], v[4:5] op_sel_hi:[1,0,1]
	s_nop 0
	v_mov_b32_e32 v7, v5
	s_waitcnt vmcnt(0) lgkmcnt(0)
	v_pk_mul_f32 v[4:5], v[14:15], v[128:129] op_sel:[1,1] op_sel_hi:[0,1]
	v_pk_add_f32 v[2:3], v[2:3], v[6:7]
	v_pk_fma_f32 v[6:7], v[14:15], v[128:129], v[4:5] neg_lo:[0,0,1] neg_hi:[0,0,1]
	v_pk_fma_f32 v[4:5], v[14:15], v[128:129], v[4:5] op_sel_hi:[1,0,1]
	s_nop 0
	v_mov_b32_e32 v4, v131
	v_mov_b32_e32 v7, v5
	v_pk_mul_f32 v[4:5], v[16:17], v[4:5] op_sel:[1,0] op_sel_hi:[0,0]
	v_pk_add_f32 v[2:3], v[2:3], v[6:7]
	v_pk_fma_f32 v[6:7], v[16:17], v[130:131], v[4:5] neg_lo:[0,0,1] neg_hi:[0,0,1]
	v_pk_fma_f32 v[4:5], v[16:17], v[130:131], v[4:5] op_sel_hi:[1,0,1]
	s_nop 0
	v_mov_b32_e32 v7, v5
	scratch_load_dwordx2 v[4:5], off, off offset:168
	v_pk_add_f32 v[2:3], v[2:3], v[6:7]
	s_waitcnt vmcnt(0)
	v_pk_add_f32 v[2:3], v[4:5], v[2:3] neg_lo:[0,1] neg_hi:[0,1]
	scratch_store_dwordx2 off, v[2:3], off offset:168
	s_and_saveexec_b64 s[0:1], vcc
	s_cbranch_execz .LBB57_321
; %bb.320:
	scratch_load_dwordx2 v[2:3], off, off offset:160
	v_mov_b32_e32 v4, 0
	v_mov_b32_e32 v5, v4
	scratch_store_dwordx2 off, v[4:5], off offset:160
	s_waitcnt vmcnt(1)
	ds_write_b64 v1, v[2:3]
.LBB57_321:
	s_or_b64 exec, exec, s[0:1]
	s_waitcnt lgkmcnt(0)
	; wave barrier
	scratch_load_dwordx4 v[6:9], off, off offset:168
	scratch_load_dwordx4 v[14:17], off, off offset:184
	;; [unrolled: 1-line block ×10, first 2 shown]
	v_mov_b32_e32 v86, 0
	ds_read2_b64 v[2:5], v86 offset0:79 offset1:80
	scratch_load_dwordx4 v[88:91], off, off offset:328
	scratch_load_dwordx4 v[96:99], off, off offset:344
	;; [unrolled: 1-line block ×5, first 2 shown]
	v_cmp_lt_u32_e32 vcc, 19, v0
	s_waitcnt vmcnt(14) lgkmcnt(0)
	v_mul_f32_e32 v10, v2, v7
	v_fmac_f32_e32 v10, v3, v6
	v_mul_f32_e32 v11, v4, v9
	v_add_f32_e32 v10, 0, v10
	v_fmac_f32_e32 v11, v5, v8
	v_add_f32_e32 v18, v10, v11
	ds_read2_b64 v[10:13], v86 offset0:81 offset1:82
	v_mul_f32_e32 v3, v3, v7
	v_fma_f32 v2, v2, v6, -v3
	v_mul_f32_e32 v3, v5, v9
	v_add_f32_e32 v2, 0, v2
	s_waitcnt vmcnt(13) lgkmcnt(0)
	v_mul_f32_e32 v19, v10, v15
	v_fmac_f32_e32 v19, v11, v14
	v_add_f32_e32 v18, v18, v19
	v_mul_f32_e32 v19, v12, v17
	v_fmac_f32_e32 v19, v13, v16
	v_add_f32_e32 v26, v18, v19
	ds_read2_b64 v[18:21], v86 offset0:83 offset1:84
	v_fma_f32 v3, v4, v8, -v3
	v_add_f32_e32 v2, v2, v3
	v_mul_f32_e32 v3, v11, v15
	v_fma_f32 v3, v10, v14, -v3
	s_waitcnt vmcnt(12) lgkmcnt(0)
	v_mul_f32_e32 v27, v18, v23
	v_fmac_f32_e32 v27, v19, v22
	v_add_f32_e32 v26, v26, v27
	v_mul_f32_e32 v27, v20, v25
	v_fmac_f32_e32 v27, v21, v24
	v_add_f32_e32 v34, v26, v27
	ds_read2_b64 v[26:29], v86 offset0:85 offset1:86
	v_add_f32_e32 v2, v2, v3
	v_mul_f32_e32 v3, v13, v17
	v_fma_f32 v3, v12, v16, -v3
	v_add_f32_e32 v2, v2, v3
	s_waitcnt vmcnt(11) lgkmcnt(0)
	v_mul_f32_e32 v35, v26, v31
	v_fmac_f32_e32 v35, v27, v30
	v_add_f32_e32 v34, v34, v35
	v_mul_f32_e32 v35, v28, v33
	v_fmac_f32_e32 v35, v29, v32
	v_add_f32_e32 v42, v34, v35
	ds_read2_b64 v[34:37], v86 offset0:87 offset1:88
	v_mul_f32_e32 v3, v19, v23
	v_fma_f32 v3, v18, v22, -v3
	v_add_f32_e32 v2, v2, v3
	v_mul_f32_e32 v3, v21, v25
	s_waitcnt vmcnt(10) lgkmcnt(0)
	v_mul_f32_e32 v43, v34, v39
	v_fmac_f32_e32 v43, v35, v38
	v_add_f32_e32 v42, v42, v43
	v_mul_f32_e32 v43, v36, v41
	v_fmac_f32_e32 v43, v37, v40
	v_add_f32_e32 v50, v42, v43
	ds_read2_b64 v[42:45], v86 offset0:89 offset1:90
	v_fma_f32 v3, v20, v24, -v3
	v_add_f32_e32 v2, v2, v3
	v_mul_f32_e32 v3, v27, v31
	v_fma_f32 v3, v26, v30, -v3
	s_waitcnt vmcnt(9) lgkmcnt(0)
	v_mul_f32_e32 v51, v42, v47
	v_fmac_f32_e32 v51, v43, v46
	v_add_f32_e32 v50, v50, v51
	v_mul_f32_e32 v51, v44, v49
	v_fmac_f32_e32 v51, v45, v48
	v_add_f32_e32 v58, v50, v51
	ds_read2_b64 v[50:53], v86 offset0:91 offset1:92
	v_add_f32_e32 v2, v2, v3
	v_mul_f32_e32 v3, v29, v33
	v_fma_f32 v3, v28, v32, -v3
	v_add_f32_e32 v2, v2, v3
	s_waitcnt vmcnt(8) lgkmcnt(0)
	v_mul_f32_e32 v59, v50, v55
	v_fmac_f32_e32 v59, v51, v54
	v_add_f32_e32 v58, v58, v59
	v_mul_f32_e32 v59, v52, v57
	v_fmac_f32_e32 v59, v53, v56
	v_add_f32_e32 v66, v58, v59
	ds_read2_b64 v[58:61], v86 offset0:93 offset1:94
	v_mul_f32_e32 v3, v35, v39
	v_fma_f32 v3, v34, v38, -v3
	v_add_f32_e32 v2, v2, v3
	v_mul_f32_e32 v3, v37, v41
	;; [unrolled: 36-line block ×4, first 2 shown]
	s_waitcnt vmcnt(1) lgkmcnt(0)
	v_mul_f32_e32 v116, v108, v113
	v_fmac_f32_e32 v116, v109, v112
	v_add_f32_e32 v137, v87, v116
	ds_read2_b64 v[116:119], v86 offset0:107 offset1:108
	scratch_load_dwordx4 v[124:127], off, off offset:408
	scratch_load_dwordx4 v[128:131], off, off offset:424
	;; [unrolled: 1-line block ×3, first 2 shown]
	scratch_load_dwordx2 v[142:143], off, off offset:456
	v_fma_f32 v3, v68, v72, -v3
	v_add_f32_e32 v2, v2, v3
	v_mul_f32_e32 v3, v75, v79
	v_fma_f32 v3, v74, v78, -v3
	v_add_f32_e32 v2, v2, v3
	v_mul_f32_e32 v3, v77, v81
	v_fma_f32 v3, v76, v80, -v3
	v_add_f32_e32 v2, v2, v3
	v_mul_f32_e32 v3, v83, v89
	v_fma_f32 v3, v82, v88, -v3
	v_add_f32_e32 v2, v2, v3
	v_mul_f32_e32 v3, v85, v91
	v_fma_f32 v3, v84, v90, -v3
	v_add_f32_e32 v2, v2, v3
	v_mul_f32_e32 v3, v93, v97
	v_fma_f32 v3, v92, v96, -v3
	v_add_f32_e32 v2, v2, v3
	v_mul_f32_e32 v3, v95, v99
	v_fma_f32 v3, v94, v98, -v3
	v_add_f32_e32 v2, v2, v3
	v_mul_f32_e32 v3, v101, v105
	v_fma_f32 v3, v100, v104, -v3
	v_add_f32_e32 v2, v2, v3
	v_mul_f32_e32 v3, v103, v107
	v_fma_f32 v3, v102, v106, -v3
	v_add_f32_e32 v2, v2, v3
	v_mul_f32_e32 v3, v109, v113
	v_fma_f32 v3, v108, v112, -v3
	v_add_f32_e32 v136, v2, v3
	v_mul_f32_e32 v2, v111, v115
	v_mul_f32_e32 v139, v110, v115
	v_fma_f32 v138, v110, v114, -v2
	s_waitcnt vmcnt(4) lgkmcnt(0)
	v_mul_f32_e32 v2, v117, v121
	v_mov_b32_e32 v18, v123
	v_fmac_f32_e32 v139, v111, v114
	v_mul_f32_e32 v141, v116, v121
	v_fma_f32 v140, v116, v120, -v2
	ds_read2_b64 v[2:5], v86 offset0:109 offset1:110
	ds_read2_b64 v[6:9], v86 offset0:111 offset1:112
	;; [unrolled: 1-line block ×3, first 2 shown]
	ds_read_b64 v[14:15], v86 offset:920
	v_pk_mul_f32 v[18:19], v[118:119], v[18:19] op_sel:[1,0] op_sel_hi:[0,0]
	v_fmac_f32_e32 v141, v117, v120
	v_pk_add_f32 v[16:17], v[136:137], v[138:139]
	v_pk_fma_f32 v[20:21], v[118:119], v[122:123], v[18:19] neg_lo:[0,0,1] neg_hi:[0,0,1]
	v_pk_fma_f32 v[18:19], v[118:119], v[122:123], v[18:19] op_sel_hi:[1,0,1]
	v_pk_add_f32 v[16:17], v[16:17], v[140:141]
	v_mov_b32_e32 v21, v19
	v_pk_add_f32 v[16:17], v[16:17], v[20:21]
	s_waitcnt vmcnt(3) lgkmcnt(3)
	v_pk_mul_f32 v[18:19], v[2:3], v[124:125] op_sel:[1,1] op_sel_hi:[0,1]
	v_pk_fma_f32 v[20:21], v[2:3], v[124:125], v[18:19] neg_lo:[0,0,1] neg_hi:[0,0,1]
	v_pk_fma_f32 v[2:3], v[2:3], v[124:125], v[18:19] op_sel_hi:[1,0,1]
	s_nop 0
	v_mov_b32_e32 v21, v3
	v_pk_add_f32 v[2:3], v[16:17], v[20:21]
	v_mov_b32_e32 v16, v127
	v_pk_mul_f32 v[16:17], v[4:5], v[16:17] op_sel:[1,0] op_sel_hi:[0,0]
	v_pk_fma_f32 v[18:19], v[4:5], v[126:127], v[16:17] neg_lo:[0,0,1] neg_hi:[0,0,1]
	v_pk_fma_f32 v[4:5], v[4:5], v[126:127], v[16:17] op_sel_hi:[1,0,1]
	s_nop 0
	v_mov_b32_e32 v19, v5
	s_waitcnt vmcnt(2) lgkmcnt(2)
	v_pk_mul_f32 v[4:5], v[6:7], v[128:129] op_sel:[1,1] op_sel_hi:[0,1]
	v_pk_fma_f32 v[16:17], v[6:7], v[128:129], v[4:5] neg_lo:[0,0,1] neg_hi:[0,0,1]
	v_pk_fma_f32 v[4:5], v[6:7], v[128:129], v[4:5] op_sel_hi:[1,0,1]
	v_pk_add_f32 v[2:3], v[2:3], v[18:19]
	v_mov_b32_e32 v4, v131
	v_mov_b32_e32 v17, v5
	v_pk_mul_f32 v[4:5], v[8:9], v[4:5] op_sel:[1,0] op_sel_hi:[0,0]
	v_pk_fma_f32 v[6:7], v[8:9], v[130:131], v[4:5] neg_lo:[0,0,1] neg_hi:[0,0,1]
	v_pk_fma_f32 v[4:5], v[8:9], v[130:131], v[4:5] op_sel_hi:[1,0,1]
	v_pk_add_f32 v[2:3], v[2:3], v[16:17]
	v_mov_b32_e32 v7, v5
	s_waitcnt vmcnt(1) lgkmcnt(1)
	v_pk_mul_f32 v[4:5], v[10:11], v[132:133] op_sel:[1,1] op_sel_hi:[0,1]
	v_pk_add_f32 v[2:3], v[2:3], v[6:7]
	v_pk_fma_f32 v[6:7], v[10:11], v[132:133], v[4:5] neg_lo:[0,0,1] neg_hi:[0,0,1]
	v_pk_fma_f32 v[4:5], v[10:11], v[132:133], v[4:5] op_sel_hi:[1,0,1]
	s_nop 0
	v_mov_b32_e32 v4, v135
	v_mov_b32_e32 v7, v5
	v_pk_mul_f32 v[4:5], v[12:13], v[4:5] op_sel:[1,0] op_sel_hi:[0,0]
	v_pk_add_f32 v[2:3], v[2:3], v[6:7]
	v_pk_fma_f32 v[6:7], v[12:13], v[134:135], v[4:5] neg_lo:[0,0,1] neg_hi:[0,0,1]
	v_pk_fma_f32 v[4:5], v[12:13], v[134:135], v[4:5] op_sel_hi:[1,0,1]
	s_nop 0
	v_mov_b32_e32 v7, v5
	s_waitcnt vmcnt(0) lgkmcnt(0)
	v_pk_mul_f32 v[4:5], v[14:15], v[142:143] op_sel:[1,1] op_sel_hi:[0,1]
	v_pk_add_f32 v[2:3], v[2:3], v[6:7]
	v_pk_fma_f32 v[6:7], v[14:15], v[142:143], v[4:5] neg_lo:[0,0,1] neg_hi:[0,0,1]
	v_pk_fma_f32 v[4:5], v[14:15], v[142:143], v[4:5] op_sel_hi:[1,0,1]
	s_nop 0
	v_mov_b32_e32 v7, v5
	scratch_load_dwordx2 v[4:5], off, off offset:160
	v_pk_add_f32 v[2:3], v[2:3], v[6:7]
	s_waitcnt vmcnt(0)
	v_pk_add_f32 v[2:3], v[4:5], v[2:3] neg_lo:[0,1] neg_hi:[0,1]
	scratch_store_dwordx2 off, v[2:3], off offset:160
	s_and_saveexec_b64 s[0:1], vcc
	s_cbranch_execz .LBB57_323
; %bb.322:
	scratch_load_dwordx2 v[2:3], off, off offset:152
	v_mov_b32_e32 v87, v86
	scratch_store_dwordx2 off, v[86:87], off offset:152
	s_waitcnt vmcnt(1)
	ds_write_b64 v1, v[2:3]
.LBB57_323:
	s_or_b64 exec, exec, s[0:1]
	s_waitcnt lgkmcnt(0)
	; wave barrier
	ds_read_b128 v[14:17], v86 offset:624
	ds_read_b128 v[10:13], v86 offset:640
	;; [unrolled: 1-line block ×4, first 2 shown]
	scratch_load_dwordx4 v[18:21], off, off offset:160
	scratch_load_dwordx4 v[38:41], off, off offset:224
	;; [unrolled: 1-line block ×9, first 2 shown]
	v_cmp_lt_u32_e32 vcc, 18, v0
	scratch_load_dwordx4 v[46:49], off, off offset:240
	scratch_load_dwordx4 v[54:57], off, off offset:256
	;; [unrolled: 1-line block ×3, first 2 shown]
	s_waitcnt vmcnt(11) lgkmcnt(3)
	v_mul_f32_e32 v22, v14, v19
	v_fmac_f32_e32 v22, v15, v18
	v_mul_f32_e32 v23, v16, v21
	v_add_f32_e32 v22, 0, v22
	v_fmac_f32_e32 v23, v17, v20
	v_add_f32_e32 v26, v22, v23
	scratch_load_dwordx4 v[22:25], off, off offset:176
	v_mul_f32_e32 v15, v15, v19
	v_fma_f32 v14, v14, v18, -v15
	v_mul_f32_e32 v15, v17, v21
	v_add_f32_e32 v14, 0, v14
	v_fma_f32 v15, v16, v20, -v15
	v_add_f32_e32 v14, v14, v15
	s_waitcnt vmcnt(0) lgkmcnt(2)
	v_mul_f32_e32 v27, v10, v23
	v_fmac_f32_e32 v27, v11, v22
	v_add_f32_e32 v26, v26, v27
	v_mul_f32_e32 v27, v12, v25
	v_fmac_f32_e32 v27, v13, v24
	v_add_f32_e32 v30, v26, v27
	scratch_load_dwordx4 v[26:29], off, off offset:192
	v_mul_f32_e32 v11, v11, v23
	v_fma_f32 v10, v10, v22, -v11
	v_mul_f32_e32 v11, v13, v25
	v_add_f32_e32 v10, v14, v10
	v_fma_f32 v11, v12, v24, -v11
	v_add_f32_e32 v10, v10, v11
	s_waitcnt vmcnt(0) lgkmcnt(1)
	v_mul_f32_e32 v31, v6, v27
	v_fmac_f32_e32 v31, v7, v26
	v_add_f32_e32 v30, v30, v31
	v_mul_f32_e32 v31, v8, v29
	;; [unrolled: 14-line block ×3, first 2 shown]
	v_fmac_f32_e32 v35, v5, v32
	v_add_f32_e32 v42, v34, v35
	ds_read_b128 v[34:37], v86 offset:688
	v_mul_f32_e32 v3, v3, v31
	v_fma_f32 v2, v2, v30, -v3
	v_mul_f32_e32 v3, v5, v33
	v_add_f32_e32 v2, v6, v2
	s_waitcnt lgkmcnt(0)
	v_mul_f32_e32 v43, v34, v39
	v_fmac_f32_e32 v43, v35, v38
	v_add_f32_e32 v42, v42, v43
	v_mul_f32_e32 v43, v36, v41
	v_fmac_f32_e32 v43, v37, v40
	v_add_f32_e32 v50, v42, v43
	ds_read_b128 v[42:45], v86 offset:704
	v_fma_f32 v3, v4, v32, -v3
	v_add_f32_e32 v2, v2, v3
	v_mul_f32_e32 v3, v35, v39
	v_fma_f32 v3, v34, v38, -v3
	s_waitcnt lgkmcnt(0)
	v_mul_f32_e32 v51, v42, v47
	v_fmac_f32_e32 v51, v43, v46
	v_add_f32_e32 v50, v50, v51
	v_mul_f32_e32 v51, v44, v49
	v_fmac_f32_e32 v51, v45, v48
	v_add_f32_e32 v58, v50, v51
	ds_read_b128 v[50:53], v86 offset:720
	v_add_f32_e32 v2, v2, v3
	v_mul_f32_e32 v3, v37, v41
	v_fma_f32 v3, v36, v40, -v3
	v_add_f32_e32 v2, v2, v3
	s_waitcnt lgkmcnt(0)
	v_mul_f32_e32 v59, v50, v55
	v_fmac_f32_e32 v59, v51, v54
	v_add_f32_e32 v58, v58, v59
	v_mul_f32_e32 v59, v52, v57
	v_fmac_f32_e32 v59, v53, v56
	v_add_f32_e32 v66, v58, v59
	ds_read_b128 v[58:61], v86 offset:736
	v_mul_f32_e32 v3, v43, v47
	v_fma_f32 v3, v42, v46, -v3
	v_add_f32_e32 v2, v2, v3
	v_mul_f32_e32 v3, v45, v49
	s_waitcnt lgkmcnt(0)
	v_mul_f32_e32 v67, v58, v63
	v_fmac_f32_e32 v67, v59, v62
	v_add_f32_e32 v66, v66, v67
	v_mul_f32_e32 v67, v60, v65
	v_fmac_f32_e32 v67, v61, v64
	v_add_f32_e32 v74, v66, v67
	ds_read_b128 v[66:69], v86 offset:752
	v_fma_f32 v3, v44, v48, -v3
	v_add_f32_e32 v2, v2, v3
	v_mul_f32_e32 v3, v51, v55
	v_fma_f32 v3, v50, v54, -v3
	s_waitcnt lgkmcnt(0)
	v_mul_f32_e32 v75, v66, v71
	v_fmac_f32_e32 v75, v67, v70
	v_add_f32_e32 v74, v74, v75
	v_mul_f32_e32 v75, v68, v73
	v_fmac_f32_e32 v75, v69, v72
	v_add_f32_e32 v82, v74, v75
	ds_read_b128 v[74:77], v86 offset:768
	v_add_f32_e32 v2, v2, v3
	v_mul_f32_e32 v3, v53, v57
	v_fma_f32 v3, v52, v56, -v3
	v_add_f32_e32 v2, v2, v3
	s_waitcnt lgkmcnt(0)
	v_mul_f32_e32 v83, v74, v79
	v_fmac_f32_e32 v83, v75, v78
	v_add_f32_e32 v82, v82, v83
	v_mul_f32_e32 v83, v76, v81
	v_fmac_f32_e32 v83, v77, v80
	v_add_f32_e32 v87, v82, v83
	ds_read_b128 v[82:85], v86 offset:784
	v_mul_f32_e32 v3, v59, v63
	v_fma_f32 v3, v58, v62, -v3
	v_add_f32_e32 v2, v2, v3
	v_mul_f32_e32 v3, v61, v65
	;; [unrolled: 36-line block ×3, first 2 shown]
	s_waitcnt lgkmcnt(0)
	v_mul_f32_e32 v116, v108, v113
	v_fmac_f32_e32 v116, v109, v112
	v_add_f32_e32 v87, v87, v116
	v_mul_f32_e32 v116, v110, v115
	v_fmac_f32_e32 v116, v111, v114
	v_add_f32_e32 v141, v87, v116
	ds_read_b128 v[116:119], v86 offset:848
	scratch_load_dwordx4 v[124:127], off, off offset:400
	scratch_load_dwordx4 v[128:131], off, off offset:416
	;; [unrolled: 1-line block ×4, first 2 shown]
	v_fma_f32 v3, v76, v80, -v3
	v_add_f32_e32 v2, v2, v3
	v_mul_f32_e32 v3, v83, v89
	v_fma_f32 v3, v82, v88, -v3
	v_add_f32_e32 v2, v2, v3
	v_mul_f32_e32 v3, v85, v91
	;; [unrolled: 3-line block ×8, first 2 shown]
	v_fma_f32 v3, v110, v114, -v3
	v_add_f32_e32 v140, v2, v3
	s_waitcnt lgkmcnt(0)
	v_mul_f32_e32 v2, v117, v121
	v_fma_f32 v142, v116, v120, -v2
	v_mul_f32_e32 v2, v119, v123
	v_fma_f32 v144, v118, v122, -v2
	ds_read_b128 v[2:5], v86 offset:864
	ds_read_b128 v[6:9], v86 offset:880
	;; [unrolled: 1-line block ×4, first 2 shown]
	v_mul_f32_e32 v143, v116, v121
	v_fmac_f32_e32 v143, v117, v120
	v_mul_f32_e32 v145, v118, v123
	v_fmac_f32_e32 v145, v119, v122
	v_pk_add_f32 v[18:19], v[140:141], v[142:143]
	s_waitcnt vmcnt(3) lgkmcnt(3)
	v_pk_mul_f32 v[20:21], v[2:3], v[124:125] op_sel:[1,1] op_sel_hi:[0,1]
	v_pk_fma_f32 v[22:23], v[2:3], v[124:125], v[20:21] neg_lo:[0,0,1] neg_hi:[0,0,1]
	v_pk_fma_f32 v[2:3], v[2:3], v[124:125], v[20:21] op_sel_hi:[1,0,1]
	v_pk_add_f32 v[18:19], v[18:19], v[144:145]
	v_mov_b32_e32 v23, v3
	v_pk_add_f32 v[2:3], v[18:19], v[22:23]
	v_mov_b32_e32 v18, v127
	v_pk_mul_f32 v[18:19], v[4:5], v[18:19] op_sel:[1,0] op_sel_hi:[0,0]
	v_pk_fma_f32 v[20:21], v[4:5], v[126:127], v[18:19] neg_lo:[0,0,1] neg_hi:[0,0,1]
	v_pk_fma_f32 v[4:5], v[4:5], v[126:127], v[18:19] op_sel_hi:[1,0,1]
	s_nop 0
	v_mov_b32_e32 v21, v5
	s_waitcnt vmcnt(2) lgkmcnt(2)
	v_pk_mul_f32 v[4:5], v[6:7], v[128:129] op_sel:[1,1] op_sel_hi:[0,1]
	v_pk_fma_f32 v[18:19], v[6:7], v[128:129], v[4:5] neg_lo:[0,0,1] neg_hi:[0,0,1]
	v_pk_fma_f32 v[4:5], v[6:7], v[128:129], v[4:5] op_sel_hi:[1,0,1]
	v_pk_add_f32 v[2:3], v[2:3], v[20:21]
	v_mov_b32_e32 v4, v131
	v_mov_b32_e32 v19, v5
	v_pk_mul_f32 v[4:5], v[8:9], v[4:5] op_sel:[1,0] op_sel_hi:[0,0]
	v_pk_fma_f32 v[6:7], v[8:9], v[130:131], v[4:5] neg_lo:[0,0,1] neg_hi:[0,0,1]
	v_pk_fma_f32 v[4:5], v[8:9], v[130:131], v[4:5] op_sel_hi:[1,0,1]
	v_pk_add_f32 v[2:3], v[2:3], v[18:19]
	v_mov_b32_e32 v7, v5
	s_waitcnt vmcnt(1) lgkmcnt(1)
	v_pk_mul_f32 v[4:5], v[10:11], v[132:133] op_sel:[1,1] op_sel_hi:[0,1]
	v_pk_add_f32 v[2:3], v[2:3], v[6:7]
	v_pk_fma_f32 v[6:7], v[10:11], v[132:133], v[4:5] neg_lo:[0,0,1] neg_hi:[0,0,1]
	v_pk_fma_f32 v[4:5], v[10:11], v[132:133], v[4:5] op_sel_hi:[1,0,1]
	s_nop 0
	v_mov_b32_e32 v4, v135
	v_mov_b32_e32 v7, v5
	v_pk_mul_f32 v[4:5], v[12:13], v[4:5] op_sel:[1,0] op_sel_hi:[0,0]
	v_pk_add_f32 v[2:3], v[2:3], v[6:7]
	v_pk_fma_f32 v[6:7], v[12:13], v[134:135], v[4:5] neg_lo:[0,0,1] neg_hi:[0,0,1]
	v_pk_fma_f32 v[4:5], v[12:13], v[134:135], v[4:5] op_sel_hi:[1,0,1]
	s_nop 0
	v_mov_b32_e32 v7, v5
	s_waitcnt vmcnt(0) lgkmcnt(0)
	v_pk_mul_f32 v[4:5], v[14:15], v[136:137] op_sel:[1,1] op_sel_hi:[0,1]
	v_pk_add_f32 v[2:3], v[2:3], v[6:7]
	v_pk_fma_f32 v[6:7], v[14:15], v[136:137], v[4:5] neg_lo:[0,0,1] neg_hi:[0,0,1]
	v_pk_fma_f32 v[4:5], v[14:15], v[136:137], v[4:5] op_sel_hi:[1,0,1]
	s_nop 0
	v_mov_b32_e32 v4, v139
	v_mov_b32_e32 v7, v5
	v_pk_mul_f32 v[4:5], v[16:17], v[4:5] op_sel:[1,0] op_sel_hi:[0,0]
	v_pk_add_f32 v[2:3], v[2:3], v[6:7]
	v_pk_fma_f32 v[6:7], v[16:17], v[138:139], v[4:5] neg_lo:[0,0,1] neg_hi:[0,0,1]
	v_pk_fma_f32 v[4:5], v[16:17], v[138:139], v[4:5] op_sel_hi:[1,0,1]
	s_nop 0
	v_mov_b32_e32 v7, v5
	scratch_load_dwordx2 v[4:5], off, off offset:152
	v_pk_add_f32 v[2:3], v[2:3], v[6:7]
	s_waitcnt vmcnt(0)
	v_pk_add_f32 v[2:3], v[4:5], v[2:3] neg_lo:[0,1] neg_hi:[0,1]
	scratch_store_dwordx2 off, v[2:3], off offset:152
	s_and_saveexec_b64 s[0:1], vcc
	s_cbranch_execz .LBB57_325
; %bb.324:
	scratch_load_dwordx2 v[2:3], off, off offset:144
	v_mov_b32_e32 v4, 0
	v_mov_b32_e32 v5, v4
	scratch_store_dwordx2 off, v[4:5], off offset:144
	s_waitcnt vmcnt(1)
	ds_write_b64 v1, v[2:3]
.LBB57_325:
	s_or_b64 exec, exec, s[0:1]
	s_waitcnt lgkmcnt(0)
	; wave barrier
	scratch_load_dwordx4 v[6:9], off, off offset:152
	scratch_load_dwordx4 v[14:17], off, off offset:168
	;; [unrolled: 1-line block ×10, first 2 shown]
	v_mov_b32_e32 v94, 0
	ds_read2_b64 v[2:5], v94 offset0:77 offset1:78
	scratch_load_dwordx4 v[86:89], off, off offset:312
	scratch_load_dwordx4 v[96:99], off, off offset:328
	;; [unrolled: 1-line block ×6, first 2 shown]
	v_cmp_lt_u32_e32 vcc, 17, v0
	s_waitcnt vmcnt(15) lgkmcnt(0)
	v_mul_f32_e32 v10, v2, v7
	v_fmac_f32_e32 v10, v3, v6
	v_mul_f32_e32 v11, v4, v9
	v_add_f32_e32 v10, 0, v10
	v_fmac_f32_e32 v11, v5, v8
	v_add_f32_e32 v18, v10, v11
	ds_read2_b64 v[10:13], v94 offset0:79 offset1:80
	v_mul_f32_e32 v3, v3, v7
	v_fma_f32 v2, v2, v6, -v3
	v_mul_f32_e32 v3, v5, v9
	v_add_f32_e32 v2, 0, v2
	s_waitcnt vmcnt(14) lgkmcnt(0)
	v_mul_f32_e32 v19, v10, v15
	v_fmac_f32_e32 v19, v11, v14
	v_add_f32_e32 v18, v18, v19
	v_mul_f32_e32 v19, v12, v17
	v_fmac_f32_e32 v19, v13, v16
	v_add_f32_e32 v26, v18, v19
	ds_read2_b64 v[18:21], v94 offset0:81 offset1:82
	v_fma_f32 v3, v4, v8, -v3
	v_add_f32_e32 v2, v2, v3
	v_mul_f32_e32 v3, v11, v15
	v_fma_f32 v3, v10, v14, -v3
	s_waitcnt vmcnt(13) lgkmcnt(0)
	v_mul_f32_e32 v27, v18, v23
	v_fmac_f32_e32 v27, v19, v22
	v_add_f32_e32 v26, v26, v27
	v_mul_f32_e32 v27, v20, v25
	v_fmac_f32_e32 v27, v21, v24
	v_add_f32_e32 v34, v26, v27
	ds_read2_b64 v[26:29], v94 offset0:83 offset1:84
	v_add_f32_e32 v2, v2, v3
	v_mul_f32_e32 v3, v13, v17
	v_fma_f32 v3, v12, v16, -v3
	v_add_f32_e32 v2, v2, v3
	s_waitcnt vmcnt(12) lgkmcnt(0)
	v_mul_f32_e32 v35, v26, v31
	v_fmac_f32_e32 v35, v27, v30
	v_add_f32_e32 v34, v34, v35
	v_mul_f32_e32 v35, v28, v33
	v_fmac_f32_e32 v35, v29, v32
	v_add_f32_e32 v42, v34, v35
	ds_read2_b64 v[34:37], v94 offset0:85 offset1:86
	v_mul_f32_e32 v3, v19, v23
	v_fma_f32 v3, v18, v22, -v3
	v_add_f32_e32 v2, v2, v3
	v_mul_f32_e32 v3, v21, v25
	s_waitcnt vmcnt(11) lgkmcnt(0)
	v_mul_f32_e32 v43, v34, v39
	v_fmac_f32_e32 v43, v35, v38
	v_add_f32_e32 v42, v42, v43
	v_mul_f32_e32 v43, v36, v41
	v_fmac_f32_e32 v43, v37, v40
	v_add_f32_e32 v50, v42, v43
	ds_read2_b64 v[42:45], v94 offset0:87 offset1:88
	v_fma_f32 v3, v20, v24, -v3
	v_add_f32_e32 v2, v2, v3
	v_mul_f32_e32 v3, v27, v31
	v_fma_f32 v3, v26, v30, -v3
	s_waitcnt vmcnt(10) lgkmcnt(0)
	v_mul_f32_e32 v51, v42, v47
	v_fmac_f32_e32 v51, v43, v46
	v_add_f32_e32 v50, v50, v51
	v_mul_f32_e32 v51, v44, v49
	v_fmac_f32_e32 v51, v45, v48
	v_add_f32_e32 v58, v50, v51
	ds_read2_b64 v[50:53], v94 offset0:89 offset1:90
	v_add_f32_e32 v2, v2, v3
	v_mul_f32_e32 v3, v29, v33
	v_fma_f32 v3, v28, v32, -v3
	v_add_f32_e32 v2, v2, v3
	s_waitcnt vmcnt(9) lgkmcnt(0)
	v_mul_f32_e32 v59, v50, v55
	v_fmac_f32_e32 v59, v51, v54
	v_add_f32_e32 v58, v58, v59
	v_mul_f32_e32 v59, v52, v57
	v_fmac_f32_e32 v59, v53, v56
	v_add_f32_e32 v66, v58, v59
	ds_read2_b64 v[58:61], v94 offset0:91 offset1:92
	v_mul_f32_e32 v3, v35, v39
	v_fma_f32 v3, v34, v38, -v3
	v_add_f32_e32 v2, v2, v3
	v_mul_f32_e32 v3, v37, v41
	;; [unrolled: 36-line block ×4, first 2 shown]
	s_waitcnt vmcnt(2) lgkmcnt(0)
	v_mul_f32_e32 v116, v108, v113
	v_fmac_f32_e32 v116, v109, v112
	v_add_f32_e32 v95, v95, v116
	v_mul_f32_e32 v116, v110, v115
	v_fmac_f32_e32 v116, v111, v114
	v_add_f32_e32 v95, v95, v116
	ds_read2_b64 v[116:119], v94 offset0:105 offset1:106
	v_fma_f32 v3, v68, v72, -v3
	v_add_f32_e32 v2, v2, v3
	v_mul_f32_e32 v3, v75, v79
	v_fma_f32 v3, v74, v78, -v3
	s_waitcnt vmcnt(1) lgkmcnt(0)
	v_mul_f32_e32 v124, v116, v121
	v_fmac_f32_e32 v124, v117, v120
	v_add_f32_e32 v145, v95, v124
	ds_read2_b64 v[124:127], v94 offset0:107 offset1:108
	scratch_load_dwordx4 v[132:135], off, off offset:408
	scratch_load_dwordx4 v[136:139], off, off offset:424
	;; [unrolled: 1-line block ×3, first 2 shown]
	scratch_load_dwordx2 v[160:161], off, off offset:456
	v_add_f32_e32 v2, v2, v3
	v_mul_f32_e32 v3, v77, v81
	v_fma_f32 v3, v76, v80, -v3
	v_add_f32_e32 v2, v2, v3
	v_mul_f32_e32 v3, v83, v87
	v_fma_f32 v3, v82, v86, -v3
	v_add_f32_e32 v2, v2, v3
	v_mul_f32_e32 v3, v85, v89
	v_fma_f32 v3, v84, v88, -v3
	v_add_f32_e32 v2, v2, v3
	v_mul_f32_e32 v3, v91, v97
	v_fma_f32 v3, v90, v96, -v3
	v_add_f32_e32 v2, v2, v3
	v_mul_f32_e32 v3, v93, v99
	v_fma_f32 v3, v92, v98, -v3
	v_add_f32_e32 v2, v2, v3
	v_mul_f32_e32 v3, v101, v105
	v_fma_f32 v3, v100, v104, -v3
	v_add_f32_e32 v2, v2, v3
	v_mul_f32_e32 v3, v103, v107
	v_fma_f32 v3, v102, v106, -v3
	v_add_f32_e32 v2, v2, v3
	v_mul_f32_e32 v3, v109, v113
	v_fma_f32 v3, v108, v112, -v3
	v_add_f32_e32 v2, v2, v3
	v_mul_f32_e32 v3, v111, v115
	v_fma_f32 v3, v110, v114, -v3
	v_add_f32_e32 v2, v2, v3
	v_mul_f32_e32 v3, v117, v121
	v_fma_f32 v3, v116, v120, -v3
	v_add_f32_e32 v144, v2, v3
	v_mul_f32_e32 v2, v119, v123
	v_mul_f32_e32 v147, v118, v123
	v_fma_f32 v146, v118, v122, -v2
	s_waitcnt vmcnt(4) lgkmcnt(0)
	v_mul_f32_e32 v2, v125, v129
	v_mov_b32_e32 v18, v131
	v_fmac_f32_e32 v147, v119, v122
	v_mul_f32_e32 v149, v124, v129
	v_fma_f32 v148, v124, v128, -v2
	ds_read2_b64 v[2:5], v94 offset0:109 offset1:110
	ds_read2_b64 v[6:9], v94 offset0:111 offset1:112
	ds_read2_b64 v[10:13], v94 offset0:113 offset1:114
	ds_read_b64 v[14:15], v94 offset:920
	v_pk_mul_f32 v[18:19], v[126:127], v[18:19] op_sel:[1,0] op_sel_hi:[0,0]
	v_fmac_f32_e32 v149, v125, v128
	v_pk_add_f32 v[16:17], v[144:145], v[146:147]
	v_pk_fma_f32 v[20:21], v[126:127], v[130:131], v[18:19] neg_lo:[0,0,1] neg_hi:[0,0,1]
	v_pk_fma_f32 v[18:19], v[126:127], v[130:131], v[18:19] op_sel_hi:[1,0,1]
	v_pk_add_f32 v[16:17], v[16:17], v[148:149]
	v_mov_b32_e32 v21, v19
	v_pk_add_f32 v[16:17], v[16:17], v[20:21]
	s_waitcnt vmcnt(3) lgkmcnt(3)
	v_pk_mul_f32 v[18:19], v[2:3], v[132:133] op_sel:[1,1] op_sel_hi:[0,1]
	v_pk_fma_f32 v[20:21], v[2:3], v[132:133], v[18:19] neg_lo:[0,0,1] neg_hi:[0,0,1]
	v_pk_fma_f32 v[2:3], v[2:3], v[132:133], v[18:19] op_sel_hi:[1,0,1]
	s_nop 0
	v_mov_b32_e32 v21, v3
	v_pk_add_f32 v[2:3], v[16:17], v[20:21]
	v_mov_b32_e32 v16, v135
	v_pk_mul_f32 v[16:17], v[4:5], v[16:17] op_sel:[1,0] op_sel_hi:[0,0]
	v_pk_fma_f32 v[18:19], v[4:5], v[134:135], v[16:17] neg_lo:[0,0,1] neg_hi:[0,0,1]
	v_pk_fma_f32 v[4:5], v[4:5], v[134:135], v[16:17] op_sel_hi:[1,0,1]
	s_nop 0
	v_mov_b32_e32 v19, v5
	s_waitcnt vmcnt(2) lgkmcnt(2)
	v_pk_mul_f32 v[4:5], v[6:7], v[136:137] op_sel:[1,1] op_sel_hi:[0,1]
	v_pk_fma_f32 v[16:17], v[6:7], v[136:137], v[4:5] neg_lo:[0,0,1] neg_hi:[0,0,1]
	v_pk_fma_f32 v[4:5], v[6:7], v[136:137], v[4:5] op_sel_hi:[1,0,1]
	v_pk_add_f32 v[2:3], v[2:3], v[18:19]
	v_mov_b32_e32 v4, v139
	v_mov_b32_e32 v17, v5
	v_pk_mul_f32 v[4:5], v[8:9], v[4:5] op_sel:[1,0] op_sel_hi:[0,0]
	v_pk_fma_f32 v[6:7], v[8:9], v[138:139], v[4:5] neg_lo:[0,0,1] neg_hi:[0,0,1]
	v_pk_fma_f32 v[4:5], v[8:9], v[138:139], v[4:5] op_sel_hi:[1,0,1]
	v_pk_add_f32 v[2:3], v[2:3], v[16:17]
	v_mov_b32_e32 v7, v5
	s_waitcnt vmcnt(1) lgkmcnt(1)
	v_pk_mul_f32 v[4:5], v[10:11], v[140:141] op_sel:[1,1] op_sel_hi:[0,1]
	v_pk_add_f32 v[2:3], v[2:3], v[6:7]
	v_pk_fma_f32 v[6:7], v[10:11], v[140:141], v[4:5] neg_lo:[0,0,1] neg_hi:[0,0,1]
	v_pk_fma_f32 v[4:5], v[10:11], v[140:141], v[4:5] op_sel_hi:[1,0,1]
	s_nop 0
	v_mov_b32_e32 v4, v143
	v_mov_b32_e32 v7, v5
	v_pk_mul_f32 v[4:5], v[12:13], v[4:5] op_sel:[1,0] op_sel_hi:[0,0]
	v_pk_add_f32 v[2:3], v[2:3], v[6:7]
	v_pk_fma_f32 v[6:7], v[12:13], v[142:143], v[4:5] neg_lo:[0,0,1] neg_hi:[0,0,1]
	v_pk_fma_f32 v[4:5], v[12:13], v[142:143], v[4:5] op_sel_hi:[1,0,1]
	s_nop 0
	v_mov_b32_e32 v7, v5
	s_waitcnt vmcnt(0) lgkmcnt(0)
	v_pk_mul_f32 v[4:5], v[14:15], v[160:161] op_sel:[1,1] op_sel_hi:[0,1]
	v_pk_add_f32 v[2:3], v[2:3], v[6:7]
	v_pk_fma_f32 v[6:7], v[14:15], v[160:161], v[4:5] neg_lo:[0,0,1] neg_hi:[0,0,1]
	v_pk_fma_f32 v[4:5], v[14:15], v[160:161], v[4:5] op_sel_hi:[1,0,1]
	s_nop 0
	v_mov_b32_e32 v7, v5
	scratch_load_dwordx2 v[4:5], off, off offset:144
	v_pk_add_f32 v[2:3], v[2:3], v[6:7]
	s_waitcnt vmcnt(0)
	v_pk_add_f32 v[2:3], v[4:5], v[2:3] neg_lo:[0,1] neg_hi:[0,1]
	scratch_store_dwordx2 off, v[2:3], off offset:144
	s_and_saveexec_b64 s[0:1], vcc
	s_cbranch_execz .LBB57_327
; %bb.326:
	scratch_load_dwordx2 v[2:3], off, off offset:136
	v_mov_b32_e32 v95, v94
	scratch_store_dwordx2 off, v[94:95], off offset:136
	s_waitcnt vmcnt(1)
	ds_write_b64 v1, v[2:3]
.LBB57_327:
	s_or_b64 exec, exec, s[0:1]
	s_waitcnt lgkmcnt(0)
	; wave barrier
	ds_read_b128 v[14:17], v94 offset:608
	ds_read_b128 v[10:13], v94 offset:624
	;; [unrolled: 1-line block ×4, first 2 shown]
	scratch_load_dwordx4 v[18:21], off, off offset:144
	scratch_load_dwordx4 v[38:41], off, off offset:208
	;; [unrolled: 1-line block ×10, first 2 shown]
	v_cmp_lt_u32_e32 vcc, 16, v0
	scratch_load_dwordx4 v[46:49], off, off offset:224
	scratch_load_dwordx4 v[54:57], off, off offset:240
	;; [unrolled: 1-line block ×3, first 2 shown]
	s_waitcnt vmcnt(12) lgkmcnt(3)
	v_mul_f32_e32 v22, v14, v19
	v_fmac_f32_e32 v22, v15, v18
	v_mul_f32_e32 v23, v16, v21
	v_add_f32_e32 v22, 0, v22
	v_fmac_f32_e32 v23, v17, v20
	v_add_f32_e32 v26, v22, v23
	scratch_load_dwordx4 v[22:25], off, off offset:160
	v_mul_f32_e32 v15, v15, v19
	v_fma_f32 v14, v14, v18, -v15
	v_mul_f32_e32 v15, v17, v21
	v_add_f32_e32 v14, 0, v14
	v_fma_f32 v15, v16, v20, -v15
	v_add_f32_e32 v14, v14, v15
	s_waitcnt vmcnt(0) lgkmcnt(2)
	v_mul_f32_e32 v27, v10, v23
	v_fmac_f32_e32 v27, v11, v22
	v_add_f32_e32 v26, v26, v27
	v_mul_f32_e32 v27, v12, v25
	v_fmac_f32_e32 v27, v13, v24
	v_add_f32_e32 v30, v26, v27
	scratch_load_dwordx4 v[26:29], off, off offset:176
	v_mul_f32_e32 v11, v11, v23
	v_fma_f32 v10, v10, v22, -v11
	v_mul_f32_e32 v11, v13, v25
	v_add_f32_e32 v10, v14, v10
	v_fma_f32 v11, v12, v24, -v11
	v_add_f32_e32 v10, v10, v11
	s_waitcnt vmcnt(0) lgkmcnt(1)
	v_mul_f32_e32 v31, v6, v27
	v_fmac_f32_e32 v31, v7, v26
	v_add_f32_e32 v30, v30, v31
	v_mul_f32_e32 v31, v8, v29
	v_fmac_f32_e32 v31, v9, v28
	v_add_f32_e32 v34, v30, v31
	scratch_load_dwordx4 v[30:33], off, off offset:192
	v_mul_f32_e32 v7, v7, v27
	v_fma_f32 v6, v6, v26, -v7
	v_mul_f32_e32 v7, v9, v29
	v_add_f32_e32 v6, v10, v6
	v_fma_f32 v7, v8, v28, -v7
	v_add_f32_e32 v6, v6, v7
	s_waitcnt vmcnt(0) lgkmcnt(0)
	v_mul_f32_e32 v35, v2, v31
	v_fmac_f32_e32 v35, v3, v30
	v_add_f32_e32 v34, v34, v35
	v_mul_f32_e32 v35, v4, v33
	v_fmac_f32_e32 v35, v5, v32
	v_add_f32_e32 v42, v34, v35
	ds_read_b128 v[34:37], v94 offset:672
	v_mul_f32_e32 v3, v3, v31
	v_fma_f32 v2, v2, v30, -v3
	v_mul_f32_e32 v3, v5, v33
	v_add_f32_e32 v2, v6, v2
	s_waitcnt lgkmcnt(0)
	v_mul_f32_e32 v43, v34, v39
	v_fmac_f32_e32 v43, v35, v38
	v_add_f32_e32 v42, v42, v43
	v_mul_f32_e32 v43, v36, v41
	v_fmac_f32_e32 v43, v37, v40
	v_add_f32_e32 v50, v42, v43
	ds_read_b128 v[42:45], v94 offset:688
	v_fma_f32 v3, v4, v32, -v3
	v_add_f32_e32 v2, v2, v3
	v_mul_f32_e32 v3, v35, v39
	v_fma_f32 v3, v34, v38, -v3
	s_waitcnt lgkmcnt(0)
	v_mul_f32_e32 v51, v42, v47
	v_fmac_f32_e32 v51, v43, v46
	v_add_f32_e32 v50, v50, v51
	v_mul_f32_e32 v51, v44, v49
	v_fmac_f32_e32 v51, v45, v48
	v_add_f32_e32 v58, v50, v51
	ds_read_b128 v[50:53], v94 offset:704
	v_add_f32_e32 v2, v2, v3
	v_mul_f32_e32 v3, v37, v41
	v_fma_f32 v3, v36, v40, -v3
	v_add_f32_e32 v2, v2, v3
	s_waitcnt lgkmcnt(0)
	v_mul_f32_e32 v59, v50, v55
	v_fmac_f32_e32 v59, v51, v54
	v_add_f32_e32 v58, v58, v59
	v_mul_f32_e32 v59, v52, v57
	v_fmac_f32_e32 v59, v53, v56
	v_add_f32_e32 v66, v58, v59
	ds_read_b128 v[58:61], v94 offset:720
	v_mul_f32_e32 v3, v43, v47
	v_fma_f32 v3, v42, v46, -v3
	v_add_f32_e32 v2, v2, v3
	v_mul_f32_e32 v3, v45, v49
	s_waitcnt lgkmcnt(0)
	v_mul_f32_e32 v67, v58, v63
	v_fmac_f32_e32 v67, v59, v62
	v_add_f32_e32 v66, v66, v67
	v_mul_f32_e32 v67, v60, v65
	v_fmac_f32_e32 v67, v61, v64
	v_add_f32_e32 v74, v66, v67
	ds_read_b128 v[66:69], v94 offset:736
	v_fma_f32 v3, v44, v48, -v3
	v_add_f32_e32 v2, v2, v3
	v_mul_f32_e32 v3, v51, v55
	v_fma_f32 v3, v50, v54, -v3
	s_waitcnt lgkmcnt(0)
	v_mul_f32_e32 v75, v66, v71
	v_fmac_f32_e32 v75, v67, v70
	v_add_f32_e32 v74, v74, v75
	v_mul_f32_e32 v75, v68, v73
	v_fmac_f32_e32 v75, v69, v72
	v_add_f32_e32 v82, v74, v75
	ds_read_b128 v[74:77], v94 offset:752
	v_add_f32_e32 v2, v2, v3
	v_mul_f32_e32 v3, v53, v57
	v_fma_f32 v3, v52, v56, -v3
	v_add_f32_e32 v2, v2, v3
	s_waitcnt lgkmcnt(0)
	v_mul_f32_e32 v83, v74, v79
	v_fmac_f32_e32 v83, v75, v78
	v_add_f32_e32 v82, v82, v83
	v_mul_f32_e32 v83, v76, v81
	v_fmac_f32_e32 v83, v77, v80
	v_add_f32_e32 v90, v82, v83
	ds_read_b128 v[82:85], v94 offset:768
	v_mul_f32_e32 v3, v59, v63
	v_fma_f32 v3, v58, v62, -v3
	v_add_f32_e32 v2, v2, v3
	v_mul_f32_e32 v3, v61, v65
	;; [unrolled: 36-line block ×3, first 2 shown]
	s_waitcnt lgkmcnt(0)
	v_mul_f32_e32 v116, v108, v113
	v_fmac_f32_e32 v116, v109, v112
	v_add_f32_e32 v95, v95, v116
	v_mul_f32_e32 v116, v110, v115
	v_fmac_f32_e32 v116, v111, v114
	v_add_f32_e32 v95, v95, v116
	ds_read_b128 v[116:119], v94 offset:832
	v_fma_f32 v3, v76, v80, -v3
	v_add_f32_e32 v2, v2, v3
	v_mul_f32_e32 v3, v83, v87
	v_fma_f32 v3, v82, v86, -v3
	s_waitcnt lgkmcnt(0)
	v_mul_f32_e32 v124, v116, v121
	v_fmac_f32_e32 v124, v117, v120
	v_add_f32_e32 v95, v95, v124
	v_mul_f32_e32 v124, v118, v123
	v_fmac_f32_e32 v124, v119, v122
	v_add_f32_e32 v149, v95, v124
	ds_read_b128 v[124:127], v94 offset:848
	scratch_load_dwordx4 v[132:135], off, off offset:400
	scratch_load_dwordx4 v[136:139], off, off offset:416
	scratch_load_dwordx4 v[140:143], off, off offset:432
	scratch_load_dwordx4 v[144:147], off, off offset:448
	v_add_f32_e32 v2, v2, v3
	v_mul_f32_e32 v3, v85, v89
	v_fma_f32 v3, v84, v88, -v3
	v_add_f32_e32 v2, v2, v3
	v_mul_f32_e32 v3, v91, v97
	v_fma_f32 v3, v90, v96, -v3
	;; [unrolled: 3-line block ×9, first 2 shown]
	v_add_f32_e32 v148, v2, v3
	s_waitcnt lgkmcnt(0)
	v_mul_f32_e32 v2, v125, v129
	v_fma_f32 v160, v124, v128, -v2
	v_mul_f32_e32 v2, v127, v131
	v_fma_f32 v162, v126, v130, -v2
	ds_read_b128 v[2:5], v94 offset:864
	ds_read_b128 v[6:9], v94 offset:880
	ds_read_b128 v[10:13], v94 offset:896
	ds_read_b128 v[14:17], v94 offset:912
	v_mul_f32_e32 v161, v124, v129
	v_fmac_f32_e32 v161, v125, v128
	v_mul_f32_e32 v163, v126, v131
	v_fmac_f32_e32 v163, v127, v130
	v_pk_add_f32 v[18:19], v[148:149], v[160:161]
	s_waitcnt vmcnt(3) lgkmcnt(3)
	v_pk_mul_f32 v[20:21], v[2:3], v[132:133] op_sel:[1,1] op_sel_hi:[0,1]
	v_pk_fma_f32 v[22:23], v[2:3], v[132:133], v[20:21] neg_lo:[0,0,1] neg_hi:[0,0,1]
	v_pk_fma_f32 v[2:3], v[2:3], v[132:133], v[20:21] op_sel_hi:[1,0,1]
	v_pk_add_f32 v[18:19], v[18:19], v[162:163]
	v_mov_b32_e32 v23, v3
	v_pk_add_f32 v[2:3], v[18:19], v[22:23]
	v_mov_b32_e32 v18, v135
	v_pk_mul_f32 v[18:19], v[4:5], v[18:19] op_sel:[1,0] op_sel_hi:[0,0]
	v_pk_fma_f32 v[20:21], v[4:5], v[134:135], v[18:19] neg_lo:[0,0,1] neg_hi:[0,0,1]
	v_pk_fma_f32 v[4:5], v[4:5], v[134:135], v[18:19] op_sel_hi:[1,0,1]
	s_nop 0
	v_mov_b32_e32 v21, v5
	s_waitcnt vmcnt(2) lgkmcnt(2)
	v_pk_mul_f32 v[4:5], v[6:7], v[136:137] op_sel:[1,1] op_sel_hi:[0,1]
	v_pk_fma_f32 v[18:19], v[6:7], v[136:137], v[4:5] neg_lo:[0,0,1] neg_hi:[0,0,1]
	v_pk_fma_f32 v[4:5], v[6:7], v[136:137], v[4:5] op_sel_hi:[1,0,1]
	v_pk_add_f32 v[2:3], v[2:3], v[20:21]
	v_mov_b32_e32 v4, v139
	v_mov_b32_e32 v19, v5
	v_pk_mul_f32 v[4:5], v[8:9], v[4:5] op_sel:[1,0] op_sel_hi:[0,0]
	v_pk_fma_f32 v[6:7], v[8:9], v[138:139], v[4:5] neg_lo:[0,0,1] neg_hi:[0,0,1]
	v_pk_fma_f32 v[4:5], v[8:9], v[138:139], v[4:5] op_sel_hi:[1,0,1]
	v_pk_add_f32 v[2:3], v[2:3], v[18:19]
	v_mov_b32_e32 v7, v5
	s_waitcnt vmcnt(1) lgkmcnt(1)
	v_pk_mul_f32 v[4:5], v[10:11], v[140:141] op_sel:[1,1] op_sel_hi:[0,1]
	v_pk_add_f32 v[2:3], v[2:3], v[6:7]
	v_pk_fma_f32 v[6:7], v[10:11], v[140:141], v[4:5] neg_lo:[0,0,1] neg_hi:[0,0,1]
	v_pk_fma_f32 v[4:5], v[10:11], v[140:141], v[4:5] op_sel_hi:[1,0,1]
	s_nop 0
	v_mov_b32_e32 v4, v143
	v_mov_b32_e32 v7, v5
	v_pk_mul_f32 v[4:5], v[12:13], v[4:5] op_sel:[1,0] op_sel_hi:[0,0]
	v_pk_add_f32 v[2:3], v[2:3], v[6:7]
	v_pk_fma_f32 v[6:7], v[12:13], v[142:143], v[4:5] neg_lo:[0,0,1] neg_hi:[0,0,1]
	v_pk_fma_f32 v[4:5], v[12:13], v[142:143], v[4:5] op_sel_hi:[1,0,1]
	s_nop 0
	v_mov_b32_e32 v7, v5
	s_waitcnt vmcnt(0) lgkmcnt(0)
	v_pk_mul_f32 v[4:5], v[14:15], v[144:145] op_sel:[1,1] op_sel_hi:[0,1]
	v_pk_add_f32 v[2:3], v[2:3], v[6:7]
	v_pk_fma_f32 v[6:7], v[14:15], v[144:145], v[4:5] neg_lo:[0,0,1] neg_hi:[0,0,1]
	v_pk_fma_f32 v[4:5], v[14:15], v[144:145], v[4:5] op_sel_hi:[1,0,1]
	s_nop 0
	v_mov_b32_e32 v4, v147
	v_mov_b32_e32 v7, v5
	v_pk_mul_f32 v[4:5], v[16:17], v[4:5] op_sel:[1,0] op_sel_hi:[0,0]
	v_pk_add_f32 v[2:3], v[2:3], v[6:7]
	v_pk_fma_f32 v[6:7], v[16:17], v[146:147], v[4:5] neg_lo:[0,0,1] neg_hi:[0,0,1]
	v_pk_fma_f32 v[4:5], v[16:17], v[146:147], v[4:5] op_sel_hi:[1,0,1]
	s_nop 0
	v_mov_b32_e32 v7, v5
	scratch_load_dwordx2 v[4:5], off, off offset:136
	v_pk_add_f32 v[2:3], v[2:3], v[6:7]
	s_waitcnt vmcnt(0)
	v_pk_add_f32 v[2:3], v[4:5], v[2:3] neg_lo:[0,1] neg_hi:[0,1]
	scratch_store_dwordx2 off, v[2:3], off offset:136
	s_and_saveexec_b64 s[0:1], vcc
	s_cbranch_execz .LBB57_329
; %bb.328:
	scratch_load_dwordx2 v[2:3], off, off offset:128
	v_mov_b32_e32 v4, 0
	v_mov_b32_e32 v5, v4
	scratch_store_dwordx2 off, v[4:5], off offset:128
	s_waitcnt vmcnt(1)
	ds_write_b64 v1, v[2:3]
.LBB57_329:
	s_or_b64 exec, exec, s[0:1]
	s_waitcnt lgkmcnt(0)
	; wave barrier
	scratch_load_dwordx4 v[6:9], off, off offset:136
	scratch_load_dwordx4 v[14:17], off, off offset:152
	;; [unrolled: 1-line block ×10, first 2 shown]
	v_mov_b32_e32 v102, 0
	ds_read2_b64 v[2:5], v102 offset0:75 offset1:76
	scratch_load_dwordx4 v[86:89], off, off offset:296
	scratch_load_dwordx4 v[94:97], off, off offset:312
	;; [unrolled: 1-line block ×7, first 2 shown]
	v_cmp_lt_u32_e32 vcc, 15, v0
	s_waitcnt vmcnt(16) lgkmcnt(0)
	v_mul_f32_e32 v10, v2, v7
	v_fmac_f32_e32 v10, v3, v6
	v_mul_f32_e32 v11, v4, v9
	v_add_f32_e32 v10, 0, v10
	v_fmac_f32_e32 v11, v5, v8
	v_add_f32_e32 v18, v10, v11
	ds_read2_b64 v[10:13], v102 offset0:77 offset1:78
	v_mul_f32_e32 v3, v3, v7
	v_fma_f32 v2, v2, v6, -v3
	v_mul_f32_e32 v3, v5, v9
	v_add_f32_e32 v2, 0, v2
	s_waitcnt vmcnt(15) lgkmcnt(0)
	v_mul_f32_e32 v19, v10, v15
	v_fmac_f32_e32 v19, v11, v14
	v_add_f32_e32 v18, v18, v19
	v_mul_f32_e32 v19, v12, v17
	v_fmac_f32_e32 v19, v13, v16
	v_add_f32_e32 v26, v18, v19
	ds_read2_b64 v[18:21], v102 offset0:79 offset1:80
	v_fma_f32 v3, v4, v8, -v3
	v_add_f32_e32 v2, v2, v3
	v_mul_f32_e32 v3, v11, v15
	v_fma_f32 v3, v10, v14, -v3
	s_waitcnt vmcnt(14) lgkmcnt(0)
	v_mul_f32_e32 v27, v18, v23
	v_fmac_f32_e32 v27, v19, v22
	v_add_f32_e32 v26, v26, v27
	v_mul_f32_e32 v27, v20, v25
	v_fmac_f32_e32 v27, v21, v24
	v_add_f32_e32 v34, v26, v27
	ds_read2_b64 v[26:29], v102 offset0:81 offset1:82
	v_add_f32_e32 v2, v2, v3
	v_mul_f32_e32 v3, v13, v17
	v_fma_f32 v3, v12, v16, -v3
	v_add_f32_e32 v2, v2, v3
	s_waitcnt vmcnt(13) lgkmcnt(0)
	v_mul_f32_e32 v35, v26, v31
	v_fmac_f32_e32 v35, v27, v30
	v_add_f32_e32 v34, v34, v35
	v_mul_f32_e32 v35, v28, v33
	v_fmac_f32_e32 v35, v29, v32
	v_add_f32_e32 v42, v34, v35
	ds_read2_b64 v[34:37], v102 offset0:83 offset1:84
	v_mul_f32_e32 v3, v19, v23
	v_fma_f32 v3, v18, v22, -v3
	v_add_f32_e32 v2, v2, v3
	v_mul_f32_e32 v3, v21, v25
	s_waitcnt vmcnt(12) lgkmcnt(0)
	v_mul_f32_e32 v43, v34, v39
	v_fmac_f32_e32 v43, v35, v38
	v_add_f32_e32 v42, v42, v43
	v_mul_f32_e32 v43, v36, v41
	v_fmac_f32_e32 v43, v37, v40
	v_add_f32_e32 v50, v42, v43
	ds_read2_b64 v[42:45], v102 offset0:85 offset1:86
	v_fma_f32 v3, v20, v24, -v3
	v_add_f32_e32 v2, v2, v3
	v_mul_f32_e32 v3, v27, v31
	v_fma_f32 v3, v26, v30, -v3
	s_waitcnt vmcnt(11) lgkmcnt(0)
	v_mul_f32_e32 v51, v42, v47
	v_fmac_f32_e32 v51, v43, v46
	v_add_f32_e32 v50, v50, v51
	v_mul_f32_e32 v51, v44, v49
	v_fmac_f32_e32 v51, v45, v48
	v_add_f32_e32 v58, v50, v51
	ds_read2_b64 v[50:53], v102 offset0:87 offset1:88
	v_add_f32_e32 v2, v2, v3
	v_mul_f32_e32 v3, v29, v33
	v_fma_f32 v3, v28, v32, -v3
	v_add_f32_e32 v2, v2, v3
	s_waitcnt vmcnt(10) lgkmcnt(0)
	v_mul_f32_e32 v59, v50, v55
	v_fmac_f32_e32 v59, v51, v54
	v_add_f32_e32 v58, v58, v59
	v_mul_f32_e32 v59, v52, v57
	v_fmac_f32_e32 v59, v53, v56
	v_add_f32_e32 v66, v58, v59
	ds_read2_b64 v[58:61], v102 offset0:89 offset1:90
	v_mul_f32_e32 v3, v35, v39
	v_fma_f32 v3, v34, v38, -v3
	v_add_f32_e32 v2, v2, v3
	v_mul_f32_e32 v3, v37, v41
	;; [unrolled: 36-line block ×4, first 2 shown]
	s_waitcnt vmcnt(3) lgkmcnt(0)
	v_mul_f32_e32 v116, v108, v113
	v_fmac_f32_e32 v116, v109, v112
	v_add_f32_e32 v103, v103, v116
	v_mul_f32_e32 v116, v110, v115
	v_fmac_f32_e32 v116, v111, v114
	v_add_f32_e32 v103, v103, v116
	ds_read2_b64 v[116:119], v102 offset0:103 offset1:104
	v_fma_f32 v3, v68, v72, -v3
	v_add_f32_e32 v2, v2, v3
	v_mul_f32_e32 v3, v75, v79
	v_fma_f32 v3, v74, v78, -v3
	s_waitcnt vmcnt(2) lgkmcnt(0)
	v_mul_f32_e32 v124, v116, v121
	v_fmac_f32_e32 v124, v117, v120
	v_add_f32_e32 v103, v103, v124
	v_mul_f32_e32 v124, v118, v123
	v_fmac_f32_e32 v124, v119, v122
	v_add_f32_e32 v103, v103, v124
	ds_read2_b64 v[124:127], v102 offset0:105 offset1:106
	v_add_f32_e32 v2, v2, v3
	v_mul_f32_e32 v3, v77, v81
	v_fma_f32 v3, v76, v80, -v3
	v_add_f32_e32 v2, v2, v3
	s_waitcnt vmcnt(1) lgkmcnt(0)
	v_mul_f32_e32 v132, v124, v129
	v_fmac_f32_e32 v132, v125, v128
	v_add_f32_e32 v149, v103, v132
	ds_read2_b64 v[132:135], v102 offset0:107 offset1:108
	scratch_load_dwordx4 v[140:143], off, off offset:408
	scratch_load_dwordx4 v[144:147], off, off offset:424
	;; [unrolled: 1-line block ×3, first 2 shown]
	scratch_load_dwordx2 v[168:169], off, off offset:456
	v_mul_f32_e32 v3, v83, v87
	v_fma_f32 v3, v82, v86, -v3
	v_add_f32_e32 v2, v2, v3
	v_mul_f32_e32 v3, v85, v89
	v_fma_f32 v3, v84, v88, -v3
	v_add_f32_e32 v2, v2, v3
	;; [unrolled: 3-line block ×11, first 2 shown]
	v_mul_f32_e32 v2, v127, v131
	v_mul_f32_e32 v165, v126, v131
	v_fma_f32 v164, v126, v130, -v2
	s_waitcnt vmcnt(4) lgkmcnt(0)
	v_mul_f32_e32 v2, v133, v137
	v_mov_b32_e32 v18, v139
	v_fmac_f32_e32 v165, v127, v130
	v_mul_f32_e32 v167, v132, v137
	v_fma_f32 v166, v132, v136, -v2
	ds_read2_b64 v[2:5], v102 offset0:109 offset1:110
	ds_read2_b64 v[6:9], v102 offset0:111 offset1:112
	;; [unrolled: 1-line block ×3, first 2 shown]
	ds_read_b64 v[14:15], v102 offset:920
	v_pk_mul_f32 v[18:19], v[134:135], v[18:19] op_sel:[1,0] op_sel_hi:[0,0]
	v_fmac_f32_e32 v167, v133, v136
	v_pk_add_f32 v[16:17], v[148:149], v[164:165]
	v_pk_fma_f32 v[20:21], v[134:135], v[138:139], v[18:19] neg_lo:[0,0,1] neg_hi:[0,0,1]
	v_pk_fma_f32 v[18:19], v[134:135], v[138:139], v[18:19] op_sel_hi:[1,0,1]
	v_pk_add_f32 v[16:17], v[16:17], v[166:167]
	v_mov_b32_e32 v21, v19
	v_pk_add_f32 v[16:17], v[16:17], v[20:21]
	s_waitcnt vmcnt(3) lgkmcnt(3)
	v_pk_mul_f32 v[18:19], v[2:3], v[140:141] op_sel:[1,1] op_sel_hi:[0,1]
	v_pk_fma_f32 v[20:21], v[2:3], v[140:141], v[18:19] neg_lo:[0,0,1] neg_hi:[0,0,1]
	v_pk_fma_f32 v[2:3], v[2:3], v[140:141], v[18:19] op_sel_hi:[1,0,1]
	s_nop 0
	v_mov_b32_e32 v21, v3
	v_pk_add_f32 v[2:3], v[16:17], v[20:21]
	v_mov_b32_e32 v16, v143
	v_pk_mul_f32 v[16:17], v[4:5], v[16:17] op_sel:[1,0] op_sel_hi:[0,0]
	v_pk_fma_f32 v[18:19], v[4:5], v[142:143], v[16:17] neg_lo:[0,0,1] neg_hi:[0,0,1]
	v_pk_fma_f32 v[4:5], v[4:5], v[142:143], v[16:17] op_sel_hi:[1,0,1]
	s_nop 0
	v_mov_b32_e32 v19, v5
	s_waitcnt vmcnt(2) lgkmcnt(2)
	v_pk_mul_f32 v[4:5], v[6:7], v[144:145] op_sel:[1,1] op_sel_hi:[0,1]
	v_pk_fma_f32 v[16:17], v[6:7], v[144:145], v[4:5] neg_lo:[0,0,1] neg_hi:[0,0,1]
	v_pk_fma_f32 v[4:5], v[6:7], v[144:145], v[4:5] op_sel_hi:[1,0,1]
	v_pk_add_f32 v[2:3], v[2:3], v[18:19]
	v_mov_b32_e32 v4, v147
	v_mov_b32_e32 v17, v5
	v_pk_mul_f32 v[4:5], v[8:9], v[4:5] op_sel:[1,0] op_sel_hi:[0,0]
	v_pk_fma_f32 v[6:7], v[8:9], v[146:147], v[4:5] neg_lo:[0,0,1] neg_hi:[0,0,1]
	v_pk_fma_f32 v[4:5], v[8:9], v[146:147], v[4:5] op_sel_hi:[1,0,1]
	v_pk_add_f32 v[2:3], v[2:3], v[16:17]
	v_mov_b32_e32 v7, v5
	s_waitcnt vmcnt(1) lgkmcnt(1)
	v_pk_mul_f32 v[4:5], v[10:11], v[160:161] op_sel:[1,1] op_sel_hi:[0,1]
	v_pk_add_f32 v[2:3], v[2:3], v[6:7]
	v_pk_fma_f32 v[6:7], v[10:11], v[160:161], v[4:5] neg_lo:[0,0,1] neg_hi:[0,0,1]
	v_pk_fma_f32 v[4:5], v[10:11], v[160:161], v[4:5] op_sel_hi:[1,0,1]
	s_nop 0
	v_mov_b32_e32 v4, v163
	v_mov_b32_e32 v7, v5
	v_pk_mul_f32 v[4:5], v[12:13], v[4:5] op_sel:[1,0] op_sel_hi:[0,0]
	v_pk_add_f32 v[2:3], v[2:3], v[6:7]
	v_pk_fma_f32 v[6:7], v[12:13], v[162:163], v[4:5] neg_lo:[0,0,1] neg_hi:[0,0,1]
	v_pk_fma_f32 v[4:5], v[12:13], v[162:163], v[4:5] op_sel_hi:[1,0,1]
	s_nop 0
	v_mov_b32_e32 v7, v5
	s_waitcnt vmcnt(0) lgkmcnt(0)
	v_pk_mul_f32 v[4:5], v[14:15], v[168:169] op_sel:[1,1] op_sel_hi:[0,1]
	v_pk_add_f32 v[2:3], v[2:3], v[6:7]
	v_pk_fma_f32 v[6:7], v[14:15], v[168:169], v[4:5] neg_lo:[0,0,1] neg_hi:[0,0,1]
	v_pk_fma_f32 v[4:5], v[14:15], v[168:169], v[4:5] op_sel_hi:[1,0,1]
	s_nop 0
	v_mov_b32_e32 v7, v5
	scratch_load_dwordx2 v[4:5], off, off offset:128
	v_pk_add_f32 v[2:3], v[2:3], v[6:7]
	s_waitcnt vmcnt(0)
	v_pk_add_f32 v[2:3], v[4:5], v[2:3] neg_lo:[0,1] neg_hi:[0,1]
	scratch_store_dwordx2 off, v[2:3], off offset:128
	s_and_saveexec_b64 s[0:1], vcc
	s_cbranch_execz .LBB57_331
; %bb.330:
	scratch_load_dwordx2 v[2:3], off, off offset:120
	v_mov_b32_e32 v103, v102
	scratch_store_dwordx2 off, v[102:103], off offset:120
	s_waitcnt vmcnt(1)
	ds_write_b64 v1, v[2:3]
.LBB57_331:
	s_or_b64 exec, exec, s[0:1]
	s_waitcnt lgkmcnt(0)
	; wave barrier
	ds_read_b128 v[14:17], v102 offset:592
	ds_read_b128 v[10:13], v102 offset:608
	;; [unrolled: 1-line block ×4, first 2 shown]
	scratch_load_dwordx4 v[18:21], off, off offset:128
	scratch_load_dwordx4 v[38:41], off, off offset:192
	;; [unrolled: 1-line block ×11, first 2 shown]
	v_cmp_lt_u32_e32 vcc, 14, v0
	scratch_load_dwordx4 v[46:49], off, off offset:208
	scratch_load_dwordx4 v[54:57], off, off offset:224
	;; [unrolled: 1-line block ×3, first 2 shown]
	s_waitcnt vmcnt(13) lgkmcnt(3)
	v_mul_f32_e32 v22, v14, v19
	v_fmac_f32_e32 v22, v15, v18
	v_mul_f32_e32 v23, v16, v21
	v_add_f32_e32 v22, 0, v22
	v_fmac_f32_e32 v23, v17, v20
	v_add_f32_e32 v26, v22, v23
	scratch_load_dwordx4 v[22:25], off, off offset:144
	v_mul_f32_e32 v15, v15, v19
	v_fma_f32 v14, v14, v18, -v15
	v_mul_f32_e32 v15, v17, v21
	v_add_f32_e32 v14, 0, v14
	v_fma_f32 v15, v16, v20, -v15
	v_add_f32_e32 v14, v14, v15
	s_waitcnt vmcnt(0) lgkmcnt(2)
	v_mul_f32_e32 v27, v10, v23
	v_fmac_f32_e32 v27, v11, v22
	v_add_f32_e32 v26, v26, v27
	v_mul_f32_e32 v27, v12, v25
	v_fmac_f32_e32 v27, v13, v24
	v_add_f32_e32 v30, v26, v27
	scratch_load_dwordx4 v[26:29], off, off offset:160
	v_mul_f32_e32 v11, v11, v23
	v_fma_f32 v10, v10, v22, -v11
	v_mul_f32_e32 v11, v13, v25
	v_add_f32_e32 v10, v14, v10
	v_fma_f32 v11, v12, v24, -v11
	v_add_f32_e32 v10, v10, v11
	s_waitcnt vmcnt(0) lgkmcnt(1)
	v_mul_f32_e32 v31, v6, v27
	v_fmac_f32_e32 v31, v7, v26
	v_add_f32_e32 v30, v30, v31
	v_mul_f32_e32 v31, v8, v29
	;; [unrolled: 14-line block ×3, first 2 shown]
	v_fmac_f32_e32 v35, v5, v32
	v_add_f32_e32 v42, v34, v35
	ds_read_b128 v[34:37], v102 offset:656
	v_mul_f32_e32 v3, v3, v31
	v_fma_f32 v2, v2, v30, -v3
	v_mul_f32_e32 v3, v5, v33
	v_add_f32_e32 v2, v6, v2
	s_waitcnt lgkmcnt(0)
	v_mul_f32_e32 v43, v34, v39
	v_fmac_f32_e32 v43, v35, v38
	v_add_f32_e32 v42, v42, v43
	v_mul_f32_e32 v43, v36, v41
	v_fmac_f32_e32 v43, v37, v40
	v_add_f32_e32 v50, v42, v43
	ds_read_b128 v[42:45], v102 offset:672
	v_fma_f32 v3, v4, v32, -v3
	v_add_f32_e32 v2, v2, v3
	v_mul_f32_e32 v3, v35, v39
	v_fma_f32 v3, v34, v38, -v3
	s_waitcnt lgkmcnt(0)
	v_mul_f32_e32 v51, v42, v47
	v_fmac_f32_e32 v51, v43, v46
	v_add_f32_e32 v50, v50, v51
	v_mul_f32_e32 v51, v44, v49
	v_fmac_f32_e32 v51, v45, v48
	v_add_f32_e32 v58, v50, v51
	ds_read_b128 v[50:53], v102 offset:688
	v_add_f32_e32 v2, v2, v3
	v_mul_f32_e32 v3, v37, v41
	v_fma_f32 v3, v36, v40, -v3
	v_add_f32_e32 v2, v2, v3
	s_waitcnt lgkmcnt(0)
	v_mul_f32_e32 v59, v50, v55
	v_fmac_f32_e32 v59, v51, v54
	v_add_f32_e32 v58, v58, v59
	v_mul_f32_e32 v59, v52, v57
	v_fmac_f32_e32 v59, v53, v56
	v_add_f32_e32 v66, v58, v59
	ds_read_b128 v[58:61], v102 offset:704
	v_mul_f32_e32 v3, v43, v47
	v_fma_f32 v3, v42, v46, -v3
	v_add_f32_e32 v2, v2, v3
	v_mul_f32_e32 v3, v45, v49
	s_waitcnt lgkmcnt(0)
	v_mul_f32_e32 v67, v58, v63
	v_fmac_f32_e32 v67, v59, v62
	v_add_f32_e32 v66, v66, v67
	v_mul_f32_e32 v67, v60, v65
	v_fmac_f32_e32 v67, v61, v64
	v_add_f32_e32 v74, v66, v67
	ds_read_b128 v[66:69], v102 offset:720
	v_fma_f32 v3, v44, v48, -v3
	v_add_f32_e32 v2, v2, v3
	v_mul_f32_e32 v3, v51, v55
	v_fma_f32 v3, v50, v54, -v3
	s_waitcnt lgkmcnt(0)
	v_mul_f32_e32 v75, v66, v71
	v_fmac_f32_e32 v75, v67, v70
	v_add_f32_e32 v74, v74, v75
	v_mul_f32_e32 v75, v68, v73
	v_fmac_f32_e32 v75, v69, v72
	v_add_f32_e32 v82, v74, v75
	ds_read_b128 v[74:77], v102 offset:736
	v_add_f32_e32 v2, v2, v3
	v_mul_f32_e32 v3, v53, v57
	v_fma_f32 v3, v52, v56, -v3
	v_add_f32_e32 v2, v2, v3
	s_waitcnt lgkmcnt(0)
	v_mul_f32_e32 v83, v74, v79
	v_fmac_f32_e32 v83, v75, v78
	v_add_f32_e32 v82, v82, v83
	v_mul_f32_e32 v83, v76, v81
	v_fmac_f32_e32 v83, v77, v80
	v_add_f32_e32 v90, v82, v83
	ds_read_b128 v[82:85], v102 offset:752
	v_mul_f32_e32 v3, v59, v63
	v_fma_f32 v3, v58, v62, -v3
	v_add_f32_e32 v2, v2, v3
	v_mul_f32_e32 v3, v61, v65
	;; [unrolled: 36-line block ×3, first 2 shown]
	s_waitcnt lgkmcnt(0)
	v_mul_f32_e32 v116, v108, v113
	v_fmac_f32_e32 v116, v109, v112
	v_add_f32_e32 v103, v103, v116
	v_mul_f32_e32 v116, v110, v115
	v_fmac_f32_e32 v116, v111, v114
	v_add_f32_e32 v103, v103, v116
	ds_read_b128 v[116:119], v102 offset:816
	v_fma_f32 v3, v76, v80, -v3
	v_add_f32_e32 v2, v2, v3
	v_mul_f32_e32 v3, v83, v87
	v_fma_f32 v3, v82, v86, -v3
	s_waitcnt lgkmcnt(0)
	v_mul_f32_e32 v124, v116, v121
	v_fmac_f32_e32 v124, v117, v120
	v_add_f32_e32 v103, v103, v124
	v_mul_f32_e32 v124, v118, v123
	v_fmac_f32_e32 v124, v119, v122
	v_add_f32_e32 v103, v103, v124
	ds_read_b128 v[124:127], v102 offset:832
	v_add_f32_e32 v2, v2, v3
	v_mul_f32_e32 v3, v85, v89
	v_fma_f32 v3, v84, v88, -v3
	v_add_f32_e32 v2, v2, v3
	s_waitcnt lgkmcnt(0)
	v_mul_f32_e32 v132, v124, v129
	v_fmac_f32_e32 v132, v125, v128
	v_add_f32_e32 v103, v103, v132
	v_mul_f32_e32 v132, v126, v131
	v_fmac_f32_e32 v132, v127, v130
	v_add_f32_e32 v149, v103, v132
	ds_read_b128 v[132:135], v102 offset:848
	scratch_load_dwordx4 v[140:143], off, off offset:400
	scratch_load_dwordx4 v[144:147], off, off offset:416
	;; [unrolled: 1-line block ×4, first 2 shown]
	v_mul_f32_e32 v3, v91, v95
	v_fma_f32 v3, v90, v94, -v3
	v_add_f32_e32 v2, v2, v3
	v_mul_f32_e32 v3, v93, v97
	v_fma_f32 v3, v92, v96, -v3
	v_add_f32_e32 v2, v2, v3
	;; [unrolled: 3-line block ×10, first 2 shown]
	s_waitcnt lgkmcnt(0)
	v_mul_f32_e32 v2, v133, v137
	v_fma_f32 v168, v132, v136, -v2
	v_mul_f32_e32 v2, v135, v139
	v_fma_f32 v170, v134, v138, -v2
	ds_read_b128 v[2:5], v102 offset:864
	ds_read_b128 v[6:9], v102 offset:880
	ds_read_b128 v[10:13], v102 offset:896
	ds_read_b128 v[14:17], v102 offset:912
	v_mul_f32_e32 v169, v132, v137
	v_fmac_f32_e32 v169, v133, v136
	v_mul_f32_e32 v171, v134, v139
	v_fmac_f32_e32 v171, v135, v138
	v_pk_add_f32 v[18:19], v[148:149], v[168:169]
	s_waitcnt vmcnt(3) lgkmcnt(3)
	v_pk_mul_f32 v[20:21], v[2:3], v[140:141] op_sel:[1,1] op_sel_hi:[0,1]
	v_pk_fma_f32 v[22:23], v[2:3], v[140:141], v[20:21] neg_lo:[0,0,1] neg_hi:[0,0,1]
	v_pk_fma_f32 v[2:3], v[2:3], v[140:141], v[20:21] op_sel_hi:[1,0,1]
	v_pk_add_f32 v[18:19], v[18:19], v[170:171]
	v_mov_b32_e32 v23, v3
	v_pk_add_f32 v[2:3], v[18:19], v[22:23]
	v_mov_b32_e32 v18, v143
	v_pk_mul_f32 v[18:19], v[4:5], v[18:19] op_sel:[1,0] op_sel_hi:[0,0]
	v_pk_fma_f32 v[20:21], v[4:5], v[142:143], v[18:19] neg_lo:[0,0,1] neg_hi:[0,0,1]
	v_pk_fma_f32 v[4:5], v[4:5], v[142:143], v[18:19] op_sel_hi:[1,0,1]
	s_nop 0
	v_mov_b32_e32 v21, v5
	s_waitcnt vmcnt(2) lgkmcnt(2)
	v_pk_mul_f32 v[4:5], v[6:7], v[144:145] op_sel:[1,1] op_sel_hi:[0,1]
	v_pk_fma_f32 v[18:19], v[6:7], v[144:145], v[4:5] neg_lo:[0,0,1] neg_hi:[0,0,1]
	v_pk_fma_f32 v[4:5], v[6:7], v[144:145], v[4:5] op_sel_hi:[1,0,1]
	v_pk_add_f32 v[2:3], v[2:3], v[20:21]
	v_mov_b32_e32 v4, v147
	v_mov_b32_e32 v19, v5
	v_pk_mul_f32 v[4:5], v[8:9], v[4:5] op_sel:[1,0] op_sel_hi:[0,0]
	v_pk_fma_f32 v[6:7], v[8:9], v[146:147], v[4:5] neg_lo:[0,0,1] neg_hi:[0,0,1]
	v_pk_fma_f32 v[4:5], v[8:9], v[146:147], v[4:5] op_sel_hi:[1,0,1]
	v_pk_add_f32 v[2:3], v[2:3], v[18:19]
	v_mov_b32_e32 v7, v5
	s_waitcnt vmcnt(1) lgkmcnt(1)
	v_pk_mul_f32 v[4:5], v[10:11], v[160:161] op_sel:[1,1] op_sel_hi:[0,1]
	v_pk_add_f32 v[2:3], v[2:3], v[6:7]
	v_pk_fma_f32 v[6:7], v[10:11], v[160:161], v[4:5] neg_lo:[0,0,1] neg_hi:[0,0,1]
	v_pk_fma_f32 v[4:5], v[10:11], v[160:161], v[4:5] op_sel_hi:[1,0,1]
	s_nop 0
	v_mov_b32_e32 v4, v163
	v_mov_b32_e32 v7, v5
	v_pk_mul_f32 v[4:5], v[12:13], v[4:5] op_sel:[1,0] op_sel_hi:[0,0]
	v_pk_add_f32 v[2:3], v[2:3], v[6:7]
	v_pk_fma_f32 v[6:7], v[12:13], v[162:163], v[4:5] neg_lo:[0,0,1] neg_hi:[0,0,1]
	v_pk_fma_f32 v[4:5], v[12:13], v[162:163], v[4:5] op_sel_hi:[1,0,1]
	s_nop 0
	v_mov_b32_e32 v7, v5
	s_waitcnt vmcnt(0) lgkmcnt(0)
	v_pk_mul_f32 v[4:5], v[14:15], v[164:165] op_sel:[1,1] op_sel_hi:[0,1]
	v_pk_add_f32 v[2:3], v[2:3], v[6:7]
	v_pk_fma_f32 v[6:7], v[14:15], v[164:165], v[4:5] neg_lo:[0,0,1] neg_hi:[0,0,1]
	v_pk_fma_f32 v[4:5], v[14:15], v[164:165], v[4:5] op_sel_hi:[1,0,1]
	s_nop 0
	v_mov_b32_e32 v4, v167
	v_mov_b32_e32 v7, v5
	v_pk_mul_f32 v[4:5], v[16:17], v[4:5] op_sel:[1,0] op_sel_hi:[0,0]
	v_pk_add_f32 v[2:3], v[2:3], v[6:7]
	v_pk_fma_f32 v[6:7], v[16:17], v[166:167], v[4:5] neg_lo:[0,0,1] neg_hi:[0,0,1]
	v_pk_fma_f32 v[4:5], v[16:17], v[166:167], v[4:5] op_sel_hi:[1,0,1]
	s_nop 0
	v_mov_b32_e32 v7, v5
	scratch_load_dwordx2 v[4:5], off, off offset:120
	v_pk_add_f32 v[2:3], v[2:3], v[6:7]
	s_waitcnt vmcnt(0)
	v_pk_add_f32 v[2:3], v[4:5], v[2:3] neg_lo:[0,1] neg_hi:[0,1]
	scratch_store_dwordx2 off, v[2:3], off offset:120
	s_and_saveexec_b64 s[0:1], vcc
	s_cbranch_execz .LBB57_333
; %bb.332:
	scratch_load_dwordx2 v[2:3], off, off offset:112
	v_mov_b32_e32 v4, 0
	v_mov_b32_e32 v5, v4
	scratch_store_dwordx2 off, v[4:5], off offset:112
	s_waitcnt vmcnt(1)
	ds_write_b64 v1, v[2:3]
.LBB57_333:
	s_or_b64 exec, exec, s[0:1]
	s_waitcnt lgkmcnt(0)
	; wave barrier
	scratch_load_dwordx4 v[6:9], off, off offset:120
	scratch_load_dwordx4 v[14:17], off, off offset:136
	;; [unrolled: 1-line block ×10, first 2 shown]
	v_mov_b32_e32 v102, 0
	ds_read2_b64 v[2:5], v102 offset0:73 offset1:74
	scratch_load_dwordx4 v[86:89], off, off offset:280
	scratch_load_dwordx4 v[94:97], off, off offset:296
	;; [unrolled: 1-line block ×8, first 2 shown]
	v_cmp_lt_u32_e32 vcc, 13, v0
	s_waitcnt vmcnt(17) lgkmcnt(0)
	v_mul_f32_e32 v10, v2, v7
	v_fmac_f32_e32 v10, v3, v6
	v_mul_f32_e32 v11, v4, v9
	v_add_f32_e32 v10, 0, v10
	v_fmac_f32_e32 v11, v5, v8
	v_add_f32_e32 v18, v10, v11
	ds_read2_b64 v[10:13], v102 offset0:75 offset1:76
	v_mul_f32_e32 v3, v3, v7
	v_fma_f32 v2, v2, v6, -v3
	v_mul_f32_e32 v3, v5, v9
	v_add_f32_e32 v2, 0, v2
	s_waitcnt vmcnt(16) lgkmcnt(0)
	v_mul_f32_e32 v19, v10, v15
	v_fmac_f32_e32 v19, v11, v14
	v_add_f32_e32 v18, v18, v19
	v_mul_f32_e32 v19, v12, v17
	v_fmac_f32_e32 v19, v13, v16
	v_add_f32_e32 v26, v18, v19
	ds_read2_b64 v[18:21], v102 offset0:77 offset1:78
	v_fma_f32 v3, v4, v8, -v3
	v_add_f32_e32 v2, v2, v3
	v_mul_f32_e32 v3, v11, v15
	v_fma_f32 v3, v10, v14, -v3
	s_waitcnt vmcnt(15) lgkmcnt(0)
	v_mul_f32_e32 v27, v18, v23
	v_fmac_f32_e32 v27, v19, v22
	v_add_f32_e32 v26, v26, v27
	v_mul_f32_e32 v27, v20, v25
	v_fmac_f32_e32 v27, v21, v24
	v_add_f32_e32 v34, v26, v27
	ds_read2_b64 v[26:29], v102 offset0:79 offset1:80
	v_add_f32_e32 v2, v2, v3
	v_mul_f32_e32 v3, v13, v17
	v_fma_f32 v3, v12, v16, -v3
	v_add_f32_e32 v2, v2, v3
	s_waitcnt vmcnt(14) lgkmcnt(0)
	v_mul_f32_e32 v35, v26, v31
	v_fmac_f32_e32 v35, v27, v30
	v_add_f32_e32 v34, v34, v35
	v_mul_f32_e32 v35, v28, v33
	v_fmac_f32_e32 v35, v29, v32
	v_add_f32_e32 v42, v34, v35
	ds_read2_b64 v[34:37], v102 offset0:81 offset1:82
	v_mul_f32_e32 v3, v19, v23
	v_fma_f32 v3, v18, v22, -v3
	v_add_f32_e32 v2, v2, v3
	v_mul_f32_e32 v3, v21, v25
	s_waitcnt vmcnt(13) lgkmcnt(0)
	v_mul_f32_e32 v43, v34, v39
	v_fmac_f32_e32 v43, v35, v38
	v_add_f32_e32 v42, v42, v43
	v_mul_f32_e32 v43, v36, v41
	v_fmac_f32_e32 v43, v37, v40
	v_add_f32_e32 v50, v42, v43
	ds_read2_b64 v[42:45], v102 offset0:83 offset1:84
	v_fma_f32 v3, v20, v24, -v3
	v_add_f32_e32 v2, v2, v3
	v_mul_f32_e32 v3, v27, v31
	v_fma_f32 v3, v26, v30, -v3
	s_waitcnt vmcnt(12) lgkmcnt(0)
	v_mul_f32_e32 v51, v42, v47
	v_fmac_f32_e32 v51, v43, v46
	v_add_f32_e32 v50, v50, v51
	v_mul_f32_e32 v51, v44, v49
	v_fmac_f32_e32 v51, v45, v48
	v_add_f32_e32 v58, v50, v51
	ds_read2_b64 v[50:53], v102 offset0:85 offset1:86
	v_add_f32_e32 v2, v2, v3
	v_mul_f32_e32 v3, v29, v33
	v_fma_f32 v3, v28, v32, -v3
	v_add_f32_e32 v2, v2, v3
	s_waitcnt vmcnt(11) lgkmcnt(0)
	v_mul_f32_e32 v59, v50, v55
	v_fmac_f32_e32 v59, v51, v54
	v_add_f32_e32 v58, v58, v59
	v_mul_f32_e32 v59, v52, v57
	v_fmac_f32_e32 v59, v53, v56
	v_add_f32_e32 v66, v58, v59
	ds_read2_b64 v[58:61], v102 offset0:87 offset1:88
	v_mul_f32_e32 v3, v35, v39
	v_fma_f32 v3, v34, v38, -v3
	v_add_f32_e32 v2, v2, v3
	v_mul_f32_e32 v3, v37, v41
	;; [unrolled: 36-line block ×5, first 2 shown]
	s_waitcnt vmcnt(1) lgkmcnt(0)
	v_mul_f32_e32 v140, v132, v137
	v_fmac_f32_e32 v140, v133, v136
	v_add_f32_e32 v149, v103, v140
	ds_read2_b64 v[140:143], v102 offset0:107 offset1:108
	scratch_load_dwordx4 v[160:163], off, off offset:408
	scratch_load_dwordx4 v[164:167], off, off offset:424
	;; [unrolled: 1-line block ×3, first 2 shown]
	scratch_load_dwordx2 v[176:177], off, off offset:456
	v_fma_f32 v3, v84, v88, -v3
	v_add_f32_e32 v2, v2, v3
	v_mul_f32_e32 v3, v91, v95
	v_fma_f32 v3, v90, v94, -v3
	v_add_f32_e32 v2, v2, v3
	v_mul_f32_e32 v3, v93, v97
	;; [unrolled: 3-line block ×12, first 2 shown]
	v_mul_f32_e32 v173, v134, v139
	v_fma_f32 v172, v134, v138, -v2
	s_waitcnt vmcnt(4) lgkmcnt(0)
	v_mul_f32_e32 v2, v141, v145
	v_mov_b32_e32 v18, v147
	v_fmac_f32_e32 v173, v135, v138
	v_mul_f32_e32 v175, v140, v145
	v_fma_f32 v174, v140, v144, -v2
	ds_read2_b64 v[2:5], v102 offset0:109 offset1:110
	ds_read2_b64 v[6:9], v102 offset0:111 offset1:112
	ds_read2_b64 v[10:13], v102 offset0:113 offset1:114
	ds_read_b64 v[14:15], v102 offset:920
	v_pk_mul_f32 v[18:19], v[142:143], v[18:19] op_sel:[1,0] op_sel_hi:[0,0]
	v_fmac_f32_e32 v175, v141, v144
	v_pk_add_f32 v[16:17], v[148:149], v[172:173]
	v_pk_fma_f32 v[20:21], v[142:143], v[146:147], v[18:19] neg_lo:[0,0,1] neg_hi:[0,0,1]
	v_pk_fma_f32 v[18:19], v[142:143], v[146:147], v[18:19] op_sel_hi:[1,0,1]
	v_pk_add_f32 v[16:17], v[16:17], v[174:175]
	v_mov_b32_e32 v21, v19
	v_pk_add_f32 v[16:17], v[16:17], v[20:21]
	s_waitcnt vmcnt(3) lgkmcnt(3)
	v_pk_mul_f32 v[18:19], v[2:3], v[160:161] op_sel:[1,1] op_sel_hi:[0,1]
	v_pk_fma_f32 v[20:21], v[2:3], v[160:161], v[18:19] neg_lo:[0,0,1] neg_hi:[0,0,1]
	v_pk_fma_f32 v[2:3], v[2:3], v[160:161], v[18:19] op_sel_hi:[1,0,1]
	s_nop 0
	v_mov_b32_e32 v21, v3
	v_pk_add_f32 v[2:3], v[16:17], v[20:21]
	v_mov_b32_e32 v16, v163
	v_pk_mul_f32 v[16:17], v[4:5], v[16:17] op_sel:[1,0] op_sel_hi:[0,0]
	v_pk_fma_f32 v[18:19], v[4:5], v[162:163], v[16:17] neg_lo:[0,0,1] neg_hi:[0,0,1]
	v_pk_fma_f32 v[4:5], v[4:5], v[162:163], v[16:17] op_sel_hi:[1,0,1]
	s_nop 0
	v_mov_b32_e32 v19, v5
	s_waitcnt vmcnt(2) lgkmcnt(2)
	v_pk_mul_f32 v[4:5], v[6:7], v[164:165] op_sel:[1,1] op_sel_hi:[0,1]
	v_pk_fma_f32 v[16:17], v[6:7], v[164:165], v[4:5] neg_lo:[0,0,1] neg_hi:[0,0,1]
	v_pk_fma_f32 v[4:5], v[6:7], v[164:165], v[4:5] op_sel_hi:[1,0,1]
	v_pk_add_f32 v[2:3], v[2:3], v[18:19]
	v_mov_b32_e32 v4, v167
	v_mov_b32_e32 v17, v5
	v_pk_mul_f32 v[4:5], v[8:9], v[4:5] op_sel:[1,0] op_sel_hi:[0,0]
	v_pk_fma_f32 v[6:7], v[8:9], v[166:167], v[4:5] neg_lo:[0,0,1] neg_hi:[0,0,1]
	v_pk_fma_f32 v[4:5], v[8:9], v[166:167], v[4:5] op_sel_hi:[1,0,1]
	v_pk_add_f32 v[2:3], v[2:3], v[16:17]
	v_mov_b32_e32 v7, v5
	s_waitcnt vmcnt(1) lgkmcnt(1)
	v_pk_mul_f32 v[4:5], v[10:11], v[168:169] op_sel:[1,1] op_sel_hi:[0,1]
	v_pk_add_f32 v[2:3], v[2:3], v[6:7]
	v_pk_fma_f32 v[6:7], v[10:11], v[168:169], v[4:5] neg_lo:[0,0,1] neg_hi:[0,0,1]
	v_pk_fma_f32 v[4:5], v[10:11], v[168:169], v[4:5] op_sel_hi:[1,0,1]
	s_nop 0
	v_mov_b32_e32 v4, v171
	v_mov_b32_e32 v7, v5
	v_pk_mul_f32 v[4:5], v[12:13], v[4:5] op_sel:[1,0] op_sel_hi:[0,0]
	v_pk_add_f32 v[2:3], v[2:3], v[6:7]
	v_pk_fma_f32 v[6:7], v[12:13], v[170:171], v[4:5] neg_lo:[0,0,1] neg_hi:[0,0,1]
	v_pk_fma_f32 v[4:5], v[12:13], v[170:171], v[4:5] op_sel_hi:[1,0,1]
	s_nop 0
	v_mov_b32_e32 v7, v5
	s_waitcnt vmcnt(0) lgkmcnt(0)
	v_pk_mul_f32 v[4:5], v[14:15], v[176:177] op_sel:[1,1] op_sel_hi:[0,1]
	v_pk_add_f32 v[2:3], v[2:3], v[6:7]
	v_pk_fma_f32 v[6:7], v[14:15], v[176:177], v[4:5] neg_lo:[0,0,1] neg_hi:[0,0,1]
	v_pk_fma_f32 v[4:5], v[14:15], v[176:177], v[4:5] op_sel_hi:[1,0,1]
	s_nop 0
	v_mov_b32_e32 v7, v5
	scratch_load_dwordx2 v[4:5], off, off offset:112
	v_pk_add_f32 v[2:3], v[2:3], v[6:7]
	s_waitcnt vmcnt(0)
	v_pk_add_f32 v[2:3], v[4:5], v[2:3] neg_lo:[0,1] neg_hi:[0,1]
	scratch_store_dwordx2 off, v[2:3], off offset:112
	s_and_saveexec_b64 s[0:1], vcc
	s_cbranch_execz .LBB57_335
; %bb.334:
	scratch_load_dwordx2 v[2:3], off, off offset:104
	v_mov_b32_e32 v103, v102
	scratch_store_dwordx2 off, v[102:103], off offset:104
	s_waitcnt vmcnt(1)
	ds_write_b64 v1, v[2:3]
.LBB57_335:
	s_or_b64 exec, exec, s[0:1]
	s_waitcnt lgkmcnt(0)
	; wave barrier
	ds_read_b128 v[14:17], v102 offset:576
	ds_read_b128 v[10:13], v102 offset:592
	;; [unrolled: 1-line block ×4, first 2 shown]
	scratch_load_dwordx4 v[18:21], off, off offset:112
	scratch_load_dwordx4 v[38:41], off, off offset:176
	scratch_load_dwordx4 v[70:73], off, off offset:240
	scratch_load_dwordx4 v[78:81], off, off offset:256
	scratch_load_dwordx4 v[86:89], off, off offset:272
	scratch_load_dwordx4 v[94:97], off, off offset:288
	scratch_load_dwordx4 v[104:107], off, off offset:304
	scratch_load_dwordx4 v[112:115], off, off offset:320
	scratch_load_dwordx4 v[120:123], off, off offset:336
	scratch_load_dwordx4 v[128:131], off, off offset:352
	scratch_load_dwordx4 v[136:139], off, off offset:368
	scratch_load_dwordx4 v[144:147], off, off offset:384
	v_cmp_lt_u32_e32 vcc, 12, v0
	scratch_load_dwordx4 v[46:49], off, off offset:192
	scratch_load_dwordx4 v[54:57], off, off offset:208
	scratch_load_dwordx4 v[62:65], off, off offset:224
	s_waitcnt vmcnt(14) lgkmcnt(3)
	v_mul_f32_e32 v22, v14, v19
	v_fmac_f32_e32 v22, v15, v18
	v_mul_f32_e32 v23, v16, v21
	v_add_f32_e32 v22, 0, v22
	v_fmac_f32_e32 v23, v17, v20
	v_add_f32_e32 v26, v22, v23
	scratch_load_dwordx4 v[22:25], off, off offset:128
	v_mul_f32_e32 v15, v15, v19
	v_fma_f32 v14, v14, v18, -v15
	v_mul_f32_e32 v15, v17, v21
	v_add_f32_e32 v14, 0, v14
	v_fma_f32 v15, v16, v20, -v15
	v_add_f32_e32 v14, v14, v15
	s_waitcnt vmcnt(0) lgkmcnt(2)
	v_mul_f32_e32 v27, v10, v23
	v_fmac_f32_e32 v27, v11, v22
	v_add_f32_e32 v26, v26, v27
	v_mul_f32_e32 v27, v12, v25
	v_fmac_f32_e32 v27, v13, v24
	v_add_f32_e32 v30, v26, v27
	scratch_load_dwordx4 v[26:29], off, off offset:144
	v_mul_f32_e32 v11, v11, v23
	v_fma_f32 v10, v10, v22, -v11
	v_mul_f32_e32 v11, v13, v25
	v_add_f32_e32 v10, v14, v10
	v_fma_f32 v11, v12, v24, -v11
	v_add_f32_e32 v10, v10, v11
	s_waitcnt vmcnt(0) lgkmcnt(1)
	v_mul_f32_e32 v31, v6, v27
	v_fmac_f32_e32 v31, v7, v26
	v_add_f32_e32 v30, v30, v31
	v_mul_f32_e32 v31, v8, v29
	;; [unrolled: 14-line block ×3, first 2 shown]
	v_fmac_f32_e32 v35, v5, v32
	v_add_f32_e32 v42, v34, v35
	ds_read_b128 v[34:37], v102 offset:640
	v_mul_f32_e32 v3, v3, v31
	v_fma_f32 v2, v2, v30, -v3
	v_mul_f32_e32 v3, v5, v33
	v_add_f32_e32 v2, v6, v2
	s_waitcnt lgkmcnt(0)
	v_mul_f32_e32 v43, v34, v39
	v_fmac_f32_e32 v43, v35, v38
	v_add_f32_e32 v42, v42, v43
	v_mul_f32_e32 v43, v36, v41
	v_fmac_f32_e32 v43, v37, v40
	v_add_f32_e32 v50, v42, v43
	ds_read_b128 v[42:45], v102 offset:656
	v_fma_f32 v3, v4, v32, -v3
	v_add_f32_e32 v2, v2, v3
	v_mul_f32_e32 v3, v35, v39
	v_fma_f32 v3, v34, v38, -v3
	s_waitcnt lgkmcnt(0)
	v_mul_f32_e32 v51, v42, v47
	v_fmac_f32_e32 v51, v43, v46
	v_add_f32_e32 v50, v50, v51
	v_mul_f32_e32 v51, v44, v49
	v_fmac_f32_e32 v51, v45, v48
	v_add_f32_e32 v58, v50, v51
	ds_read_b128 v[50:53], v102 offset:672
	v_add_f32_e32 v2, v2, v3
	v_mul_f32_e32 v3, v37, v41
	v_fma_f32 v3, v36, v40, -v3
	v_add_f32_e32 v2, v2, v3
	s_waitcnt lgkmcnt(0)
	v_mul_f32_e32 v59, v50, v55
	v_fmac_f32_e32 v59, v51, v54
	v_add_f32_e32 v58, v58, v59
	v_mul_f32_e32 v59, v52, v57
	v_fmac_f32_e32 v59, v53, v56
	v_add_f32_e32 v66, v58, v59
	ds_read_b128 v[58:61], v102 offset:688
	v_mul_f32_e32 v3, v43, v47
	v_fma_f32 v3, v42, v46, -v3
	v_add_f32_e32 v2, v2, v3
	v_mul_f32_e32 v3, v45, v49
	s_waitcnt lgkmcnt(0)
	v_mul_f32_e32 v67, v58, v63
	v_fmac_f32_e32 v67, v59, v62
	v_add_f32_e32 v66, v66, v67
	v_mul_f32_e32 v67, v60, v65
	v_fmac_f32_e32 v67, v61, v64
	v_add_f32_e32 v74, v66, v67
	ds_read_b128 v[66:69], v102 offset:704
	v_fma_f32 v3, v44, v48, -v3
	v_add_f32_e32 v2, v2, v3
	v_mul_f32_e32 v3, v51, v55
	v_fma_f32 v3, v50, v54, -v3
	s_waitcnt lgkmcnt(0)
	v_mul_f32_e32 v75, v66, v71
	v_fmac_f32_e32 v75, v67, v70
	v_add_f32_e32 v74, v74, v75
	v_mul_f32_e32 v75, v68, v73
	v_fmac_f32_e32 v75, v69, v72
	v_add_f32_e32 v82, v74, v75
	ds_read_b128 v[74:77], v102 offset:720
	v_add_f32_e32 v2, v2, v3
	v_mul_f32_e32 v3, v53, v57
	v_fma_f32 v3, v52, v56, -v3
	v_add_f32_e32 v2, v2, v3
	s_waitcnt lgkmcnt(0)
	v_mul_f32_e32 v83, v74, v79
	v_fmac_f32_e32 v83, v75, v78
	v_add_f32_e32 v82, v82, v83
	v_mul_f32_e32 v83, v76, v81
	v_fmac_f32_e32 v83, v77, v80
	v_add_f32_e32 v90, v82, v83
	ds_read_b128 v[82:85], v102 offset:736
	v_mul_f32_e32 v3, v59, v63
	v_fma_f32 v3, v58, v62, -v3
	v_add_f32_e32 v2, v2, v3
	v_mul_f32_e32 v3, v61, v65
	s_waitcnt lgkmcnt(0)
	v_mul_f32_e32 v91, v82, v87
	v_fmac_f32_e32 v91, v83, v86
	v_add_f32_e32 v90, v90, v91
	v_mul_f32_e32 v91, v84, v89
	v_fmac_f32_e32 v91, v85, v88
	v_add_f32_e32 v98, v90, v91
	ds_read_b128 v[90:93], v102 offset:752
	v_fma_f32 v3, v60, v64, -v3
	v_add_f32_e32 v2, v2, v3
	v_mul_f32_e32 v3, v67, v71
	v_fma_f32 v3, v66, v70, -v3
	s_waitcnt lgkmcnt(0)
	v_mul_f32_e32 v99, v90, v95
	v_fmac_f32_e32 v99, v91, v94
	v_add_f32_e32 v98, v98, v99
	v_mul_f32_e32 v99, v92, v97
	v_fmac_f32_e32 v99, v93, v96
	v_add_f32_e32 v103, v98, v99
	ds_read_b128 v[98:101], v102 offset:768
	v_add_f32_e32 v2, v2, v3
	v_mul_f32_e32 v3, v69, v73
	v_fma_f32 v3, v68, v72, -v3
	v_add_f32_e32 v2, v2, v3
	s_waitcnt lgkmcnt(0)
	v_mul_f32_e32 v108, v98, v105
	v_fmac_f32_e32 v108, v99, v104
	v_add_f32_e32 v103, v103, v108
	v_mul_f32_e32 v108, v100, v107
	v_fmac_f32_e32 v108, v101, v106
	v_add_f32_e32 v103, v103, v108
	ds_read_b128 v[108:111], v102 offset:784
	v_mul_f32_e32 v3, v75, v79
	v_fma_f32 v3, v74, v78, -v3
	v_add_f32_e32 v2, v2, v3
	v_mul_f32_e32 v3, v77, v81
	s_waitcnt lgkmcnt(0)
	v_mul_f32_e32 v116, v108, v113
	v_fmac_f32_e32 v116, v109, v112
	v_add_f32_e32 v103, v103, v116
	v_mul_f32_e32 v116, v110, v115
	v_fmac_f32_e32 v116, v111, v114
	v_add_f32_e32 v103, v103, v116
	ds_read_b128 v[116:119], v102 offset:800
	v_fma_f32 v3, v76, v80, -v3
	v_add_f32_e32 v2, v2, v3
	v_mul_f32_e32 v3, v83, v87
	v_fma_f32 v3, v82, v86, -v3
	s_waitcnt lgkmcnt(0)
	v_mul_f32_e32 v124, v116, v121
	v_fmac_f32_e32 v124, v117, v120
	v_add_f32_e32 v103, v103, v124
	v_mul_f32_e32 v124, v118, v123
	v_fmac_f32_e32 v124, v119, v122
	v_add_f32_e32 v103, v103, v124
	ds_read_b128 v[124:127], v102 offset:816
	v_add_f32_e32 v2, v2, v3
	v_mul_f32_e32 v3, v85, v89
	v_fma_f32 v3, v84, v88, -v3
	v_add_f32_e32 v2, v2, v3
	s_waitcnt lgkmcnt(0)
	v_mul_f32_e32 v132, v124, v129
	v_fmac_f32_e32 v132, v125, v128
	v_add_f32_e32 v103, v103, v132
	v_mul_f32_e32 v132, v126, v131
	v_fmac_f32_e32 v132, v127, v130
	v_add_f32_e32 v103, v103, v132
	ds_read_b128 v[132:135], v102 offset:832
	v_mul_f32_e32 v3, v91, v95
	v_fma_f32 v3, v90, v94, -v3
	v_add_f32_e32 v2, v2, v3
	v_mul_f32_e32 v3, v93, v97
	s_waitcnt lgkmcnt(0)
	v_mul_f32_e32 v140, v132, v137
	v_fmac_f32_e32 v140, v133, v136
	v_add_f32_e32 v103, v103, v140
	v_mul_f32_e32 v140, v134, v139
	v_fmac_f32_e32 v140, v135, v138
	v_add_f32_e32 v149, v103, v140
	ds_read_b128 v[140:143], v102 offset:848
	scratch_load_dwordx4 v[160:163], off, off offset:400
	scratch_load_dwordx4 v[164:167], off, off offset:416
	;; [unrolled: 1-line block ×4, first 2 shown]
	v_fma_f32 v3, v92, v96, -v3
	v_add_f32_e32 v2, v2, v3
	v_mul_f32_e32 v3, v99, v105
	v_fma_f32 v3, v98, v104, -v3
	v_add_f32_e32 v2, v2, v3
	v_mul_f32_e32 v3, v101, v107
	;; [unrolled: 3-line block ×10, first 2 shown]
	v_fma_f32 v3, v134, v138, -v3
	v_add_f32_e32 v148, v2, v3
	s_waitcnt lgkmcnt(0)
	v_mul_f32_e32 v2, v141, v145
	v_fma_f32 v176, v140, v144, -v2
	v_mul_f32_e32 v2, v143, v147
	v_fma_f32 v178, v142, v146, -v2
	ds_read_b128 v[2:5], v102 offset:864
	ds_read_b128 v[6:9], v102 offset:880
	;; [unrolled: 1-line block ×4, first 2 shown]
	v_mul_f32_e32 v177, v140, v145
	v_fmac_f32_e32 v177, v141, v144
	v_mul_f32_e32 v179, v142, v147
	v_fmac_f32_e32 v179, v143, v146
	v_pk_add_f32 v[18:19], v[148:149], v[176:177]
	s_waitcnt vmcnt(3) lgkmcnt(3)
	v_pk_mul_f32 v[20:21], v[2:3], v[160:161] op_sel:[1,1] op_sel_hi:[0,1]
	v_pk_fma_f32 v[22:23], v[2:3], v[160:161], v[20:21] neg_lo:[0,0,1] neg_hi:[0,0,1]
	v_pk_fma_f32 v[2:3], v[2:3], v[160:161], v[20:21] op_sel_hi:[1,0,1]
	v_pk_add_f32 v[18:19], v[18:19], v[178:179]
	v_mov_b32_e32 v23, v3
	v_pk_add_f32 v[2:3], v[18:19], v[22:23]
	v_mov_b32_e32 v18, v163
	v_pk_mul_f32 v[18:19], v[4:5], v[18:19] op_sel:[1,0] op_sel_hi:[0,0]
	v_pk_fma_f32 v[20:21], v[4:5], v[162:163], v[18:19] neg_lo:[0,0,1] neg_hi:[0,0,1]
	v_pk_fma_f32 v[4:5], v[4:5], v[162:163], v[18:19] op_sel_hi:[1,0,1]
	s_nop 0
	v_mov_b32_e32 v21, v5
	s_waitcnt vmcnt(2) lgkmcnt(2)
	v_pk_mul_f32 v[4:5], v[6:7], v[164:165] op_sel:[1,1] op_sel_hi:[0,1]
	v_pk_fma_f32 v[18:19], v[6:7], v[164:165], v[4:5] neg_lo:[0,0,1] neg_hi:[0,0,1]
	v_pk_fma_f32 v[4:5], v[6:7], v[164:165], v[4:5] op_sel_hi:[1,0,1]
	v_pk_add_f32 v[2:3], v[2:3], v[20:21]
	v_mov_b32_e32 v4, v167
	v_mov_b32_e32 v19, v5
	v_pk_mul_f32 v[4:5], v[8:9], v[4:5] op_sel:[1,0] op_sel_hi:[0,0]
	v_pk_fma_f32 v[6:7], v[8:9], v[166:167], v[4:5] neg_lo:[0,0,1] neg_hi:[0,0,1]
	v_pk_fma_f32 v[4:5], v[8:9], v[166:167], v[4:5] op_sel_hi:[1,0,1]
	v_pk_add_f32 v[2:3], v[2:3], v[18:19]
	v_mov_b32_e32 v7, v5
	s_waitcnt vmcnt(1) lgkmcnt(1)
	v_pk_mul_f32 v[4:5], v[10:11], v[168:169] op_sel:[1,1] op_sel_hi:[0,1]
	v_pk_add_f32 v[2:3], v[2:3], v[6:7]
	v_pk_fma_f32 v[6:7], v[10:11], v[168:169], v[4:5] neg_lo:[0,0,1] neg_hi:[0,0,1]
	v_pk_fma_f32 v[4:5], v[10:11], v[168:169], v[4:5] op_sel_hi:[1,0,1]
	s_nop 0
	v_mov_b32_e32 v4, v171
	v_mov_b32_e32 v7, v5
	v_pk_mul_f32 v[4:5], v[12:13], v[4:5] op_sel:[1,0] op_sel_hi:[0,0]
	v_pk_add_f32 v[2:3], v[2:3], v[6:7]
	v_pk_fma_f32 v[6:7], v[12:13], v[170:171], v[4:5] neg_lo:[0,0,1] neg_hi:[0,0,1]
	v_pk_fma_f32 v[4:5], v[12:13], v[170:171], v[4:5] op_sel_hi:[1,0,1]
	s_nop 0
	v_mov_b32_e32 v7, v5
	s_waitcnt vmcnt(0) lgkmcnt(0)
	v_pk_mul_f32 v[4:5], v[14:15], v[172:173] op_sel:[1,1] op_sel_hi:[0,1]
	v_pk_add_f32 v[2:3], v[2:3], v[6:7]
	v_pk_fma_f32 v[6:7], v[14:15], v[172:173], v[4:5] neg_lo:[0,0,1] neg_hi:[0,0,1]
	v_pk_fma_f32 v[4:5], v[14:15], v[172:173], v[4:5] op_sel_hi:[1,0,1]
	s_nop 0
	v_mov_b32_e32 v4, v175
	v_mov_b32_e32 v7, v5
	v_pk_mul_f32 v[4:5], v[16:17], v[4:5] op_sel:[1,0] op_sel_hi:[0,0]
	v_pk_add_f32 v[2:3], v[2:3], v[6:7]
	v_pk_fma_f32 v[6:7], v[16:17], v[174:175], v[4:5] neg_lo:[0,0,1] neg_hi:[0,0,1]
	v_pk_fma_f32 v[4:5], v[16:17], v[174:175], v[4:5] op_sel_hi:[1,0,1]
	s_nop 0
	v_mov_b32_e32 v7, v5
	scratch_load_dwordx2 v[4:5], off, off offset:104
	v_pk_add_f32 v[2:3], v[2:3], v[6:7]
	s_waitcnt vmcnt(0)
	v_pk_add_f32 v[2:3], v[4:5], v[2:3] neg_lo:[0,1] neg_hi:[0,1]
	scratch_store_dwordx2 off, v[2:3], off offset:104
	s_and_saveexec_b64 s[0:1], vcc
	s_cbranch_execz .LBB57_337
; %bb.336:
	scratch_load_dwordx2 v[2:3], off, off offset:96
	v_mov_b32_e32 v4, 0
	v_mov_b32_e32 v5, v4
	scratch_store_dwordx2 off, v[4:5], off offset:96
	s_waitcnt vmcnt(1)
	ds_write_b64 v1, v[2:3]
.LBB57_337:
	s_or_b64 exec, exec, s[0:1]
	s_waitcnt lgkmcnt(0)
	; wave barrier
	scratch_load_dwordx4 v[6:9], off, off offset:104
	scratch_load_dwordx4 v[14:17], off, off offset:120
	;; [unrolled: 1-line block ×10, first 2 shown]
	v_mov_b32_e32 v110, 0
	ds_read2_b64 v[2:5], v110 offset0:71 offset1:72
	ds_read2_b64 v[160:163], v110 offset0:107 offset1:108
	scratch_load_dwordx4 v[86:89], off, off offset:264
	scratch_load_dwordx4 v[94:97], off, off offset:280
	;; [unrolled: 1-line block ×9, first 2 shown]
	v_cmp_lt_u32_e32 vcc, 11, v0
	s_waitcnt vmcnt(18) lgkmcnt(1)
	v_mul_f32_e32 v10, v2, v7
	v_fmac_f32_e32 v10, v3, v6
	v_mul_f32_e32 v11, v4, v9
	v_add_f32_e32 v10, 0, v10
	v_fmac_f32_e32 v11, v5, v8
	v_add_f32_e32 v18, v10, v11
	ds_read2_b64 v[10:13], v110 offset0:73 offset1:74
	v_mul_f32_e32 v3, v3, v7
	v_fma_f32 v2, v2, v6, -v3
	v_mul_f32_e32 v3, v5, v9
	v_add_f32_e32 v2, 0, v2
	s_waitcnt vmcnt(17) lgkmcnt(0)
	v_mul_f32_e32 v19, v10, v15
	v_fmac_f32_e32 v19, v11, v14
	v_add_f32_e32 v18, v18, v19
	v_mul_f32_e32 v19, v12, v17
	v_fmac_f32_e32 v19, v13, v16
	v_add_f32_e32 v26, v18, v19
	ds_read2_b64 v[18:21], v110 offset0:75 offset1:76
	v_fma_f32 v3, v4, v8, -v3
	v_add_f32_e32 v2, v2, v3
	v_mul_f32_e32 v3, v11, v15
	v_fma_f32 v3, v10, v14, -v3
	s_waitcnt vmcnt(16) lgkmcnt(0)
	v_mul_f32_e32 v27, v18, v23
	v_fmac_f32_e32 v27, v19, v22
	v_add_f32_e32 v26, v26, v27
	v_mul_f32_e32 v27, v20, v25
	v_fmac_f32_e32 v27, v21, v24
	v_add_f32_e32 v34, v26, v27
	ds_read2_b64 v[26:29], v110 offset0:77 offset1:78
	v_add_f32_e32 v2, v2, v3
	v_mul_f32_e32 v3, v13, v17
	v_fma_f32 v3, v12, v16, -v3
	v_add_f32_e32 v2, v2, v3
	s_waitcnt vmcnt(15) lgkmcnt(0)
	v_mul_f32_e32 v35, v26, v31
	v_fmac_f32_e32 v35, v27, v30
	v_add_f32_e32 v34, v34, v35
	v_mul_f32_e32 v35, v28, v33
	v_fmac_f32_e32 v35, v29, v32
	v_add_f32_e32 v42, v34, v35
	ds_read2_b64 v[34:37], v110 offset0:79 offset1:80
	v_mul_f32_e32 v3, v19, v23
	v_fma_f32 v3, v18, v22, -v3
	v_add_f32_e32 v2, v2, v3
	v_mul_f32_e32 v3, v21, v25
	s_waitcnt vmcnt(14) lgkmcnt(0)
	v_mul_f32_e32 v43, v34, v39
	v_fmac_f32_e32 v43, v35, v38
	v_add_f32_e32 v42, v42, v43
	v_mul_f32_e32 v43, v36, v41
	v_fmac_f32_e32 v43, v37, v40
	v_add_f32_e32 v50, v42, v43
	ds_read2_b64 v[42:45], v110 offset0:81 offset1:82
	v_fma_f32 v3, v20, v24, -v3
	v_add_f32_e32 v2, v2, v3
	v_mul_f32_e32 v3, v27, v31
	v_fma_f32 v3, v26, v30, -v3
	s_waitcnt vmcnt(13) lgkmcnt(0)
	v_mul_f32_e32 v51, v42, v47
	v_fmac_f32_e32 v51, v43, v46
	v_add_f32_e32 v50, v50, v51
	v_mul_f32_e32 v51, v44, v49
	v_fmac_f32_e32 v51, v45, v48
	v_add_f32_e32 v58, v50, v51
	ds_read2_b64 v[50:53], v110 offset0:83 offset1:84
	v_add_f32_e32 v2, v2, v3
	v_mul_f32_e32 v3, v29, v33
	v_fma_f32 v3, v28, v32, -v3
	v_add_f32_e32 v2, v2, v3
	s_waitcnt vmcnt(12) lgkmcnt(0)
	v_mul_f32_e32 v59, v50, v55
	v_fmac_f32_e32 v59, v51, v54
	v_add_f32_e32 v58, v58, v59
	v_mul_f32_e32 v59, v52, v57
	v_fmac_f32_e32 v59, v53, v56
	v_add_f32_e32 v66, v58, v59
	ds_read2_b64 v[58:61], v110 offset0:85 offset1:86
	v_mul_f32_e32 v3, v35, v39
	v_fma_f32 v3, v34, v38, -v3
	v_add_f32_e32 v2, v2, v3
	v_mul_f32_e32 v3, v37, v41
	;; [unrolled: 36-line block ×5, first 2 shown]
	s_waitcnt vmcnt(2) lgkmcnt(0)
	v_mul_f32_e32 v140, v132, v137
	v_fmac_f32_e32 v140, v133, v136
	v_add_f32_e32 v111, v111, v140
	v_mul_f32_e32 v140, v134, v139
	v_fmac_f32_e32 v140, v135, v138
	v_add_f32_e32 v111, v111, v140
	ds_read2_b64 v[140:143], v110 offset0:105 offset1:106
	scratch_load_dwordx4 v[168:171], off, off offset:408
	scratch_load_dwordx4 v[172:175], off, off offset:424
	;; [unrolled: 1-line block ×3, first 2 shown]
	scratch_load_dwordx2 v[184:185], off, off offset:456
	v_fma_f32 v3, v84, v88, -v3
	v_add_f32_e32 v2, v2, v3
	v_mul_f32_e32 v3, v91, v95
	v_fma_f32 v3, v90, v94, -v3
	v_add_f32_e32 v2, v2, v3
	v_mul_f32_e32 v3, v93, v97
	;; [unrolled: 3-line block ×12, first 2 shown]
	v_fma_f32 v3, v134, v138, -v3
	s_waitcnt vmcnt(5) lgkmcnt(0)
	v_mul_f32_e32 v148, v140, v145
	v_add_f32_e32 v2, v2, v3
	v_mul_f32_e32 v3, v141, v145
	v_fmac_f32_e32 v148, v141, v144
	v_fma_f32 v3, v140, v144, -v3
	v_add_f32_e32 v149, v111, v148
	v_add_f32_e32 v148, v2, v3
	v_mul_f32_e32 v2, v143, v147
	v_mul_f32_e32 v181, v142, v147
	v_fma_f32 v180, v142, v146, -v2
	s_waitcnt vmcnt(4)
	v_mul_f32_e32 v2, v161, v165
	v_mov_b32_e32 v18, v167
	v_fmac_f32_e32 v181, v143, v146
	v_mul_f32_e32 v183, v160, v165
	v_fma_f32 v182, v160, v164, -v2
	ds_read2_b64 v[2:5], v110 offset0:109 offset1:110
	ds_read2_b64 v[6:9], v110 offset0:111 offset1:112
	;; [unrolled: 1-line block ×3, first 2 shown]
	ds_read_b64 v[14:15], v110 offset:920
	v_pk_mul_f32 v[18:19], v[162:163], v[18:19] op_sel:[1,0] op_sel_hi:[0,0]
	v_fmac_f32_e32 v183, v161, v164
	v_pk_add_f32 v[16:17], v[148:149], v[180:181]
	v_pk_fma_f32 v[20:21], v[162:163], v[166:167], v[18:19] neg_lo:[0,0,1] neg_hi:[0,0,1]
	v_pk_fma_f32 v[18:19], v[162:163], v[166:167], v[18:19] op_sel_hi:[1,0,1]
	v_pk_add_f32 v[16:17], v[16:17], v[182:183]
	v_mov_b32_e32 v21, v19
	v_pk_add_f32 v[16:17], v[16:17], v[20:21]
	s_waitcnt vmcnt(3) lgkmcnt(3)
	v_pk_mul_f32 v[18:19], v[2:3], v[168:169] op_sel:[1,1] op_sel_hi:[0,1]
	v_pk_fma_f32 v[20:21], v[2:3], v[168:169], v[18:19] neg_lo:[0,0,1] neg_hi:[0,0,1]
	v_pk_fma_f32 v[2:3], v[2:3], v[168:169], v[18:19] op_sel_hi:[1,0,1]
	s_nop 0
	v_mov_b32_e32 v21, v3
	v_pk_add_f32 v[2:3], v[16:17], v[20:21]
	v_mov_b32_e32 v16, v171
	v_pk_mul_f32 v[16:17], v[4:5], v[16:17] op_sel:[1,0] op_sel_hi:[0,0]
	v_pk_fma_f32 v[18:19], v[4:5], v[170:171], v[16:17] neg_lo:[0,0,1] neg_hi:[0,0,1]
	v_pk_fma_f32 v[4:5], v[4:5], v[170:171], v[16:17] op_sel_hi:[1,0,1]
	s_nop 0
	v_mov_b32_e32 v19, v5
	s_waitcnt vmcnt(2) lgkmcnt(2)
	v_pk_mul_f32 v[4:5], v[6:7], v[172:173] op_sel:[1,1] op_sel_hi:[0,1]
	v_pk_fma_f32 v[16:17], v[6:7], v[172:173], v[4:5] neg_lo:[0,0,1] neg_hi:[0,0,1]
	v_pk_fma_f32 v[4:5], v[6:7], v[172:173], v[4:5] op_sel_hi:[1,0,1]
	v_pk_add_f32 v[2:3], v[2:3], v[18:19]
	v_mov_b32_e32 v4, v175
	v_mov_b32_e32 v17, v5
	v_pk_mul_f32 v[4:5], v[8:9], v[4:5] op_sel:[1,0] op_sel_hi:[0,0]
	v_pk_fma_f32 v[6:7], v[8:9], v[174:175], v[4:5] neg_lo:[0,0,1] neg_hi:[0,0,1]
	v_pk_fma_f32 v[4:5], v[8:9], v[174:175], v[4:5] op_sel_hi:[1,0,1]
	v_pk_add_f32 v[2:3], v[2:3], v[16:17]
	v_mov_b32_e32 v7, v5
	s_waitcnt vmcnt(1) lgkmcnt(1)
	v_pk_mul_f32 v[4:5], v[10:11], v[176:177] op_sel:[1,1] op_sel_hi:[0,1]
	v_pk_add_f32 v[2:3], v[2:3], v[6:7]
	v_pk_fma_f32 v[6:7], v[10:11], v[176:177], v[4:5] neg_lo:[0,0,1] neg_hi:[0,0,1]
	v_pk_fma_f32 v[4:5], v[10:11], v[176:177], v[4:5] op_sel_hi:[1,0,1]
	s_nop 0
	v_mov_b32_e32 v4, v179
	v_mov_b32_e32 v7, v5
	v_pk_mul_f32 v[4:5], v[12:13], v[4:5] op_sel:[1,0] op_sel_hi:[0,0]
	v_pk_add_f32 v[2:3], v[2:3], v[6:7]
	v_pk_fma_f32 v[6:7], v[12:13], v[178:179], v[4:5] neg_lo:[0,0,1] neg_hi:[0,0,1]
	v_pk_fma_f32 v[4:5], v[12:13], v[178:179], v[4:5] op_sel_hi:[1,0,1]
	s_nop 0
	v_mov_b32_e32 v7, v5
	s_waitcnt vmcnt(0) lgkmcnt(0)
	v_pk_mul_f32 v[4:5], v[14:15], v[184:185] op_sel:[1,1] op_sel_hi:[0,1]
	v_pk_add_f32 v[2:3], v[2:3], v[6:7]
	v_pk_fma_f32 v[6:7], v[14:15], v[184:185], v[4:5] neg_lo:[0,0,1] neg_hi:[0,0,1]
	v_pk_fma_f32 v[4:5], v[14:15], v[184:185], v[4:5] op_sel_hi:[1,0,1]
	s_nop 0
	v_mov_b32_e32 v7, v5
	scratch_load_dwordx2 v[4:5], off, off offset:96
	v_pk_add_f32 v[2:3], v[2:3], v[6:7]
	s_waitcnt vmcnt(0)
	v_pk_add_f32 v[2:3], v[4:5], v[2:3] neg_lo:[0,1] neg_hi:[0,1]
	scratch_store_dwordx2 off, v[2:3], off offset:96
	s_and_saveexec_b64 s[0:1], vcc
	s_cbranch_execz .LBB57_339
; %bb.338:
	scratch_load_dwordx2 v[2:3], off, off offset:88
	v_mov_b32_e32 v111, v110
	scratch_store_dwordx2 off, v[110:111], off offset:88
	s_waitcnt vmcnt(1)
	ds_write_b64 v1, v[2:3]
.LBB57_339:
	s_or_b64 exec, exec, s[0:1]
	s_waitcnt lgkmcnt(0)
	; wave barrier
	ds_read_b128 v[14:17], v110 offset:560
	ds_read_b128 v[10:13], v110 offset:576
	ds_read_b128 v[6:9], v110 offset:592
	ds_read_b128 v[2:5], v110 offset:608
	scratch_load_dwordx4 v[18:21], off, off offset:96
	scratch_load_dwordx4 v[38:41], off, off offset:160
	;; [unrolled: 1-line block ×13, first 2 shown]
	v_cmp_lt_u32_e32 vcc, 10, v0
	scratch_load_dwordx4 v[46:49], off, off offset:176
	scratch_load_dwordx4 v[54:57], off, off offset:192
	;; [unrolled: 1-line block ×3, first 2 shown]
	ds_read_b128 v[160:163], v110 offset:848
	s_waitcnt vmcnt(15) lgkmcnt(4)
	v_mul_f32_e32 v22, v14, v19
	v_fmac_f32_e32 v22, v15, v18
	v_mul_f32_e32 v23, v16, v21
	v_add_f32_e32 v22, 0, v22
	v_fmac_f32_e32 v23, v17, v20
	v_add_f32_e32 v26, v22, v23
	scratch_load_dwordx4 v[22:25], off, off offset:112
	v_mul_f32_e32 v15, v15, v19
	v_fma_f32 v14, v14, v18, -v15
	v_mul_f32_e32 v15, v17, v21
	v_add_f32_e32 v14, 0, v14
	v_fma_f32 v15, v16, v20, -v15
	v_add_f32_e32 v14, v14, v15
	s_waitcnt vmcnt(4) lgkmcnt(0)
	v_mul_f32_e32 v185, v160, v165
	v_mul_f32_e32 v187, v162, v167
	v_fmac_f32_e32 v185, v161, v164
	v_fmac_f32_e32 v187, v163, v166
	s_waitcnt vmcnt(0)
	v_mul_f32_e32 v27, v10, v23
	v_fmac_f32_e32 v27, v11, v22
	v_add_f32_e32 v26, v26, v27
	v_mul_f32_e32 v27, v12, v25
	v_fmac_f32_e32 v27, v13, v24
	v_add_f32_e32 v30, v26, v27
	scratch_load_dwordx4 v[26:29], off, off offset:128
	v_mul_f32_e32 v11, v11, v23
	v_fma_f32 v10, v10, v22, -v11
	v_mul_f32_e32 v11, v13, v25
	v_add_f32_e32 v10, v14, v10
	v_fma_f32 v11, v12, v24, -v11
	v_add_f32_e32 v10, v10, v11
	s_waitcnt vmcnt(0)
	v_mul_f32_e32 v31, v6, v27
	v_fmac_f32_e32 v31, v7, v26
	v_add_f32_e32 v30, v30, v31
	v_mul_f32_e32 v31, v8, v29
	v_fmac_f32_e32 v31, v9, v28
	v_add_f32_e32 v34, v30, v31
	scratch_load_dwordx4 v[30:33], off, off offset:144
	v_mul_f32_e32 v7, v7, v27
	v_fma_f32 v6, v6, v26, -v7
	v_mul_f32_e32 v7, v9, v29
	v_add_f32_e32 v6, v10, v6
	v_fma_f32 v7, v8, v28, -v7
	v_add_f32_e32 v6, v6, v7
	s_waitcnt vmcnt(0)
	v_mul_f32_e32 v35, v2, v31
	v_fmac_f32_e32 v35, v3, v30
	v_add_f32_e32 v34, v34, v35
	v_mul_f32_e32 v35, v4, v33
	v_fmac_f32_e32 v35, v5, v32
	v_add_f32_e32 v42, v34, v35
	ds_read_b128 v[34:37], v110 offset:624
	v_mul_f32_e32 v3, v3, v31
	v_fma_f32 v2, v2, v30, -v3
	v_mul_f32_e32 v3, v5, v33
	v_add_f32_e32 v2, v6, v2
	s_waitcnt lgkmcnt(0)
	v_mul_f32_e32 v43, v34, v39
	v_fmac_f32_e32 v43, v35, v38
	v_add_f32_e32 v42, v42, v43
	v_mul_f32_e32 v43, v36, v41
	v_fmac_f32_e32 v43, v37, v40
	v_add_f32_e32 v50, v42, v43
	ds_read_b128 v[42:45], v110 offset:640
	v_fma_f32 v3, v4, v32, -v3
	v_add_f32_e32 v2, v2, v3
	v_mul_f32_e32 v3, v35, v39
	v_fma_f32 v3, v34, v38, -v3
	s_waitcnt lgkmcnt(0)
	v_mul_f32_e32 v51, v42, v47
	v_fmac_f32_e32 v51, v43, v46
	v_add_f32_e32 v50, v50, v51
	v_mul_f32_e32 v51, v44, v49
	v_fmac_f32_e32 v51, v45, v48
	v_add_f32_e32 v58, v50, v51
	ds_read_b128 v[50:53], v110 offset:656
	v_add_f32_e32 v2, v2, v3
	v_mul_f32_e32 v3, v37, v41
	v_fma_f32 v3, v36, v40, -v3
	v_add_f32_e32 v2, v2, v3
	s_waitcnt lgkmcnt(0)
	v_mul_f32_e32 v59, v50, v55
	v_fmac_f32_e32 v59, v51, v54
	v_add_f32_e32 v58, v58, v59
	v_mul_f32_e32 v59, v52, v57
	v_fmac_f32_e32 v59, v53, v56
	v_add_f32_e32 v66, v58, v59
	ds_read_b128 v[58:61], v110 offset:672
	v_mul_f32_e32 v3, v43, v47
	v_fma_f32 v3, v42, v46, -v3
	v_add_f32_e32 v2, v2, v3
	v_mul_f32_e32 v3, v45, v49
	s_waitcnt lgkmcnt(0)
	v_mul_f32_e32 v67, v58, v63
	v_fmac_f32_e32 v67, v59, v62
	v_add_f32_e32 v66, v66, v67
	v_mul_f32_e32 v67, v60, v65
	v_fmac_f32_e32 v67, v61, v64
	v_add_f32_e32 v74, v66, v67
	ds_read_b128 v[66:69], v110 offset:688
	v_fma_f32 v3, v44, v48, -v3
	v_add_f32_e32 v2, v2, v3
	v_mul_f32_e32 v3, v51, v55
	v_fma_f32 v3, v50, v54, -v3
	s_waitcnt lgkmcnt(0)
	v_mul_f32_e32 v75, v66, v71
	v_fmac_f32_e32 v75, v67, v70
	v_add_f32_e32 v74, v74, v75
	v_mul_f32_e32 v75, v68, v73
	v_fmac_f32_e32 v75, v69, v72
	v_add_f32_e32 v82, v74, v75
	ds_read_b128 v[74:77], v110 offset:704
	v_add_f32_e32 v2, v2, v3
	v_mul_f32_e32 v3, v53, v57
	v_fma_f32 v3, v52, v56, -v3
	v_add_f32_e32 v2, v2, v3
	s_waitcnt lgkmcnt(0)
	v_mul_f32_e32 v83, v74, v79
	v_fmac_f32_e32 v83, v75, v78
	v_add_f32_e32 v82, v82, v83
	v_mul_f32_e32 v83, v76, v81
	v_fmac_f32_e32 v83, v77, v80
	v_add_f32_e32 v90, v82, v83
	ds_read_b128 v[82:85], v110 offset:720
	v_mul_f32_e32 v3, v59, v63
	v_fma_f32 v3, v58, v62, -v3
	v_add_f32_e32 v2, v2, v3
	v_mul_f32_e32 v3, v61, v65
	;; [unrolled: 36-line block ×4, first 2 shown]
	s_waitcnt lgkmcnt(0)
	v_mul_f32_e32 v140, v132, v137
	v_fmac_f32_e32 v140, v133, v136
	v_add_f32_e32 v111, v111, v140
	v_mul_f32_e32 v140, v134, v139
	v_fmac_f32_e32 v140, v135, v138
	v_add_f32_e32 v111, v111, v140
	ds_read_b128 v[140:143], v110 offset:832
	scratch_load_dwordx4 v[168:171], off, off offset:400
	scratch_load_dwordx4 v[172:175], off, off offset:416
	;; [unrolled: 1-line block ×4, first 2 shown]
	v_fma_f32 v3, v92, v96, -v3
	v_add_f32_e32 v2, v2, v3
	v_mul_f32_e32 v3, v99, v103
	v_fma_f32 v3, v98, v102, -v3
	v_add_f32_e32 v2, v2, v3
	v_mul_f32_e32 v3, v101, v105
	;; [unrolled: 3-line block ×10, first 2 shown]
	v_fma_f32 v3, v134, v138, -v3
	s_waitcnt lgkmcnt(0)
	v_mul_f32_e32 v148, v140, v145
	v_add_f32_e32 v2, v2, v3
	v_mul_f32_e32 v3, v141, v145
	v_fmac_f32_e32 v148, v141, v144
	v_fma_f32 v3, v140, v144, -v3
	v_add_f32_e32 v111, v111, v148
	v_mul_f32_e32 v148, v142, v147
	v_add_f32_e32 v2, v2, v3
	v_mul_f32_e32 v3, v143, v147
	v_fmac_f32_e32 v148, v143, v146
	v_fma_f32 v3, v142, v146, -v3
	v_add_f32_e32 v149, v111, v148
	v_add_f32_e32 v148, v2, v3
	v_mul_f32_e32 v2, v161, v165
	v_fma_f32 v184, v160, v164, -v2
	v_mul_f32_e32 v2, v163, v167
	v_fma_f32 v186, v162, v166, -v2
	ds_read_b128 v[2:5], v110 offset:864
	ds_read_b128 v[6:9], v110 offset:880
	;; [unrolled: 1-line block ×4, first 2 shown]
	v_pk_add_f32 v[18:19], v[148:149], v[184:185]
	s_waitcnt vmcnt(3) lgkmcnt(3)
	v_pk_mul_f32 v[20:21], v[2:3], v[168:169] op_sel:[1,1] op_sel_hi:[0,1]
	v_pk_fma_f32 v[22:23], v[2:3], v[168:169], v[20:21] neg_lo:[0,0,1] neg_hi:[0,0,1]
	v_pk_fma_f32 v[2:3], v[2:3], v[168:169], v[20:21] op_sel_hi:[1,0,1]
	v_pk_add_f32 v[18:19], v[18:19], v[186:187]
	v_mov_b32_e32 v23, v3
	v_pk_add_f32 v[2:3], v[18:19], v[22:23]
	v_mov_b32_e32 v18, v171
	v_pk_mul_f32 v[18:19], v[4:5], v[18:19] op_sel:[1,0] op_sel_hi:[0,0]
	v_pk_fma_f32 v[20:21], v[4:5], v[170:171], v[18:19] neg_lo:[0,0,1] neg_hi:[0,0,1]
	v_pk_fma_f32 v[4:5], v[4:5], v[170:171], v[18:19] op_sel_hi:[1,0,1]
	s_nop 0
	v_mov_b32_e32 v21, v5
	s_waitcnt vmcnt(2) lgkmcnt(2)
	v_pk_mul_f32 v[4:5], v[6:7], v[172:173] op_sel:[1,1] op_sel_hi:[0,1]
	v_pk_fma_f32 v[18:19], v[6:7], v[172:173], v[4:5] neg_lo:[0,0,1] neg_hi:[0,0,1]
	v_pk_fma_f32 v[4:5], v[6:7], v[172:173], v[4:5] op_sel_hi:[1,0,1]
	v_pk_add_f32 v[2:3], v[2:3], v[20:21]
	v_mov_b32_e32 v4, v175
	v_mov_b32_e32 v19, v5
	v_pk_mul_f32 v[4:5], v[8:9], v[4:5] op_sel:[1,0] op_sel_hi:[0,0]
	v_pk_fma_f32 v[6:7], v[8:9], v[174:175], v[4:5] neg_lo:[0,0,1] neg_hi:[0,0,1]
	v_pk_fma_f32 v[4:5], v[8:9], v[174:175], v[4:5] op_sel_hi:[1,0,1]
	v_pk_add_f32 v[2:3], v[2:3], v[18:19]
	v_mov_b32_e32 v7, v5
	s_waitcnt vmcnt(1) lgkmcnt(1)
	v_pk_mul_f32 v[4:5], v[10:11], v[176:177] op_sel:[1,1] op_sel_hi:[0,1]
	v_pk_add_f32 v[2:3], v[2:3], v[6:7]
	v_pk_fma_f32 v[6:7], v[10:11], v[176:177], v[4:5] neg_lo:[0,0,1] neg_hi:[0,0,1]
	v_pk_fma_f32 v[4:5], v[10:11], v[176:177], v[4:5] op_sel_hi:[1,0,1]
	s_nop 0
	v_mov_b32_e32 v4, v179
	v_mov_b32_e32 v7, v5
	v_pk_mul_f32 v[4:5], v[12:13], v[4:5] op_sel:[1,0] op_sel_hi:[0,0]
	v_pk_add_f32 v[2:3], v[2:3], v[6:7]
	v_pk_fma_f32 v[6:7], v[12:13], v[178:179], v[4:5] neg_lo:[0,0,1] neg_hi:[0,0,1]
	v_pk_fma_f32 v[4:5], v[12:13], v[178:179], v[4:5] op_sel_hi:[1,0,1]
	s_nop 0
	v_mov_b32_e32 v7, v5
	s_waitcnt vmcnt(0) lgkmcnt(0)
	v_pk_mul_f32 v[4:5], v[14:15], v[180:181] op_sel:[1,1] op_sel_hi:[0,1]
	v_pk_add_f32 v[2:3], v[2:3], v[6:7]
	v_pk_fma_f32 v[6:7], v[14:15], v[180:181], v[4:5] neg_lo:[0,0,1] neg_hi:[0,0,1]
	v_pk_fma_f32 v[4:5], v[14:15], v[180:181], v[4:5] op_sel_hi:[1,0,1]
	s_nop 0
	v_mov_b32_e32 v4, v183
	v_mov_b32_e32 v7, v5
	v_pk_mul_f32 v[4:5], v[16:17], v[4:5] op_sel:[1,0] op_sel_hi:[0,0]
	v_pk_add_f32 v[2:3], v[2:3], v[6:7]
	v_pk_fma_f32 v[6:7], v[16:17], v[182:183], v[4:5] neg_lo:[0,0,1] neg_hi:[0,0,1]
	v_pk_fma_f32 v[4:5], v[16:17], v[182:183], v[4:5] op_sel_hi:[1,0,1]
	s_nop 0
	v_mov_b32_e32 v7, v5
	scratch_load_dwordx2 v[4:5], off, off offset:88
	v_pk_add_f32 v[2:3], v[2:3], v[6:7]
	s_waitcnt vmcnt(0)
	v_pk_add_f32 v[2:3], v[4:5], v[2:3] neg_lo:[0,1] neg_hi:[0,1]
	scratch_store_dwordx2 off, v[2:3], off offset:88
	s_and_saveexec_b64 s[0:1], vcc
	s_cbranch_execz .LBB57_341
; %bb.340:
	scratch_load_dwordx2 v[2:3], off, off offset:80
	v_mov_b32_e32 v4, 0
	v_mov_b32_e32 v5, v4
	scratch_store_dwordx2 off, v[4:5], off offset:80
	s_waitcnt vmcnt(1)
	ds_write_b64 v1, v[2:3]
.LBB57_341:
	s_or_b64 exec, exec, s[0:1]
	s_waitcnt lgkmcnt(0)
	; wave barrier
	scratch_load_dwordx4 v[6:9], off, off offset:88
	scratch_load_dwordx4 v[14:17], off, off offset:104
	;; [unrolled: 1-line block ×10, first 2 shown]
	v_mov_b32_e32 v118, 0
	ds_read2_b64 v[2:5], v118 offset0:69 offset1:70
	ds_read2_b64 v[160:163], v118 offset0:105 offset1:106
	scratch_load_dwordx4 v[86:89], off, off offset:248
	scratch_load_dwordx4 v[94:97], off, off offset:264
	;; [unrolled: 1-line block ×10, first 2 shown]
	v_cmp_lt_u32_e32 vcc, 9, v0
	ds_read2_b64 v[168:171], v118 offset0:107 offset1:108
	s_waitcnt vmcnt(19) lgkmcnt(2)
	v_mul_f32_e32 v10, v2, v7
	v_fmac_f32_e32 v10, v3, v6
	v_mul_f32_e32 v11, v4, v9
	v_add_f32_e32 v10, 0, v10
	v_fmac_f32_e32 v11, v5, v8
	v_add_f32_e32 v18, v10, v11
	ds_read2_b64 v[10:13], v118 offset0:71 offset1:72
	v_mul_f32_e32 v3, v3, v7
	v_fma_f32 v2, v2, v6, -v3
	v_mul_f32_e32 v3, v5, v9
	v_add_f32_e32 v2, 0, v2
	s_waitcnt vmcnt(18) lgkmcnt(0)
	v_mul_f32_e32 v19, v10, v15
	v_fmac_f32_e32 v19, v11, v14
	v_add_f32_e32 v18, v18, v19
	v_mul_f32_e32 v19, v12, v17
	v_fmac_f32_e32 v19, v13, v16
	v_add_f32_e32 v26, v18, v19
	ds_read2_b64 v[18:21], v118 offset0:73 offset1:74
	v_fma_f32 v3, v4, v8, -v3
	v_add_f32_e32 v2, v2, v3
	v_mul_f32_e32 v3, v11, v15
	v_fma_f32 v3, v10, v14, -v3
	s_waitcnt vmcnt(17) lgkmcnt(0)
	v_mul_f32_e32 v27, v18, v23
	v_fmac_f32_e32 v27, v19, v22
	v_add_f32_e32 v26, v26, v27
	v_mul_f32_e32 v27, v20, v25
	v_fmac_f32_e32 v27, v21, v24
	v_add_f32_e32 v34, v26, v27
	ds_read2_b64 v[26:29], v118 offset0:75 offset1:76
	v_add_f32_e32 v2, v2, v3
	v_mul_f32_e32 v3, v13, v17
	v_fma_f32 v3, v12, v16, -v3
	v_add_f32_e32 v2, v2, v3
	s_waitcnt vmcnt(16) lgkmcnt(0)
	v_mul_f32_e32 v35, v26, v31
	v_fmac_f32_e32 v35, v27, v30
	v_add_f32_e32 v34, v34, v35
	v_mul_f32_e32 v35, v28, v33
	v_fmac_f32_e32 v35, v29, v32
	v_add_f32_e32 v42, v34, v35
	ds_read2_b64 v[34:37], v118 offset0:77 offset1:78
	v_mul_f32_e32 v3, v19, v23
	v_fma_f32 v3, v18, v22, -v3
	v_add_f32_e32 v2, v2, v3
	v_mul_f32_e32 v3, v21, v25
	s_waitcnt vmcnt(15) lgkmcnt(0)
	v_mul_f32_e32 v43, v34, v39
	v_fmac_f32_e32 v43, v35, v38
	v_add_f32_e32 v42, v42, v43
	v_mul_f32_e32 v43, v36, v41
	v_fmac_f32_e32 v43, v37, v40
	v_add_f32_e32 v50, v42, v43
	ds_read2_b64 v[42:45], v118 offset0:79 offset1:80
	v_fma_f32 v3, v20, v24, -v3
	v_add_f32_e32 v2, v2, v3
	v_mul_f32_e32 v3, v27, v31
	v_fma_f32 v3, v26, v30, -v3
	s_waitcnt vmcnt(14) lgkmcnt(0)
	v_mul_f32_e32 v51, v42, v47
	v_fmac_f32_e32 v51, v43, v46
	v_add_f32_e32 v50, v50, v51
	v_mul_f32_e32 v51, v44, v49
	v_fmac_f32_e32 v51, v45, v48
	v_add_f32_e32 v58, v50, v51
	ds_read2_b64 v[50:53], v118 offset0:81 offset1:82
	v_add_f32_e32 v2, v2, v3
	v_mul_f32_e32 v3, v29, v33
	v_fma_f32 v3, v28, v32, -v3
	v_add_f32_e32 v2, v2, v3
	s_waitcnt vmcnt(13) lgkmcnt(0)
	v_mul_f32_e32 v59, v50, v55
	v_fmac_f32_e32 v59, v51, v54
	v_add_f32_e32 v58, v58, v59
	v_mul_f32_e32 v59, v52, v57
	v_fmac_f32_e32 v59, v53, v56
	v_add_f32_e32 v66, v58, v59
	ds_read2_b64 v[58:61], v118 offset0:83 offset1:84
	v_mul_f32_e32 v3, v35, v39
	v_fma_f32 v3, v34, v38, -v3
	v_add_f32_e32 v2, v2, v3
	v_mul_f32_e32 v3, v37, v41
	;; [unrolled: 36-line block ×5, first 2 shown]
	s_waitcnt vmcnt(3) lgkmcnt(0)
	v_mul_f32_e32 v140, v132, v137
	v_fmac_f32_e32 v140, v133, v136
	v_add_f32_e32 v119, v119, v140
	v_mul_f32_e32 v140, v134, v139
	v_fmac_f32_e32 v140, v135, v138
	v_add_f32_e32 v119, v119, v140
	ds_read2_b64 v[140:143], v118 offset0:103 offset1:104
	scratch_load_dwordx4 v[176:179], off, off offset:408
	scratch_load_dwordx4 v[180:183], off, off offset:424
	;; [unrolled: 1-line block ×3, first 2 shown]
	scratch_load_dwordx2 v[192:193], off, off offset:456
	v_fma_f32 v3, v84, v88, -v3
	v_add_f32_e32 v2, v2, v3
	v_mul_f32_e32 v3, v91, v95
	v_fma_f32 v3, v90, v94, -v3
	v_add_f32_e32 v2, v2, v3
	v_mul_f32_e32 v3, v93, v97
	;; [unrolled: 3-line block ×12, first 2 shown]
	v_fma_f32 v3, v134, v138, -v3
	s_waitcnt vmcnt(6) lgkmcnt(0)
	v_mul_f32_e32 v148, v140, v145
	v_add_f32_e32 v2, v2, v3
	v_mul_f32_e32 v3, v141, v145
	v_fmac_f32_e32 v148, v141, v144
	v_fma_f32 v3, v140, v144, -v3
	v_add_f32_e32 v119, v119, v148
	v_mul_f32_e32 v148, v142, v147
	v_add_f32_e32 v2, v2, v3
	v_mul_f32_e32 v3, v143, v147
	v_fmac_f32_e32 v148, v143, v146
	v_fma_f32 v3, v142, v146, -v3
	v_add_f32_e32 v119, v119, v148
	s_waitcnt vmcnt(5)
	v_mul_f32_e32 v148, v160, v165
	v_add_f32_e32 v2, v2, v3
	v_mul_f32_e32 v3, v161, v165
	v_fmac_f32_e32 v148, v161, v164
	v_fma_f32 v3, v160, v164, -v3
	v_add_f32_e32 v149, v119, v148
	v_add_f32_e32 v148, v2, v3
	v_mul_f32_e32 v2, v163, v167
	v_mul_f32_e32 v189, v162, v167
	v_fma_f32 v188, v162, v166, -v2
	s_waitcnt vmcnt(4)
	v_mul_f32_e32 v2, v169, v173
	v_mov_b32_e32 v18, v175
	v_fmac_f32_e32 v189, v163, v166
	v_mul_f32_e32 v191, v168, v173
	v_fma_f32 v190, v168, v172, -v2
	ds_read2_b64 v[2:5], v118 offset0:109 offset1:110
	ds_read2_b64 v[6:9], v118 offset0:111 offset1:112
	;; [unrolled: 1-line block ×3, first 2 shown]
	ds_read_b64 v[14:15], v118 offset:920
	v_pk_mul_f32 v[18:19], v[170:171], v[18:19] op_sel:[1,0] op_sel_hi:[0,0]
	v_fmac_f32_e32 v191, v169, v172
	v_pk_add_f32 v[16:17], v[148:149], v[188:189]
	v_pk_fma_f32 v[20:21], v[170:171], v[174:175], v[18:19] neg_lo:[0,0,1] neg_hi:[0,0,1]
	v_pk_fma_f32 v[18:19], v[170:171], v[174:175], v[18:19] op_sel_hi:[1,0,1]
	v_pk_add_f32 v[16:17], v[16:17], v[190:191]
	v_mov_b32_e32 v21, v19
	v_pk_add_f32 v[16:17], v[16:17], v[20:21]
	s_waitcnt vmcnt(3) lgkmcnt(3)
	v_pk_mul_f32 v[18:19], v[2:3], v[176:177] op_sel:[1,1] op_sel_hi:[0,1]
	v_pk_fma_f32 v[20:21], v[2:3], v[176:177], v[18:19] neg_lo:[0,0,1] neg_hi:[0,0,1]
	v_pk_fma_f32 v[2:3], v[2:3], v[176:177], v[18:19] op_sel_hi:[1,0,1]
	s_nop 0
	v_mov_b32_e32 v21, v3
	v_pk_add_f32 v[2:3], v[16:17], v[20:21]
	v_mov_b32_e32 v16, v179
	v_pk_mul_f32 v[16:17], v[4:5], v[16:17] op_sel:[1,0] op_sel_hi:[0,0]
	v_pk_fma_f32 v[18:19], v[4:5], v[178:179], v[16:17] neg_lo:[0,0,1] neg_hi:[0,0,1]
	v_pk_fma_f32 v[4:5], v[4:5], v[178:179], v[16:17] op_sel_hi:[1,0,1]
	s_nop 0
	v_mov_b32_e32 v19, v5
	s_waitcnt vmcnt(2) lgkmcnt(2)
	v_pk_mul_f32 v[4:5], v[6:7], v[180:181] op_sel:[1,1] op_sel_hi:[0,1]
	v_pk_fma_f32 v[16:17], v[6:7], v[180:181], v[4:5] neg_lo:[0,0,1] neg_hi:[0,0,1]
	v_pk_fma_f32 v[4:5], v[6:7], v[180:181], v[4:5] op_sel_hi:[1,0,1]
	v_pk_add_f32 v[2:3], v[2:3], v[18:19]
	v_mov_b32_e32 v4, v183
	v_mov_b32_e32 v17, v5
	v_pk_mul_f32 v[4:5], v[8:9], v[4:5] op_sel:[1,0] op_sel_hi:[0,0]
	v_pk_fma_f32 v[6:7], v[8:9], v[182:183], v[4:5] neg_lo:[0,0,1] neg_hi:[0,0,1]
	v_pk_fma_f32 v[4:5], v[8:9], v[182:183], v[4:5] op_sel_hi:[1,0,1]
	v_pk_add_f32 v[2:3], v[2:3], v[16:17]
	v_mov_b32_e32 v7, v5
	s_waitcnt vmcnt(1) lgkmcnt(1)
	v_pk_mul_f32 v[4:5], v[10:11], v[184:185] op_sel:[1,1] op_sel_hi:[0,1]
	v_pk_add_f32 v[2:3], v[2:3], v[6:7]
	v_pk_fma_f32 v[6:7], v[10:11], v[184:185], v[4:5] neg_lo:[0,0,1] neg_hi:[0,0,1]
	v_pk_fma_f32 v[4:5], v[10:11], v[184:185], v[4:5] op_sel_hi:[1,0,1]
	s_nop 0
	v_mov_b32_e32 v4, v187
	v_mov_b32_e32 v7, v5
	v_pk_mul_f32 v[4:5], v[12:13], v[4:5] op_sel:[1,0] op_sel_hi:[0,0]
	v_pk_add_f32 v[2:3], v[2:3], v[6:7]
	v_pk_fma_f32 v[6:7], v[12:13], v[186:187], v[4:5] neg_lo:[0,0,1] neg_hi:[0,0,1]
	v_pk_fma_f32 v[4:5], v[12:13], v[186:187], v[4:5] op_sel_hi:[1,0,1]
	s_nop 0
	v_mov_b32_e32 v7, v5
	s_waitcnt vmcnt(0) lgkmcnt(0)
	v_pk_mul_f32 v[4:5], v[14:15], v[192:193] op_sel:[1,1] op_sel_hi:[0,1]
	v_pk_add_f32 v[2:3], v[2:3], v[6:7]
	v_pk_fma_f32 v[6:7], v[14:15], v[192:193], v[4:5] neg_lo:[0,0,1] neg_hi:[0,0,1]
	v_pk_fma_f32 v[4:5], v[14:15], v[192:193], v[4:5] op_sel_hi:[1,0,1]
	s_nop 0
	v_mov_b32_e32 v7, v5
	scratch_load_dwordx2 v[4:5], off, off offset:80
	v_pk_add_f32 v[2:3], v[2:3], v[6:7]
	s_waitcnt vmcnt(0)
	v_pk_add_f32 v[2:3], v[4:5], v[2:3] neg_lo:[0,1] neg_hi:[0,1]
	scratch_store_dwordx2 off, v[2:3], off offset:80
	s_and_saveexec_b64 s[0:1], vcc
	s_cbranch_execz .LBB57_343
; %bb.342:
	scratch_load_dwordx2 v[2:3], off, off offset:72
	v_mov_b32_e32 v119, v118
	scratch_store_dwordx2 off, v[118:119], off offset:72
	s_waitcnt vmcnt(1)
	ds_write_b64 v1, v[2:3]
.LBB57_343:
	s_or_b64 exec, exec, s[0:1]
	s_waitcnt lgkmcnt(0)
	; wave barrier
	ds_read_b128 v[14:17], v118 offset:544
	ds_read_b128 v[10:13], v118 offset:560
	;; [unrolled: 1-line block ×4, first 2 shown]
	scratch_load_dwordx4 v[18:21], off, off offset:80
	scratch_load_dwordx4 v[38:41], off, off offset:144
	;; [unrolled: 1-line block ×14, first 2 shown]
	v_cmp_lt_u32_e32 vcc, 8, v0
	scratch_load_dwordx4 v[46:49], off, off offset:160
	scratch_load_dwordx4 v[54:57], off, off offset:176
	;; [unrolled: 1-line block ×3, first 2 shown]
	ds_read_b128 v[160:163], v118 offset:832
	ds_read_b128 v[168:171], v118 offset:848
	s_waitcnt vmcnt(16) lgkmcnt(5)
	v_mul_f32_e32 v22, v14, v19
	v_fmac_f32_e32 v22, v15, v18
	v_mul_f32_e32 v23, v16, v21
	v_add_f32_e32 v22, 0, v22
	v_fmac_f32_e32 v23, v17, v20
	v_add_f32_e32 v26, v22, v23
	scratch_load_dwordx4 v[22:25], off, off offset:96
	v_mul_f32_e32 v15, v15, v19
	v_fma_f32 v14, v14, v18, -v15
	v_mul_f32_e32 v15, v17, v21
	v_add_f32_e32 v14, 0, v14
	v_fma_f32 v15, v16, v20, -v15
	v_add_f32_e32 v14, v14, v15
	s_waitcnt vmcnt(4) lgkmcnt(0)
	v_mul_f32_e32 v193, v168, v173
	v_mul_f32_e32 v195, v170, v175
	v_fmac_f32_e32 v193, v169, v172
	v_fmac_f32_e32 v195, v171, v174
	s_waitcnt vmcnt(0)
	v_mul_f32_e32 v27, v10, v23
	v_fmac_f32_e32 v27, v11, v22
	v_add_f32_e32 v26, v26, v27
	v_mul_f32_e32 v27, v12, v25
	v_fmac_f32_e32 v27, v13, v24
	v_add_f32_e32 v30, v26, v27
	scratch_load_dwordx4 v[26:29], off, off offset:112
	v_mul_f32_e32 v11, v11, v23
	v_fma_f32 v10, v10, v22, -v11
	v_mul_f32_e32 v11, v13, v25
	v_add_f32_e32 v10, v14, v10
	v_fma_f32 v11, v12, v24, -v11
	v_add_f32_e32 v10, v10, v11
	s_waitcnt vmcnt(0)
	v_mul_f32_e32 v31, v6, v27
	v_fmac_f32_e32 v31, v7, v26
	v_add_f32_e32 v30, v30, v31
	v_mul_f32_e32 v31, v8, v29
	v_fmac_f32_e32 v31, v9, v28
	v_add_f32_e32 v34, v30, v31
	scratch_load_dwordx4 v[30:33], off, off offset:128
	v_mul_f32_e32 v7, v7, v27
	v_fma_f32 v6, v6, v26, -v7
	v_mul_f32_e32 v7, v9, v29
	v_add_f32_e32 v6, v10, v6
	v_fma_f32 v7, v8, v28, -v7
	v_add_f32_e32 v6, v6, v7
	s_waitcnt vmcnt(0)
	v_mul_f32_e32 v35, v2, v31
	v_fmac_f32_e32 v35, v3, v30
	v_add_f32_e32 v34, v34, v35
	v_mul_f32_e32 v35, v4, v33
	v_fmac_f32_e32 v35, v5, v32
	v_add_f32_e32 v42, v34, v35
	ds_read_b128 v[34:37], v118 offset:608
	v_mul_f32_e32 v3, v3, v31
	v_fma_f32 v2, v2, v30, -v3
	v_mul_f32_e32 v3, v5, v33
	v_add_f32_e32 v2, v6, v2
	s_waitcnt lgkmcnt(0)
	v_mul_f32_e32 v43, v34, v39
	v_fmac_f32_e32 v43, v35, v38
	v_add_f32_e32 v42, v42, v43
	v_mul_f32_e32 v43, v36, v41
	v_fmac_f32_e32 v43, v37, v40
	v_add_f32_e32 v50, v42, v43
	ds_read_b128 v[42:45], v118 offset:624
	v_fma_f32 v3, v4, v32, -v3
	v_add_f32_e32 v2, v2, v3
	v_mul_f32_e32 v3, v35, v39
	v_fma_f32 v3, v34, v38, -v3
	s_waitcnt lgkmcnt(0)
	v_mul_f32_e32 v51, v42, v47
	v_fmac_f32_e32 v51, v43, v46
	v_add_f32_e32 v50, v50, v51
	v_mul_f32_e32 v51, v44, v49
	v_fmac_f32_e32 v51, v45, v48
	v_add_f32_e32 v58, v50, v51
	ds_read_b128 v[50:53], v118 offset:640
	v_add_f32_e32 v2, v2, v3
	v_mul_f32_e32 v3, v37, v41
	v_fma_f32 v3, v36, v40, -v3
	v_add_f32_e32 v2, v2, v3
	s_waitcnt lgkmcnt(0)
	v_mul_f32_e32 v59, v50, v55
	v_fmac_f32_e32 v59, v51, v54
	v_add_f32_e32 v58, v58, v59
	v_mul_f32_e32 v59, v52, v57
	v_fmac_f32_e32 v59, v53, v56
	v_add_f32_e32 v66, v58, v59
	ds_read_b128 v[58:61], v118 offset:656
	v_mul_f32_e32 v3, v43, v47
	v_fma_f32 v3, v42, v46, -v3
	v_add_f32_e32 v2, v2, v3
	v_mul_f32_e32 v3, v45, v49
	s_waitcnt lgkmcnt(0)
	v_mul_f32_e32 v67, v58, v63
	v_fmac_f32_e32 v67, v59, v62
	v_add_f32_e32 v66, v66, v67
	v_mul_f32_e32 v67, v60, v65
	v_fmac_f32_e32 v67, v61, v64
	v_add_f32_e32 v74, v66, v67
	ds_read_b128 v[66:69], v118 offset:672
	v_fma_f32 v3, v44, v48, -v3
	v_add_f32_e32 v2, v2, v3
	v_mul_f32_e32 v3, v51, v55
	v_fma_f32 v3, v50, v54, -v3
	s_waitcnt lgkmcnt(0)
	v_mul_f32_e32 v75, v66, v71
	v_fmac_f32_e32 v75, v67, v70
	v_add_f32_e32 v74, v74, v75
	v_mul_f32_e32 v75, v68, v73
	v_fmac_f32_e32 v75, v69, v72
	v_add_f32_e32 v82, v74, v75
	ds_read_b128 v[74:77], v118 offset:688
	v_add_f32_e32 v2, v2, v3
	v_mul_f32_e32 v3, v53, v57
	v_fma_f32 v3, v52, v56, -v3
	v_add_f32_e32 v2, v2, v3
	s_waitcnt lgkmcnt(0)
	v_mul_f32_e32 v83, v74, v79
	v_fmac_f32_e32 v83, v75, v78
	v_add_f32_e32 v82, v82, v83
	v_mul_f32_e32 v83, v76, v81
	v_fmac_f32_e32 v83, v77, v80
	v_add_f32_e32 v90, v82, v83
	ds_read_b128 v[82:85], v118 offset:704
	v_mul_f32_e32 v3, v59, v63
	v_fma_f32 v3, v58, v62, -v3
	v_add_f32_e32 v2, v2, v3
	v_mul_f32_e32 v3, v61, v65
	s_waitcnt lgkmcnt(0)
	v_mul_f32_e32 v91, v82, v87
	v_fmac_f32_e32 v91, v83, v86
	v_add_f32_e32 v90, v90, v91
	v_mul_f32_e32 v91, v84, v89
	v_fmac_f32_e32 v91, v85, v88
	v_add_f32_e32 v98, v90, v91
	ds_read_b128 v[90:93], v118 offset:720
	v_fma_f32 v3, v60, v64, -v3
	v_add_f32_e32 v2, v2, v3
	v_mul_f32_e32 v3, v67, v71
	v_fma_f32 v3, v66, v70, -v3
	s_waitcnt lgkmcnt(0)
	v_mul_f32_e32 v99, v90, v95
	v_fmac_f32_e32 v99, v91, v94
	v_add_f32_e32 v98, v98, v99
	v_mul_f32_e32 v99, v92, v97
	v_fmac_f32_e32 v99, v93, v96
	v_add_f32_e32 v106, v98, v99
	ds_read_b128 v[98:101], v118 offset:736
	v_add_f32_e32 v2, v2, v3
	v_mul_f32_e32 v3, v69, v73
	v_fma_f32 v3, v68, v72, -v3
	v_add_f32_e32 v2, v2, v3
	s_waitcnt lgkmcnt(0)
	v_mul_f32_e32 v107, v98, v103
	v_fmac_f32_e32 v107, v99, v102
	v_add_f32_e32 v106, v106, v107
	v_mul_f32_e32 v107, v100, v105
	v_fmac_f32_e32 v107, v101, v104
	v_add_f32_e32 v114, v106, v107
	ds_read_b128 v[106:109], v118 offset:752
	v_mul_f32_e32 v3, v75, v79
	v_fma_f32 v3, v74, v78, -v3
	v_add_f32_e32 v2, v2, v3
	v_mul_f32_e32 v3, v77, v81
	s_waitcnt lgkmcnt(0)
	v_mul_f32_e32 v115, v106, v111
	v_fmac_f32_e32 v115, v107, v110
	v_add_f32_e32 v114, v114, v115
	v_mul_f32_e32 v115, v108, v113
	v_fmac_f32_e32 v115, v109, v112
	v_add_f32_e32 v119, v114, v115
	ds_read_b128 v[114:117], v118 offset:768
	v_fma_f32 v3, v76, v80, -v3
	v_add_f32_e32 v2, v2, v3
	v_mul_f32_e32 v3, v83, v87
	v_fma_f32 v3, v82, v86, -v3
	s_waitcnt lgkmcnt(0)
	v_mul_f32_e32 v124, v114, v121
	v_fmac_f32_e32 v124, v115, v120
	v_add_f32_e32 v119, v119, v124
	v_mul_f32_e32 v124, v116, v123
	v_fmac_f32_e32 v124, v117, v122
	v_add_f32_e32 v119, v119, v124
	ds_read_b128 v[124:127], v118 offset:784
	v_add_f32_e32 v2, v2, v3
	v_mul_f32_e32 v3, v85, v89
	v_fma_f32 v3, v84, v88, -v3
	v_add_f32_e32 v2, v2, v3
	s_waitcnt lgkmcnt(0)
	v_mul_f32_e32 v132, v124, v129
	v_fmac_f32_e32 v132, v125, v128
	v_add_f32_e32 v119, v119, v132
	v_mul_f32_e32 v132, v126, v131
	v_fmac_f32_e32 v132, v127, v130
	v_add_f32_e32 v119, v119, v132
	ds_read_b128 v[132:135], v118 offset:800
	v_mul_f32_e32 v3, v91, v95
	v_fma_f32 v3, v90, v94, -v3
	v_add_f32_e32 v2, v2, v3
	v_mul_f32_e32 v3, v93, v97
	s_waitcnt lgkmcnt(0)
	v_mul_f32_e32 v140, v132, v137
	v_fmac_f32_e32 v140, v133, v136
	v_add_f32_e32 v119, v119, v140
	v_mul_f32_e32 v140, v134, v139
	v_fmac_f32_e32 v140, v135, v138
	v_add_f32_e32 v119, v119, v140
	ds_read_b128 v[140:143], v118 offset:816
	scratch_load_dwordx4 v[176:179], off, off offset:400
	scratch_load_dwordx4 v[180:183], off, off offset:416
	;; [unrolled: 1-line block ×4, first 2 shown]
	v_fma_f32 v3, v92, v96, -v3
	v_add_f32_e32 v2, v2, v3
	v_mul_f32_e32 v3, v99, v103
	v_fma_f32 v3, v98, v102, -v3
	v_add_f32_e32 v2, v2, v3
	v_mul_f32_e32 v3, v101, v105
	;; [unrolled: 3-line block ×10, first 2 shown]
	v_fma_f32 v3, v134, v138, -v3
	s_waitcnt lgkmcnt(0)
	v_mul_f32_e32 v148, v140, v145
	v_add_f32_e32 v2, v2, v3
	v_mul_f32_e32 v3, v141, v145
	v_fmac_f32_e32 v148, v141, v144
	v_fma_f32 v3, v140, v144, -v3
	v_add_f32_e32 v119, v119, v148
	v_mul_f32_e32 v148, v142, v147
	v_add_f32_e32 v2, v2, v3
	v_mul_f32_e32 v3, v143, v147
	v_fmac_f32_e32 v148, v143, v146
	v_fma_f32 v3, v142, v146, -v3
	v_add_f32_e32 v119, v119, v148
	v_mul_f32_e32 v148, v160, v165
	v_add_f32_e32 v2, v2, v3
	v_mul_f32_e32 v3, v161, v165
	v_fmac_f32_e32 v148, v161, v164
	v_fma_f32 v3, v160, v164, -v3
	v_add_f32_e32 v119, v119, v148
	v_mul_f32_e32 v148, v162, v167
	v_add_f32_e32 v2, v2, v3
	v_mul_f32_e32 v3, v163, v167
	v_fmac_f32_e32 v148, v163, v166
	v_fma_f32 v3, v162, v166, -v3
	v_add_f32_e32 v149, v119, v148
	v_add_f32_e32 v148, v2, v3
	v_mul_f32_e32 v2, v169, v173
	v_fma_f32 v192, v168, v172, -v2
	v_mul_f32_e32 v2, v171, v175
	v_fma_f32 v194, v170, v174, -v2
	ds_read_b128 v[2:5], v118 offset:864
	ds_read_b128 v[6:9], v118 offset:880
	;; [unrolled: 1-line block ×4, first 2 shown]
	v_pk_add_f32 v[18:19], v[148:149], v[192:193]
	s_waitcnt vmcnt(3) lgkmcnt(3)
	v_pk_mul_f32 v[20:21], v[2:3], v[176:177] op_sel:[1,1] op_sel_hi:[0,1]
	v_pk_fma_f32 v[22:23], v[2:3], v[176:177], v[20:21] neg_lo:[0,0,1] neg_hi:[0,0,1]
	v_pk_fma_f32 v[2:3], v[2:3], v[176:177], v[20:21] op_sel_hi:[1,0,1]
	v_pk_add_f32 v[18:19], v[18:19], v[194:195]
	v_mov_b32_e32 v23, v3
	v_pk_add_f32 v[2:3], v[18:19], v[22:23]
	v_mov_b32_e32 v18, v179
	v_pk_mul_f32 v[18:19], v[4:5], v[18:19] op_sel:[1,0] op_sel_hi:[0,0]
	v_pk_fma_f32 v[20:21], v[4:5], v[178:179], v[18:19] neg_lo:[0,0,1] neg_hi:[0,0,1]
	v_pk_fma_f32 v[4:5], v[4:5], v[178:179], v[18:19] op_sel_hi:[1,0,1]
	s_nop 0
	v_mov_b32_e32 v21, v5
	s_waitcnt vmcnt(2) lgkmcnt(2)
	v_pk_mul_f32 v[4:5], v[6:7], v[180:181] op_sel:[1,1] op_sel_hi:[0,1]
	v_pk_fma_f32 v[18:19], v[6:7], v[180:181], v[4:5] neg_lo:[0,0,1] neg_hi:[0,0,1]
	v_pk_fma_f32 v[4:5], v[6:7], v[180:181], v[4:5] op_sel_hi:[1,0,1]
	v_pk_add_f32 v[2:3], v[2:3], v[20:21]
	v_mov_b32_e32 v4, v183
	v_mov_b32_e32 v19, v5
	v_pk_mul_f32 v[4:5], v[8:9], v[4:5] op_sel:[1,0] op_sel_hi:[0,0]
	v_pk_fma_f32 v[6:7], v[8:9], v[182:183], v[4:5] neg_lo:[0,0,1] neg_hi:[0,0,1]
	v_pk_fma_f32 v[4:5], v[8:9], v[182:183], v[4:5] op_sel_hi:[1,0,1]
	v_pk_add_f32 v[2:3], v[2:3], v[18:19]
	v_mov_b32_e32 v7, v5
	s_waitcnt vmcnt(1) lgkmcnt(1)
	v_pk_mul_f32 v[4:5], v[10:11], v[184:185] op_sel:[1,1] op_sel_hi:[0,1]
	v_pk_add_f32 v[2:3], v[2:3], v[6:7]
	v_pk_fma_f32 v[6:7], v[10:11], v[184:185], v[4:5] neg_lo:[0,0,1] neg_hi:[0,0,1]
	v_pk_fma_f32 v[4:5], v[10:11], v[184:185], v[4:5] op_sel_hi:[1,0,1]
	s_nop 0
	v_mov_b32_e32 v4, v187
	v_mov_b32_e32 v7, v5
	v_pk_mul_f32 v[4:5], v[12:13], v[4:5] op_sel:[1,0] op_sel_hi:[0,0]
	v_pk_add_f32 v[2:3], v[2:3], v[6:7]
	v_pk_fma_f32 v[6:7], v[12:13], v[186:187], v[4:5] neg_lo:[0,0,1] neg_hi:[0,0,1]
	v_pk_fma_f32 v[4:5], v[12:13], v[186:187], v[4:5] op_sel_hi:[1,0,1]
	s_nop 0
	v_mov_b32_e32 v7, v5
	s_waitcnt vmcnt(0) lgkmcnt(0)
	v_pk_mul_f32 v[4:5], v[14:15], v[188:189] op_sel:[1,1] op_sel_hi:[0,1]
	v_pk_add_f32 v[2:3], v[2:3], v[6:7]
	v_pk_fma_f32 v[6:7], v[14:15], v[188:189], v[4:5] neg_lo:[0,0,1] neg_hi:[0,0,1]
	v_pk_fma_f32 v[4:5], v[14:15], v[188:189], v[4:5] op_sel_hi:[1,0,1]
	s_nop 0
	v_mov_b32_e32 v4, v191
	v_mov_b32_e32 v7, v5
	v_pk_mul_f32 v[4:5], v[16:17], v[4:5] op_sel:[1,0] op_sel_hi:[0,0]
	v_pk_add_f32 v[2:3], v[2:3], v[6:7]
	v_pk_fma_f32 v[6:7], v[16:17], v[190:191], v[4:5] neg_lo:[0,0,1] neg_hi:[0,0,1]
	v_pk_fma_f32 v[4:5], v[16:17], v[190:191], v[4:5] op_sel_hi:[1,0,1]
	s_nop 0
	v_mov_b32_e32 v7, v5
	scratch_load_dwordx2 v[4:5], off, off offset:72
	v_pk_add_f32 v[2:3], v[2:3], v[6:7]
	s_waitcnt vmcnt(0)
	v_pk_add_f32 v[2:3], v[4:5], v[2:3] neg_lo:[0,1] neg_hi:[0,1]
	scratch_store_dwordx2 off, v[2:3], off offset:72
	s_and_saveexec_b64 s[0:1], vcc
	s_cbranch_execz .LBB57_345
; %bb.344:
	scratch_load_dwordx2 v[2:3], off, off offset:64
	v_mov_b32_e32 v4, 0
	v_mov_b32_e32 v5, v4
	scratch_store_dwordx2 off, v[4:5], off offset:64
	s_waitcnt vmcnt(1)
	ds_write_b64 v1, v[2:3]
.LBB57_345:
	s_or_b64 exec, exec, s[0:1]
	s_waitcnt lgkmcnt(0)
	; wave barrier
	scratch_load_dwordx4 v[6:9], off, off offset:72
	scratch_load_dwordx4 v[14:17], off, off offset:88
	;; [unrolled: 1-line block ×10, first 2 shown]
	v_mov_b32_e32 v134, 0
	ds_read2_b64 v[2:5], v134 offset0:67 offset1:68
	ds_read2_b64 v[160:163], v134 offset0:103 offset1:104
	scratch_load_dwordx4 v[86:89], off, off offset:232
	scratch_load_dwordx4 v[94:97], off, off offset:248
	;; [unrolled: 1-line block ×11, first 2 shown]
	v_cmp_lt_u32_e32 vcc, 7, v0
	ds_read2_b64 v[168:171], v134 offset0:105 offset1:106
	ds_read2_b64 v[176:179], v134 offset0:107 offset1:108
	s_waitcnt vmcnt(20) lgkmcnt(3)
	v_mul_f32_e32 v10, v2, v7
	v_fmac_f32_e32 v10, v3, v6
	v_mul_f32_e32 v11, v4, v9
	v_add_f32_e32 v10, 0, v10
	v_fmac_f32_e32 v11, v5, v8
	v_add_f32_e32 v18, v10, v11
	ds_read2_b64 v[10:13], v134 offset0:69 offset1:70
	v_mul_f32_e32 v3, v3, v7
	v_fma_f32 v2, v2, v6, -v3
	v_mul_f32_e32 v3, v5, v9
	v_add_f32_e32 v2, 0, v2
	s_waitcnt vmcnt(19) lgkmcnt(0)
	v_mul_f32_e32 v19, v10, v15
	v_fmac_f32_e32 v19, v11, v14
	v_add_f32_e32 v18, v18, v19
	v_mul_f32_e32 v19, v12, v17
	v_fmac_f32_e32 v19, v13, v16
	v_add_f32_e32 v26, v18, v19
	ds_read2_b64 v[18:21], v134 offset0:71 offset1:72
	v_fma_f32 v3, v4, v8, -v3
	v_add_f32_e32 v2, v2, v3
	v_mul_f32_e32 v3, v11, v15
	v_fma_f32 v3, v10, v14, -v3
	s_waitcnt vmcnt(18) lgkmcnt(0)
	v_mul_f32_e32 v27, v18, v23
	v_fmac_f32_e32 v27, v19, v22
	v_add_f32_e32 v26, v26, v27
	v_mul_f32_e32 v27, v20, v25
	v_fmac_f32_e32 v27, v21, v24
	v_add_f32_e32 v34, v26, v27
	ds_read2_b64 v[26:29], v134 offset0:73 offset1:74
	v_add_f32_e32 v2, v2, v3
	v_mul_f32_e32 v3, v13, v17
	v_fma_f32 v3, v12, v16, -v3
	v_add_f32_e32 v2, v2, v3
	s_waitcnt vmcnt(17) lgkmcnt(0)
	v_mul_f32_e32 v35, v26, v31
	v_fmac_f32_e32 v35, v27, v30
	v_add_f32_e32 v34, v34, v35
	v_mul_f32_e32 v35, v28, v33
	v_fmac_f32_e32 v35, v29, v32
	v_add_f32_e32 v42, v34, v35
	ds_read2_b64 v[34:37], v134 offset0:75 offset1:76
	v_mul_f32_e32 v3, v19, v23
	v_fma_f32 v3, v18, v22, -v3
	v_add_f32_e32 v2, v2, v3
	v_mul_f32_e32 v3, v21, v25
	s_waitcnt vmcnt(16) lgkmcnt(0)
	v_mul_f32_e32 v43, v34, v39
	v_fmac_f32_e32 v43, v35, v38
	v_add_f32_e32 v42, v42, v43
	v_mul_f32_e32 v43, v36, v41
	v_fmac_f32_e32 v43, v37, v40
	v_add_f32_e32 v50, v42, v43
	ds_read2_b64 v[42:45], v134 offset0:77 offset1:78
	v_fma_f32 v3, v20, v24, -v3
	v_add_f32_e32 v2, v2, v3
	v_mul_f32_e32 v3, v27, v31
	v_fma_f32 v3, v26, v30, -v3
	s_waitcnt vmcnt(15) lgkmcnt(0)
	v_mul_f32_e32 v51, v42, v47
	v_fmac_f32_e32 v51, v43, v46
	v_add_f32_e32 v50, v50, v51
	v_mul_f32_e32 v51, v44, v49
	v_fmac_f32_e32 v51, v45, v48
	v_add_f32_e32 v58, v50, v51
	ds_read2_b64 v[50:53], v134 offset0:79 offset1:80
	v_add_f32_e32 v2, v2, v3
	v_mul_f32_e32 v3, v29, v33
	v_fma_f32 v3, v28, v32, -v3
	v_add_f32_e32 v2, v2, v3
	s_waitcnt vmcnt(14) lgkmcnt(0)
	v_mul_f32_e32 v59, v50, v55
	v_fmac_f32_e32 v59, v51, v54
	v_add_f32_e32 v58, v58, v59
	v_mul_f32_e32 v59, v52, v57
	v_fmac_f32_e32 v59, v53, v56
	v_add_f32_e32 v66, v58, v59
	ds_read2_b64 v[58:61], v134 offset0:81 offset1:82
	v_mul_f32_e32 v3, v35, v39
	v_fma_f32 v3, v34, v38, -v3
	v_add_f32_e32 v2, v2, v3
	v_mul_f32_e32 v3, v37, v41
	;; [unrolled: 36-line block ×5, first 2 shown]
	s_waitcnt vmcnt(4) lgkmcnt(0)
	v_mul_f32_e32 v140, v130, v137
	v_fmac_f32_e32 v140, v131, v136
	v_add_f32_e32 v135, v135, v140
	v_mul_f32_e32 v140, v132, v139
	v_fmac_f32_e32 v140, v133, v138
	v_add_f32_e32 v135, v135, v140
	ds_read2_b64 v[140:143], v134 offset0:101 offset1:102
	scratch_load_dwordx4 v[184:187], off, off offset:408
	scratch_load_dwordx4 v[188:191], off, off offset:424
	scratch_load_dwordx4 v[192:195], off, off offset:440
	scratch_load_dwordx2 v[200:201], off, off offset:456
	v_fma_f32 v3, v84, v88, -v3
	v_add_f32_e32 v2, v2, v3
	v_mul_f32_e32 v3, v91, v95
	v_fma_f32 v3, v90, v94, -v3
	v_add_f32_e32 v2, v2, v3
	v_mul_f32_e32 v3, v93, v97
	;; [unrolled: 3-line block ×12, first 2 shown]
	v_fma_f32 v3, v132, v138, -v3
	s_waitcnt vmcnt(7) lgkmcnt(0)
	v_mul_f32_e32 v148, v140, v145
	v_add_f32_e32 v2, v2, v3
	v_mul_f32_e32 v3, v141, v145
	v_fmac_f32_e32 v148, v141, v144
	v_fma_f32 v3, v140, v144, -v3
	v_add_f32_e32 v135, v135, v148
	v_mul_f32_e32 v148, v142, v147
	v_add_f32_e32 v2, v2, v3
	v_mul_f32_e32 v3, v143, v147
	v_fmac_f32_e32 v148, v143, v146
	v_fma_f32 v3, v142, v146, -v3
	v_add_f32_e32 v135, v135, v148
	s_waitcnt vmcnt(6)
	v_mul_f32_e32 v148, v160, v165
	v_add_f32_e32 v2, v2, v3
	v_mul_f32_e32 v3, v161, v165
	v_fmac_f32_e32 v148, v161, v164
	v_fma_f32 v3, v160, v164, -v3
	v_add_f32_e32 v135, v135, v148
	v_mul_f32_e32 v148, v162, v167
	v_add_f32_e32 v2, v2, v3
	v_mul_f32_e32 v3, v163, v167
	v_fmac_f32_e32 v148, v163, v166
	v_fma_f32 v3, v162, v166, -v3
	v_add_f32_e32 v135, v135, v148
	s_waitcnt vmcnt(5)
	v_mul_f32_e32 v148, v168, v173
	v_add_f32_e32 v2, v2, v3
	v_mul_f32_e32 v3, v169, v173
	v_fmac_f32_e32 v148, v169, v172
	v_fma_f32 v3, v168, v172, -v3
	v_add_f32_e32 v149, v135, v148
	v_add_f32_e32 v148, v2, v3
	v_mul_f32_e32 v2, v171, v175
	v_mul_f32_e32 v197, v170, v175
	v_fma_f32 v196, v170, v174, -v2
	s_waitcnt vmcnt(4)
	v_mul_f32_e32 v2, v177, v181
	v_mov_b32_e32 v18, v183
	v_fmac_f32_e32 v197, v171, v174
	v_mul_f32_e32 v199, v176, v181
	v_fma_f32 v198, v176, v180, -v2
	ds_read2_b64 v[2:5], v134 offset0:109 offset1:110
	ds_read2_b64 v[6:9], v134 offset0:111 offset1:112
	;; [unrolled: 1-line block ×3, first 2 shown]
	ds_read_b64 v[14:15], v134 offset:920
	v_pk_mul_f32 v[18:19], v[178:179], v[18:19] op_sel:[1,0] op_sel_hi:[0,0]
	v_fmac_f32_e32 v199, v177, v180
	v_pk_add_f32 v[16:17], v[148:149], v[196:197]
	v_pk_fma_f32 v[20:21], v[178:179], v[182:183], v[18:19] neg_lo:[0,0,1] neg_hi:[0,0,1]
	v_pk_fma_f32 v[18:19], v[178:179], v[182:183], v[18:19] op_sel_hi:[1,0,1]
	v_pk_add_f32 v[16:17], v[16:17], v[198:199]
	v_mov_b32_e32 v21, v19
	s_waitcnt vmcnt(3) lgkmcnt(3)
	v_pk_mul_f32 v[18:19], v[2:3], v[184:185] op_sel:[1,1] op_sel_hi:[0,1]
	v_pk_add_f32 v[16:17], v[16:17], v[20:21]
	v_pk_fma_f32 v[20:21], v[2:3], v[184:185], v[18:19] neg_lo:[0,0,1] neg_hi:[0,0,1]
	v_pk_fma_f32 v[2:3], v[2:3], v[184:185], v[18:19] op_sel_hi:[1,0,1]
	s_nop 0
	v_mov_b32_e32 v21, v3
	v_pk_add_f32 v[2:3], v[16:17], v[20:21]
	v_mov_b32_e32 v16, v187
	v_pk_mul_f32 v[16:17], v[4:5], v[16:17] op_sel:[1,0] op_sel_hi:[0,0]
	v_pk_fma_f32 v[18:19], v[4:5], v[186:187], v[16:17] neg_lo:[0,0,1] neg_hi:[0,0,1]
	v_pk_fma_f32 v[4:5], v[4:5], v[186:187], v[16:17] op_sel_hi:[1,0,1]
	s_nop 0
	v_mov_b32_e32 v19, v5
	s_waitcnt vmcnt(2) lgkmcnt(2)
	v_pk_mul_f32 v[4:5], v[6:7], v[188:189] op_sel:[1,1] op_sel_hi:[0,1]
	v_pk_fma_f32 v[16:17], v[6:7], v[188:189], v[4:5] neg_lo:[0,0,1] neg_hi:[0,0,1]
	v_pk_fma_f32 v[4:5], v[6:7], v[188:189], v[4:5] op_sel_hi:[1,0,1]
	v_pk_add_f32 v[2:3], v[2:3], v[18:19]
	v_mov_b32_e32 v4, v191
	v_mov_b32_e32 v17, v5
	v_pk_mul_f32 v[4:5], v[8:9], v[4:5] op_sel:[1,0] op_sel_hi:[0,0]
	v_pk_fma_f32 v[6:7], v[8:9], v[190:191], v[4:5] neg_lo:[0,0,1] neg_hi:[0,0,1]
	v_pk_fma_f32 v[4:5], v[8:9], v[190:191], v[4:5] op_sel_hi:[1,0,1]
	v_pk_add_f32 v[2:3], v[2:3], v[16:17]
	v_mov_b32_e32 v7, v5
	s_waitcnt vmcnt(1) lgkmcnt(1)
	v_pk_mul_f32 v[4:5], v[10:11], v[192:193] op_sel:[1,1] op_sel_hi:[0,1]
	v_pk_add_f32 v[2:3], v[2:3], v[6:7]
	v_pk_fma_f32 v[6:7], v[10:11], v[192:193], v[4:5] neg_lo:[0,0,1] neg_hi:[0,0,1]
	v_pk_fma_f32 v[4:5], v[10:11], v[192:193], v[4:5] op_sel_hi:[1,0,1]
	s_nop 0
	v_mov_b32_e32 v4, v195
	v_mov_b32_e32 v7, v5
	v_pk_mul_f32 v[4:5], v[12:13], v[4:5] op_sel:[1,0] op_sel_hi:[0,0]
	v_pk_add_f32 v[2:3], v[2:3], v[6:7]
	v_pk_fma_f32 v[6:7], v[12:13], v[194:195], v[4:5] neg_lo:[0,0,1] neg_hi:[0,0,1]
	v_pk_fma_f32 v[4:5], v[12:13], v[194:195], v[4:5] op_sel_hi:[1,0,1]
	s_nop 0
	v_mov_b32_e32 v7, v5
	s_waitcnt vmcnt(0) lgkmcnt(0)
	v_pk_mul_f32 v[4:5], v[14:15], v[200:201] op_sel:[1,1] op_sel_hi:[0,1]
	v_pk_add_f32 v[2:3], v[2:3], v[6:7]
	v_pk_fma_f32 v[6:7], v[14:15], v[200:201], v[4:5] neg_lo:[0,0,1] neg_hi:[0,0,1]
	v_pk_fma_f32 v[4:5], v[14:15], v[200:201], v[4:5] op_sel_hi:[1,0,1]
	s_nop 0
	v_mov_b32_e32 v7, v5
	scratch_load_dwordx2 v[4:5], off, off offset:64
	v_pk_add_f32 v[2:3], v[2:3], v[6:7]
	s_waitcnt vmcnt(0)
	v_pk_add_f32 v[2:3], v[4:5], v[2:3] neg_lo:[0,1] neg_hi:[0,1]
	scratch_store_dwordx2 off, v[2:3], off offset:64
	s_and_saveexec_b64 s[0:1], vcc
	s_cbranch_execz .LBB57_347
; %bb.346:
	scratch_load_dwordx2 v[2:3], off, off offset:56
	v_mov_b32_e32 v135, v134
	scratch_store_dwordx2 off, v[134:135], off offset:56
	s_waitcnt vmcnt(1)
	ds_write_b64 v1, v[2:3]
.LBB57_347:
	s_or_b64 exec, exec, s[0:1]
	s_waitcnt lgkmcnt(0)
	; wave barrier
	ds_read_b128 v[14:17], v134 offset:528
	ds_read_b128 v[10:13], v134 offset:544
	;; [unrolled: 1-line block ×4, first 2 shown]
	scratch_load_dwordx4 v[18:21], off, off offset:64
	scratch_load_dwordx4 v[38:41], off, off offset:128
	;; [unrolled: 1-line block ×15, first 2 shown]
	v_cmp_lt_u32_e32 vcc, 6, v0
	scratch_load_dwordx4 v[46:49], off, off offset:144
	scratch_load_dwordx4 v[54:57], off, off offset:160
	;; [unrolled: 1-line block ×3, first 2 shown]
	ds_read_b128 v[160:163], v134 offset:816
	ds_read_b128 v[168:171], v134 offset:832
	ds_read_b128 v[176:179], v134 offset:848
	s_waitcnt vmcnt(17) lgkmcnt(6)
	v_mul_f32_e32 v22, v14, v19
	v_fmac_f32_e32 v22, v15, v18
	v_mul_f32_e32 v23, v16, v21
	v_add_f32_e32 v22, 0, v22
	v_fmac_f32_e32 v23, v17, v20
	v_add_f32_e32 v26, v22, v23
	scratch_load_dwordx4 v[22:25], off, off offset:80
	v_mul_f32_e32 v15, v15, v19
	v_fma_f32 v14, v14, v18, -v15
	v_mul_f32_e32 v15, v17, v21
	v_add_f32_e32 v14, 0, v14
	v_fma_f32 v15, v16, v20, -v15
	v_add_f32_e32 v14, v14, v15
	s_waitcnt vmcnt(4) lgkmcnt(0)
	v_mul_f32_e32 v201, v176, v181
	v_mul_f32_e32 v203, v178, v183
	v_fmac_f32_e32 v201, v177, v180
	v_fmac_f32_e32 v203, v179, v182
	s_waitcnt vmcnt(0)
	v_mul_f32_e32 v27, v10, v23
	v_fmac_f32_e32 v27, v11, v22
	v_add_f32_e32 v26, v26, v27
	v_mul_f32_e32 v27, v12, v25
	v_fmac_f32_e32 v27, v13, v24
	v_add_f32_e32 v30, v26, v27
	scratch_load_dwordx4 v[26:29], off, off offset:96
	v_mul_f32_e32 v11, v11, v23
	v_fma_f32 v10, v10, v22, -v11
	v_mul_f32_e32 v11, v13, v25
	v_add_f32_e32 v10, v14, v10
	v_fma_f32 v11, v12, v24, -v11
	v_add_f32_e32 v10, v10, v11
	s_waitcnt vmcnt(0)
	v_mul_f32_e32 v31, v6, v27
	v_fmac_f32_e32 v31, v7, v26
	v_add_f32_e32 v30, v30, v31
	v_mul_f32_e32 v31, v8, v29
	v_fmac_f32_e32 v31, v9, v28
	v_add_f32_e32 v34, v30, v31
	scratch_load_dwordx4 v[30:33], off, off offset:112
	v_mul_f32_e32 v7, v7, v27
	v_fma_f32 v6, v6, v26, -v7
	v_mul_f32_e32 v7, v9, v29
	v_add_f32_e32 v6, v10, v6
	v_fma_f32 v7, v8, v28, -v7
	v_add_f32_e32 v6, v6, v7
	s_waitcnt vmcnt(0)
	v_mul_f32_e32 v35, v2, v31
	v_fmac_f32_e32 v35, v3, v30
	v_add_f32_e32 v34, v34, v35
	v_mul_f32_e32 v35, v4, v33
	v_fmac_f32_e32 v35, v5, v32
	v_add_f32_e32 v42, v34, v35
	ds_read_b128 v[34:37], v134 offset:592
	v_mul_f32_e32 v3, v3, v31
	v_fma_f32 v2, v2, v30, -v3
	v_mul_f32_e32 v3, v5, v33
	v_add_f32_e32 v2, v6, v2
	s_waitcnt lgkmcnt(0)
	v_mul_f32_e32 v43, v34, v39
	v_fmac_f32_e32 v43, v35, v38
	v_add_f32_e32 v42, v42, v43
	v_mul_f32_e32 v43, v36, v41
	v_fmac_f32_e32 v43, v37, v40
	v_add_f32_e32 v50, v42, v43
	ds_read_b128 v[42:45], v134 offset:608
	v_fma_f32 v3, v4, v32, -v3
	v_add_f32_e32 v2, v2, v3
	v_mul_f32_e32 v3, v35, v39
	v_fma_f32 v3, v34, v38, -v3
	s_waitcnt lgkmcnt(0)
	v_mul_f32_e32 v51, v42, v47
	v_fmac_f32_e32 v51, v43, v46
	v_add_f32_e32 v50, v50, v51
	v_mul_f32_e32 v51, v44, v49
	v_fmac_f32_e32 v51, v45, v48
	v_add_f32_e32 v58, v50, v51
	ds_read_b128 v[50:53], v134 offset:624
	v_add_f32_e32 v2, v2, v3
	v_mul_f32_e32 v3, v37, v41
	v_fma_f32 v3, v36, v40, -v3
	v_add_f32_e32 v2, v2, v3
	s_waitcnt lgkmcnt(0)
	v_mul_f32_e32 v59, v50, v55
	v_fmac_f32_e32 v59, v51, v54
	v_add_f32_e32 v58, v58, v59
	v_mul_f32_e32 v59, v52, v57
	v_fmac_f32_e32 v59, v53, v56
	v_add_f32_e32 v66, v58, v59
	ds_read_b128 v[58:61], v134 offset:640
	v_mul_f32_e32 v3, v43, v47
	v_fma_f32 v3, v42, v46, -v3
	v_add_f32_e32 v2, v2, v3
	v_mul_f32_e32 v3, v45, v49
	s_waitcnt lgkmcnt(0)
	v_mul_f32_e32 v67, v58, v63
	v_fmac_f32_e32 v67, v59, v62
	v_add_f32_e32 v66, v66, v67
	v_mul_f32_e32 v67, v60, v65
	v_fmac_f32_e32 v67, v61, v64
	v_add_f32_e32 v74, v66, v67
	ds_read_b128 v[66:69], v134 offset:656
	v_fma_f32 v3, v44, v48, -v3
	v_add_f32_e32 v2, v2, v3
	v_mul_f32_e32 v3, v51, v55
	v_fma_f32 v3, v50, v54, -v3
	s_waitcnt lgkmcnt(0)
	v_mul_f32_e32 v75, v66, v71
	v_fmac_f32_e32 v75, v67, v70
	v_add_f32_e32 v74, v74, v75
	v_mul_f32_e32 v75, v68, v73
	v_fmac_f32_e32 v75, v69, v72
	v_add_f32_e32 v82, v74, v75
	ds_read_b128 v[74:77], v134 offset:672
	v_add_f32_e32 v2, v2, v3
	v_mul_f32_e32 v3, v53, v57
	v_fma_f32 v3, v52, v56, -v3
	v_add_f32_e32 v2, v2, v3
	s_waitcnt lgkmcnt(0)
	v_mul_f32_e32 v83, v74, v79
	v_fmac_f32_e32 v83, v75, v78
	v_add_f32_e32 v82, v82, v83
	v_mul_f32_e32 v83, v76, v81
	v_fmac_f32_e32 v83, v77, v80
	v_add_f32_e32 v90, v82, v83
	ds_read_b128 v[82:85], v134 offset:688
	v_mul_f32_e32 v3, v59, v63
	v_fma_f32 v3, v58, v62, -v3
	v_add_f32_e32 v2, v2, v3
	v_mul_f32_e32 v3, v61, v65
	;; [unrolled: 36-line block ×4, first 2 shown]
	s_waitcnt lgkmcnt(0)
	v_mul_f32_e32 v140, v130, v137
	v_fmac_f32_e32 v140, v131, v136
	v_add_f32_e32 v135, v135, v140
	v_mul_f32_e32 v140, v132, v139
	v_fmac_f32_e32 v140, v133, v138
	v_add_f32_e32 v135, v135, v140
	ds_read_b128 v[140:143], v134 offset:800
	scratch_load_dwordx4 v[184:187], off, off offset:400
	scratch_load_dwordx4 v[188:191], off, off offset:416
	;; [unrolled: 1-line block ×4, first 2 shown]
	v_fma_f32 v3, v92, v96, -v3
	v_add_f32_e32 v2, v2, v3
	v_mul_f32_e32 v3, v99, v103
	v_fma_f32 v3, v98, v102, -v3
	v_add_f32_e32 v2, v2, v3
	v_mul_f32_e32 v3, v101, v105
	;; [unrolled: 3-line block ×10, first 2 shown]
	v_fma_f32 v3, v132, v138, -v3
	s_waitcnt lgkmcnt(0)
	v_mul_f32_e32 v148, v140, v145
	v_add_f32_e32 v2, v2, v3
	v_mul_f32_e32 v3, v141, v145
	v_fmac_f32_e32 v148, v141, v144
	v_fma_f32 v3, v140, v144, -v3
	v_add_f32_e32 v135, v135, v148
	v_mul_f32_e32 v148, v142, v147
	v_add_f32_e32 v2, v2, v3
	v_mul_f32_e32 v3, v143, v147
	v_fmac_f32_e32 v148, v143, v146
	v_fma_f32 v3, v142, v146, -v3
	v_add_f32_e32 v135, v135, v148
	;; [unrolled: 6-line block ×6, first 2 shown]
	v_add_f32_e32 v148, v2, v3
	v_mul_f32_e32 v2, v177, v181
	v_fma_f32 v200, v176, v180, -v2
	v_mul_f32_e32 v2, v179, v183
	v_fma_f32 v202, v178, v182, -v2
	ds_read_b128 v[2:5], v134 offset:864
	ds_read_b128 v[6:9], v134 offset:880
	;; [unrolled: 1-line block ×4, first 2 shown]
	v_pk_add_f32 v[18:19], v[148:149], v[200:201]
	s_waitcnt vmcnt(3) lgkmcnt(3)
	v_pk_mul_f32 v[20:21], v[2:3], v[184:185] op_sel:[1,1] op_sel_hi:[0,1]
	v_pk_fma_f32 v[22:23], v[2:3], v[184:185], v[20:21] neg_lo:[0,0,1] neg_hi:[0,0,1]
	v_pk_fma_f32 v[2:3], v[2:3], v[184:185], v[20:21] op_sel_hi:[1,0,1]
	v_pk_add_f32 v[18:19], v[18:19], v[202:203]
	v_mov_b32_e32 v23, v3
	v_pk_add_f32 v[2:3], v[18:19], v[22:23]
	v_mov_b32_e32 v18, v187
	v_pk_mul_f32 v[18:19], v[4:5], v[18:19] op_sel:[1,0] op_sel_hi:[0,0]
	v_pk_fma_f32 v[20:21], v[4:5], v[186:187], v[18:19] neg_lo:[0,0,1] neg_hi:[0,0,1]
	v_pk_fma_f32 v[4:5], v[4:5], v[186:187], v[18:19] op_sel_hi:[1,0,1]
	s_nop 0
	v_mov_b32_e32 v21, v5
	s_waitcnt vmcnt(2) lgkmcnt(2)
	v_pk_mul_f32 v[4:5], v[6:7], v[188:189] op_sel:[1,1] op_sel_hi:[0,1]
	v_pk_fma_f32 v[18:19], v[6:7], v[188:189], v[4:5] neg_lo:[0,0,1] neg_hi:[0,0,1]
	v_pk_fma_f32 v[4:5], v[6:7], v[188:189], v[4:5] op_sel_hi:[1,0,1]
	v_pk_add_f32 v[2:3], v[2:3], v[20:21]
	v_mov_b32_e32 v4, v191
	v_mov_b32_e32 v19, v5
	v_pk_mul_f32 v[4:5], v[8:9], v[4:5] op_sel:[1,0] op_sel_hi:[0,0]
	v_pk_fma_f32 v[6:7], v[8:9], v[190:191], v[4:5] neg_lo:[0,0,1] neg_hi:[0,0,1]
	v_pk_fma_f32 v[4:5], v[8:9], v[190:191], v[4:5] op_sel_hi:[1,0,1]
	v_pk_add_f32 v[2:3], v[2:3], v[18:19]
	v_mov_b32_e32 v7, v5
	s_waitcnt vmcnt(1) lgkmcnt(1)
	v_pk_mul_f32 v[4:5], v[10:11], v[192:193] op_sel:[1,1] op_sel_hi:[0,1]
	v_pk_add_f32 v[2:3], v[2:3], v[6:7]
	v_pk_fma_f32 v[6:7], v[10:11], v[192:193], v[4:5] neg_lo:[0,0,1] neg_hi:[0,0,1]
	v_pk_fma_f32 v[4:5], v[10:11], v[192:193], v[4:5] op_sel_hi:[1,0,1]
	s_nop 0
	v_mov_b32_e32 v4, v195
	v_mov_b32_e32 v7, v5
	v_pk_mul_f32 v[4:5], v[12:13], v[4:5] op_sel:[1,0] op_sel_hi:[0,0]
	v_pk_add_f32 v[2:3], v[2:3], v[6:7]
	v_pk_fma_f32 v[6:7], v[12:13], v[194:195], v[4:5] neg_lo:[0,0,1] neg_hi:[0,0,1]
	v_pk_fma_f32 v[4:5], v[12:13], v[194:195], v[4:5] op_sel_hi:[1,0,1]
	s_nop 0
	v_mov_b32_e32 v7, v5
	s_waitcnt vmcnt(0) lgkmcnt(0)
	v_pk_mul_f32 v[4:5], v[14:15], v[196:197] op_sel:[1,1] op_sel_hi:[0,1]
	v_pk_add_f32 v[2:3], v[2:3], v[6:7]
	v_pk_fma_f32 v[6:7], v[14:15], v[196:197], v[4:5] neg_lo:[0,0,1] neg_hi:[0,0,1]
	v_pk_fma_f32 v[4:5], v[14:15], v[196:197], v[4:5] op_sel_hi:[1,0,1]
	s_nop 0
	v_mov_b32_e32 v4, v199
	v_mov_b32_e32 v7, v5
	v_pk_mul_f32 v[4:5], v[16:17], v[4:5] op_sel:[1,0] op_sel_hi:[0,0]
	v_pk_add_f32 v[2:3], v[2:3], v[6:7]
	v_pk_fma_f32 v[6:7], v[16:17], v[198:199], v[4:5] neg_lo:[0,0,1] neg_hi:[0,0,1]
	v_pk_fma_f32 v[4:5], v[16:17], v[198:199], v[4:5] op_sel_hi:[1,0,1]
	s_nop 0
	v_mov_b32_e32 v7, v5
	scratch_load_dwordx2 v[4:5], off, off offset:56
	v_pk_add_f32 v[2:3], v[2:3], v[6:7]
	s_waitcnt vmcnt(0)
	v_pk_add_f32 v[2:3], v[4:5], v[2:3] neg_lo:[0,1] neg_hi:[0,1]
	scratch_store_dwordx2 off, v[2:3], off offset:56
	s_and_saveexec_b64 s[0:1], vcc
	s_cbranch_execz .LBB57_349
; %bb.348:
	scratch_load_dwordx2 v[2:3], off, off offset:48
	v_mov_b32_e32 v4, 0
	v_mov_b32_e32 v5, v4
	scratch_store_dwordx2 off, v[4:5], off offset:48
	s_waitcnt vmcnt(1)
	ds_write_b64 v1, v[2:3]
.LBB57_349:
	s_or_b64 exec, exec, s[0:1]
	s_waitcnt lgkmcnt(0)
	; wave barrier
	scratch_load_dwordx4 v[6:9], off, off offset:56
	scratch_load_dwordx4 v[14:17], off, off offset:72
	;; [unrolled: 1-line block ×10, first 2 shown]
	v_mov_b32_e32 v142, 0
	ds_read2_b64 v[2:5], v142 offset0:65 offset1:66
	ds_read2_b64 v[160:163], v142 offset0:101 offset1:102
	scratch_load_dwordx4 v[86:89], off, off offset:216
	scratch_load_dwordx4 v[94:97], off, off offset:232
	;; [unrolled: 1-line block ×12, first 2 shown]
	v_cmp_lt_u32_e32 vcc, 5, v0
	ds_read2_b64 v[168:171], v142 offset0:103 offset1:104
	ds_read2_b64 v[176:179], v142 offset0:105 offset1:106
	;; [unrolled: 1-line block ×3, first 2 shown]
	s_waitcnt vmcnt(21) lgkmcnt(4)
	v_mul_f32_e32 v10, v2, v7
	v_fmac_f32_e32 v10, v3, v6
	v_mul_f32_e32 v11, v4, v9
	v_add_f32_e32 v10, 0, v10
	v_fmac_f32_e32 v11, v5, v8
	v_add_f32_e32 v18, v10, v11
	ds_read2_b64 v[10:13], v142 offset0:67 offset1:68
	v_mul_f32_e32 v3, v3, v7
	v_fma_f32 v2, v2, v6, -v3
	v_mul_f32_e32 v3, v5, v9
	v_add_f32_e32 v2, 0, v2
	s_waitcnt vmcnt(20) lgkmcnt(0)
	v_mul_f32_e32 v19, v10, v15
	v_fmac_f32_e32 v19, v11, v14
	v_add_f32_e32 v18, v18, v19
	v_mul_f32_e32 v19, v12, v17
	v_fmac_f32_e32 v19, v13, v16
	v_add_f32_e32 v26, v18, v19
	ds_read2_b64 v[18:21], v142 offset0:69 offset1:70
	v_fma_f32 v3, v4, v8, -v3
	v_add_f32_e32 v2, v2, v3
	v_mul_f32_e32 v3, v11, v15
	v_fma_f32 v3, v10, v14, -v3
	s_waitcnt vmcnt(19) lgkmcnt(0)
	v_mul_f32_e32 v27, v18, v23
	v_fmac_f32_e32 v27, v19, v22
	v_add_f32_e32 v26, v26, v27
	v_mul_f32_e32 v27, v20, v25
	v_fmac_f32_e32 v27, v21, v24
	v_add_f32_e32 v34, v26, v27
	ds_read2_b64 v[26:29], v142 offset0:71 offset1:72
	v_add_f32_e32 v2, v2, v3
	v_mul_f32_e32 v3, v13, v17
	v_fma_f32 v3, v12, v16, -v3
	v_add_f32_e32 v2, v2, v3
	s_waitcnt vmcnt(18) lgkmcnt(0)
	v_mul_f32_e32 v35, v26, v31
	v_fmac_f32_e32 v35, v27, v30
	v_add_f32_e32 v34, v34, v35
	v_mul_f32_e32 v35, v28, v33
	v_fmac_f32_e32 v35, v29, v32
	v_add_f32_e32 v42, v34, v35
	ds_read2_b64 v[34:37], v142 offset0:73 offset1:74
	v_mul_f32_e32 v3, v19, v23
	v_fma_f32 v3, v18, v22, -v3
	v_add_f32_e32 v2, v2, v3
	v_mul_f32_e32 v3, v21, v25
	s_waitcnt vmcnt(17) lgkmcnt(0)
	v_mul_f32_e32 v43, v34, v39
	v_fmac_f32_e32 v43, v35, v38
	v_add_f32_e32 v42, v42, v43
	v_mul_f32_e32 v43, v36, v41
	v_fmac_f32_e32 v43, v37, v40
	v_add_f32_e32 v50, v42, v43
	ds_read2_b64 v[42:45], v142 offset0:75 offset1:76
	v_fma_f32 v3, v20, v24, -v3
	v_add_f32_e32 v2, v2, v3
	v_mul_f32_e32 v3, v27, v31
	v_fma_f32 v3, v26, v30, -v3
	s_waitcnt vmcnt(16) lgkmcnt(0)
	v_mul_f32_e32 v51, v42, v47
	v_fmac_f32_e32 v51, v43, v46
	v_add_f32_e32 v50, v50, v51
	v_mul_f32_e32 v51, v44, v49
	v_fmac_f32_e32 v51, v45, v48
	v_add_f32_e32 v58, v50, v51
	ds_read2_b64 v[50:53], v142 offset0:77 offset1:78
	v_add_f32_e32 v2, v2, v3
	v_mul_f32_e32 v3, v29, v33
	v_fma_f32 v3, v28, v32, -v3
	v_add_f32_e32 v2, v2, v3
	s_waitcnt vmcnt(15) lgkmcnt(0)
	v_mul_f32_e32 v59, v50, v55
	v_fmac_f32_e32 v59, v51, v54
	v_add_f32_e32 v58, v58, v59
	v_mul_f32_e32 v59, v52, v57
	v_fmac_f32_e32 v59, v53, v56
	v_add_f32_e32 v66, v58, v59
	ds_read2_b64 v[58:61], v142 offset0:79 offset1:80
	v_mul_f32_e32 v3, v35, v39
	v_fma_f32 v3, v34, v38, -v3
	v_add_f32_e32 v2, v2, v3
	v_mul_f32_e32 v3, v37, v41
	;; [unrolled: 36-line block ×5, first 2 shown]
	s_waitcnt vmcnt(5) lgkmcnt(0)
	v_mul_f32_e32 v139, v130, v135
	v_fmac_f32_e32 v139, v131, v134
	v_add_f32_e32 v138, v138, v139
	v_mul_f32_e32 v139, v132, v137
	v_fmac_f32_e32 v139, v133, v136
	v_add_f32_e32 v143, v138, v139
	ds_read2_b64 v[138:141], v142 offset0:99 offset1:100
	scratch_load_dwordx4 v[192:195], off, off offset:408
	scratch_load_dwordx4 v[196:199], off, off offset:424
	;; [unrolled: 1-line block ×3, first 2 shown]
	scratch_load_dwordx2 v[208:209], off, off offset:456
	v_fma_f32 v3, v84, v88, -v3
	v_add_f32_e32 v2, v2, v3
	v_mul_f32_e32 v3, v91, v95
	v_fma_f32 v3, v90, v94, -v3
	v_add_f32_e32 v2, v2, v3
	v_mul_f32_e32 v3, v93, v97
	;; [unrolled: 3-line block ×12, first 2 shown]
	v_fma_f32 v3, v132, v136, -v3
	s_waitcnt vmcnt(8) lgkmcnt(0)
	v_mul_f32_e32 v148, v138, v145
	v_add_f32_e32 v2, v2, v3
	v_mul_f32_e32 v3, v139, v145
	v_fmac_f32_e32 v148, v139, v144
	v_fma_f32 v3, v138, v144, -v3
	v_add_f32_e32 v143, v143, v148
	v_mul_f32_e32 v148, v140, v147
	v_add_f32_e32 v2, v2, v3
	v_mul_f32_e32 v3, v141, v147
	v_fmac_f32_e32 v148, v141, v146
	v_fma_f32 v3, v140, v146, -v3
	v_add_f32_e32 v143, v143, v148
	s_waitcnt vmcnt(7)
	v_mul_f32_e32 v148, v160, v165
	v_add_f32_e32 v2, v2, v3
	v_mul_f32_e32 v3, v161, v165
	v_fmac_f32_e32 v148, v161, v164
	v_fma_f32 v3, v160, v164, -v3
	v_add_f32_e32 v143, v143, v148
	v_mul_f32_e32 v148, v162, v167
	v_add_f32_e32 v2, v2, v3
	v_mul_f32_e32 v3, v163, v167
	v_fmac_f32_e32 v148, v163, v166
	v_fma_f32 v3, v162, v166, -v3
	v_add_f32_e32 v143, v143, v148
	s_waitcnt vmcnt(6)
	;; [unrolled: 13-line block ×3, first 2 shown]
	v_mul_f32_e32 v148, v176, v181
	v_add_f32_e32 v2, v2, v3
	v_mul_f32_e32 v3, v177, v181
	v_fmac_f32_e32 v148, v177, v180
	v_fma_f32 v3, v176, v180, -v3
	v_add_f32_e32 v149, v143, v148
	v_add_f32_e32 v148, v2, v3
	v_mul_f32_e32 v2, v179, v183
	v_mul_f32_e32 v205, v178, v183
	v_fma_f32 v204, v178, v182, -v2
	s_waitcnt vmcnt(4)
	v_mul_f32_e32 v2, v185, v189
	v_mov_b32_e32 v18, v191
	v_fmac_f32_e32 v205, v179, v182
	v_mul_f32_e32 v207, v184, v189
	v_fma_f32 v206, v184, v188, -v2
	ds_read2_b64 v[2:5], v142 offset0:109 offset1:110
	ds_read2_b64 v[6:9], v142 offset0:111 offset1:112
	;; [unrolled: 1-line block ×3, first 2 shown]
	ds_read_b64 v[14:15], v142 offset:920
	v_pk_mul_f32 v[18:19], v[186:187], v[18:19] op_sel:[1,0] op_sel_hi:[0,0]
	v_fmac_f32_e32 v207, v185, v188
	v_pk_add_f32 v[16:17], v[148:149], v[204:205]
	v_pk_fma_f32 v[20:21], v[186:187], v[190:191], v[18:19] neg_lo:[0,0,1] neg_hi:[0,0,1]
	v_pk_fma_f32 v[18:19], v[186:187], v[190:191], v[18:19] op_sel_hi:[1,0,1]
	v_pk_add_f32 v[16:17], v[16:17], v[206:207]
	v_mov_b32_e32 v21, v19
	s_waitcnt vmcnt(3) lgkmcnt(3)
	v_pk_mul_f32 v[18:19], v[2:3], v[192:193] op_sel:[1,1] op_sel_hi:[0,1]
	v_pk_add_f32 v[16:17], v[16:17], v[20:21]
	v_pk_fma_f32 v[20:21], v[2:3], v[192:193], v[18:19] neg_lo:[0,0,1] neg_hi:[0,0,1]
	v_pk_fma_f32 v[2:3], v[2:3], v[192:193], v[18:19] op_sel_hi:[1,0,1]
	s_nop 0
	v_mov_b32_e32 v21, v3
	v_pk_add_f32 v[2:3], v[16:17], v[20:21]
	v_mov_b32_e32 v16, v195
	v_pk_mul_f32 v[16:17], v[4:5], v[16:17] op_sel:[1,0] op_sel_hi:[0,0]
	v_pk_fma_f32 v[18:19], v[4:5], v[194:195], v[16:17] neg_lo:[0,0,1] neg_hi:[0,0,1]
	v_pk_fma_f32 v[4:5], v[4:5], v[194:195], v[16:17] op_sel_hi:[1,0,1]
	s_nop 0
	v_mov_b32_e32 v19, v5
	s_waitcnt vmcnt(2) lgkmcnt(2)
	v_pk_mul_f32 v[4:5], v[6:7], v[196:197] op_sel:[1,1] op_sel_hi:[0,1]
	v_pk_fma_f32 v[16:17], v[6:7], v[196:197], v[4:5] neg_lo:[0,0,1] neg_hi:[0,0,1]
	v_pk_fma_f32 v[4:5], v[6:7], v[196:197], v[4:5] op_sel_hi:[1,0,1]
	v_pk_add_f32 v[2:3], v[2:3], v[18:19]
	v_mov_b32_e32 v4, v199
	v_mov_b32_e32 v17, v5
	v_pk_mul_f32 v[4:5], v[8:9], v[4:5] op_sel:[1,0] op_sel_hi:[0,0]
	v_pk_fma_f32 v[6:7], v[8:9], v[198:199], v[4:5] neg_lo:[0,0,1] neg_hi:[0,0,1]
	v_pk_fma_f32 v[4:5], v[8:9], v[198:199], v[4:5] op_sel_hi:[1,0,1]
	v_pk_add_f32 v[2:3], v[2:3], v[16:17]
	v_mov_b32_e32 v7, v5
	s_waitcnt vmcnt(1) lgkmcnt(1)
	v_pk_mul_f32 v[4:5], v[10:11], v[200:201] op_sel:[1,1] op_sel_hi:[0,1]
	v_pk_add_f32 v[2:3], v[2:3], v[6:7]
	v_pk_fma_f32 v[6:7], v[10:11], v[200:201], v[4:5] neg_lo:[0,0,1] neg_hi:[0,0,1]
	v_pk_fma_f32 v[4:5], v[10:11], v[200:201], v[4:5] op_sel_hi:[1,0,1]
	s_nop 0
	v_mov_b32_e32 v4, v203
	v_mov_b32_e32 v7, v5
	v_pk_mul_f32 v[4:5], v[12:13], v[4:5] op_sel:[1,0] op_sel_hi:[0,0]
	v_pk_add_f32 v[2:3], v[2:3], v[6:7]
	v_pk_fma_f32 v[6:7], v[12:13], v[202:203], v[4:5] neg_lo:[0,0,1] neg_hi:[0,0,1]
	v_pk_fma_f32 v[4:5], v[12:13], v[202:203], v[4:5] op_sel_hi:[1,0,1]
	s_nop 0
	v_mov_b32_e32 v7, v5
	s_waitcnt vmcnt(0) lgkmcnt(0)
	v_pk_mul_f32 v[4:5], v[14:15], v[208:209] op_sel:[1,1] op_sel_hi:[0,1]
	v_pk_add_f32 v[2:3], v[2:3], v[6:7]
	v_pk_fma_f32 v[6:7], v[14:15], v[208:209], v[4:5] neg_lo:[0,0,1] neg_hi:[0,0,1]
	v_pk_fma_f32 v[4:5], v[14:15], v[208:209], v[4:5] op_sel_hi:[1,0,1]
	s_nop 0
	v_mov_b32_e32 v7, v5
	scratch_load_dwordx2 v[4:5], off, off offset:48
	v_pk_add_f32 v[2:3], v[2:3], v[6:7]
	s_waitcnt vmcnt(0)
	v_pk_add_f32 v[2:3], v[4:5], v[2:3] neg_lo:[0,1] neg_hi:[0,1]
	scratch_store_dwordx2 off, v[2:3], off offset:48
	s_and_saveexec_b64 s[0:1], vcc
	s_cbranch_execz .LBB57_351
; %bb.350:
	scratch_load_dwordx2 v[2:3], off, off offset:40
	v_mov_b32_e32 v143, v142
	scratch_store_dwordx2 off, v[142:143], off offset:40
	s_waitcnt vmcnt(1)
	ds_write_b64 v1, v[2:3]
.LBB57_351:
	s_or_b64 exec, exec, s[0:1]
	s_waitcnt lgkmcnt(0)
	; wave barrier
	ds_read_b128 v[14:17], v142 offset:512
	ds_read_b128 v[10:13], v142 offset:528
	;; [unrolled: 1-line block ×4, first 2 shown]
	scratch_load_dwordx4 v[18:21], off, off offset:48
	scratch_load_dwordx4 v[38:41], off, off offset:112
	;; [unrolled: 1-line block ×16, first 2 shown]
	v_cmp_lt_u32_e32 vcc, 4, v0
	scratch_load_dwordx4 v[46:49], off, off offset:128
	scratch_load_dwordx4 v[54:57], off, off offset:144
	;; [unrolled: 1-line block ×3, first 2 shown]
	ds_read_b128 v[160:163], v142 offset:800
	ds_read_b128 v[168:171], v142 offset:816
	;; [unrolled: 1-line block ×4, first 2 shown]
	s_waitcnt vmcnt(18) lgkmcnt(7)
	v_mul_f32_e32 v22, v14, v19
	v_fmac_f32_e32 v22, v15, v18
	v_mul_f32_e32 v23, v16, v21
	v_add_f32_e32 v22, 0, v22
	v_fmac_f32_e32 v23, v17, v20
	v_add_f32_e32 v26, v22, v23
	scratch_load_dwordx4 v[22:25], off, off offset:64
	v_mul_f32_e32 v15, v15, v19
	v_fma_f32 v14, v14, v18, -v15
	v_mul_f32_e32 v15, v17, v21
	v_add_f32_e32 v14, 0, v14
	v_fma_f32 v15, v16, v20, -v15
	v_add_f32_e32 v14, v14, v15
	s_waitcnt vmcnt(4) lgkmcnt(0)
	v_mul_f32_e32 v209, v184, v189
	v_mul_f32_e32 v211, v186, v191
	v_fmac_f32_e32 v209, v185, v188
	v_fmac_f32_e32 v211, v187, v190
	s_waitcnt vmcnt(0)
	v_mul_f32_e32 v27, v10, v23
	v_fmac_f32_e32 v27, v11, v22
	v_add_f32_e32 v26, v26, v27
	v_mul_f32_e32 v27, v12, v25
	v_fmac_f32_e32 v27, v13, v24
	v_add_f32_e32 v30, v26, v27
	scratch_load_dwordx4 v[26:29], off, off offset:80
	v_mul_f32_e32 v11, v11, v23
	v_fma_f32 v10, v10, v22, -v11
	v_mul_f32_e32 v11, v13, v25
	v_add_f32_e32 v10, v14, v10
	v_fma_f32 v11, v12, v24, -v11
	v_add_f32_e32 v10, v10, v11
	s_waitcnt vmcnt(0)
	v_mul_f32_e32 v31, v6, v27
	v_fmac_f32_e32 v31, v7, v26
	v_add_f32_e32 v30, v30, v31
	v_mul_f32_e32 v31, v8, v29
	v_fmac_f32_e32 v31, v9, v28
	v_add_f32_e32 v34, v30, v31
	scratch_load_dwordx4 v[30:33], off, off offset:96
	v_mul_f32_e32 v7, v7, v27
	v_fma_f32 v6, v6, v26, -v7
	v_mul_f32_e32 v7, v9, v29
	v_add_f32_e32 v6, v10, v6
	v_fma_f32 v7, v8, v28, -v7
	v_add_f32_e32 v6, v6, v7
	s_waitcnt vmcnt(0)
	v_mul_f32_e32 v35, v2, v31
	v_fmac_f32_e32 v35, v3, v30
	v_add_f32_e32 v34, v34, v35
	v_mul_f32_e32 v35, v4, v33
	v_fmac_f32_e32 v35, v5, v32
	v_add_f32_e32 v42, v34, v35
	ds_read_b128 v[34:37], v142 offset:576
	v_mul_f32_e32 v3, v3, v31
	v_fma_f32 v2, v2, v30, -v3
	v_mul_f32_e32 v3, v5, v33
	v_add_f32_e32 v2, v6, v2
	s_waitcnt lgkmcnt(0)
	v_mul_f32_e32 v43, v34, v39
	v_fmac_f32_e32 v43, v35, v38
	v_add_f32_e32 v42, v42, v43
	v_mul_f32_e32 v43, v36, v41
	v_fmac_f32_e32 v43, v37, v40
	v_add_f32_e32 v50, v42, v43
	ds_read_b128 v[42:45], v142 offset:592
	v_fma_f32 v3, v4, v32, -v3
	v_add_f32_e32 v2, v2, v3
	v_mul_f32_e32 v3, v35, v39
	v_fma_f32 v3, v34, v38, -v3
	s_waitcnt lgkmcnt(0)
	v_mul_f32_e32 v51, v42, v47
	v_fmac_f32_e32 v51, v43, v46
	v_add_f32_e32 v50, v50, v51
	v_mul_f32_e32 v51, v44, v49
	v_fmac_f32_e32 v51, v45, v48
	v_add_f32_e32 v58, v50, v51
	ds_read_b128 v[50:53], v142 offset:608
	v_add_f32_e32 v2, v2, v3
	v_mul_f32_e32 v3, v37, v41
	v_fma_f32 v3, v36, v40, -v3
	v_add_f32_e32 v2, v2, v3
	s_waitcnt lgkmcnt(0)
	v_mul_f32_e32 v59, v50, v55
	v_fmac_f32_e32 v59, v51, v54
	v_add_f32_e32 v58, v58, v59
	v_mul_f32_e32 v59, v52, v57
	v_fmac_f32_e32 v59, v53, v56
	v_add_f32_e32 v66, v58, v59
	ds_read_b128 v[58:61], v142 offset:624
	v_mul_f32_e32 v3, v43, v47
	v_fma_f32 v3, v42, v46, -v3
	v_add_f32_e32 v2, v2, v3
	v_mul_f32_e32 v3, v45, v49
	s_waitcnt lgkmcnt(0)
	v_mul_f32_e32 v67, v58, v63
	v_fmac_f32_e32 v67, v59, v62
	v_add_f32_e32 v66, v66, v67
	v_mul_f32_e32 v67, v60, v65
	v_fmac_f32_e32 v67, v61, v64
	v_add_f32_e32 v74, v66, v67
	ds_read_b128 v[66:69], v142 offset:640
	v_fma_f32 v3, v44, v48, -v3
	v_add_f32_e32 v2, v2, v3
	v_mul_f32_e32 v3, v51, v55
	v_fma_f32 v3, v50, v54, -v3
	s_waitcnt lgkmcnt(0)
	v_mul_f32_e32 v75, v66, v71
	v_fmac_f32_e32 v75, v67, v70
	v_add_f32_e32 v74, v74, v75
	v_mul_f32_e32 v75, v68, v73
	v_fmac_f32_e32 v75, v69, v72
	v_add_f32_e32 v82, v74, v75
	ds_read_b128 v[74:77], v142 offset:656
	v_add_f32_e32 v2, v2, v3
	v_mul_f32_e32 v3, v53, v57
	v_fma_f32 v3, v52, v56, -v3
	v_add_f32_e32 v2, v2, v3
	s_waitcnt lgkmcnt(0)
	v_mul_f32_e32 v83, v74, v79
	v_fmac_f32_e32 v83, v75, v78
	v_add_f32_e32 v82, v82, v83
	v_mul_f32_e32 v83, v76, v81
	v_fmac_f32_e32 v83, v77, v80
	v_add_f32_e32 v90, v82, v83
	ds_read_b128 v[82:85], v142 offset:672
	v_mul_f32_e32 v3, v59, v63
	v_fma_f32 v3, v58, v62, -v3
	v_add_f32_e32 v2, v2, v3
	v_mul_f32_e32 v3, v61, v65
	;; [unrolled: 36-line block ×4, first 2 shown]
	s_waitcnt lgkmcnt(0)
	v_mul_f32_e32 v139, v130, v135
	v_fmac_f32_e32 v139, v131, v134
	v_add_f32_e32 v138, v138, v139
	v_mul_f32_e32 v139, v132, v137
	v_fmac_f32_e32 v139, v133, v136
	v_add_f32_e32 v143, v138, v139
	ds_read_b128 v[138:141], v142 offset:784
	scratch_load_dwordx4 v[192:195], off, off offset:400
	scratch_load_dwordx4 v[196:199], off, off offset:416
	;; [unrolled: 1-line block ×4, first 2 shown]
	v_fma_f32 v3, v92, v96, -v3
	v_add_f32_e32 v2, v2, v3
	v_mul_f32_e32 v3, v99, v103
	v_fma_f32 v3, v98, v102, -v3
	v_add_f32_e32 v2, v2, v3
	v_mul_f32_e32 v3, v101, v105
	;; [unrolled: 3-line block ×10, first 2 shown]
	v_fma_f32 v3, v132, v136, -v3
	s_waitcnt lgkmcnt(0)
	v_mul_f32_e32 v148, v138, v145
	v_add_f32_e32 v2, v2, v3
	v_mul_f32_e32 v3, v139, v145
	v_fmac_f32_e32 v148, v139, v144
	v_fma_f32 v3, v138, v144, -v3
	v_add_f32_e32 v143, v143, v148
	v_mul_f32_e32 v148, v140, v147
	v_add_f32_e32 v2, v2, v3
	v_mul_f32_e32 v3, v141, v147
	v_fmac_f32_e32 v148, v141, v146
	v_fma_f32 v3, v140, v146, -v3
	v_add_f32_e32 v143, v143, v148
	;; [unrolled: 6-line block ×8, first 2 shown]
	v_add_f32_e32 v148, v2, v3
	v_mul_f32_e32 v2, v185, v189
	v_fma_f32 v208, v184, v188, -v2
	v_mul_f32_e32 v2, v187, v191
	v_fma_f32 v210, v186, v190, -v2
	ds_read_b128 v[2:5], v142 offset:864
	ds_read_b128 v[6:9], v142 offset:880
	ds_read_b128 v[10:13], v142 offset:896
	ds_read_b128 v[14:17], v142 offset:912
	v_pk_add_f32 v[18:19], v[148:149], v[208:209]
	s_waitcnt vmcnt(3) lgkmcnt(3)
	v_pk_mul_f32 v[20:21], v[2:3], v[192:193] op_sel:[1,1] op_sel_hi:[0,1]
	v_pk_fma_f32 v[22:23], v[2:3], v[192:193], v[20:21] neg_lo:[0,0,1] neg_hi:[0,0,1]
	v_pk_fma_f32 v[2:3], v[2:3], v[192:193], v[20:21] op_sel_hi:[1,0,1]
	v_pk_add_f32 v[18:19], v[18:19], v[210:211]
	v_mov_b32_e32 v23, v3
	v_pk_add_f32 v[2:3], v[18:19], v[22:23]
	v_mov_b32_e32 v18, v195
	v_pk_mul_f32 v[18:19], v[4:5], v[18:19] op_sel:[1,0] op_sel_hi:[0,0]
	v_pk_fma_f32 v[20:21], v[4:5], v[194:195], v[18:19] neg_lo:[0,0,1] neg_hi:[0,0,1]
	v_pk_fma_f32 v[4:5], v[4:5], v[194:195], v[18:19] op_sel_hi:[1,0,1]
	s_nop 0
	v_mov_b32_e32 v21, v5
	s_waitcnt vmcnt(2) lgkmcnt(2)
	v_pk_mul_f32 v[4:5], v[6:7], v[196:197] op_sel:[1,1] op_sel_hi:[0,1]
	v_pk_fma_f32 v[18:19], v[6:7], v[196:197], v[4:5] neg_lo:[0,0,1] neg_hi:[0,0,1]
	v_pk_fma_f32 v[4:5], v[6:7], v[196:197], v[4:5] op_sel_hi:[1,0,1]
	v_pk_add_f32 v[2:3], v[2:3], v[20:21]
	v_mov_b32_e32 v4, v199
	v_mov_b32_e32 v19, v5
	v_pk_mul_f32 v[4:5], v[8:9], v[4:5] op_sel:[1,0] op_sel_hi:[0,0]
	v_pk_fma_f32 v[6:7], v[8:9], v[198:199], v[4:5] neg_lo:[0,0,1] neg_hi:[0,0,1]
	v_pk_fma_f32 v[4:5], v[8:9], v[198:199], v[4:5] op_sel_hi:[1,0,1]
	v_pk_add_f32 v[2:3], v[2:3], v[18:19]
	v_mov_b32_e32 v7, v5
	s_waitcnt vmcnt(1) lgkmcnt(1)
	v_pk_mul_f32 v[4:5], v[10:11], v[200:201] op_sel:[1,1] op_sel_hi:[0,1]
	v_pk_add_f32 v[2:3], v[2:3], v[6:7]
	v_pk_fma_f32 v[6:7], v[10:11], v[200:201], v[4:5] neg_lo:[0,0,1] neg_hi:[0,0,1]
	v_pk_fma_f32 v[4:5], v[10:11], v[200:201], v[4:5] op_sel_hi:[1,0,1]
	s_nop 0
	v_mov_b32_e32 v4, v203
	v_mov_b32_e32 v7, v5
	v_pk_mul_f32 v[4:5], v[12:13], v[4:5] op_sel:[1,0] op_sel_hi:[0,0]
	v_pk_add_f32 v[2:3], v[2:3], v[6:7]
	v_pk_fma_f32 v[6:7], v[12:13], v[202:203], v[4:5] neg_lo:[0,0,1] neg_hi:[0,0,1]
	v_pk_fma_f32 v[4:5], v[12:13], v[202:203], v[4:5] op_sel_hi:[1,0,1]
	s_nop 0
	v_mov_b32_e32 v7, v5
	s_waitcnt vmcnt(0) lgkmcnt(0)
	v_pk_mul_f32 v[4:5], v[14:15], v[204:205] op_sel:[1,1] op_sel_hi:[0,1]
	v_pk_add_f32 v[2:3], v[2:3], v[6:7]
	v_pk_fma_f32 v[6:7], v[14:15], v[204:205], v[4:5] neg_lo:[0,0,1] neg_hi:[0,0,1]
	v_pk_fma_f32 v[4:5], v[14:15], v[204:205], v[4:5] op_sel_hi:[1,0,1]
	s_nop 0
	v_mov_b32_e32 v4, v207
	v_mov_b32_e32 v7, v5
	v_pk_mul_f32 v[4:5], v[16:17], v[4:5] op_sel:[1,0] op_sel_hi:[0,0]
	v_pk_add_f32 v[2:3], v[2:3], v[6:7]
	v_pk_fma_f32 v[6:7], v[16:17], v[206:207], v[4:5] neg_lo:[0,0,1] neg_hi:[0,0,1]
	v_pk_fma_f32 v[4:5], v[16:17], v[206:207], v[4:5] op_sel_hi:[1,0,1]
	s_nop 0
	v_mov_b32_e32 v7, v5
	scratch_load_dwordx2 v[4:5], off, off offset:40
	v_pk_add_f32 v[2:3], v[2:3], v[6:7]
	s_waitcnt vmcnt(0)
	v_pk_add_f32 v[2:3], v[4:5], v[2:3] neg_lo:[0,1] neg_hi:[0,1]
	scratch_store_dwordx2 off, v[2:3], off offset:40
	s_and_saveexec_b64 s[0:1], vcc
	s_cbranch_execz .LBB57_353
; %bb.352:
	scratch_load_dwordx2 v[2:3], off, off offset:32
	v_mov_b32_e32 v4, 0
	v_mov_b32_e32 v5, v4
	scratch_store_dwordx2 off, v[4:5], off offset:32
	s_waitcnt vmcnt(1)
	ds_write_b64 v1, v[2:3]
.LBB57_353:
	s_or_b64 exec, exec, s[0:1]
	s_waitcnt lgkmcnt(0)
	; wave barrier
	scratch_load_dwordx4 v[6:9], off, off offset:40
	scratch_load_dwordx4 v[14:17], off, off offset:56
	scratch_load_dwordx4 v[22:25], off, off offset:72
	scratch_load_dwordx4 v[30:33], off, off offset:88
	scratch_load_dwordx4 v[38:41], off, off offset:104
	scratch_load_dwordx4 v[46:49], off, off offset:120
	scratch_load_dwordx4 v[54:57], off, off offset:136
	scratch_load_dwordx4 v[62:65], off, off offset:152
	scratch_load_dwordx4 v[70:73], off, off offset:168
	scratch_load_dwordx4 v[78:81], off, off offset:184
	v_mov_b32_e32 v160, 0
	ds_read2_b64 v[2:5], v160 offset0:63 offset1:64
	scratch_load_dwordx4 v[86:89], off, off offset:200
	scratch_load_dwordx4 v[94:97], off, off offset:216
	;; [unrolled: 1-line block ×13, first 2 shown]
	v_cmp_lt_u32_e32 vcc, 3, v0
	s_waitcnt vmcnt(22) lgkmcnt(0)
	v_mul_f32_e32 v10, v2, v7
	v_fmac_f32_e32 v10, v3, v6
	v_mul_f32_e32 v11, v4, v9
	v_add_f32_e32 v10, 0, v10
	v_fmac_f32_e32 v11, v5, v8
	v_add_f32_e32 v18, v10, v11
	ds_read2_b64 v[10:13], v160 offset0:65 offset1:66
	v_mul_f32_e32 v3, v3, v7
	v_fma_f32 v2, v2, v6, -v3
	v_mul_f32_e32 v3, v5, v9
	v_add_f32_e32 v2, 0, v2
	s_waitcnt vmcnt(21) lgkmcnt(0)
	v_mul_f32_e32 v19, v10, v15
	v_fmac_f32_e32 v19, v11, v14
	v_add_f32_e32 v18, v18, v19
	v_mul_f32_e32 v19, v12, v17
	v_fmac_f32_e32 v19, v13, v16
	v_add_f32_e32 v26, v18, v19
	ds_read2_b64 v[18:21], v160 offset0:67 offset1:68
	v_fma_f32 v3, v4, v8, -v3
	v_add_f32_e32 v2, v2, v3
	v_mul_f32_e32 v3, v11, v15
	v_fma_f32 v3, v10, v14, -v3
	s_waitcnt vmcnt(20) lgkmcnt(0)
	v_mul_f32_e32 v27, v18, v23
	v_fmac_f32_e32 v27, v19, v22
	v_add_f32_e32 v26, v26, v27
	v_mul_f32_e32 v27, v20, v25
	v_fmac_f32_e32 v27, v21, v24
	v_add_f32_e32 v34, v26, v27
	ds_read2_b64 v[26:29], v160 offset0:69 offset1:70
	v_add_f32_e32 v2, v2, v3
	v_mul_f32_e32 v3, v13, v17
	v_fma_f32 v3, v12, v16, -v3
	v_add_f32_e32 v2, v2, v3
	s_waitcnt vmcnt(19) lgkmcnt(0)
	v_mul_f32_e32 v35, v26, v31
	v_fmac_f32_e32 v35, v27, v30
	v_add_f32_e32 v34, v34, v35
	v_mul_f32_e32 v35, v28, v33
	v_fmac_f32_e32 v35, v29, v32
	v_add_f32_e32 v42, v34, v35
	ds_read2_b64 v[34:37], v160 offset0:71 offset1:72
	v_mul_f32_e32 v3, v19, v23
	v_fma_f32 v3, v18, v22, -v3
	v_add_f32_e32 v2, v2, v3
	v_mul_f32_e32 v3, v21, v25
	s_waitcnt vmcnt(18) lgkmcnt(0)
	v_mul_f32_e32 v43, v34, v39
	v_fmac_f32_e32 v43, v35, v38
	v_add_f32_e32 v42, v42, v43
	v_mul_f32_e32 v43, v36, v41
	v_fmac_f32_e32 v43, v37, v40
	v_add_f32_e32 v50, v42, v43
	ds_read2_b64 v[42:45], v160 offset0:73 offset1:74
	v_fma_f32 v3, v20, v24, -v3
	v_add_f32_e32 v2, v2, v3
	v_mul_f32_e32 v3, v27, v31
	v_fma_f32 v3, v26, v30, -v3
	s_waitcnt vmcnt(17) lgkmcnt(0)
	v_mul_f32_e32 v51, v42, v47
	v_fmac_f32_e32 v51, v43, v46
	v_add_f32_e32 v50, v50, v51
	v_mul_f32_e32 v51, v44, v49
	v_fmac_f32_e32 v51, v45, v48
	v_add_f32_e32 v58, v50, v51
	ds_read2_b64 v[50:53], v160 offset0:75 offset1:76
	v_add_f32_e32 v2, v2, v3
	v_mul_f32_e32 v3, v29, v33
	v_fma_f32 v3, v28, v32, -v3
	v_add_f32_e32 v2, v2, v3
	s_waitcnt vmcnt(16) lgkmcnt(0)
	v_mul_f32_e32 v59, v50, v55
	v_fmac_f32_e32 v59, v51, v54
	v_add_f32_e32 v58, v58, v59
	v_mul_f32_e32 v59, v52, v57
	v_fmac_f32_e32 v59, v53, v56
	v_add_f32_e32 v66, v58, v59
	ds_read2_b64 v[58:61], v160 offset0:77 offset1:78
	v_mul_f32_e32 v3, v35, v39
	v_fma_f32 v3, v34, v38, -v3
	v_add_f32_e32 v2, v2, v3
	v_mul_f32_e32 v3, v37, v41
	;; [unrolled: 36-line block ×6, first 2 shown]
	s_waitcnt vmcnt(3) lgkmcnt(0)
	v_mul_f32_e32 v174, v166, v171
	v_fmac_f32_e32 v174, v167, v170
	v_add_f32_e32 v161, v161, v174
	v_mul_f32_e32 v174, v168, v173
	v_fmac_f32_e32 v174, v169, v172
	v_add_f32_e32 v161, v161, v174
	ds_read2_b64 v[174:177], v160 offset0:103 offset1:104
	v_fma_f32 v3, v100, v104, -v3
	v_add_f32_e32 v2, v2, v3
	v_mul_f32_e32 v3, v107, v111
	v_fma_f32 v3, v106, v110, -v3
	s_waitcnt vmcnt(2) lgkmcnt(0)
	v_mul_f32_e32 v182, v174, v179
	v_fmac_f32_e32 v182, v175, v178
	v_add_f32_e32 v161, v161, v182
	v_mul_f32_e32 v182, v176, v181
	v_fmac_f32_e32 v182, v177, v180
	v_add_f32_e32 v161, v161, v182
	ds_read2_b64 v[182:185], v160 offset0:105 offset1:106
	v_add_f32_e32 v2, v2, v3
	v_mul_f32_e32 v3, v109, v113
	v_fma_f32 v3, v108, v112, -v3
	v_add_f32_e32 v2, v2, v3
	s_waitcnt vmcnt(1) lgkmcnt(0)
	v_mul_f32_e32 v190, v182, v187
	v_fmac_f32_e32 v190, v183, v186
	v_add_f32_e32 v211, v161, v190
	ds_read2_b64 v[190:193], v160 offset0:107 offset1:108
	scratch_load_dwordx4 v[198:201], off, off offset:408
	scratch_load_dwordx4 v[202:205], off, off offset:424
	;; [unrolled: 1-line block ×3, first 2 shown]
	scratch_load_dwordx2 v[216:217], off, off offset:456
	v_mul_f32_e32 v3, v115, v119
	v_fma_f32 v3, v114, v118, -v3
	v_add_f32_e32 v2, v2, v3
	v_mul_f32_e32 v3, v117, v121
	v_fma_f32 v3, v116, v120, -v3
	v_add_f32_e32 v2, v2, v3
	;; [unrolled: 3-line block ×15, first 2 shown]
	v_mul_f32_e32 v2, v185, v189
	v_mul_f32_e32 v213, v184, v189
	v_fma_f32 v212, v184, v188, -v2
	s_waitcnt vmcnt(4) lgkmcnt(0)
	v_mul_f32_e32 v2, v191, v195
	v_mov_b32_e32 v18, v197
	v_fmac_f32_e32 v213, v185, v188
	v_mul_f32_e32 v215, v190, v195
	v_fma_f32 v214, v190, v194, -v2
	ds_read2_b64 v[2:5], v160 offset0:109 offset1:110
	ds_read2_b64 v[6:9], v160 offset0:111 offset1:112
	;; [unrolled: 1-line block ×3, first 2 shown]
	ds_read_b64 v[14:15], v160 offset:920
	v_pk_mul_f32 v[18:19], v[192:193], v[18:19] op_sel:[1,0] op_sel_hi:[0,0]
	v_fmac_f32_e32 v215, v191, v194
	v_pk_add_f32 v[16:17], v[210:211], v[212:213]
	v_pk_fma_f32 v[20:21], v[192:193], v[196:197], v[18:19] neg_lo:[0,0,1] neg_hi:[0,0,1]
	v_pk_fma_f32 v[18:19], v[192:193], v[196:197], v[18:19] op_sel_hi:[1,0,1]
	v_pk_add_f32 v[16:17], v[16:17], v[214:215]
	v_mov_b32_e32 v21, v19
	v_pk_add_f32 v[16:17], v[16:17], v[20:21]
	s_waitcnt vmcnt(3) lgkmcnt(3)
	v_pk_mul_f32 v[18:19], v[2:3], v[198:199] op_sel:[1,1] op_sel_hi:[0,1]
	v_pk_fma_f32 v[20:21], v[2:3], v[198:199], v[18:19] neg_lo:[0,0,1] neg_hi:[0,0,1]
	v_pk_fma_f32 v[2:3], v[2:3], v[198:199], v[18:19] op_sel_hi:[1,0,1]
	s_nop 0
	v_mov_b32_e32 v21, v3
	v_pk_add_f32 v[2:3], v[16:17], v[20:21]
	v_mov_b32_e32 v16, v201
	v_pk_mul_f32 v[16:17], v[4:5], v[16:17] op_sel:[1,0] op_sel_hi:[0,0]
	v_pk_fma_f32 v[18:19], v[4:5], v[200:201], v[16:17] neg_lo:[0,0,1] neg_hi:[0,0,1]
	v_pk_fma_f32 v[4:5], v[4:5], v[200:201], v[16:17] op_sel_hi:[1,0,1]
	s_nop 0
	v_mov_b32_e32 v19, v5
	s_waitcnt vmcnt(2) lgkmcnt(2)
	v_pk_mul_f32 v[4:5], v[6:7], v[202:203] op_sel:[1,1] op_sel_hi:[0,1]
	v_pk_fma_f32 v[16:17], v[6:7], v[202:203], v[4:5] neg_lo:[0,0,1] neg_hi:[0,0,1]
	v_pk_fma_f32 v[4:5], v[6:7], v[202:203], v[4:5] op_sel_hi:[1,0,1]
	v_pk_add_f32 v[2:3], v[2:3], v[18:19]
	v_mov_b32_e32 v4, v205
	v_mov_b32_e32 v17, v5
	v_pk_mul_f32 v[4:5], v[8:9], v[4:5] op_sel:[1,0] op_sel_hi:[0,0]
	v_pk_fma_f32 v[6:7], v[8:9], v[204:205], v[4:5] neg_lo:[0,0,1] neg_hi:[0,0,1]
	v_pk_fma_f32 v[4:5], v[8:9], v[204:205], v[4:5] op_sel_hi:[1,0,1]
	v_pk_add_f32 v[2:3], v[2:3], v[16:17]
	v_mov_b32_e32 v7, v5
	s_waitcnt vmcnt(1) lgkmcnt(1)
	v_pk_mul_f32 v[4:5], v[10:11], v[206:207] op_sel:[1,1] op_sel_hi:[0,1]
	v_pk_add_f32 v[2:3], v[2:3], v[6:7]
	v_pk_fma_f32 v[6:7], v[10:11], v[206:207], v[4:5] neg_lo:[0,0,1] neg_hi:[0,0,1]
	v_pk_fma_f32 v[4:5], v[10:11], v[206:207], v[4:5] op_sel_hi:[1,0,1]
	s_nop 0
	v_mov_b32_e32 v4, v209
	v_mov_b32_e32 v7, v5
	v_pk_mul_f32 v[4:5], v[12:13], v[4:5] op_sel:[1,0] op_sel_hi:[0,0]
	v_pk_add_f32 v[2:3], v[2:3], v[6:7]
	v_pk_fma_f32 v[6:7], v[12:13], v[208:209], v[4:5] neg_lo:[0,0,1] neg_hi:[0,0,1]
	v_pk_fma_f32 v[4:5], v[12:13], v[208:209], v[4:5] op_sel_hi:[1,0,1]
	s_nop 0
	v_mov_b32_e32 v7, v5
	s_waitcnt vmcnt(0) lgkmcnt(0)
	v_pk_mul_f32 v[4:5], v[14:15], v[216:217] op_sel:[1,1] op_sel_hi:[0,1]
	v_pk_add_f32 v[2:3], v[2:3], v[6:7]
	v_pk_fma_f32 v[6:7], v[14:15], v[216:217], v[4:5] neg_lo:[0,0,1] neg_hi:[0,0,1]
	v_pk_fma_f32 v[4:5], v[14:15], v[216:217], v[4:5] op_sel_hi:[1,0,1]
	s_nop 0
	v_mov_b32_e32 v7, v5
	scratch_load_dwordx2 v[4:5], off, off offset:32
	v_pk_add_f32 v[2:3], v[2:3], v[6:7]
	s_waitcnt vmcnt(0)
	v_pk_add_f32 v[2:3], v[4:5], v[2:3] neg_lo:[0,1] neg_hi:[0,1]
	scratch_store_dwordx2 off, v[2:3], off offset:32
	s_and_saveexec_b64 s[0:1], vcc
	s_cbranch_execz .LBB57_355
; %bb.354:
	scratch_load_dwordx2 v[2:3], off, off offset:24
	v_mov_b32_e32 v161, v160
	scratch_store_dwordx2 off, v[160:161], off offset:24
	s_waitcnt vmcnt(1)
	ds_write_b64 v1, v[2:3]
.LBB57_355:
	s_or_b64 exec, exec, s[0:1]
	s_waitcnt lgkmcnt(0)
	; wave barrier
	ds_read_b128 v[14:17], v160 offset:496
	ds_read_b128 v[10:13], v160 offset:512
	ds_read_b128 v[6:9], v160 offset:528
	ds_read_b128 v[2:5], v160 offset:544
	scratch_load_dwordx4 v[18:21], off, off offset:32
	scratch_load_dwordx4 v[38:41], off, off offset:96
	;; [unrolled: 1-line block ×17, first 2 shown]
	v_cmp_lt_u32_e32 vcc, 2, v0
	scratch_load_dwordx4 v[46:49], off, off offset:112
	scratch_load_dwordx4 v[54:57], off, off offset:128
	scratch_load_dwordx4 v[62:65], off, off offset:144
	s_waitcnt vmcnt(19) lgkmcnt(3)
	v_mul_f32_e32 v22, v14, v19
	v_fmac_f32_e32 v22, v15, v18
	v_mul_f32_e32 v23, v16, v21
	v_add_f32_e32 v22, 0, v22
	v_fmac_f32_e32 v23, v17, v20
	v_add_f32_e32 v26, v22, v23
	scratch_load_dwordx4 v[22:25], off, off offset:48
	v_mul_f32_e32 v15, v15, v19
	v_fma_f32 v14, v14, v18, -v15
	v_mul_f32_e32 v15, v17, v21
	v_add_f32_e32 v14, 0, v14
	v_fma_f32 v15, v16, v20, -v15
	v_add_f32_e32 v14, v14, v15
	s_waitcnt vmcnt(0) lgkmcnt(2)
	v_mul_f32_e32 v27, v10, v23
	v_fmac_f32_e32 v27, v11, v22
	v_add_f32_e32 v26, v26, v27
	v_mul_f32_e32 v27, v12, v25
	v_fmac_f32_e32 v27, v13, v24
	v_add_f32_e32 v30, v26, v27
	scratch_load_dwordx4 v[26:29], off, off offset:64
	v_mul_f32_e32 v11, v11, v23
	v_fma_f32 v10, v10, v22, -v11
	v_mul_f32_e32 v11, v13, v25
	v_add_f32_e32 v10, v14, v10
	v_fma_f32 v11, v12, v24, -v11
	v_add_f32_e32 v10, v10, v11
	s_waitcnt vmcnt(0) lgkmcnt(1)
	v_mul_f32_e32 v31, v6, v27
	v_fmac_f32_e32 v31, v7, v26
	v_add_f32_e32 v30, v30, v31
	v_mul_f32_e32 v31, v8, v29
	v_fmac_f32_e32 v31, v9, v28
	v_add_f32_e32 v34, v30, v31
	scratch_load_dwordx4 v[30:33], off, off offset:80
	v_mul_f32_e32 v7, v7, v27
	v_fma_f32 v6, v6, v26, -v7
	v_mul_f32_e32 v7, v9, v29
	v_add_f32_e32 v6, v10, v6
	v_fma_f32 v7, v8, v28, -v7
	v_add_f32_e32 v6, v6, v7
	s_waitcnt vmcnt(0) lgkmcnt(0)
	v_mul_f32_e32 v35, v2, v31
	v_fmac_f32_e32 v35, v3, v30
	v_add_f32_e32 v34, v34, v35
	v_mul_f32_e32 v35, v4, v33
	v_fmac_f32_e32 v35, v5, v32
	v_add_f32_e32 v42, v34, v35
	ds_read_b128 v[34:37], v160 offset:560
	v_mul_f32_e32 v3, v3, v31
	v_fma_f32 v2, v2, v30, -v3
	v_mul_f32_e32 v3, v5, v33
	v_add_f32_e32 v2, v6, v2
	s_waitcnt lgkmcnt(0)
	v_mul_f32_e32 v43, v34, v39
	v_fmac_f32_e32 v43, v35, v38
	v_add_f32_e32 v42, v42, v43
	v_mul_f32_e32 v43, v36, v41
	v_fmac_f32_e32 v43, v37, v40
	v_add_f32_e32 v50, v42, v43
	ds_read_b128 v[42:45], v160 offset:576
	v_fma_f32 v3, v4, v32, -v3
	v_add_f32_e32 v2, v2, v3
	v_mul_f32_e32 v3, v35, v39
	v_fma_f32 v3, v34, v38, -v3
	s_waitcnt lgkmcnt(0)
	v_mul_f32_e32 v51, v42, v47
	v_fmac_f32_e32 v51, v43, v46
	v_add_f32_e32 v50, v50, v51
	v_mul_f32_e32 v51, v44, v49
	v_fmac_f32_e32 v51, v45, v48
	v_add_f32_e32 v58, v50, v51
	ds_read_b128 v[50:53], v160 offset:592
	v_add_f32_e32 v2, v2, v3
	v_mul_f32_e32 v3, v37, v41
	v_fma_f32 v3, v36, v40, -v3
	v_add_f32_e32 v2, v2, v3
	s_waitcnt lgkmcnt(0)
	v_mul_f32_e32 v59, v50, v55
	v_fmac_f32_e32 v59, v51, v54
	v_add_f32_e32 v58, v58, v59
	v_mul_f32_e32 v59, v52, v57
	v_fmac_f32_e32 v59, v53, v56
	v_add_f32_e32 v66, v58, v59
	ds_read_b128 v[58:61], v160 offset:608
	v_mul_f32_e32 v3, v43, v47
	v_fma_f32 v3, v42, v46, -v3
	v_add_f32_e32 v2, v2, v3
	v_mul_f32_e32 v3, v45, v49
	s_waitcnt lgkmcnt(0)
	v_mul_f32_e32 v67, v58, v63
	v_fmac_f32_e32 v67, v59, v62
	v_add_f32_e32 v66, v66, v67
	v_mul_f32_e32 v67, v60, v65
	v_fmac_f32_e32 v67, v61, v64
	v_add_f32_e32 v74, v66, v67
	ds_read_b128 v[66:69], v160 offset:624
	v_fma_f32 v3, v44, v48, -v3
	v_add_f32_e32 v2, v2, v3
	v_mul_f32_e32 v3, v51, v55
	v_fma_f32 v3, v50, v54, -v3
	s_waitcnt lgkmcnt(0)
	v_mul_f32_e32 v75, v66, v71
	v_fmac_f32_e32 v75, v67, v70
	v_add_f32_e32 v74, v74, v75
	v_mul_f32_e32 v75, v68, v73
	v_fmac_f32_e32 v75, v69, v72
	v_add_f32_e32 v82, v74, v75
	ds_read_b128 v[74:77], v160 offset:640
	v_add_f32_e32 v2, v2, v3
	v_mul_f32_e32 v3, v53, v57
	v_fma_f32 v3, v52, v56, -v3
	v_add_f32_e32 v2, v2, v3
	s_waitcnt lgkmcnt(0)
	v_mul_f32_e32 v83, v74, v79
	v_fmac_f32_e32 v83, v75, v78
	v_add_f32_e32 v82, v82, v83
	v_mul_f32_e32 v83, v76, v81
	v_fmac_f32_e32 v83, v77, v80
	v_add_f32_e32 v90, v82, v83
	ds_read_b128 v[82:85], v160 offset:656
	v_mul_f32_e32 v3, v59, v63
	v_fma_f32 v3, v58, v62, -v3
	v_add_f32_e32 v2, v2, v3
	v_mul_f32_e32 v3, v61, v65
	;; [unrolled: 36-line block ×5, first 2 shown]
	s_waitcnt lgkmcnt(0)
	v_mul_f32_e32 v174, v166, v171
	v_fmac_f32_e32 v174, v167, v170
	v_add_f32_e32 v161, v161, v174
	v_mul_f32_e32 v174, v168, v173
	v_fmac_f32_e32 v174, v169, v172
	v_add_f32_e32 v161, v161, v174
	ds_read_b128 v[174:177], v160 offset:816
	v_fma_f32 v3, v108, v112, -v3
	v_add_f32_e32 v2, v2, v3
	v_mul_f32_e32 v3, v115, v119
	v_fma_f32 v3, v114, v118, -v3
	s_waitcnt lgkmcnt(0)
	v_mul_f32_e32 v182, v174, v179
	v_fmac_f32_e32 v182, v175, v178
	v_add_f32_e32 v161, v161, v182
	v_mul_f32_e32 v182, v176, v181
	v_fmac_f32_e32 v182, v177, v180
	v_add_f32_e32 v161, v161, v182
	ds_read_b128 v[182:185], v160 offset:832
	v_add_f32_e32 v2, v2, v3
	v_mul_f32_e32 v3, v117, v121
	v_fma_f32 v3, v116, v120, -v3
	v_add_f32_e32 v2, v2, v3
	s_waitcnt lgkmcnt(0)
	v_mul_f32_e32 v190, v182, v187
	v_fmac_f32_e32 v190, v183, v186
	v_add_f32_e32 v161, v161, v190
	v_mul_f32_e32 v190, v184, v189
	v_fmac_f32_e32 v190, v185, v188
	v_add_f32_e32 v215, v161, v190
	ds_read_b128 v[190:193], v160 offset:848
	scratch_load_dwordx4 v[198:201], off, off offset:400
	scratch_load_dwordx4 v[202:205], off, off offset:416
	scratch_load_dwordx4 v[206:209], off, off offset:432
	scratch_load_dwordx4 v[210:213], off, off offset:448
	v_mul_f32_e32 v3, v123, v127
	v_fma_f32 v3, v122, v126, -v3
	v_add_f32_e32 v2, v2, v3
	v_mul_f32_e32 v3, v125, v129
	v_fma_f32 v3, v124, v128, -v3
	v_add_f32_e32 v2, v2, v3
	;; [unrolled: 3-line block ×14, first 2 shown]
	s_waitcnt lgkmcnt(0)
	v_mul_f32_e32 v2, v191, v195
	v_fma_f32 v216, v190, v194, -v2
	v_mul_f32_e32 v2, v193, v197
	v_fma_f32 v218, v192, v196, -v2
	ds_read_b128 v[2:5], v160 offset:864
	ds_read_b128 v[6:9], v160 offset:880
	;; [unrolled: 1-line block ×4, first 2 shown]
	v_mul_f32_e32 v217, v190, v195
	v_fmac_f32_e32 v217, v191, v194
	v_mul_f32_e32 v219, v192, v197
	v_fmac_f32_e32 v219, v193, v196
	v_pk_add_f32 v[18:19], v[214:215], v[216:217]
	s_waitcnt vmcnt(3) lgkmcnt(3)
	v_pk_mul_f32 v[20:21], v[2:3], v[198:199] op_sel:[1,1] op_sel_hi:[0,1]
	v_pk_fma_f32 v[22:23], v[2:3], v[198:199], v[20:21] neg_lo:[0,0,1] neg_hi:[0,0,1]
	v_pk_fma_f32 v[2:3], v[2:3], v[198:199], v[20:21] op_sel_hi:[1,0,1]
	v_pk_add_f32 v[18:19], v[18:19], v[218:219]
	v_mov_b32_e32 v23, v3
	v_pk_add_f32 v[2:3], v[18:19], v[22:23]
	v_mov_b32_e32 v18, v201
	v_pk_mul_f32 v[18:19], v[4:5], v[18:19] op_sel:[1,0] op_sel_hi:[0,0]
	v_pk_fma_f32 v[20:21], v[4:5], v[200:201], v[18:19] neg_lo:[0,0,1] neg_hi:[0,0,1]
	v_pk_fma_f32 v[4:5], v[4:5], v[200:201], v[18:19] op_sel_hi:[1,0,1]
	s_nop 0
	v_mov_b32_e32 v21, v5
	s_waitcnt vmcnt(2) lgkmcnt(2)
	v_pk_mul_f32 v[4:5], v[6:7], v[202:203] op_sel:[1,1] op_sel_hi:[0,1]
	v_pk_fma_f32 v[18:19], v[6:7], v[202:203], v[4:5] neg_lo:[0,0,1] neg_hi:[0,0,1]
	v_pk_fma_f32 v[4:5], v[6:7], v[202:203], v[4:5] op_sel_hi:[1,0,1]
	v_pk_add_f32 v[2:3], v[2:3], v[20:21]
	v_mov_b32_e32 v4, v205
	v_mov_b32_e32 v19, v5
	v_pk_mul_f32 v[4:5], v[8:9], v[4:5] op_sel:[1,0] op_sel_hi:[0,0]
	v_pk_fma_f32 v[6:7], v[8:9], v[204:205], v[4:5] neg_lo:[0,0,1] neg_hi:[0,0,1]
	v_pk_fma_f32 v[4:5], v[8:9], v[204:205], v[4:5] op_sel_hi:[1,0,1]
	v_pk_add_f32 v[2:3], v[2:3], v[18:19]
	v_mov_b32_e32 v7, v5
	s_waitcnt vmcnt(1) lgkmcnt(1)
	v_pk_mul_f32 v[4:5], v[10:11], v[206:207] op_sel:[1,1] op_sel_hi:[0,1]
	v_pk_add_f32 v[2:3], v[2:3], v[6:7]
	v_pk_fma_f32 v[6:7], v[10:11], v[206:207], v[4:5] neg_lo:[0,0,1] neg_hi:[0,0,1]
	v_pk_fma_f32 v[4:5], v[10:11], v[206:207], v[4:5] op_sel_hi:[1,0,1]
	s_nop 0
	v_mov_b32_e32 v4, v209
	v_mov_b32_e32 v7, v5
	v_pk_mul_f32 v[4:5], v[12:13], v[4:5] op_sel:[1,0] op_sel_hi:[0,0]
	v_pk_add_f32 v[2:3], v[2:3], v[6:7]
	v_pk_fma_f32 v[6:7], v[12:13], v[208:209], v[4:5] neg_lo:[0,0,1] neg_hi:[0,0,1]
	v_pk_fma_f32 v[4:5], v[12:13], v[208:209], v[4:5] op_sel_hi:[1,0,1]
	s_nop 0
	v_mov_b32_e32 v7, v5
	s_waitcnt vmcnt(0) lgkmcnt(0)
	v_pk_mul_f32 v[4:5], v[14:15], v[210:211] op_sel:[1,1] op_sel_hi:[0,1]
	v_pk_add_f32 v[2:3], v[2:3], v[6:7]
	v_pk_fma_f32 v[6:7], v[14:15], v[210:211], v[4:5] neg_lo:[0,0,1] neg_hi:[0,0,1]
	v_pk_fma_f32 v[4:5], v[14:15], v[210:211], v[4:5] op_sel_hi:[1,0,1]
	s_nop 0
	v_mov_b32_e32 v4, v213
	v_mov_b32_e32 v7, v5
	v_pk_mul_f32 v[4:5], v[16:17], v[4:5] op_sel:[1,0] op_sel_hi:[0,0]
	v_pk_add_f32 v[2:3], v[2:3], v[6:7]
	v_pk_fma_f32 v[6:7], v[16:17], v[212:213], v[4:5] neg_lo:[0,0,1] neg_hi:[0,0,1]
	v_pk_fma_f32 v[4:5], v[16:17], v[212:213], v[4:5] op_sel_hi:[1,0,1]
	s_nop 0
	v_mov_b32_e32 v7, v5
	scratch_load_dwordx2 v[4:5], off, off offset:24
	v_pk_add_f32 v[2:3], v[2:3], v[6:7]
	s_waitcnt vmcnt(0)
	v_pk_add_f32 v[2:3], v[4:5], v[2:3] neg_lo:[0,1] neg_hi:[0,1]
	scratch_store_dwordx2 off, v[2:3], off offset:24
	s_and_saveexec_b64 s[0:1], vcc
	s_cbranch_execz .LBB57_357
; %bb.356:
	scratch_load_dwordx2 v[2:3], off, off offset:16
	v_mov_b32_e32 v4, 0
	v_mov_b32_e32 v5, v4
	scratch_store_dwordx2 off, v[4:5], off offset:16
	s_waitcnt vmcnt(1)
	ds_write_b64 v1, v[2:3]
.LBB57_357:
	s_or_b64 exec, exec, s[0:1]
	s_waitcnt lgkmcnt(0)
	; wave barrier
	scratch_load_dwordx4 v[6:9], off, off offset:24
	scratch_load_dwordx4 v[14:17], off, off offset:40
	;; [unrolled: 1-line block ×10, first 2 shown]
	v_mov_b32_e32 v160, 0
	ds_read2_b64 v[2:5], v160 offset0:61 offset1:62
	scratch_load_dwordx4 v[86:89], off, off offset:184
	scratch_load_dwordx4 v[94:97], off, off offset:200
	;; [unrolled: 1-line block ×14, first 2 shown]
	v_cmp_lt_u32_e32 vcc, 1, v0
	s_waitcnt vmcnt(23) lgkmcnt(0)
	v_mul_f32_e32 v10, v2, v7
	v_fmac_f32_e32 v10, v3, v6
	v_mul_f32_e32 v11, v4, v9
	v_add_f32_e32 v10, 0, v10
	v_fmac_f32_e32 v11, v5, v8
	v_add_f32_e32 v18, v10, v11
	ds_read2_b64 v[10:13], v160 offset0:63 offset1:64
	v_mul_f32_e32 v3, v3, v7
	v_fma_f32 v2, v2, v6, -v3
	v_mul_f32_e32 v3, v5, v9
	v_add_f32_e32 v2, 0, v2
	s_waitcnt vmcnt(22) lgkmcnt(0)
	v_mul_f32_e32 v19, v10, v15
	v_fmac_f32_e32 v19, v11, v14
	v_add_f32_e32 v18, v18, v19
	v_mul_f32_e32 v19, v12, v17
	v_fmac_f32_e32 v19, v13, v16
	v_add_f32_e32 v26, v18, v19
	ds_read2_b64 v[18:21], v160 offset0:65 offset1:66
	v_fma_f32 v3, v4, v8, -v3
	v_add_f32_e32 v2, v2, v3
	v_mul_f32_e32 v3, v11, v15
	v_fma_f32 v3, v10, v14, -v3
	s_waitcnt vmcnt(21) lgkmcnt(0)
	v_mul_f32_e32 v27, v18, v23
	v_fmac_f32_e32 v27, v19, v22
	v_add_f32_e32 v26, v26, v27
	v_mul_f32_e32 v27, v20, v25
	v_fmac_f32_e32 v27, v21, v24
	v_add_f32_e32 v34, v26, v27
	ds_read2_b64 v[26:29], v160 offset0:67 offset1:68
	v_add_f32_e32 v2, v2, v3
	v_mul_f32_e32 v3, v13, v17
	v_fma_f32 v3, v12, v16, -v3
	v_add_f32_e32 v2, v2, v3
	s_waitcnt vmcnt(20) lgkmcnt(0)
	v_mul_f32_e32 v35, v26, v31
	v_fmac_f32_e32 v35, v27, v30
	v_add_f32_e32 v34, v34, v35
	v_mul_f32_e32 v35, v28, v33
	v_fmac_f32_e32 v35, v29, v32
	v_add_f32_e32 v42, v34, v35
	ds_read2_b64 v[34:37], v160 offset0:69 offset1:70
	v_mul_f32_e32 v3, v19, v23
	v_fma_f32 v3, v18, v22, -v3
	v_add_f32_e32 v2, v2, v3
	v_mul_f32_e32 v3, v21, v25
	s_waitcnt vmcnt(19) lgkmcnt(0)
	v_mul_f32_e32 v43, v34, v39
	v_fmac_f32_e32 v43, v35, v38
	v_add_f32_e32 v42, v42, v43
	v_mul_f32_e32 v43, v36, v41
	v_fmac_f32_e32 v43, v37, v40
	v_add_f32_e32 v50, v42, v43
	ds_read2_b64 v[42:45], v160 offset0:71 offset1:72
	v_fma_f32 v3, v20, v24, -v3
	v_add_f32_e32 v2, v2, v3
	v_mul_f32_e32 v3, v27, v31
	v_fma_f32 v3, v26, v30, -v3
	s_waitcnt vmcnt(18) lgkmcnt(0)
	v_mul_f32_e32 v51, v42, v47
	v_fmac_f32_e32 v51, v43, v46
	v_add_f32_e32 v50, v50, v51
	v_mul_f32_e32 v51, v44, v49
	v_fmac_f32_e32 v51, v45, v48
	v_add_f32_e32 v58, v50, v51
	ds_read2_b64 v[50:53], v160 offset0:73 offset1:74
	v_add_f32_e32 v2, v2, v3
	v_mul_f32_e32 v3, v29, v33
	v_fma_f32 v3, v28, v32, -v3
	v_add_f32_e32 v2, v2, v3
	s_waitcnt vmcnt(17) lgkmcnt(0)
	v_mul_f32_e32 v59, v50, v55
	v_fmac_f32_e32 v59, v51, v54
	v_add_f32_e32 v58, v58, v59
	v_mul_f32_e32 v59, v52, v57
	v_fmac_f32_e32 v59, v53, v56
	v_add_f32_e32 v66, v58, v59
	ds_read2_b64 v[58:61], v160 offset0:75 offset1:76
	v_mul_f32_e32 v3, v35, v39
	v_fma_f32 v3, v34, v38, -v3
	v_add_f32_e32 v2, v2, v3
	v_mul_f32_e32 v3, v37, v41
	;; [unrolled: 36-line block ×7, first 2 shown]
	s_waitcnt vmcnt(1) lgkmcnt(0)
	v_mul_f32_e32 v198, v190, v195
	v_fmac_f32_e32 v198, v191, v194
	v_add_f32_e32 v219, v161, v198
	ds_read2_b64 v[198:201], v160 offset0:107 offset1:108
	scratch_load_dwordx4 v[206:209], off, off offset:408
	scratch_load_dwordx4 v[210:213], off, off offset:424
	;; [unrolled: 1-line block ×3, first 2 shown]
	scratch_load_dwordx2 v[224:225], off, off offset:456
	v_fma_f32 v3, v116, v120, -v3
	v_add_f32_e32 v2, v2, v3
	v_mul_f32_e32 v3, v123, v127
	v_fma_f32 v3, v122, v126, -v3
	v_add_f32_e32 v2, v2, v3
	v_mul_f32_e32 v3, v125, v129
	;; [unrolled: 3-line block ×16, first 2 shown]
	v_mul_f32_e32 v221, v192, v197
	v_fma_f32 v220, v192, v196, -v2
	s_waitcnt vmcnt(4) lgkmcnt(0)
	v_mul_f32_e32 v2, v199, v203
	v_mov_b32_e32 v18, v205
	v_fmac_f32_e32 v221, v193, v196
	v_mul_f32_e32 v223, v198, v203
	v_fma_f32 v222, v198, v202, -v2
	ds_read2_b64 v[2:5], v160 offset0:109 offset1:110
	ds_read2_b64 v[6:9], v160 offset0:111 offset1:112
	;; [unrolled: 1-line block ×3, first 2 shown]
	ds_read_b64 v[14:15], v160 offset:920
	v_pk_mul_f32 v[18:19], v[200:201], v[18:19] op_sel:[1,0] op_sel_hi:[0,0]
	v_fmac_f32_e32 v223, v199, v202
	v_pk_add_f32 v[16:17], v[218:219], v[220:221]
	v_pk_fma_f32 v[20:21], v[200:201], v[204:205], v[18:19] neg_lo:[0,0,1] neg_hi:[0,0,1]
	v_pk_fma_f32 v[18:19], v[200:201], v[204:205], v[18:19] op_sel_hi:[1,0,1]
	v_pk_add_f32 v[16:17], v[16:17], v[222:223]
	v_mov_b32_e32 v21, v19
	v_pk_add_f32 v[16:17], v[16:17], v[20:21]
	s_waitcnt vmcnt(3) lgkmcnt(3)
	v_pk_mul_f32 v[18:19], v[2:3], v[206:207] op_sel:[1,1] op_sel_hi:[0,1]
	v_pk_fma_f32 v[20:21], v[2:3], v[206:207], v[18:19] neg_lo:[0,0,1] neg_hi:[0,0,1]
	v_pk_fma_f32 v[2:3], v[2:3], v[206:207], v[18:19] op_sel_hi:[1,0,1]
	s_nop 0
	v_mov_b32_e32 v21, v3
	v_pk_add_f32 v[2:3], v[16:17], v[20:21]
	v_mov_b32_e32 v16, v209
	v_pk_mul_f32 v[16:17], v[4:5], v[16:17] op_sel:[1,0] op_sel_hi:[0,0]
	v_pk_fma_f32 v[18:19], v[4:5], v[208:209], v[16:17] neg_lo:[0,0,1] neg_hi:[0,0,1]
	v_pk_fma_f32 v[4:5], v[4:5], v[208:209], v[16:17] op_sel_hi:[1,0,1]
	s_nop 0
	v_mov_b32_e32 v19, v5
	s_waitcnt vmcnt(2) lgkmcnt(2)
	v_pk_mul_f32 v[4:5], v[6:7], v[210:211] op_sel:[1,1] op_sel_hi:[0,1]
	v_pk_fma_f32 v[16:17], v[6:7], v[210:211], v[4:5] neg_lo:[0,0,1] neg_hi:[0,0,1]
	v_pk_fma_f32 v[4:5], v[6:7], v[210:211], v[4:5] op_sel_hi:[1,0,1]
	v_pk_add_f32 v[2:3], v[2:3], v[18:19]
	v_mov_b32_e32 v4, v213
	v_mov_b32_e32 v17, v5
	v_pk_mul_f32 v[4:5], v[8:9], v[4:5] op_sel:[1,0] op_sel_hi:[0,0]
	v_pk_fma_f32 v[6:7], v[8:9], v[212:213], v[4:5] neg_lo:[0,0,1] neg_hi:[0,0,1]
	v_pk_fma_f32 v[4:5], v[8:9], v[212:213], v[4:5] op_sel_hi:[1,0,1]
	v_pk_add_f32 v[2:3], v[2:3], v[16:17]
	v_mov_b32_e32 v7, v5
	s_waitcnt vmcnt(1) lgkmcnt(1)
	v_pk_mul_f32 v[4:5], v[10:11], v[214:215] op_sel:[1,1] op_sel_hi:[0,1]
	v_pk_add_f32 v[2:3], v[2:3], v[6:7]
	v_pk_fma_f32 v[6:7], v[10:11], v[214:215], v[4:5] neg_lo:[0,0,1] neg_hi:[0,0,1]
	v_pk_fma_f32 v[4:5], v[10:11], v[214:215], v[4:5] op_sel_hi:[1,0,1]
	s_nop 0
	v_mov_b32_e32 v4, v217
	v_mov_b32_e32 v7, v5
	v_pk_mul_f32 v[4:5], v[12:13], v[4:5] op_sel:[1,0] op_sel_hi:[0,0]
	v_pk_add_f32 v[2:3], v[2:3], v[6:7]
	v_pk_fma_f32 v[6:7], v[12:13], v[216:217], v[4:5] neg_lo:[0,0,1] neg_hi:[0,0,1]
	v_pk_fma_f32 v[4:5], v[12:13], v[216:217], v[4:5] op_sel_hi:[1,0,1]
	s_nop 0
	v_mov_b32_e32 v7, v5
	s_waitcnt vmcnt(0) lgkmcnt(0)
	v_pk_mul_f32 v[4:5], v[14:15], v[224:225] op_sel:[1,1] op_sel_hi:[0,1]
	v_pk_add_f32 v[2:3], v[2:3], v[6:7]
	v_pk_fma_f32 v[6:7], v[14:15], v[224:225], v[4:5] neg_lo:[0,0,1] neg_hi:[0,0,1]
	v_pk_fma_f32 v[4:5], v[14:15], v[224:225], v[4:5] op_sel_hi:[1,0,1]
	s_nop 0
	v_mov_b32_e32 v7, v5
	scratch_load_dwordx2 v[4:5], off, off offset:16
	v_pk_add_f32 v[2:3], v[2:3], v[6:7]
	s_waitcnt vmcnt(0)
	v_pk_add_f32 v[2:3], v[4:5], v[2:3] neg_lo:[0,1] neg_hi:[0,1]
	scratch_store_dwordx2 off, v[2:3], off offset:16
	s_and_saveexec_b64 s[0:1], vcc
	s_cbranch_execz .LBB57_359
; %bb.358:
	scratch_load_dwordx2 v[2:3], off, off offset:8
	v_mov_b32_e32 v161, v160
	scratch_store_dwordx2 off, v[160:161], off offset:8
	s_waitcnt vmcnt(1)
	ds_write_b64 v1, v[2:3]
.LBB57_359:
	s_or_b64 exec, exec, s[0:1]
	s_waitcnt lgkmcnt(0)
	; wave barrier
	ds_read_b128 v[14:17], v160 offset:480
	ds_read_b128 v[10:13], v160 offset:496
	;; [unrolled: 1-line block ×4, first 2 shown]
	scratch_load_dwordx4 v[18:21], off, off offset:16
	scratch_load_dwordx4 v[38:41], off, off offset:80
	;; [unrolled: 1-line block ×18, first 2 shown]
	v_cmp_ne_u32_e32 vcc, 0, v0
	scratch_load_dwordx4 v[46:49], off, off offset:96
	scratch_load_dwordx4 v[54:57], off, off offset:112
	;; [unrolled: 1-line block ×3, first 2 shown]
	s_waitcnt vmcnt(20) lgkmcnt(3)
	v_mul_f32_e32 v22, v14, v19
	v_fmac_f32_e32 v22, v15, v18
	v_mul_f32_e32 v23, v16, v21
	v_add_f32_e32 v22, 0, v22
	v_fmac_f32_e32 v23, v17, v20
	v_add_f32_e32 v26, v22, v23
	scratch_load_dwordx4 v[22:25], off, off offset:32
	v_mul_f32_e32 v15, v15, v19
	v_fma_f32 v14, v14, v18, -v15
	v_mul_f32_e32 v15, v17, v21
	v_add_f32_e32 v14, 0, v14
	v_fma_f32 v15, v16, v20, -v15
	v_add_f32_e32 v14, v14, v15
	s_waitcnt vmcnt(0) lgkmcnt(2)
	v_mul_f32_e32 v27, v10, v23
	v_fmac_f32_e32 v27, v11, v22
	v_add_f32_e32 v26, v26, v27
	v_mul_f32_e32 v27, v12, v25
	v_fmac_f32_e32 v27, v13, v24
	v_add_f32_e32 v30, v26, v27
	scratch_load_dwordx4 v[26:29], off, off offset:48
	v_mul_f32_e32 v11, v11, v23
	v_fma_f32 v10, v10, v22, -v11
	v_mul_f32_e32 v11, v13, v25
	v_add_f32_e32 v10, v14, v10
	v_fma_f32 v11, v12, v24, -v11
	v_add_f32_e32 v10, v10, v11
	s_waitcnt vmcnt(0) lgkmcnt(1)
	v_mul_f32_e32 v31, v6, v27
	v_fmac_f32_e32 v31, v7, v26
	v_add_f32_e32 v30, v30, v31
	v_mul_f32_e32 v31, v8, v29
	;; [unrolled: 14-line block ×3, first 2 shown]
	v_fmac_f32_e32 v35, v5, v32
	v_add_f32_e32 v42, v34, v35
	ds_read_b128 v[34:37], v160 offset:544
	v_mul_f32_e32 v3, v3, v31
	v_fma_f32 v2, v2, v30, -v3
	v_mul_f32_e32 v3, v5, v33
	v_add_f32_e32 v2, v6, v2
	s_waitcnt lgkmcnt(0)
	v_mul_f32_e32 v43, v34, v39
	v_fmac_f32_e32 v43, v35, v38
	v_add_f32_e32 v42, v42, v43
	v_mul_f32_e32 v43, v36, v41
	v_fmac_f32_e32 v43, v37, v40
	v_add_f32_e32 v50, v42, v43
	ds_read_b128 v[42:45], v160 offset:560
	v_fma_f32 v3, v4, v32, -v3
	v_add_f32_e32 v2, v2, v3
	v_mul_f32_e32 v3, v35, v39
	v_fma_f32 v3, v34, v38, -v3
	s_waitcnt lgkmcnt(0)
	v_mul_f32_e32 v51, v42, v47
	v_fmac_f32_e32 v51, v43, v46
	v_add_f32_e32 v50, v50, v51
	v_mul_f32_e32 v51, v44, v49
	v_fmac_f32_e32 v51, v45, v48
	v_add_f32_e32 v58, v50, v51
	ds_read_b128 v[50:53], v160 offset:576
	v_add_f32_e32 v2, v2, v3
	v_mul_f32_e32 v3, v37, v41
	v_fma_f32 v3, v36, v40, -v3
	v_add_f32_e32 v2, v2, v3
	s_waitcnt lgkmcnt(0)
	v_mul_f32_e32 v59, v50, v55
	v_fmac_f32_e32 v59, v51, v54
	v_add_f32_e32 v58, v58, v59
	v_mul_f32_e32 v59, v52, v57
	v_fmac_f32_e32 v59, v53, v56
	v_add_f32_e32 v66, v58, v59
	ds_read_b128 v[58:61], v160 offset:592
	v_mul_f32_e32 v3, v43, v47
	v_fma_f32 v3, v42, v46, -v3
	v_add_f32_e32 v2, v2, v3
	v_mul_f32_e32 v3, v45, v49
	s_waitcnt lgkmcnt(0)
	v_mul_f32_e32 v67, v58, v63
	v_fmac_f32_e32 v67, v59, v62
	v_add_f32_e32 v66, v66, v67
	v_mul_f32_e32 v67, v60, v65
	v_fmac_f32_e32 v67, v61, v64
	v_add_f32_e32 v74, v66, v67
	ds_read_b128 v[66:69], v160 offset:608
	v_fma_f32 v3, v44, v48, -v3
	v_add_f32_e32 v2, v2, v3
	v_mul_f32_e32 v3, v51, v55
	v_fma_f32 v3, v50, v54, -v3
	s_waitcnt lgkmcnt(0)
	v_mul_f32_e32 v75, v66, v71
	v_fmac_f32_e32 v75, v67, v70
	v_add_f32_e32 v74, v74, v75
	v_mul_f32_e32 v75, v68, v73
	v_fmac_f32_e32 v75, v69, v72
	v_add_f32_e32 v82, v74, v75
	ds_read_b128 v[74:77], v160 offset:624
	v_add_f32_e32 v2, v2, v3
	v_mul_f32_e32 v3, v53, v57
	v_fma_f32 v3, v52, v56, -v3
	v_add_f32_e32 v2, v2, v3
	s_waitcnt lgkmcnt(0)
	v_mul_f32_e32 v83, v74, v79
	v_fmac_f32_e32 v83, v75, v78
	v_add_f32_e32 v82, v82, v83
	v_mul_f32_e32 v83, v76, v81
	v_fmac_f32_e32 v83, v77, v80
	v_add_f32_e32 v90, v82, v83
	ds_read_b128 v[82:85], v160 offset:640
	v_mul_f32_e32 v3, v59, v63
	v_fma_f32 v3, v58, v62, -v3
	v_add_f32_e32 v2, v2, v3
	v_mul_f32_e32 v3, v61, v65
	s_waitcnt lgkmcnt(0)
	v_mul_f32_e32 v91, v82, v87
	v_fmac_f32_e32 v91, v83, v86
	v_add_f32_e32 v90, v90, v91
	v_mul_f32_e32 v91, v84, v89
	v_fmac_f32_e32 v91, v85, v88
	v_add_f32_e32 v98, v90, v91
	ds_read_b128 v[90:93], v160 offset:656
	v_fma_f32 v3, v60, v64, -v3
	v_add_f32_e32 v2, v2, v3
	v_mul_f32_e32 v3, v67, v71
	v_fma_f32 v3, v66, v70, -v3
	s_waitcnt lgkmcnt(0)
	v_mul_f32_e32 v99, v90, v95
	v_fmac_f32_e32 v99, v91, v94
	v_add_f32_e32 v98, v98, v99
	v_mul_f32_e32 v99, v92, v97
	v_fmac_f32_e32 v99, v93, v96
	v_add_f32_e32 v106, v98, v99
	ds_read_b128 v[98:101], v160 offset:672
	v_add_f32_e32 v2, v2, v3
	v_mul_f32_e32 v3, v69, v73
	v_fma_f32 v3, v68, v72, -v3
	v_add_f32_e32 v2, v2, v3
	s_waitcnt lgkmcnt(0)
	v_mul_f32_e32 v107, v98, v103
	v_fmac_f32_e32 v107, v99, v102
	v_add_f32_e32 v106, v106, v107
	v_mul_f32_e32 v107, v100, v105
	v_fmac_f32_e32 v107, v101, v104
	v_add_f32_e32 v114, v106, v107
	ds_read_b128 v[106:109], v160 offset:688
	v_mul_f32_e32 v3, v75, v79
	v_fma_f32 v3, v74, v78, -v3
	v_add_f32_e32 v2, v2, v3
	v_mul_f32_e32 v3, v77, v81
	s_waitcnt lgkmcnt(0)
	v_mul_f32_e32 v115, v106, v111
	v_fmac_f32_e32 v115, v107, v110
	v_add_f32_e32 v114, v114, v115
	v_mul_f32_e32 v115, v108, v113
	v_fmac_f32_e32 v115, v109, v112
	v_add_f32_e32 v122, v114, v115
	ds_read_b128 v[114:117], v160 offset:704
	v_fma_f32 v3, v76, v80, -v3
	v_add_f32_e32 v2, v2, v3
	v_mul_f32_e32 v3, v83, v87
	v_fma_f32 v3, v82, v86, -v3
	s_waitcnt lgkmcnt(0)
	v_mul_f32_e32 v123, v114, v119
	v_fmac_f32_e32 v123, v115, v118
	v_add_f32_e32 v122, v122, v123
	v_mul_f32_e32 v123, v116, v121
	v_fmac_f32_e32 v123, v117, v120
	v_add_f32_e32 v130, v122, v123
	ds_read_b128 v[122:125], v160 offset:720
	v_add_f32_e32 v2, v2, v3
	v_mul_f32_e32 v3, v85, v89
	v_fma_f32 v3, v84, v88, -v3
	v_add_f32_e32 v2, v2, v3
	s_waitcnt lgkmcnt(0)
	v_mul_f32_e32 v131, v122, v127
	v_fmac_f32_e32 v131, v123, v126
	v_add_f32_e32 v130, v130, v131
	v_mul_f32_e32 v131, v124, v129
	v_fmac_f32_e32 v131, v125, v128
	v_add_f32_e32 v138, v130, v131
	ds_read_b128 v[130:133], v160 offset:736
	v_mul_f32_e32 v3, v91, v95
	v_fma_f32 v3, v90, v94, -v3
	v_add_f32_e32 v2, v2, v3
	v_mul_f32_e32 v3, v93, v97
	s_waitcnt lgkmcnt(0)
	v_mul_f32_e32 v139, v130, v135
	v_fmac_f32_e32 v139, v131, v134
	v_add_f32_e32 v138, v138, v139
	v_mul_f32_e32 v139, v132, v137
	v_fmac_f32_e32 v139, v133, v136
	v_add_f32_e32 v146, v138, v139
	ds_read_b128 v[138:141], v160 offset:752
	v_fma_f32 v3, v92, v96, -v3
	v_add_f32_e32 v2, v2, v3
	v_mul_f32_e32 v3, v99, v103
	v_fma_f32 v3, v98, v102, -v3
	s_waitcnt lgkmcnt(0)
	v_mul_f32_e32 v147, v138, v143
	v_fmac_f32_e32 v147, v139, v142
	v_add_f32_e32 v146, v146, v147
	v_mul_f32_e32 v147, v140, v145
	v_fmac_f32_e32 v147, v141, v144
	v_add_f32_e32 v161, v146, v147
	ds_read_b128 v[146:149], v160 offset:768
	v_add_f32_e32 v2, v2, v3
	v_mul_f32_e32 v3, v101, v105
	v_fma_f32 v3, v100, v104, -v3
	v_add_f32_e32 v2, v2, v3
	s_waitcnt lgkmcnt(0)
	v_mul_f32_e32 v166, v146, v163
	v_fmac_f32_e32 v166, v147, v162
	v_add_f32_e32 v161, v161, v166
	v_mul_f32_e32 v166, v148, v165
	v_fmac_f32_e32 v166, v149, v164
	v_add_f32_e32 v161, v161, v166
	ds_read_b128 v[166:169], v160 offset:784
	v_mul_f32_e32 v3, v107, v111
	v_fma_f32 v3, v106, v110, -v3
	v_add_f32_e32 v2, v2, v3
	v_mul_f32_e32 v3, v109, v113
	s_waitcnt lgkmcnt(0)
	v_mul_f32_e32 v174, v166, v171
	v_fmac_f32_e32 v174, v167, v170
	v_add_f32_e32 v161, v161, v174
	v_mul_f32_e32 v174, v168, v173
	v_fmac_f32_e32 v174, v169, v172
	v_add_f32_e32 v161, v161, v174
	ds_read_b128 v[174:177], v160 offset:800
	v_fma_f32 v3, v108, v112, -v3
	v_add_f32_e32 v2, v2, v3
	v_mul_f32_e32 v3, v115, v119
	v_fma_f32 v3, v114, v118, -v3
	s_waitcnt lgkmcnt(0)
	v_mul_f32_e32 v182, v174, v179
	v_fmac_f32_e32 v182, v175, v178
	v_add_f32_e32 v161, v161, v182
	v_mul_f32_e32 v182, v176, v181
	v_fmac_f32_e32 v182, v177, v180
	v_add_f32_e32 v161, v161, v182
	ds_read_b128 v[182:185], v160 offset:816
	v_add_f32_e32 v2, v2, v3
	v_mul_f32_e32 v3, v117, v121
	v_fma_f32 v3, v116, v120, -v3
	v_add_f32_e32 v2, v2, v3
	s_waitcnt lgkmcnt(0)
	v_mul_f32_e32 v190, v182, v187
	v_fmac_f32_e32 v190, v183, v186
	v_add_f32_e32 v161, v161, v190
	v_mul_f32_e32 v190, v184, v189
	v_fmac_f32_e32 v190, v185, v188
	v_add_f32_e32 v161, v161, v190
	ds_read_b128 v[190:193], v160 offset:832
	v_mul_f32_e32 v3, v123, v127
	v_fma_f32 v3, v122, v126, -v3
	v_add_f32_e32 v2, v2, v3
	v_mul_f32_e32 v3, v125, v129
	s_waitcnt lgkmcnt(0)
	v_mul_f32_e32 v198, v190, v195
	v_fmac_f32_e32 v198, v191, v194
	v_add_f32_e32 v161, v161, v198
	v_mul_f32_e32 v198, v192, v197
	v_fmac_f32_e32 v198, v193, v196
	v_add_f32_e32 v223, v161, v198
	ds_read_b128 v[198:201], v160 offset:848
	scratch_load_dwordx4 v[206:209], off, off offset:400
	scratch_load_dwordx4 v[210:213], off, off offset:416
	scratch_load_dwordx4 v[214:217], off, off offset:432
	scratch_load_dwordx4 v[218:221], off, off offset:448
	v_fma_f32 v3, v124, v128, -v3
	v_add_f32_e32 v2, v2, v3
	v_mul_f32_e32 v3, v131, v135
	v_fma_f32 v3, v130, v134, -v3
	v_add_f32_e32 v2, v2, v3
	v_mul_f32_e32 v3, v133, v137
	;; [unrolled: 3-line block ×14, first 2 shown]
	v_fma_f32 v3, v192, v196, -v3
	v_add_f32_e32 v222, v2, v3
	s_waitcnt lgkmcnt(0)
	v_mul_f32_e32 v2, v199, v203
	v_fma_f32 v224, v198, v202, -v2
	v_mul_f32_e32 v2, v201, v205
	v_fma_f32 v226, v200, v204, -v2
	ds_read_b128 v[2:5], v160 offset:864
	ds_read_b128 v[6:9], v160 offset:880
	ds_read_b128 v[10:13], v160 offset:896
	ds_read_b128 v[14:17], v160 offset:912
	v_mul_f32_e32 v225, v198, v203
	v_fmac_f32_e32 v225, v199, v202
	v_mul_f32_e32 v227, v200, v205
	v_fmac_f32_e32 v227, v201, v204
	v_pk_add_f32 v[18:19], v[222:223], v[224:225]
	s_waitcnt vmcnt(3) lgkmcnt(3)
	v_pk_mul_f32 v[20:21], v[2:3], v[206:207] op_sel:[1,1] op_sel_hi:[0,1]
	v_pk_fma_f32 v[22:23], v[2:3], v[206:207], v[20:21] neg_lo:[0,0,1] neg_hi:[0,0,1]
	v_pk_fma_f32 v[2:3], v[2:3], v[206:207], v[20:21] op_sel_hi:[1,0,1]
	v_pk_add_f32 v[18:19], v[18:19], v[226:227]
	v_mov_b32_e32 v23, v3
	v_pk_add_f32 v[2:3], v[18:19], v[22:23]
	v_mov_b32_e32 v18, v209
	v_pk_mul_f32 v[18:19], v[4:5], v[18:19] op_sel:[1,0] op_sel_hi:[0,0]
	v_pk_fma_f32 v[20:21], v[4:5], v[208:209], v[18:19] neg_lo:[0,0,1] neg_hi:[0,0,1]
	v_pk_fma_f32 v[4:5], v[4:5], v[208:209], v[18:19] op_sel_hi:[1,0,1]
	s_nop 0
	v_mov_b32_e32 v21, v5
	s_waitcnt vmcnt(2) lgkmcnt(2)
	v_pk_mul_f32 v[4:5], v[6:7], v[210:211] op_sel:[1,1] op_sel_hi:[0,1]
	v_pk_fma_f32 v[18:19], v[6:7], v[210:211], v[4:5] neg_lo:[0,0,1] neg_hi:[0,0,1]
	v_pk_fma_f32 v[4:5], v[6:7], v[210:211], v[4:5] op_sel_hi:[1,0,1]
	v_pk_add_f32 v[2:3], v[2:3], v[20:21]
	v_mov_b32_e32 v4, v213
	v_mov_b32_e32 v19, v5
	v_pk_mul_f32 v[4:5], v[8:9], v[4:5] op_sel:[1,0] op_sel_hi:[0,0]
	v_pk_fma_f32 v[6:7], v[8:9], v[212:213], v[4:5] neg_lo:[0,0,1] neg_hi:[0,0,1]
	v_pk_fma_f32 v[4:5], v[8:9], v[212:213], v[4:5] op_sel_hi:[1,0,1]
	v_pk_add_f32 v[2:3], v[2:3], v[18:19]
	v_mov_b32_e32 v7, v5
	s_waitcnt vmcnt(1) lgkmcnt(1)
	v_pk_mul_f32 v[4:5], v[10:11], v[214:215] op_sel:[1,1] op_sel_hi:[0,1]
	v_pk_add_f32 v[2:3], v[2:3], v[6:7]
	v_pk_fma_f32 v[6:7], v[10:11], v[214:215], v[4:5] neg_lo:[0,0,1] neg_hi:[0,0,1]
	v_pk_fma_f32 v[4:5], v[10:11], v[214:215], v[4:5] op_sel_hi:[1,0,1]
	s_nop 0
	v_mov_b32_e32 v4, v217
	v_mov_b32_e32 v7, v5
	v_pk_mul_f32 v[4:5], v[12:13], v[4:5] op_sel:[1,0] op_sel_hi:[0,0]
	v_pk_add_f32 v[2:3], v[2:3], v[6:7]
	v_pk_fma_f32 v[6:7], v[12:13], v[216:217], v[4:5] neg_lo:[0,0,1] neg_hi:[0,0,1]
	v_pk_fma_f32 v[4:5], v[12:13], v[216:217], v[4:5] op_sel_hi:[1,0,1]
	s_nop 0
	v_mov_b32_e32 v7, v5
	s_waitcnt vmcnt(0) lgkmcnt(0)
	v_pk_mul_f32 v[4:5], v[14:15], v[218:219] op_sel:[1,1] op_sel_hi:[0,1]
	v_pk_add_f32 v[2:3], v[2:3], v[6:7]
	v_pk_fma_f32 v[6:7], v[14:15], v[218:219], v[4:5] neg_lo:[0,0,1] neg_hi:[0,0,1]
	v_pk_fma_f32 v[4:5], v[14:15], v[218:219], v[4:5] op_sel_hi:[1,0,1]
	s_nop 0
	v_mov_b32_e32 v4, v221
	v_mov_b32_e32 v7, v5
	v_pk_mul_f32 v[4:5], v[16:17], v[4:5] op_sel:[1,0] op_sel_hi:[0,0]
	v_pk_add_f32 v[2:3], v[2:3], v[6:7]
	v_pk_fma_f32 v[6:7], v[16:17], v[220:221], v[4:5] neg_lo:[0,0,1] neg_hi:[0,0,1]
	v_pk_fma_f32 v[4:5], v[16:17], v[220:221], v[4:5] op_sel_hi:[1,0,1]
	s_nop 0
	v_mov_b32_e32 v7, v5
	scratch_load_dwordx2 v[4:5], off, off offset:8
	v_pk_add_f32 v[2:3], v[2:3], v[6:7]
	s_waitcnt vmcnt(0)
	v_pk_add_f32 v[2:3], v[4:5], v[2:3] neg_lo:[0,1] neg_hi:[0,1]
	scratch_store_dwordx2 off, v[2:3], off offset:8
	s_and_saveexec_b64 s[0:1], vcc
	s_cbranch_execz .LBB57_361
; %bb.360:
	scratch_load_dwordx2 v[2:3], off, off
	v_mov_b32_e32 v4, 0
	v_mov_b32_e32 v5, v4
	scratch_store_dwordx2 off, v[4:5], off
	s_waitcnt vmcnt(1)
	ds_write_b64 v1, v[2:3]
.LBB57_361:
	s_or_b64 exec, exec, s[0:1]
	s_waitcnt lgkmcnt(0)
	; wave barrier
	scratch_load_dwordx4 v[4:7], off, off offset:8
	scratch_load_dwordx4 v[12:15], off, off offset:24
	;; [unrolled: 1-line block ×10, first 2 shown]
	v_mov_b32_e32 v148, 0
	ds_read2_b64 v[0:3], v148 offset0:59 offset1:60
	scratch_load_dwordx4 v[84:87], off, off offset:168
	scratch_load_dwordx4 v[92:95], off, off offset:184
	scratch_load_dwordx4 v[100:103], off, off offset:200
	scratch_load_dwordx4 v[108:111], off, off offset:216
	scratch_load_dwordx4 v[116:119], off, off offset:232
	scratch_load_dwordx4 v[124:127], off, off offset:248
	scratch_load_dwordx4 v[132:135], off, off offset:264
	scratch_load_dwordx4 v[140:143], off, off offset:280
	scratch_load_dwordx4 v[160:163], off, off offset:296
	scratch_load_dwordx4 v[168:171], off, off offset:312
	scratch_load_dwordx4 v[176:179], off, off offset:328
	scratch_load_dwordx4 v[184:187], off, off offset:344
	scratch_load_dwordx4 v[192:195], off, off offset:360
	scratch_load_dwordx4 v[200:203], off, off offset:376
	scratch_load_dwordx4 v[208:211], off, off offset:392
	s_and_b64 vcc, exec, s[18:19]
	s_waitcnt vmcnt(24) lgkmcnt(0)
	v_mul_f32_e32 v8, v0, v5
	v_fmac_f32_e32 v8, v1, v4
	v_mul_f32_e32 v9, v2, v7
	v_add_f32_e32 v8, 0, v8
	v_fmac_f32_e32 v9, v3, v6
	v_add_f32_e32 v16, v8, v9
	ds_read2_b64 v[8:11], v148 offset0:61 offset1:62
	v_mul_f32_e32 v1, v1, v5
	v_fma_f32 v0, v0, v4, -v1
	v_mul_f32_e32 v1, v3, v7
	v_add_f32_e32 v0, 0, v0
	s_waitcnt vmcnt(23) lgkmcnt(0)
	v_mul_f32_e32 v17, v8, v13
	v_fmac_f32_e32 v17, v9, v12
	v_add_f32_e32 v16, v16, v17
	v_mul_f32_e32 v17, v10, v15
	v_fmac_f32_e32 v17, v11, v14
	v_add_f32_e32 v24, v16, v17
	ds_read2_b64 v[16:19], v148 offset0:63 offset1:64
	v_fma_f32 v1, v2, v6, -v1
	v_add_f32_e32 v0, v0, v1
	v_mul_f32_e32 v1, v9, v13
	v_fma_f32 v1, v8, v12, -v1
	s_waitcnt vmcnt(22) lgkmcnt(0)
	v_mul_f32_e32 v25, v16, v21
	v_fmac_f32_e32 v25, v17, v20
	v_add_f32_e32 v24, v24, v25
	v_mul_f32_e32 v25, v18, v23
	v_fmac_f32_e32 v25, v19, v22
	v_add_f32_e32 v32, v24, v25
	ds_read2_b64 v[24:27], v148 offset0:65 offset1:66
	v_add_f32_e32 v0, v0, v1
	v_mul_f32_e32 v1, v11, v15
	v_fma_f32 v1, v10, v14, -v1
	v_add_f32_e32 v0, v0, v1
	s_waitcnt vmcnt(21) lgkmcnt(0)
	v_mul_f32_e32 v33, v24, v29
	v_fmac_f32_e32 v33, v25, v28
	v_add_f32_e32 v32, v32, v33
	v_mul_f32_e32 v33, v26, v31
	v_fmac_f32_e32 v33, v27, v30
	v_add_f32_e32 v40, v32, v33
	ds_read2_b64 v[32:35], v148 offset0:67 offset1:68
	v_mul_f32_e32 v1, v17, v21
	v_fma_f32 v1, v16, v20, -v1
	v_add_f32_e32 v0, v0, v1
	v_mul_f32_e32 v1, v19, v23
	s_waitcnt vmcnt(20) lgkmcnt(0)
	v_mul_f32_e32 v41, v32, v37
	v_fmac_f32_e32 v41, v33, v36
	v_add_f32_e32 v40, v40, v41
	v_mul_f32_e32 v41, v34, v39
	v_fmac_f32_e32 v41, v35, v38
	v_add_f32_e32 v48, v40, v41
	ds_read2_b64 v[40:43], v148 offset0:69 offset1:70
	v_fma_f32 v1, v18, v22, -v1
	v_add_f32_e32 v0, v0, v1
	v_mul_f32_e32 v1, v25, v29
	v_fma_f32 v1, v24, v28, -v1
	s_waitcnt vmcnt(19) lgkmcnt(0)
	v_mul_f32_e32 v49, v40, v45
	v_fmac_f32_e32 v49, v41, v44
	v_add_f32_e32 v48, v48, v49
	v_mul_f32_e32 v49, v42, v47
	v_fmac_f32_e32 v49, v43, v46
	v_add_f32_e32 v56, v48, v49
	ds_read2_b64 v[48:51], v148 offset0:71 offset1:72
	v_add_f32_e32 v0, v0, v1
	v_mul_f32_e32 v1, v27, v31
	v_fma_f32 v1, v26, v30, -v1
	v_add_f32_e32 v0, v0, v1
	s_waitcnt vmcnt(18) lgkmcnt(0)
	v_mul_f32_e32 v57, v48, v53
	v_fmac_f32_e32 v57, v49, v52
	v_add_f32_e32 v56, v56, v57
	v_mul_f32_e32 v57, v50, v55
	v_fmac_f32_e32 v57, v51, v54
	v_add_f32_e32 v64, v56, v57
	ds_read2_b64 v[56:59], v148 offset0:73 offset1:74
	v_mul_f32_e32 v1, v33, v37
	v_fma_f32 v1, v32, v36, -v1
	v_add_f32_e32 v0, v0, v1
	v_mul_f32_e32 v1, v35, v39
	;; [unrolled: 36-line block ×7, first 2 shown]
	s_waitcnt vmcnt(2) lgkmcnt(0)
	v_mul_f32_e32 v196, v188, v193
	v_fmac_f32_e32 v196, v189, v192
	v_add_f32_e32 v149, v149, v196
	v_mul_f32_e32 v196, v190, v195
	v_fmac_f32_e32 v196, v191, v194
	v_add_f32_e32 v149, v149, v196
	ds_read2_b64 v[196:199], v148 offset0:105 offset1:106
	v_fma_f32 v1, v114, v118, -v1
	v_add_f32_e32 v0, v0, v1
	v_mul_f32_e32 v1, v121, v125
	v_fma_f32 v1, v120, v124, -v1
	s_waitcnt vmcnt(1) lgkmcnt(0)
	v_mul_f32_e32 v204, v196, v201
	v_fmac_f32_e32 v204, v197, v200
	v_add_f32_e32 v225, v149, v204
	ds_read2_b64 v[204:207], v148 offset0:107 offset1:108
	scratch_load_dwordx4 v[212:215], off, off offset:408
	scratch_load_dwordx4 v[216:219], off, off offset:424
	;; [unrolled: 1-line block ×3, first 2 shown]
	scratch_load_dwordx2 v[230:231], off, off offset:456
	v_add_f32_e32 v0, v0, v1
	v_mul_f32_e32 v1, v123, v127
	v_fma_f32 v1, v122, v126, -v1
	v_add_f32_e32 v0, v0, v1
	v_mul_f32_e32 v1, v129, v133
	v_fma_f32 v1, v128, v132, -v1
	;; [unrolled: 3-line block ×16, first 2 shown]
	v_add_f32_e32 v224, v0, v1
	v_mul_f32_e32 v0, v199, v203
	v_mul_f32_e32 v227, v198, v203
	v_fma_f32 v226, v198, v202, -v0
	s_waitcnt vmcnt(4) lgkmcnt(0)
	v_mul_f32_e32 v0, v205, v209
	v_mov_b32_e32 v16, v211
	v_fmac_f32_e32 v227, v199, v202
	v_mul_f32_e32 v229, v204, v209
	v_fma_f32 v228, v204, v208, -v0
	ds_read2_b64 v[0:3], v148 offset0:109 offset1:110
	ds_read2_b64 v[4:7], v148 offset0:111 offset1:112
	;; [unrolled: 1-line block ×3, first 2 shown]
	ds_read_b64 v[12:13], v148 offset:920
	v_pk_mul_f32 v[16:17], v[206:207], v[16:17] op_sel:[1,0] op_sel_hi:[0,0]
	v_fmac_f32_e32 v229, v205, v208
	v_pk_add_f32 v[14:15], v[224:225], v[226:227]
	v_pk_fma_f32 v[18:19], v[206:207], v[210:211], v[16:17] neg_lo:[0,0,1] neg_hi:[0,0,1]
	v_pk_fma_f32 v[16:17], v[206:207], v[210:211], v[16:17] op_sel_hi:[1,0,1]
	v_pk_add_f32 v[14:15], v[14:15], v[228:229]
	v_mov_b32_e32 v19, v17
	v_pk_add_f32 v[14:15], v[14:15], v[18:19]
	s_waitcnt vmcnt(3) lgkmcnt(3)
	v_pk_mul_f32 v[16:17], v[0:1], v[212:213] op_sel:[1,1] op_sel_hi:[0,1]
	v_pk_fma_f32 v[18:19], v[0:1], v[212:213], v[16:17] neg_lo:[0,0,1] neg_hi:[0,0,1]
	v_pk_fma_f32 v[0:1], v[0:1], v[212:213], v[16:17] op_sel_hi:[1,0,1]
	s_nop 0
	v_mov_b32_e32 v19, v1
	v_pk_add_f32 v[0:1], v[14:15], v[18:19]
	v_mov_b32_e32 v14, v215
	v_pk_mul_f32 v[14:15], v[2:3], v[14:15] op_sel:[1,0] op_sel_hi:[0,0]
	v_pk_fma_f32 v[16:17], v[2:3], v[214:215], v[14:15] neg_lo:[0,0,1] neg_hi:[0,0,1]
	v_pk_fma_f32 v[2:3], v[2:3], v[214:215], v[14:15] op_sel_hi:[1,0,1]
	s_nop 0
	v_mov_b32_e32 v17, v3
	s_waitcnt vmcnt(2) lgkmcnt(2)
	v_pk_mul_f32 v[2:3], v[4:5], v[216:217] op_sel:[1,1] op_sel_hi:[0,1]
	v_pk_fma_f32 v[14:15], v[4:5], v[216:217], v[2:3] neg_lo:[0,0,1] neg_hi:[0,0,1]
	v_pk_fma_f32 v[2:3], v[4:5], v[216:217], v[2:3] op_sel_hi:[1,0,1]
	v_pk_add_f32 v[0:1], v[0:1], v[16:17]
	v_mov_b32_e32 v2, v219
	v_mov_b32_e32 v15, v3
	v_pk_mul_f32 v[2:3], v[6:7], v[2:3] op_sel:[1,0] op_sel_hi:[0,0]
	v_pk_fma_f32 v[4:5], v[6:7], v[218:219], v[2:3] neg_lo:[0,0,1] neg_hi:[0,0,1]
	v_pk_fma_f32 v[2:3], v[6:7], v[218:219], v[2:3] op_sel_hi:[1,0,1]
	v_pk_add_f32 v[0:1], v[0:1], v[14:15]
	v_mov_b32_e32 v5, v3
	s_waitcnt vmcnt(1) lgkmcnt(1)
	v_pk_mul_f32 v[2:3], v[8:9], v[220:221] op_sel:[1,1] op_sel_hi:[0,1]
	v_pk_add_f32 v[0:1], v[0:1], v[4:5]
	v_pk_fma_f32 v[4:5], v[8:9], v[220:221], v[2:3] neg_lo:[0,0,1] neg_hi:[0,0,1]
	v_pk_fma_f32 v[2:3], v[8:9], v[220:221], v[2:3] op_sel_hi:[1,0,1]
	s_nop 0
	v_mov_b32_e32 v2, v223
	v_mov_b32_e32 v5, v3
	v_pk_mul_f32 v[2:3], v[10:11], v[2:3] op_sel:[1,0] op_sel_hi:[0,0]
	v_pk_add_f32 v[0:1], v[0:1], v[4:5]
	v_pk_fma_f32 v[4:5], v[10:11], v[222:223], v[2:3] neg_lo:[0,0,1] neg_hi:[0,0,1]
	v_pk_fma_f32 v[2:3], v[10:11], v[222:223], v[2:3] op_sel_hi:[1,0,1]
	s_nop 0
	v_mov_b32_e32 v5, v3
	s_waitcnt vmcnt(0) lgkmcnt(0)
	v_pk_mul_f32 v[2:3], v[12:13], v[230:231] op_sel:[1,1] op_sel_hi:[0,1]
	v_pk_add_f32 v[0:1], v[0:1], v[4:5]
	v_pk_fma_f32 v[4:5], v[12:13], v[230:231], v[2:3] neg_lo:[0,0,1] neg_hi:[0,0,1]
	v_pk_fma_f32 v[2:3], v[12:13], v[230:231], v[2:3] op_sel_hi:[1,0,1]
	s_nop 0
	v_mov_b32_e32 v5, v3
	scratch_load_dwordx2 v[2:3], off, off
	v_pk_add_f32 v[0:1], v[0:1], v[4:5]
	s_waitcnt vmcnt(0)
	v_pk_add_f32 v[0:1], v[2:3], v[0:1] neg_lo:[0,1] neg_hi:[0,1]
	scratch_store_dwordx2 off, v[0:1], off
	s_cbranch_vccz .LBB57_476
; %bb.362:
	global_load_dword v0, v148, s[16:17] offset:224
	s_waitcnt vmcnt(0)
	v_readfirstlane_b32 s0, v0
	s_add_i32 s0, s0, -1
	s_cmp_lg_u32 s0, 56
	s_cbranch_scc0 .LBB57_364
; %bb.363:
	s_lshl_b32 s0, s0, 3
	s_nop 0
	scratch_load_dwordx2 v[0:1], off, s0
	scratch_load_dwordx2 v[2:3], off, off offset:448
	s_waitcnt vmcnt(1)
	scratch_store_dwordx2 off, v[0:1], off offset:448
	s_waitcnt vmcnt(1)
	scratch_store_dwordx2 off, v[2:3], s0
.LBB57_364:
	v_mov_b32_e32 v0, 0
	global_load_dword v1, v0, s[16:17] offset:220
	s_waitcnt vmcnt(0)
	v_readfirstlane_b32 s0, v1
	s_add_i32 s0, s0, -1
	s_cmp_eq_u32 s0, 55
	s_cbranch_scc1 .LBB57_366
; %bb.365:
	s_lshl_b32 s0, s0, 3
	s_nop 0
	scratch_load_dwordx2 v[2:3], off, s0
	scratch_load_dwordx2 v[4:5], off, off offset:440
	s_waitcnt vmcnt(1)
	scratch_store_dwordx2 off, v[2:3], off offset:440
	s_waitcnt vmcnt(1)
	scratch_store_dwordx2 off, v[4:5], s0
.LBB57_366:
	global_load_dword v0, v0, s[16:17] offset:216
	s_waitcnt vmcnt(0)
	v_readfirstlane_b32 s0, v0
	s_add_i32 s0, s0, -1
	s_cmp_eq_u32 s0, 54
	s_cbranch_scc1 .LBB57_368
; %bb.367:
	s_lshl_b32 s0, s0, 3
	s_nop 0
	scratch_load_dwordx2 v[0:1], off, s0
	scratch_load_dwordx2 v[2:3], off, off offset:432
	s_waitcnt vmcnt(1)
	scratch_store_dwordx2 off, v[0:1], off offset:432
	s_waitcnt vmcnt(1)
	scratch_store_dwordx2 off, v[2:3], s0
.LBB57_368:
	v_mov_b32_e32 v0, 0
	global_load_dword v1, v0, s[16:17] offset:212
	s_waitcnt vmcnt(0)
	v_readfirstlane_b32 s0, v1
	s_add_i32 s0, s0, -1
	s_cmp_eq_u32 s0, 53
	s_cbranch_scc1 .LBB57_370
; %bb.369:
	s_lshl_b32 s0, s0, 3
	s_nop 0
	scratch_load_dwordx2 v[2:3], off, s0
	scratch_load_dwordx2 v[4:5], off, off offset:424
	s_waitcnt vmcnt(1)
	scratch_store_dwordx2 off, v[2:3], off offset:424
	s_waitcnt vmcnt(1)
	scratch_store_dwordx2 off, v[4:5], s0
.LBB57_370:
	global_load_dword v0, v0, s[16:17] offset:208
	s_waitcnt vmcnt(0)
	v_readfirstlane_b32 s0, v0
	s_add_i32 s0, s0, -1
	s_cmp_eq_u32 s0, 52
	s_cbranch_scc1 .LBB57_372
; %bb.371:
	s_lshl_b32 s0, s0, 3
	s_nop 0
	scratch_load_dwordx2 v[0:1], off, s0
	scratch_load_dwordx2 v[2:3], off, off offset:416
	s_waitcnt vmcnt(1)
	scratch_store_dwordx2 off, v[0:1], off offset:416
	s_waitcnt vmcnt(1)
	scratch_store_dwordx2 off, v[2:3], s0
.LBB57_372:
	;; [unrolled: 33-line block ×27, first 2 shown]
	v_mov_b32_e32 v0, 0
	global_load_dword v1, v0, s[16:17] offset:4
	s_waitcnt vmcnt(0)
	v_readfirstlane_b32 s0, v1
	s_add_i32 s0, s0, -1
	s_cmp_eq_u32 s0, 1
	s_cbranch_scc1 .LBB57_474
; %bb.473:
	s_lshl_b32 s0, s0, 3
	s_nop 0
	scratch_load_dwordx2 v[2:3], off, s0
	scratch_load_dwordx2 v[4:5], off, off offset:8
	s_waitcnt vmcnt(1)
	scratch_store_dwordx2 off, v[2:3], off offset:8
	s_waitcnt vmcnt(1)
	scratch_store_dwordx2 off, v[4:5], s0
.LBB57_474:
	global_load_dword v2, v0, s[16:17]
	s_nop 0
	scratch_load_dwordx2 v[0:1], off, off
	s_waitcnt vmcnt(1)
	v_readfirstlane_b32 s0, v2
	s_add_i32 s0, s0, -1
	s_cmp_eq_u32 s0, 0
	s_cbranch_scc1 .LBB57_476
; %bb.475:
	s_lshl_b32 s0, s0, 3
	s_nop 0
	scratch_load_dwordx2 v[2:3], off, s0
	s_waitcnt vmcnt(0)
	scratch_store_dwordx2 off, v[2:3], off
	scratch_store_dwordx2 off, v[0:1], s0
	scratch_load_dwordx2 v[0:1], off, off
.LBB57_476:
	s_nop 0
	scratch_load_dwordx4 v[4:7], off, off offset:8
	scratch_load_dwordx4 v[8:11], off, off offset:24
	scratch_load_dwordx4 v[12:15], off, off offset:40
	scratch_load_dwordx4 v[16:19], off, off offset:56
	scratch_load_dwordx4 v[20:23], off, off offset:72
	scratch_load_dwordx4 v[24:27], off, off offset:88
	scratch_load_dwordx4 v[28:31], off, off offset:104
	scratch_load_dwordx4 v[32:35], off, off offset:120
	scratch_load_dwordx4 v[36:39], off, off offset:136
	scratch_load_dwordx4 v[40:43], off, off offset:152
	scratch_load_dwordx4 v[44:47], off, off offset:168
	scratch_load_dwordx4 v[48:51], off, off offset:184
	scratch_load_dwordx4 v[52:55], off, off offset:200
	scratch_load_dwordx4 v[56:59], off, off offset:216
	scratch_load_dwordx4 v[60:63], off, off offset:232
	scratch_load_dwordx4 v[64:67], off, off offset:248
	scratch_load_dwordx4 v[68:71], off, off offset:264
	scratch_load_dwordx4 v[72:75], off, off offset:280
	scratch_load_dwordx4 v[76:79], off, off offset:296
	scratch_load_dwordx4 v[80:83], off, off offset:312
	scratch_load_dwordx4 v[84:87], off, off offset:328
	scratch_load_dwordx4 v[88:91], off, off offset:344
	scratch_load_dwordx4 v[92:95], off, off offset:360
	scratch_load_dwordx4 v[96:99], off, off offset:376
	scratch_load_dwordx4 v[100:103], off, off offset:392
	scratch_load_dwordx4 v[104:107], off, off offset:408
	scratch_load_dwordx4 v[108:111], off, off offset:424
	scratch_load_dwordx4 v[112:115], off, off offset:440
	scratch_load_dwordx2 v[2:3], off, off offset:456
	v_accvgpr_read_b32 v117, a1
	v_accvgpr_read_b32 v116, a0
	s_waitcnt vmcnt(29)
	global_store_dwordx2 v[116:117], v[0:1], off
	v_accvgpr_read_b32 v0, a2
	v_accvgpr_read_b32 v1, a3
	s_waitcnt vmcnt(29)
	global_store_dwordx2 v[0:1], v[4:5], off
	v_accvgpr_read_b32 v0, a4
	v_accvgpr_read_b32 v1, a5
	global_store_dwordx2 v[0:1], v[6:7], off
	v_accvgpr_read_b32 v0, a6
	v_accvgpr_read_b32 v1, a7
	s_waitcnt vmcnt(30)
	global_store_dwordx2 v[0:1], v[8:9], off
	v_accvgpr_read_b32 v0, a8
	v_accvgpr_read_b32 v1, a9
	;; [unrolled: 7-line block ×20, first 2 shown]
	global_store_dwordx2 v[0:1], v[82:83], off
	s_waitcnt vmcnt(49)
	global_store_dwordx2 v[232:233], v[84:85], off
	global_store_dwordx2 v[234:235], v[86:87], off
	s_waitcnt vmcnt(50)
	global_store_dwordx2 v[236:237], v[88:89], off
	;; [unrolled: 3-line block ×9, first 2 shown]
	s_endpgm
	.section	.rodata,"a",@progbits
	.p2align	6, 0x0
	.amdhsa_kernel _ZN9rocsolver6v33100L18getri_kernel_smallILi58E19rocblas_complex_numIfEPS3_EEvT1_iilPiilS6_bb
		.amdhsa_group_segment_fixed_size 932
		.amdhsa_private_segment_fixed_size 480
		.amdhsa_kernarg_size 60
		.amdhsa_user_sgpr_count 2
		.amdhsa_user_sgpr_dispatch_ptr 0
		.amdhsa_user_sgpr_queue_ptr 0
		.amdhsa_user_sgpr_kernarg_segment_ptr 1
		.amdhsa_user_sgpr_dispatch_id 0
		.amdhsa_user_sgpr_kernarg_preload_length 0
		.amdhsa_user_sgpr_kernarg_preload_offset 0
		.amdhsa_user_sgpr_private_segment_size 0
		.amdhsa_uses_dynamic_stack 0
		.amdhsa_enable_private_segment 1
		.amdhsa_system_sgpr_workgroup_id_x 1
		.amdhsa_system_sgpr_workgroup_id_y 0
		.amdhsa_system_sgpr_workgroup_id_z 0
		.amdhsa_system_sgpr_workgroup_info 0
		.amdhsa_system_vgpr_workitem_id 0
		.amdhsa_next_free_vgpr 338
		.amdhsa_next_free_sgpr 20
		.amdhsa_accum_offset 256
		.amdhsa_reserve_vcc 1
		.amdhsa_float_round_mode_32 0
		.amdhsa_float_round_mode_16_64 0
		.amdhsa_float_denorm_mode_32 3
		.amdhsa_float_denorm_mode_16_64 3
		.amdhsa_dx10_clamp 1
		.amdhsa_ieee_mode 1
		.amdhsa_fp16_overflow 0
		.amdhsa_tg_split 0
		.amdhsa_exception_fp_ieee_invalid_op 0
		.amdhsa_exception_fp_denorm_src 0
		.amdhsa_exception_fp_ieee_div_zero 0
		.amdhsa_exception_fp_ieee_overflow 0
		.amdhsa_exception_fp_ieee_underflow 0
		.amdhsa_exception_fp_ieee_inexact 0
		.amdhsa_exception_int_div_zero 0
	.end_amdhsa_kernel
	.section	.text._ZN9rocsolver6v33100L18getri_kernel_smallILi58E19rocblas_complex_numIfEPS3_EEvT1_iilPiilS6_bb,"axG",@progbits,_ZN9rocsolver6v33100L18getri_kernel_smallILi58E19rocblas_complex_numIfEPS3_EEvT1_iilPiilS6_bb,comdat
.Lfunc_end57:
	.size	_ZN9rocsolver6v33100L18getri_kernel_smallILi58E19rocblas_complex_numIfEPS3_EEvT1_iilPiilS6_bb, .Lfunc_end57-_ZN9rocsolver6v33100L18getri_kernel_smallILi58E19rocblas_complex_numIfEPS3_EEvT1_iilPiilS6_bb
                                        ; -- End function
	.set _ZN9rocsolver6v33100L18getri_kernel_smallILi58E19rocblas_complex_numIfEPS3_EEvT1_iilPiilS6_bb.num_vgpr, 256
	.set _ZN9rocsolver6v33100L18getri_kernel_smallILi58E19rocblas_complex_numIfEPS3_EEvT1_iilPiilS6_bb.num_agpr, 82
	.set _ZN9rocsolver6v33100L18getri_kernel_smallILi58E19rocblas_complex_numIfEPS3_EEvT1_iilPiilS6_bb.numbered_sgpr, 20
	.set _ZN9rocsolver6v33100L18getri_kernel_smallILi58E19rocblas_complex_numIfEPS3_EEvT1_iilPiilS6_bb.num_named_barrier, 0
	.set _ZN9rocsolver6v33100L18getri_kernel_smallILi58E19rocblas_complex_numIfEPS3_EEvT1_iilPiilS6_bb.private_seg_size, 480
	.set _ZN9rocsolver6v33100L18getri_kernel_smallILi58E19rocblas_complex_numIfEPS3_EEvT1_iilPiilS6_bb.uses_vcc, 1
	.set _ZN9rocsolver6v33100L18getri_kernel_smallILi58E19rocblas_complex_numIfEPS3_EEvT1_iilPiilS6_bb.uses_flat_scratch, 0
	.set _ZN9rocsolver6v33100L18getri_kernel_smallILi58E19rocblas_complex_numIfEPS3_EEvT1_iilPiilS6_bb.has_dyn_sized_stack, 0
	.set _ZN9rocsolver6v33100L18getri_kernel_smallILi58E19rocblas_complex_numIfEPS3_EEvT1_iilPiilS6_bb.has_recursion, 0
	.set _ZN9rocsolver6v33100L18getri_kernel_smallILi58E19rocblas_complex_numIfEPS3_EEvT1_iilPiilS6_bb.has_indirect_call, 0
	.section	.AMDGPU.csdata,"",@progbits
; Kernel info:
; codeLenInByte = 94576
; TotalNumSgprs: 26
; NumVgprs: 256
; NumAgprs: 82
; TotalNumVgprs: 338
; ScratchSize: 480
; MemoryBound: 0
; FloatMode: 240
; IeeeMode: 1
; LDSByteSize: 932 bytes/workgroup (compile time only)
; SGPRBlocks: 3
; VGPRBlocks: 42
; NumSGPRsForWavesPerEU: 26
; NumVGPRsForWavesPerEU: 338
; AccumOffset: 256
; Occupancy: 1
; WaveLimiterHint : 1
; COMPUTE_PGM_RSRC2:SCRATCH_EN: 1
; COMPUTE_PGM_RSRC2:USER_SGPR: 2
; COMPUTE_PGM_RSRC2:TRAP_HANDLER: 0
; COMPUTE_PGM_RSRC2:TGID_X_EN: 1
; COMPUTE_PGM_RSRC2:TGID_Y_EN: 0
; COMPUTE_PGM_RSRC2:TGID_Z_EN: 0
; COMPUTE_PGM_RSRC2:TIDIG_COMP_CNT: 0
; COMPUTE_PGM_RSRC3_GFX90A:ACCUM_OFFSET: 63
; COMPUTE_PGM_RSRC3_GFX90A:TG_SPLIT: 0
	.section	.text._ZN9rocsolver6v33100L18getri_kernel_smallILi59E19rocblas_complex_numIfEPS3_EEvT1_iilPiilS6_bb,"axG",@progbits,_ZN9rocsolver6v33100L18getri_kernel_smallILi59E19rocblas_complex_numIfEPS3_EEvT1_iilPiilS6_bb,comdat
	.globl	_ZN9rocsolver6v33100L18getri_kernel_smallILi59E19rocblas_complex_numIfEPS3_EEvT1_iilPiilS6_bb ; -- Begin function _ZN9rocsolver6v33100L18getri_kernel_smallILi59E19rocblas_complex_numIfEPS3_EEvT1_iilPiilS6_bb
	.p2align	8
	.type	_ZN9rocsolver6v33100L18getri_kernel_smallILi59E19rocblas_complex_numIfEPS3_EEvT1_iilPiilS6_bb,@function
_ZN9rocsolver6v33100L18getri_kernel_smallILi59E19rocblas_complex_numIfEPS3_EEvT1_iilPiilS6_bb: ; @_ZN9rocsolver6v33100L18getri_kernel_smallILi59E19rocblas_complex_numIfEPS3_EEvT1_iilPiilS6_bb
; %bb.0:
	v_cmp_gt_u32_e32 vcc, 59, v0
	s_and_saveexec_b64 s[4:5], vcc
	s_cbranch_execz .LBB58_250
; %bb.1:
	s_load_dword s8, s[0:1], 0x38
	s_load_dwordx4 s[12:15], s[0:1], 0x10
	s_load_dwordx4 s[4:7], s[0:1], 0x28
                                        ; implicit-def: $sgpr16_sgpr17
	s_waitcnt lgkmcnt(0)
	s_bitcmp1_b32 s8, 8
	s_cselect_b64 s[18:19], -1, 0
	s_ashr_i32 s3, s2, 31
	s_bfe_u32 s8, s8, 0x10008
	s_cmp_eq_u32 s8, 0
	s_cbranch_scc1 .LBB58_3
; %bb.2:
	s_load_dword s8, s[0:1], 0x20
	s_mul_i32 s9, s4, s3
	s_mul_hi_u32 s10, s4, s2
	s_mul_i32 s5, s5, s2
	s_add_i32 s10, s10, s9
	s_add_i32 s5, s10, s5
	s_mul_i32 s4, s4, s2
	s_waitcnt lgkmcnt(0)
	s_ashr_i32 s9, s8, 31
	s_lshl_b64 s[4:5], s[4:5], 2
	s_add_u32 s10, s14, s4
	s_addc_u32 s11, s15, s5
	s_lshl_b64 s[4:5], s[8:9], 2
	s_add_u32 s16, s10, s4
	s_addc_u32 s17, s11, s5
.LBB58_3:
	s_load_dwordx4 s[8:11], s[0:1], 0x0
	s_load_dword s4, s[0:1], 0x38
	s_mul_i32 s5, s12, s3
	s_mul_hi_u32 s14, s12, s2
	s_add_i32 s5, s14, s5
	s_waitcnt lgkmcnt(0)
	s_ashr_i32 s1, s10, 31
	s_mov_b32 s0, s10
	s_mul_i32 s10, s13, s2
	s_add_i32 s13, s5, s10
	s_mul_i32 s12, s12, s2
	s_lshl_b64 s[12:13], s[12:13], 3
	s_add_u32 s5, s8, s12
	s_addc_u32 s8, s9, s13
	s_lshl_b64 s[0:1], s[0:1], 3
	s_add_u32 s0, s5, s0
	s_addc_u32 s1, s8, s1
	v_lshlrev_b32_e32 v2, 3, v0
	v_mov_b32_e32 v3, 0
	v_lshl_add_u64 v[6:7], s[0:1], 0, v[2:3]
	s_ashr_i32 s9, s11, 31
	s_mov_b32 s8, s11
	v_accvgpr_write_b32 a0, v6
	s_add_i32 s5, s11, s11
	v_accvgpr_write_b32 a1, v7
	v_lshl_add_u64 v[8:9], s[8:9], 3, v[6:7]
	v_add_u32_e32 v6, s5, v0
	v_ashrrev_i32_e32 v7, 31, v6
	v_lshl_add_u64 v[10:11], v[6:7], 3, s[0:1]
	v_add_u32_e32 v6, s11, v6
	v_add_u32_e32 v14, s11, v6
	v_ashrrev_i32_e32 v7, 31, v6
	v_ashrrev_i32_e32 v15, 31, v14
	v_lshl_add_u64 v[12:13], v[6:7], 3, s[0:1]
	v_lshl_add_u64 v[16:17], v[14:15], 3, s[0:1]
	v_add_u32_e32 v14, s11, v14
	v_accvgpr_write_b32 a2, v8
	v_accvgpr_write_b32 a4, v10
	;; [unrolled: 1-line block ×4, first 2 shown]
	v_ashrrev_i32_e32 v15, 31, v14
	global_load_dwordx2 v[4:5], v2, s[0:1]
	global_load_dwordx2 v[6:7], v[8:9], off
	v_accvgpr_write_b32 a3, v9
	v_accvgpr_write_b32 a5, v11
	global_load_dwordx2 v[8:9], v[10:11], off
	v_accvgpr_write_b32 a7, v13
	global_load_dwordx2 v[10:11], v[12:13], off
	;; [unrolled: 2-line block ×3, first 2 shown]
	v_lshl_add_u64 v[16:17], v[14:15], 3, s[0:1]
	v_add_u32_e32 v14, s11, v14
	v_ashrrev_i32_e32 v15, 31, v14
	v_lshl_add_u64 v[18:19], v[14:15], 3, s[0:1]
	v_add_u32_e32 v14, s11, v14
	v_add_u32_e32 v22, s11, v14
	v_ashrrev_i32_e32 v15, 31, v14
	v_ashrrev_i32_e32 v23, 31, v22
	v_lshl_add_u64 v[20:21], v[14:15], 3, s[0:1]
	v_lshl_add_u64 v[24:25], v[22:23], 3, s[0:1]
	v_add_u32_e32 v22, s11, v22
	v_accvgpr_write_b32 a10, v16
	v_accvgpr_write_b32 a12, v18
	;; [unrolled: 1-line block ×4, first 2 shown]
	v_ashrrev_i32_e32 v23, 31, v22
	v_accvgpr_write_b32 a11, v17
	global_load_dwordx2 v[14:15], v[16:17], off
	v_accvgpr_write_b32 a13, v19
	global_load_dwordx2 v[16:17], v[18:19], off
	;; [unrolled: 2-line block ×4, first 2 shown]
	v_lshl_add_u64 v[24:25], v[22:23], 3, s[0:1]
	v_add_u32_e32 v22, s11, v22
	v_ashrrev_i32_e32 v23, 31, v22
	v_lshl_add_u64 v[26:27], v[22:23], 3, s[0:1]
	v_add_u32_e32 v22, s11, v22
	v_add_u32_e32 v30, s11, v22
	v_ashrrev_i32_e32 v23, 31, v22
	v_ashrrev_i32_e32 v31, 31, v30
	v_lshl_add_u64 v[28:29], v[22:23], 3, s[0:1]
	v_lshl_add_u64 v[32:33], v[30:31], 3, s[0:1]
	v_add_u32_e32 v30, s11, v30
	v_accvgpr_write_b32 a18, v24
	v_accvgpr_write_b32 a20, v26
	;; [unrolled: 1-line block ×4, first 2 shown]
	v_ashrrev_i32_e32 v31, 31, v30
	v_accvgpr_write_b32 a19, v25
	global_load_dwordx2 v[22:23], v[24:25], off
	v_accvgpr_write_b32 a21, v27
	global_load_dwordx2 v[24:25], v[26:27], off
	;; [unrolled: 2-line block ×4, first 2 shown]
	v_lshl_add_u64 v[32:33], v[30:31], 3, s[0:1]
	v_add_u32_e32 v30, s11, v30
	v_ashrrev_i32_e32 v31, 31, v30
	v_lshl_add_u64 v[34:35], v[30:31], 3, s[0:1]
	v_add_u32_e32 v30, s11, v30
	v_add_u32_e32 v38, s11, v30
	v_ashrrev_i32_e32 v39, 31, v38
	v_lshl_add_u64 v[40:41], v[38:39], 3, s[0:1]
	v_add_u32_e32 v38, s11, v38
	v_ashrrev_i32_e32 v39, 31, v38
	v_ashrrev_i32_e32 v31, 31, v30
	v_lshl_add_u64 v[42:43], v[38:39], 3, s[0:1]
	v_add_u32_e32 v38, s11, v38
	v_lshl_add_u64 v[36:37], v[30:31], 3, s[0:1]
	v_ashrrev_i32_e32 v39, 31, v38
	v_accvgpr_write_b32 a26, v32
	v_accvgpr_write_b32 a28, v34
	;; [unrolled: 1-line block ×4, first 2 shown]
	v_lshl_add_u64 v[44:45], v[38:39], 3, s[0:1]
	v_add_u32_e32 v38, s11, v38
	v_accvgpr_write_b32 a27, v33
	global_load_dwordx2 v[30:31], v[32:33], off
	v_accvgpr_write_b32 a29, v35
	global_load_dwordx2 v[32:33], v[34:35], off
	;; [unrolled: 2-line block ×4, first 2 shown]
	v_add_u32_e32 v40, s11, v38
	v_ashrrev_i32_e32 v39, 31, v38
	v_ashrrev_i32_e32 v41, 31, v40
	v_lshl_add_u64 v[46:47], v[38:39], 3, s[0:1]
	v_lshl_add_u64 v[48:49], v[40:41], 3, s[0:1]
	v_add_u32_e32 v40, s11, v40
	v_accvgpr_write_b32 a34, v42
	v_accvgpr_write_b32 a36, v44
	;; [unrolled: 1-line block ×4, first 2 shown]
	v_ashrrev_i32_e32 v41, 31, v40
	v_accvgpr_write_b32 a35, v43
	global_load_dwordx2 v[38:39], v[42:43], off
	v_accvgpr_write_b32 a37, v45
	global_load_dwordx2 v[42:43], v[44:45], off
	;; [unrolled: 2-line block ×4, first 2 shown]
	v_lshl_add_u64 v[48:49], v[40:41], 3, s[0:1]
	v_add_u32_e32 v40, s11, v40
	v_ashrrev_i32_e32 v41, 31, v40
	v_lshl_add_u64 v[50:51], v[40:41], 3, s[0:1]
	v_add_u32_e32 v40, s11, v40
	v_ashrrev_i32_e32 v41, 31, v40
	;; [unrolled: 3-line block ×36, first 2 shown]
	v_lshl_add_u64 v[158:159], v[40:41], 3, s[0:1]
	v_add_u32_e32 v40, s11, v40
	v_accvgpr_write_b32 a42, v48
	v_accvgpr_write_b32 a44, v50
	;; [unrolled: 1-line block ×22, first 2 shown]
	v_ashrrev_i32_e32 v41, 31, v40
	v_accvgpr_write_b32 a43, v49
	global_load_dwordx2 v[48:49], v[48:49], off
	v_accvgpr_write_b32 a45, v51
	global_load_dwordx2 v[50:51], v[50:51], off
	;; [unrolled: 2-line block ×22, first 2 shown]
	s_nop 0
	global_load_dwordx2 v[92:93], v[236:237], off
	global_load_dwordx2 v[94:95], v[238:239], off
	;; [unrolled: 1-line block ×14, first 2 shown]
	v_lshl_add_u64 v[160:161], v[40:41], 3, s[0:1]
	global_load_dwordx2 v[120:121], v[158:159], off
	global_load_dwordx2 v[40:41], v[160:161], off
	s_bitcmp0_b32 s4, 0
	s_mov_b64 s[4:5], -1
	s_waitcnt vmcnt(57)
	scratch_store_dwordx4 off, v[4:7], off
	s_waitcnt vmcnt(56)
	scratch_store_dwordx4 off, v[8:11], off offset:16
	s_waitcnt vmcnt(55)
	scratch_store_dwordx4 off, v[12:15], off offset:32
	;; [unrolled: 2-line block ×28, first 2 shown]
	s_waitcnt vmcnt(29)
	scratch_store_dwordx2 off, v[40:41], off offset:464
	s_cbranch_scc1 .LBB58_248
; %bb.4:
	v_cmp_eq_u32_e64 s[0:1], 0, v0
	s_and_saveexec_b64 s[4:5], s[0:1]
; %bb.5:
	v_mov_b32_e32 v1, 0
	ds_write_b32 v1, v1 offset:472
; %bb.6:
	s_or_b64 exec, exec, s[4:5]
	s_waitcnt lgkmcnt(0)
	; wave barrier
	scratch_load_dwordx2 v[4:5], v2, off
	s_waitcnt vmcnt(0)
	v_cmp_eq_f32_e32 vcc, 0, v4
	v_cmp_eq_f32_e64 s[4:5], 0, v5
	s_and_b64 s[4:5], vcc, s[4:5]
	s_and_saveexec_b64 s[8:9], s[4:5]
	s_cbranch_execz .LBB58_10
; %bb.7:
	v_mov_b32_e32 v1, 0
	ds_read_b32 v4, v1 offset:472
	v_add_u32_e32 v3, 1, v0
	s_waitcnt lgkmcnt(0)
	v_readfirstlane_b32 s4, v4
	s_cmp_eq_u32 s4, 0
	s_cselect_b64 s[10:11], -1, 0
	v_cmp_gt_i32_e32 vcc, s4, v3
	s_or_b64 s[10:11], s[10:11], vcc
	s_and_b64 exec, exec, s[10:11]
	s_cbranch_execz .LBB58_10
; %bb.8:
	s_mov_b64 s[10:11], 0
	v_mov_b32_e32 v4, s4
.LBB58_9:                               ; =>This Inner Loop Header: Depth=1
	ds_cmpst_rtn_b32 v4, v1, v4, v3 offset:472
	s_waitcnt lgkmcnt(0)
	v_cmp_ne_u32_e32 vcc, 0, v4
	v_cmp_le_i32_e64 s[4:5], v4, v3
	s_and_b64 s[4:5], vcc, s[4:5]
	s_and_b64 s[4:5], exec, s[4:5]
	s_or_b64 s[10:11], s[4:5], s[10:11]
	s_andn2_b64 exec, exec, s[10:11]
	s_cbranch_execnz .LBB58_9
.LBB58_10:
	s_or_b64 exec, exec, s[8:9]
	v_mov_b32_e32 v3, 0
	; wave barrier
	ds_read_b32 v1, v3 offset:472
	s_and_saveexec_b64 s[4:5], s[0:1]
	s_cbranch_execz .LBB58_12
; %bb.11:
	s_lshl_b64 s[8:9], s[2:3], 2
	s_add_u32 s8, s6, s8
	s_addc_u32 s9, s7, s9
	s_waitcnt lgkmcnt(0)
	global_store_dword v3, v1, s[8:9]
.LBB58_12:
	s_or_b64 exec, exec, s[4:5]
	s_waitcnt lgkmcnt(0)
	v_cmp_ne_u32_e32 vcc, 0, v1
	s_mov_b64 s[4:5], 0
	s_cbranch_vccnz .LBB58_248
; %bb.13:
	v_mov_b32_e32 v3, v2
	scratch_load_dwordx2 v[4:5], v3, off
                                        ; implicit-def: $vgpr7
                                        ; implicit-def: $vgpr8
	s_waitcnt vmcnt(0)
	v_cmp_ngt_f32_e64 s[4:5], |v4|, |v5|
	s_and_saveexec_b64 s[8:9], s[4:5]
	s_xor_b64 s[4:5], exec, s[8:9]
	s_cbranch_execz .LBB58_15
; %bb.14:
	v_div_scale_f32 v1, s[8:9], v5, v5, v4
	v_rcp_f32_e32 v6, v1
	v_div_scale_f32 v7, vcc, v4, v5, v4
	v_fma_f32 v8, -v1, v6, 1.0
	v_fmac_f32_e32 v6, v8, v6
	v_mul_f32_e32 v8, v7, v6
	v_fma_f32 v9, -v1, v8, v7
	v_fmac_f32_e32 v8, v9, v6
	v_fma_f32 v1, -v1, v8, v7
	v_div_fmas_f32 v1, v1, v6, v8
	v_div_fixup_f32 v1, v1, v5, v4
	v_fmac_f32_e32 v5, v4, v1
	v_div_scale_f32 v4, s[8:9], v5, v5, -1.0
	v_rcp_f32_e32 v6, v4
	s_nop 0
	v_fma_f32 v7, -v4, v6, 1.0
	v_fmac_f32_e32 v6, v7, v6
	v_div_scale_f32 v7, vcc, -1.0, v5, -1.0
	v_mul_f32_e32 v8, v7, v6
	v_fma_f32 v9, -v4, v8, v7
	v_fmac_f32_e32 v8, v9, v6
	v_fma_f32 v4, -v4, v8, v7
	v_div_fmas_f32 v4, v4, v6, v8
	v_div_fixup_f32 v7, v4, v5, -1.0
	v_mul_f32_e32 v8, v1, v7
	v_xor_b32_e32 v6, 0x80000000, v8
                                        ; implicit-def: $vgpr4_vgpr5
.LBB58_15:
	s_andn2_saveexec_b64 s[4:5], s[4:5]
	s_cbranch_execz .LBB58_17
; %bb.16:
	v_div_scale_f32 v1, s[8:9], v4, v4, v5
	v_rcp_f32_e32 v6, v1
	v_div_scale_f32 v7, vcc, v5, v4, v5
	v_fma_f32 v8, -v1, v6, 1.0
	v_fmac_f32_e32 v6, v8, v6
	v_mul_f32_e32 v8, v7, v6
	v_fma_f32 v9, -v1, v8, v7
	v_fmac_f32_e32 v8, v9, v6
	v_fma_f32 v1, -v1, v8, v7
	v_div_fmas_f32 v1, v1, v6, v8
	v_div_fixup_f32 v1, v1, v4, v5
	v_fmac_f32_e32 v4, v5, v1
	v_div_scale_f32 v5, s[8:9], v4, v4, 1.0
	v_rcp_f32_e32 v6, v5
	s_nop 0
	v_fma_f32 v7, -v5, v6, 1.0
	v_fmac_f32_e32 v6, v7, v6
	v_div_scale_f32 v7, vcc, 1.0, v4, 1.0
	v_mul_f32_e32 v8, v7, v6
	v_fma_f32 v9, -v5, v8, v7
	v_fmac_f32_e32 v8, v9, v6
	v_fma_f32 v5, -v5, v8, v7
	v_div_fmas_f32 v5, v5, v6, v8
	v_div_fixup_f32 v6, v5, v4, 1.0
	v_xor_b32_e32 v8, 0x80000000, v6
	v_mul_f32_e64 v7, v1, -v6
.LBB58_17:
	s_or_b64 exec, exec, s[4:5]
	scratch_store_dwordx2 v3, v[6:7], off
	scratch_load_dwordx2 v[4:5], off, off offset:8
	v_xor_b32_e32 v9, 0x80000000, v7
	v_add_u32_e32 v1, 0x1e0, v2
	s_waitcnt vmcnt(0)
	ds_write2_b64 v2, v[8:9], v[4:5] offset1:60
	s_waitcnt lgkmcnt(0)
	; wave barrier
	s_and_saveexec_b64 s[4:5], s[0:1]
	s_cbranch_execz .LBB58_19
; %bb.18:
	scratch_load_dwordx2 v[4:5], v3, off
	ds_read_b64 v[6:7], v1
	v_mov_b32_e32 v8, 0
	ds_read_b64 v[8:9], v8 offset:8
	s_waitcnt vmcnt(0) lgkmcnt(1)
	v_pk_mul_f32 v[10:11], v[6:7], v[4:5] op_sel:[1,1] op_sel_hi:[0,1]
	v_pk_fma_f32 v[12:13], v[6:7], v[4:5], v[10:11] neg_lo:[0,0,1] neg_hi:[0,0,1]
	v_pk_fma_f32 v[4:5], v[6:7], v[4:5], v[10:11] op_sel_hi:[1,0,1]
	s_nop 0
	v_mov_b32_e32 v13, v5
	v_pk_add_f32 v[4:5], v[12:13], 0 op_sel_hi:[1,0]
	s_waitcnt lgkmcnt(0)
	v_pk_mul_f32 v[6:7], v[4:5], v[8:9] op_sel:[1,1] op_sel_hi:[0,1]
	v_pk_fma_f32 v[10:11], v[4:5], v[8:9], v[6:7] neg_lo:[0,0,1] neg_hi:[0,0,1]
	v_pk_fma_f32 v[4:5], v[4:5], v[8:9], v[6:7] op_sel_hi:[1,0,1]
	s_nop 0
	v_mov_b32_e32 v11, v5
	scratch_store_dwordx2 off, v[10:11], off offset:8
.LBB58_19:
	s_or_b64 exec, exec, s[4:5]
	; wave barrier
	scratch_load_dwordx2 v[4:5], off, off offset:16
	v_cmp_gt_u32_e32 vcc, 2, v0
	s_waitcnt vmcnt(0)
	ds_write_b64 v1, v[4:5]
	s_waitcnt lgkmcnt(0)
	; wave barrier
	s_and_saveexec_b64 s[4:5], vcc
	s_cbranch_execz .LBB58_23
; %bb.20:
	scratch_load_dwordx2 v[4:5], v3, off
	ds_read_b64 v[6:7], v1
	s_waitcnt vmcnt(0) lgkmcnt(0)
	v_pk_mul_f32 v[8:9], v[6:7], v[4:5] op_sel:[1,1] op_sel_hi:[0,1]
	v_pk_fma_f32 v[10:11], v[6:7], v[4:5], v[8:9] neg_lo:[0,0,1] neg_hi:[0,0,1]
	v_pk_fma_f32 v[4:5], v[6:7], v[4:5], v[8:9] op_sel_hi:[1,0,1]
	s_nop 0
	v_mov_b32_e32 v11, v5
	v_pk_add_f32 v[4:5], v[10:11], 0 op_sel_hi:[1,0]
	s_and_saveexec_b64 s[8:9], s[0:1]
	s_cbranch_execz .LBB58_22
; %bb.21:
	scratch_load_dwordx2 v[6:7], off, off offset:8
	v_mov_b32_e32 v3, 0
	ds_read_b64 v[8:9], v3 offset:488
	s_waitcnt vmcnt(0) lgkmcnt(0)
	v_pk_mul_f32 v[10:11], v[8:9], v[6:7] op_sel:[1,1] op_sel_hi:[0,1]
	v_pk_fma_f32 v[12:13], v[8:9], v[6:7], v[10:11] neg_lo:[0,0,1] neg_hi:[0,0,1]
	v_pk_fma_f32 v[6:7], v[8:9], v[6:7], v[10:11] op_sel_hi:[1,0,1]
	s_nop 0
	v_mov_b32_e32 v13, v7
	v_pk_add_f32 v[4:5], v[4:5], v[12:13]
.LBB58_22:
	s_or_b64 exec, exec, s[8:9]
	v_mov_b32_e32 v3, 0
	ds_read_b64 v[6:7], v3 offset:16
	s_waitcnt lgkmcnt(0)
	v_pk_mul_f32 v[8:9], v[4:5], v[6:7] op_sel:[1,1] op_sel_hi:[0,1]
	v_pk_fma_f32 v[10:11], v[4:5], v[6:7], v[8:9] neg_lo:[0,0,1] neg_hi:[0,0,1]
	v_pk_fma_f32 v[4:5], v[4:5], v[6:7], v[8:9] op_sel_hi:[1,0,1]
	s_nop 0
	v_mov_b32_e32 v11, v5
	scratch_store_dwordx2 off, v[10:11], off offset:16
.LBB58_23:
	s_or_b64 exec, exec, s[4:5]
	; wave barrier
	scratch_load_dwordx2 v[4:5], off, off offset:24
	v_cmp_gt_u32_e32 vcc, 3, v0
	v_add_u32_e32 v6, -1, v0
	s_waitcnt vmcnt(0)
	ds_write_b64 v1, v[4:5]
	s_waitcnt lgkmcnt(0)
	; wave barrier
	s_and_saveexec_b64 s[0:1], vcc
	s_cbranch_execz .LBB58_27
; %bb.24:
	v_mov_b32_e32 v4, 0
	v_add_u32_e32 v3, -1, v0
	v_add_u32_e32 v7, 0x1e0, v2
	v_mov_b32_e32 v8, v2
	s_mov_b64 s[4:5], 0
	v_mov_b32_e32 v5, v4
.LBB58_25:                              ; =>This Inner Loop Header: Depth=1
	scratch_load_dwordx2 v[10:11], v8, off
	ds_read_b64 v[12:13], v7
	v_add_u32_e32 v3, 1, v3
	v_cmp_lt_u32_e32 vcc, 1, v3
	v_add_u32_e32 v7, 8, v7
	v_add_u32_e32 v8, 8, v8
	s_or_b64 s[4:5], vcc, s[4:5]
	s_waitcnt vmcnt(0) lgkmcnt(0)
	v_pk_mul_f32 v[14:15], v[12:13], v[10:11] op_sel:[1,1] op_sel_hi:[0,1]
	v_pk_fma_f32 v[16:17], v[12:13], v[10:11], v[14:15] neg_lo:[0,0,1] neg_hi:[0,0,1]
	v_pk_fma_f32 v[10:11], v[12:13], v[10:11], v[14:15] op_sel_hi:[1,0,1]
	s_nop 0
	v_mov_b32_e32 v17, v11
	v_pk_add_f32 v[4:5], v[4:5], v[16:17]
	s_andn2_b64 exec, exec, s[4:5]
	s_cbranch_execnz .LBB58_25
; %bb.26:
	s_or_b64 exec, exec, s[4:5]
	v_mov_b32_e32 v3, 0
	ds_read_b64 v[8:9], v3 offset:24
	s_waitcnt lgkmcnt(0)
	v_pk_mul_f32 v[10:11], v[4:5], v[8:9] op_sel:[1,1] op_sel_hi:[0,1]
	v_pk_fma_f32 v[12:13], v[4:5], v[8:9], v[10:11] neg_lo:[0,0,1] neg_hi:[0,0,1]
	v_pk_fma_f32 v[4:5], v[4:5], v[8:9], v[10:11] op_sel_hi:[1,0,1]
	s_nop 0
	v_mov_b32_e32 v13, v5
	scratch_store_dwordx2 off, v[12:13], off offset:24
.LBB58_27:
	s_or_b64 exec, exec, s[0:1]
	; wave barrier
	scratch_load_dwordx2 v[4:5], off, off offset:32
	v_cmp_gt_u32_e32 vcc, 4, v0
	s_waitcnt vmcnt(0)
	ds_write_b64 v1, v[4:5]
	s_waitcnt lgkmcnt(0)
	; wave barrier
	s_and_saveexec_b64 s[0:1], vcc
	s_cbranch_execz .LBB58_31
; %bb.28:
	v_mov_b32_e32 v4, 0
	v_add_u32_e32 v3, -1, v0
	v_add_u32_e32 v7, 0x1e0, v2
	v_mov_b32_e32 v8, v2
	s_mov_b64 s[4:5], 0
	v_mov_b32_e32 v5, v4
.LBB58_29:                              ; =>This Inner Loop Header: Depth=1
	scratch_load_dwordx2 v[10:11], v8, off
	ds_read_b64 v[12:13], v7
	v_add_u32_e32 v3, 1, v3
	v_cmp_lt_u32_e32 vcc, 2, v3
	v_add_u32_e32 v7, 8, v7
	v_add_u32_e32 v8, 8, v8
	s_or_b64 s[4:5], vcc, s[4:5]
	s_waitcnt vmcnt(0) lgkmcnt(0)
	v_pk_mul_f32 v[14:15], v[12:13], v[10:11] op_sel:[1,1] op_sel_hi:[0,1]
	v_pk_fma_f32 v[16:17], v[12:13], v[10:11], v[14:15] neg_lo:[0,0,1] neg_hi:[0,0,1]
	v_pk_fma_f32 v[10:11], v[12:13], v[10:11], v[14:15] op_sel_hi:[1,0,1]
	s_nop 0
	v_mov_b32_e32 v17, v11
	v_pk_add_f32 v[4:5], v[4:5], v[16:17]
	s_andn2_b64 exec, exec, s[4:5]
	s_cbranch_execnz .LBB58_29
; %bb.30:
	s_or_b64 exec, exec, s[4:5]
	v_mov_b32_e32 v3, 0
	ds_read_b64 v[8:9], v3 offset:32
	s_waitcnt lgkmcnt(0)
	v_pk_mul_f32 v[10:11], v[4:5], v[8:9] op_sel:[1,1] op_sel_hi:[0,1]
	v_pk_fma_f32 v[12:13], v[4:5], v[8:9], v[10:11] neg_lo:[0,0,1] neg_hi:[0,0,1]
	v_pk_fma_f32 v[4:5], v[4:5], v[8:9], v[10:11] op_sel_hi:[1,0,1]
	s_nop 0
	v_mov_b32_e32 v13, v5
	scratch_store_dwordx2 off, v[12:13], off offset:32
.LBB58_31:
	s_or_b64 exec, exec, s[0:1]
	; wave barrier
	scratch_load_dwordx2 v[4:5], off, off offset:40
	v_cmp_gt_u32_e32 vcc, 5, v0
	;; [unrolled: 46-line block ×19, first 2 shown]
	s_waitcnt vmcnt(0)
	ds_write_b64 v1, v[4:5]
	s_waitcnt lgkmcnt(0)
	; wave barrier
	s_and_saveexec_b64 s[0:1], vcc
	s_cbranch_execz .LBB58_103
; %bb.100:
	v_mov_b32_e32 v4, 0
	v_add_u32_e32 v3, -1, v0
	v_add_u32_e32 v7, 0x1e0, v2
	v_mov_b32_e32 v8, v2
	s_mov_b64 s[4:5], 0
	v_mov_b32_e32 v5, v4
.LBB58_101:                             ; =>This Inner Loop Header: Depth=1
	scratch_load_dwordx2 v[10:11], v8, off
	ds_read_b64 v[12:13], v7
	v_add_u32_e32 v3, 1, v3
	v_cmp_lt_u32_e32 vcc, 20, v3
	v_add_u32_e32 v7, 8, v7
	v_add_u32_e32 v8, 8, v8
	s_or_b64 s[4:5], vcc, s[4:5]
	s_waitcnt vmcnt(0) lgkmcnt(0)
	v_pk_mul_f32 v[14:15], v[12:13], v[10:11] op_sel:[1,1] op_sel_hi:[0,1]
	v_pk_fma_f32 v[16:17], v[12:13], v[10:11], v[14:15] neg_lo:[0,0,1] neg_hi:[0,0,1]
	v_pk_fma_f32 v[10:11], v[12:13], v[10:11], v[14:15] op_sel_hi:[1,0,1]
	s_nop 0
	v_mov_b32_e32 v17, v11
	v_pk_add_f32 v[4:5], v[4:5], v[16:17]
	s_andn2_b64 exec, exec, s[4:5]
	s_cbranch_execnz .LBB58_101
; %bb.102:
	s_or_b64 exec, exec, s[4:5]
	v_mov_b32_e32 v3, 0
	ds_read_b64 v[8:9], v3 offset:176
	s_waitcnt lgkmcnt(0)
	v_pk_mul_f32 v[10:11], v[4:5], v[8:9] op_sel:[1,1] op_sel_hi:[0,1]
	v_pk_fma_f32 v[12:13], v[4:5], v[8:9], v[10:11] neg_lo:[0,0,1] neg_hi:[0,0,1]
	v_pk_fma_f32 v[4:5], v[4:5], v[8:9], v[10:11] op_sel_hi:[1,0,1]
	s_nop 0
	v_mov_b32_e32 v13, v5
	scratch_store_dwordx2 off, v[12:13], off offset:176
.LBB58_103:
	s_or_b64 exec, exec, s[0:1]
	; wave barrier
	scratch_load_dwordx2 v[4:5], off, off offset:184
	v_cmp_gt_u32_e32 vcc, 23, v0
	s_waitcnt vmcnt(0)
	ds_write_b64 v1, v[4:5]
	s_waitcnt lgkmcnt(0)
	; wave barrier
	s_and_saveexec_b64 s[0:1], vcc
	s_cbranch_execz .LBB58_107
; %bb.104:
	v_mov_b32_e32 v4, 0
	v_add_u32_e32 v3, -1, v0
	v_add_u32_e32 v7, 0x1e0, v2
	v_mov_b32_e32 v8, v2
	s_mov_b64 s[4:5], 0
	v_mov_b32_e32 v5, v4
.LBB58_105:                             ; =>This Inner Loop Header: Depth=1
	scratch_load_dwordx2 v[10:11], v8, off
	ds_read_b64 v[12:13], v7
	v_add_u32_e32 v3, 1, v3
	v_cmp_lt_u32_e32 vcc, 21, v3
	v_add_u32_e32 v7, 8, v7
	v_add_u32_e32 v8, 8, v8
	s_or_b64 s[4:5], vcc, s[4:5]
	s_waitcnt vmcnt(0) lgkmcnt(0)
	v_pk_mul_f32 v[14:15], v[12:13], v[10:11] op_sel:[1,1] op_sel_hi:[0,1]
	v_pk_fma_f32 v[16:17], v[12:13], v[10:11], v[14:15] neg_lo:[0,0,1] neg_hi:[0,0,1]
	v_pk_fma_f32 v[10:11], v[12:13], v[10:11], v[14:15] op_sel_hi:[1,0,1]
	s_nop 0
	v_mov_b32_e32 v17, v11
	v_pk_add_f32 v[4:5], v[4:5], v[16:17]
	s_andn2_b64 exec, exec, s[4:5]
	s_cbranch_execnz .LBB58_105
; %bb.106:
	s_or_b64 exec, exec, s[4:5]
	v_mov_b32_e32 v3, 0
	ds_read_b64 v[8:9], v3 offset:184
	s_waitcnt lgkmcnt(0)
	v_pk_mul_f32 v[10:11], v[4:5], v[8:9] op_sel:[1,1] op_sel_hi:[0,1]
	v_pk_fma_f32 v[12:13], v[4:5], v[8:9], v[10:11] neg_lo:[0,0,1] neg_hi:[0,0,1]
	v_pk_fma_f32 v[4:5], v[4:5], v[8:9], v[10:11] op_sel_hi:[1,0,1]
	s_nop 0
	v_mov_b32_e32 v13, v5
	scratch_store_dwordx2 off, v[12:13], off offset:184
.LBB58_107:
	s_or_b64 exec, exec, s[0:1]
	; wave barrier
	scratch_load_dwordx2 v[4:5], off, off offset:192
	v_cmp_gt_u32_e32 vcc, 24, v0
	s_waitcnt vmcnt(0)
	ds_write_b64 v1, v[4:5]
	s_waitcnt lgkmcnt(0)
	; wave barrier
	s_and_saveexec_b64 s[0:1], vcc
	s_cbranch_execz .LBB58_111
; %bb.108:
	v_mov_b32_e32 v4, 0
	v_add_u32_e32 v3, -1, v0
	v_add_u32_e32 v7, 0x1e0, v2
	v_mov_b32_e32 v8, v2
	s_mov_b64 s[4:5], 0
	v_mov_b32_e32 v5, v4
.LBB58_109:                             ; =>This Inner Loop Header: Depth=1
	scratch_load_dwordx2 v[10:11], v8, off
	ds_read_b64 v[12:13], v7
	v_add_u32_e32 v3, 1, v3
	v_cmp_lt_u32_e32 vcc, 22, v3
	v_add_u32_e32 v7, 8, v7
	v_add_u32_e32 v8, 8, v8
	s_or_b64 s[4:5], vcc, s[4:5]
	s_waitcnt vmcnt(0) lgkmcnt(0)
	v_pk_mul_f32 v[14:15], v[12:13], v[10:11] op_sel:[1,1] op_sel_hi:[0,1]
	v_pk_fma_f32 v[16:17], v[12:13], v[10:11], v[14:15] neg_lo:[0,0,1] neg_hi:[0,0,1]
	v_pk_fma_f32 v[10:11], v[12:13], v[10:11], v[14:15] op_sel_hi:[1,0,1]
	s_nop 0
	v_mov_b32_e32 v17, v11
	v_pk_add_f32 v[4:5], v[4:5], v[16:17]
	s_andn2_b64 exec, exec, s[4:5]
	s_cbranch_execnz .LBB58_109
; %bb.110:
	s_or_b64 exec, exec, s[4:5]
	v_mov_b32_e32 v3, 0
	ds_read_b64 v[8:9], v3 offset:192
	s_waitcnt lgkmcnt(0)
	v_pk_mul_f32 v[10:11], v[4:5], v[8:9] op_sel:[1,1] op_sel_hi:[0,1]
	v_pk_fma_f32 v[12:13], v[4:5], v[8:9], v[10:11] neg_lo:[0,0,1] neg_hi:[0,0,1]
	v_pk_fma_f32 v[4:5], v[4:5], v[8:9], v[10:11] op_sel_hi:[1,0,1]
	s_nop 0
	v_mov_b32_e32 v13, v5
	scratch_store_dwordx2 off, v[12:13], off offset:192
.LBB58_111:
	s_or_b64 exec, exec, s[0:1]
	; wave barrier
	scratch_load_dwordx2 v[4:5], off, off offset:200
	v_cmp_gt_u32_e32 vcc, 25, v0
	s_waitcnt vmcnt(0)
	ds_write_b64 v1, v[4:5]
	s_waitcnt lgkmcnt(0)
	; wave barrier
	s_and_saveexec_b64 s[0:1], vcc
	s_cbranch_execz .LBB58_115
; %bb.112:
	v_mov_b32_e32 v4, 0
	v_add_u32_e32 v3, -1, v0
	v_add_u32_e32 v7, 0x1e0, v2
	v_mov_b32_e32 v8, v2
	s_mov_b64 s[4:5], 0
	v_mov_b32_e32 v5, v4
.LBB58_113:                             ; =>This Inner Loop Header: Depth=1
	scratch_load_dwordx2 v[10:11], v8, off
	ds_read_b64 v[12:13], v7
	v_add_u32_e32 v3, 1, v3
	v_cmp_lt_u32_e32 vcc, 23, v3
	v_add_u32_e32 v7, 8, v7
	v_add_u32_e32 v8, 8, v8
	s_or_b64 s[4:5], vcc, s[4:5]
	s_waitcnt vmcnt(0) lgkmcnt(0)
	v_pk_mul_f32 v[14:15], v[12:13], v[10:11] op_sel:[1,1] op_sel_hi:[0,1]
	v_pk_fma_f32 v[16:17], v[12:13], v[10:11], v[14:15] neg_lo:[0,0,1] neg_hi:[0,0,1]
	v_pk_fma_f32 v[10:11], v[12:13], v[10:11], v[14:15] op_sel_hi:[1,0,1]
	s_nop 0
	v_mov_b32_e32 v17, v11
	v_pk_add_f32 v[4:5], v[4:5], v[16:17]
	s_andn2_b64 exec, exec, s[4:5]
	s_cbranch_execnz .LBB58_113
; %bb.114:
	s_or_b64 exec, exec, s[4:5]
	v_mov_b32_e32 v3, 0
	ds_read_b64 v[8:9], v3 offset:200
	s_waitcnt lgkmcnt(0)
	v_pk_mul_f32 v[10:11], v[4:5], v[8:9] op_sel:[1,1] op_sel_hi:[0,1]
	v_pk_fma_f32 v[12:13], v[4:5], v[8:9], v[10:11] neg_lo:[0,0,1] neg_hi:[0,0,1]
	v_pk_fma_f32 v[4:5], v[4:5], v[8:9], v[10:11] op_sel_hi:[1,0,1]
	s_nop 0
	v_mov_b32_e32 v13, v5
	scratch_store_dwordx2 off, v[12:13], off offset:200
.LBB58_115:
	s_or_b64 exec, exec, s[0:1]
	; wave barrier
	scratch_load_dwordx2 v[4:5], off, off offset:208
	v_cmp_gt_u32_e32 vcc, 26, v0
	s_waitcnt vmcnt(0)
	ds_write_b64 v1, v[4:5]
	s_waitcnt lgkmcnt(0)
	; wave barrier
	s_and_saveexec_b64 s[0:1], vcc
	s_cbranch_execz .LBB58_119
; %bb.116:
	v_mov_b32_e32 v4, 0
	v_add_u32_e32 v3, -1, v0
	v_add_u32_e32 v7, 0x1e0, v2
	v_mov_b32_e32 v8, v2
	s_mov_b64 s[4:5], 0
	v_mov_b32_e32 v5, v4
.LBB58_117:                             ; =>This Inner Loop Header: Depth=1
	scratch_load_dwordx2 v[10:11], v8, off
	ds_read_b64 v[12:13], v7
	v_add_u32_e32 v3, 1, v3
	v_cmp_lt_u32_e32 vcc, 24, v3
	v_add_u32_e32 v7, 8, v7
	v_add_u32_e32 v8, 8, v8
	s_or_b64 s[4:5], vcc, s[4:5]
	s_waitcnt vmcnt(0) lgkmcnt(0)
	v_pk_mul_f32 v[14:15], v[12:13], v[10:11] op_sel:[1,1] op_sel_hi:[0,1]
	v_pk_fma_f32 v[16:17], v[12:13], v[10:11], v[14:15] neg_lo:[0,0,1] neg_hi:[0,0,1]
	v_pk_fma_f32 v[10:11], v[12:13], v[10:11], v[14:15] op_sel_hi:[1,0,1]
	s_nop 0
	v_mov_b32_e32 v17, v11
	v_pk_add_f32 v[4:5], v[4:5], v[16:17]
	s_andn2_b64 exec, exec, s[4:5]
	s_cbranch_execnz .LBB58_117
; %bb.118:
	s_or_b64 exec, exec, s[4:5]
	v_mov_b32_e32 v3, 0
	ds_read_b64 v[8:9], v3 offset:208
	s_waitcnt lgkmcnt(0)
	v_pk_mul_f32 v[10:11], v[4:5], v[8:9] op_sel:[1,1] op_sel_hi:[0,1]
	v_pk_fma_f32 v[12:13], v[4:5], v[8:9], v[10:11] neg_lo:[0,0,1] neg_hi:[0,0,1]
	v_pk_fma_f32 v[4:5], v[4:5], v[8:9], v[10:11] op_sel_hi:[1,0,1]
	s_nop 0
	v_mov_b32_e32 v13, v5
	scratch_store_dwordx2 off, v[12:13], off offset:208
.LBB58_119:
	s_or_b64 exec, exec, s[0:1]
	; wave barrier
	scratch_load_dwordx2 v[4:5], off, off offset:216
	v_cmp_gt_u32_e32 vcc, 27, v0
	s_waitcnt vmcnt(0)
	ds_write_b64 v1, v[4:5]
	s_waitcnt lgkmcnt(0)
	; wave barrier
	s_and_saveexec_b64 s[0:1], vcc
	s_cbranch_execz .LBB58_123
; %bb.120:
	v_mov_b32_e32 v4, 0
	v_add_u32_e32 v3, -1, v0
	v_add_u32_e32 v7, 0x1e0, v2
	v_mov_b32_e32 v8, v2
	s_mov_b64 s[4:5], 0
	v_mov_b32_e32 v5, v4
.LBB58_121:                             ; =>This Inner Loop Header: Depth=1
	scratch_load_dwordx2 v[10:11], v8, off
	ds_read_b64 v[12:13], v7
	v_add_u32_e32 v3, 1, v3
	v_cmp_lt_u32_e32 vcc, 25, v3
	v_add_u32_e32 v7, 8, v7
	v_add_u32_e32 v8, 8, v8
	s_or_b64 s[4:5], vcc, s[4:5]
	s_waitcnt vmcnt(0) lgkmcnt(0)
	v_pk_mul_f32 v[14:15], v[12:13], v[10:11] op_sel:[1,1] op_sel_hi:[0,1]
	v_pk_fma_f32 v[16:17], v[12:13], v[10:11], v[14:15] neg_lo:[0,0,1] neg_hi:[0,0,1]
	v_pk_fma_f32 v[10:11], v[12:13], v[10:11], v[14:15] op_sel_hi:[1,0,1]
	s_nop 0
	v_mov_b32_e32 v17, v11
	v_pk_add_f32 v[4:5], v[4:5], v[16:17]
	s_andn2_b64 exec, exec, s[4:5]
	s_cbranch_execnz .LBB58_121
; %bb.122:
	s_or_b64 exec, exec, s[4:5]
	v_mov_b32_e32 v3, 0
	ds_read_b64 v[8:9], v3 offset:216
	s_waitcnt lgkmcnt(0)
	v_pk_mul_f32 v[10:11], v[4:5], v[8:9] op_sel:[1,1] op_sel_hi:[0,1]
	v_pk_fma_f32 v[12:13], v[4:5], v[8:9], v[10:11] neg_lo:[0,0,1] neg_hi:[0,0,1]
	v_pk_fma_f32 v[4:5], v[4:5], v[8:9], v[10:11] op_sel_hi:[1,0,1]
	s_nop 0
	v_mov_b32_e32 v13, v5
	scratch_store_dwordx2 off, v[12:13], off offset:216
.LBB58_123:
	s_or_b64 exec, exec, s[0:1]
	; wave barrier
	scratch_load_dwordx2 v[4:5], off, off offset:224
	v_cmp_gt_u32_e32 vcc, 28, v0
	s_waitcnt vmcnt(0)
	ds_write_b64 v1, v[4:5]
	s_waitcnt lgkmcnt(0)
	; wave barrier
	s_and_saveexec_b64 s[0:1], vcc
	s_cbranch_execz .LBB58_127
; %bb.124:
	v_mov_b32_e32 v4, 0
	v_add_u32_e32 v3, -1, v0
	v_add_u32_e32 v7, 0x1e0, v2
	v_mov_b32_e32 v8, v2
	s_mov_b64 s[4:5], 0
	v_mov_b32_e32 v5, v4
.LBB58_125:                             ; =>This Inner Loop Header: Depth=1
	scratch_load_dwordx2 v[10:11], v8, off
	ds_read_b64 v[12:13], v7
	v_add_u32_e32 v3, 1, v3
	v_cmp_lt_u32_e32 vcc, 26, v3
	v_add_u32_e32 v7, 8, v7
	v_add_u32_e32 v8, 8, v8
	s_or_b64 s[4:5], vcc, s[4:5]
	s_waitcnt vmcnt(0) lgkmcnt(0)
	v_pk_mul_f32 v[14:15], v[12:13], v[10:11] op_sel:[1,1] op_sel_hi:[0,1]
	v_pk_fma_f32 v[16:17], v[12:13], v[10:11], v[14:15] neg_lo:[0,0,1] neg_hi:[0,0,1]
	v_pk_fma_f32 v[10:11], v[12:13], v[10:11], v[14:15] op_sel_hi:[1,0,1]
	s_nop 0
	v_mov_b32_e32 v17, v11
	v_pk_add_f32 v[4:5], v[4:5], v[16:17]
	s_andn2_b64 exec, exec, s[4:5]
	s_cbranch_execnz .LBB58_125
; %bb.126:
	s_or_b64 exec, exec, s[4:5]
	v_mov_b32_e32 v3, 0
	ds_read_b64 v[8:9], v3 offset:224
	s_waitcnt lgkmcnt(0)
	v_pk_mul_f32 v[10:11], v[4:5], v[8:9] op_sel:[1,1] op_sel_hi:[0,1]
	v_pk_fma_f32 v[12:13], v[4:5], v[8:9], v[10:11] neg_lo:[0,0,1] neg_hi:[0,0,1]
	v_pk_fma_f32 v[4:5], v[4:5], v[8:9], v[10:11] op_sel_hi:[1,0,1]
	s_nop 0
	v_mov_b32_e32 v13, v5
	scratch_store_dwordx2 off, v[12:13], off offset:224
.LBB58_127:
	s_or_b64 exec, exec, s[0:1]
	; wave barrier
	scratch_load_dwordx2 v[4:5], off, off offset:232
	v_cmp_gt_u32_e32 vcc, 29, v0
	s_waitcnt vmcnt(0)
	ds_write_b64 v1, v[4:5]
	s_waitcnt lgkmcnt(0)
	; wave barrier
	s_and_saveexec_b64 s[0:1], vcc
	s_cbranch_execz .LBB58_131
; %bb.128:
	v_mov_b32_e32 v4, 0
	v_add_u32_e32 v3, -1, v0
	v_add_u32_e32 v7, 0x1e0, v2
	v_mov_b32_e32 v8, v2
	s_mov_b64 s[4:5], 0
	v_mov_b32_e32 v5, v4
.LBB58_129:                             ; =>This Inner Loop Header: Depth=1
	scratch_load_dwordx2 v[10:11], v8, off
	ds_read_b64 v[12:13], v7
	v_add_u32_e32 v3, 1, v3
	v_cmp_lt_u32_e32 vcc, 27, v3
	v_add_u32_e32 v7, 8, v7
	v_add_u32_e32 v8, 8, v8
	s_or_b64 s[4:5], vcc, s[4:5]
	s_waitcnt vmcnt(0) lgkmcnt(0)
	v_pk_mul_f32 v[14:15], v[12:13], v[10:11] op_sel:[1,1] op_sel_hi:[0,1]
	v_pk_fma_f32 v[16:17], v[12:13], v[10:11], v[14:15] neg_lo:[0,0,1] neg_hi:[0,0,1]
	v_pk_fma_f32 v[10:11], v[12:13], v[10:11], v[14:15] op_sel_hi:[1,0,1]
	s_nop 0
	v_mov_b32_e32 v17, v11
	v_pk_add_f32 v[4:5], v[4:5], v[16:17]
	s_andn2_b64 exec, exec, s[4:5]
	s_cbranch_execnz .LBB58_129
; %bb.130:
	s_or_b64 exec, exec, s[4:5]
	v_mov_b32_e32 v3, 0
	ds_read_b64 v[8:9], v3 offset:232
	s_waitcnt lgkmcnt(0)
	v_pk_mul_f32 v[10:11], v[4:5], v[8:9] op_sel:[1,1] op_sel_hi:[0,1]
	v_pk_fma_f32 v[12:13], v[4:5], v[8:9], v[10:11] neg_lo:[0,0,1] neg_hi:[0,0,1]
	v_pk_fma_f32 v[4:5], v[4:5], v[8:9], v[10:11] op_sel_hi:[1,0,1]
	s_nop 0
	v_mov_b32_e32 v13, v5
	scratch_store_dwordx2 off, v[12:13], off offset:232
.LBB58_131:
	s_or_b64 exec, exec, s[0:1]
	; wave barrier
	scratch_load_dwordx2 v[4:5], off, off offset:240
	v_cmp_gt_u32_e32 vcc, 30, v0
	s_waitcnt vmcnt(0)
	ds_write_b64 v1, v[4:5]
	s_waitcnt lgkmcnt(0)
	; wave barrier
	s_and_saveexec_b64 s[0:1], vcc
	s_cbranch_execz .LBB58_135
; %bb.132:
	v_mov_b32_e32 v4, 0
	v_add_u32_e32 v3, -1, v0
	v_add_u32_e32 v7, 0x1e0, v2
	v_mov_b32_e32 v8, v2
	s_mov_b64 s[4:5], 0
	v_mov_b32_e32 v5, v4
.LBB58_133:                             ; =>This Inner Loop Header: Depth=1
	scratch_load_dwordx2 v[10:11], v8, off
	ds_read_b64 v[12:13], v7
	v_add_u32_e32 v3, 1, v3
	v_cmp_lt_u32_e32 vcc, 28, v3
	v_add_u32_e32 v7, 8, v7
	v_add_u32_e32 v8, 8, v8
	s_or_b64 s[4:5], vcc, s[4:5]
	s_waitcnt vmcnt(0) lgkmcnt(0)
	v_pk_mul_f32 v[14:15], v[12:13], v[10:11] op_sel:[1,1] op_sel_hi:[0,1]
	v_pk_fma_f32 v[16:17], v[12:13], v[10:11], v[14:15] neg_lo:[0,0,1] neg_hi:[0,0,1]
	v_pk_fma_f32 v[10:11], v[12:13], v[10:11], v[14:15] op_sel_hi:[1,0,1]
	s_nop 0
	v_mov_b32_e32 v17, v11
	v_pk_add_f32 v[4:5], v[4:5], v[16:17]
	s_andn2_b64 exec, exec, s[4:5]
	s_cbranch_execnz .LBB58_133
; %bb.134:
	s_or_b64 exec, exec, s[4:5]
	v_mov_b32_e32 v3, 0
	ds_read_b64 v[8:9], v3 offset:240
	s_waitcnt lgkmcnt(0)
	v_pk_mul_f32 v[10:11], v[4:5], v[8:9] op_sel:[1,1] op_sel_hi:[0,1]
	v_pk_fma_f32 v[12:13], v[4:5], v[8:9], v[10:11] neg_lo:[0,0,1] neg_hi:[0,0,1]
	v_pk_fma_f32 v[4:5], v[4:5], v[8:9], v[10:11] op_sel_hi:[1,0,1]
	s_nop 0
	v_mov_b32_e32 v13, v5
	scratch_store_dwordx2 off, v[12:13], off offset:240
.LBB58_135:
	s_or_b64 exec, exec, s[0:1]
	; wave barrier
	scratch_load_dwordx2 v[4:5], off, off offset:248
	v_cmp_gt_u32_e32 vcc, 31, v0
	s_waitcnt vmcnt(0)
	ds_write_b64 v1, v[4:5]
	s_waitcnt lgkmcnt(0)
	; wave barrier
	s_and_saveexec_b64 s[0:1], vcc
	s_cbranch_execz .LBB58_139
; %bb.136:
	v_mov_b32_e32 v4, 0
	v_add_u32_e32 v3, -1, v0
	v_add_u32_e32 v7, 0x1e0, v2
	v_mov_b32_e32 v8, v2
	s_mov_b64 s[4:5], 0
	v_mov_b32_e32 v5, v4
.LBB58_137:                             ; =>This Inner Loop Header: Depth=1
	scratch_load_dwordx2 v[10:11], v8, off
	ds_read_b64 v[12:13], v7
	v_add_u32_e32 v3, 1, v3
	v_cmp_lt_u32_e32 vcc, 29, v3
	v_add_u32_e32 v7, 8, v7
	v_add_u32_e32 v8, 8, v8
	s_or_b64 s[4:5], vcc, s[4:5]
	s_waitcnt vmcnt(0) lgkmcnt(0)
	v_pk_mul_f32 v[14:15], v[12:13], v[10:11] op_sel:[1,1] op_sel_hi:[0,1]
	v_pk_fma_f32 v[16:17], v[12:13], v[10:11], v[14:15] neg_lo:[0,0,1] neg_hi:[0,0,1]
	v_pk_fma_f32 v[10:11], v[12:13], v[10:11], v[14:15] op_sel_hi:[1,0,1]
	s_nop 0
	v_mov_b32_e32 v17, v11
	v_pk_add_f32 v[4:5], v[4:5], v[16:17]
	s_andn2_b64 exec, exec, s[4:5]
	s_cbranch_execnz .LBB58_137
; %bb.138:
	s_or_b64 exec, exec, s[4:5]
	v_mov_b32_e32 v3, 0
	ds_read_b64 v[8:9], v3 offset:248
	s_waitcnt lgkmcnt(0)
	v_pk_mul_f32 v[10:11], v[4:5], v[8:9] op_sel:[1,1] op_sel_hi:[0,1]
	v_pk_fma_f32 v[12:13], v[4:5], v[8:9], v[10:11] neg_lo:[0,0,1] neg_hi:[0,0,1]
	v_pk_fma_f32 v[4:5], v[4:5], v[8:9], v[10:11] op_sel_hi:[1,0,1]
	s_nop 0
	v_mov_b32_e32 v13, v5
	scratch_store_dwordx2 off, v[12:13], off offset:248
.LBB58_139:
	s_or_b64 exec, exec, s[0:1]
	; wave barrier
	scratch_load_dwordx2 v[4:5], off, off offset:256
	v_cmp_gt_u32_e32 vcc, 32, v0
	s_waitcnt vmcnt(0)
	ds_write_b64 v1, v[4:5]
	s_waitcnt lgkmcnt(0)
	; wave barrier
	s_and_saveexec_b64 s[0:1], vcc
	s_cbranch_execz .LBB58_143
; %bb.140:
	v_mov_b32_e32 v4, 0
	v_add_u32_e32 v3, -1, v0
	v_add_u32_e32 v7, 0x1e0, v2
	v_mov_b32_e32 v8, v2
	s_mov_b64 s[4:5], 0
	v_mov_b32_e32 v5, v4
.LBB58_141:                             ; =>This Inner Loop Header: Depth=1
	scratch_load_dwordx2 v[10:11], v8, off
	ds_read_b64 v[12:13], v7
	v_add_u32_e32 v3, 1, v3
	v_cmp_lt_u32_e32 vcc, 30, v3
	v_add_u32_e32 v7, 8, v7
	v_add_u32_e32 v8, 8, v8
	s_or_b64 s[4:5], vcc, s[4:5]
	s_waitcnt vmcnt(0) lgkmcnt(0)
	v_pk_mul_f32 v[14:15], v[12:13], v[10:11] op_sel:[1,1] op_sel_hi:[0,1]
	v_pk_fma_f32 v[16:17], v[12:13], v[10:11], v[14:15] neg_lo:[0,0,1] neg_hi:[0,0,1]
	v_pk_fma_f32 v[10:11], v[12:13], v[10:11], v[14:15] op_sel_hi:[1,0,1]
	s_nop 0
	v_mov_b32_e32 v17, v11
	v_pk_add_f32 v[4:5], v[4:5], v[16:17]
	s_andn2_b64 exec, exec, s[4:5]
	s_cbranch_execnz .LBB58_141
; %bb.142:
	s_or_b64 exec, exec, s[4:5]
	v_mov_b32_e32 v3, 0
	ds_read_b64 v[8:9], v3 offset:256
	s_waitcnt lgkmcnt(0)
	v_pk_mul_f32 v[10:11], v[4:5], v[8:9] op_sel:[1,1] op_sel_hi:[0,1]
	v_pk_fma_f32 v[12:13], v[4:5], v[8:9], v[10:11] neg_lo:[0,0,1] neg_hi:[0,0,1]
	v_pk_fma_f32 v[4:5], v[4:5], v[8:9], v[10:11] op_sel_hi:[1,0,1]
	s_nop 0
	v_mov_b32_e32 v13, v5
	scratch_store_dwordx2 off, v[12:13], off offset:256
.LBB58_143:
	s_or_b64 exec, exec, s[0:1]
	; wave barrier
	scratch_load_dwordx2 v[4:5], off, off offset:264
	v_cmp_gt_u32_e32 vcc, 33, v0
	s_waitcnt vmcnt(0)
	ds_write_b64 v1, v[4:5]
	s_waitcnt lgkmcnt(0)
	; wave barrier
	s_and_saveexec_b64 s[0:1], vcc
	s_cbranch_execz .LBB58_147
; %bb.144:
	v_mov_b32_e32 v4, 0
	v_add_u32_e32 v3, -1, v0
	v_add_u32_e32 v7, 0x1e0, v2
	v_mov_b32_e32 v8, v2
	s_mov_b64 s[4:5], 0
	v_mov_b32_e32 v5, v4
.LBB58_145:                             ; =>This Inner Loop Header: Depth=1
	scratch_load_dwordx2 v[10:11], v8, off
	ds_read_b64 v[12:13], v7
	v_add_u32_e32 v3, 1, v3
	v_cmp_lt_u32_e32 vcc, 31, v3
	v_add_u32_e32 v7, 8, v7
	v_add_u32_e32 v8, 8, v8
	s_or_b64 s[4:5], vcc, s[4:5]
	s_waitcnt vmcnt(0) lgkmcnt(0)
	v_pk_mul_f32 v[14:15], v[12:13], v[10:11] op_sel:[1,1] op_sel_hi:[0,1]
	v_pk_fma_f32 v[16:17], v[12:13], v[10:11], v[14:15] neg_lo:[0,0,1] neg_hi:[0,0,1]
	v_pk_fma_f32 v[10:11], v[12:13], v[10:11], v[14:15] op_sel_hi:[1,0,1]
	s_nop 0
	v_mov_b32_e32 v17, v11
	v_pk_add_f32 v[4:5], v[4:5], v[16:17]
	s_andn2_b64 exec, exec, s[4:5]
	s_cbranch_execnz .LBB58_145
; %bb.146:
	s_or_b64 exec, exec, s[4:5]
	v_mov_b32_e32 v3, 0
	ds_read_b64 v[8:9], v3 offset:264
	s_waitcnt lgkmcnt(0)
	v_pk_mul_f32 v[10:11], v[4:5], v[8:9] op_sel:[1,1] op_sel_hi:[0,1]
	v_pk_fma_f32 v[12:13], v[4:5], v[8:9], v[10:11] neg_lo:[0,0,1] neg_hi:[0,0,1]
	v_pk_fma_f32 v[4:5], v[4:5], v[8:9], v[10:11] op_sel_hi:[1,0,1]
	s_nop 0
	v_mov_b32_e32 v13, v5
	scratch_store_dwordx2 off, v[12:13], off offset:264
.LBB58_147:
	s_or_b64 exec, exec, s[0:1]
	; wave barrier
	scratch_load_dwordx2 v[4:5], off, off offset:272
	v_cmp_gt_u32_e32 vcc, 34, v0
	s_waitcnt vmcnt(0)
	ds_write_b64 v1, v[4:5]
	s_waitcnt lgkmcnt(0)
	; wave barrier
	s_and_saveexec_b64 s[0:1], vcc
	s_cbranch_execz .LBB58_151
; %bb.148:
	v_mov_b32_e32 v4, 0
	v_add_u32_e32 v3, -1, v0
	v_add_u32_e32 v7, 0x1e0, v2
	v_mov_b32_e32 v8, v2
	s_mov_b64 s[4:5], 0
	v_mov_b32_e32 v5, v4
.LBB58_149:                             ; =>This Inner Loop Header: Depth=1
	scratch_load_dwordx2 v[10:11], v8, off
	ds_read_b64 v[12:13], v7
	v_add_u32_e32 v3, 1, v3
	v_cmp_lt_u32_e32 vcc, 32, v3
	v_add_u32_e32 v7, 8, v7
	v_add_u32_e32 v8, 8, v8
	s_or_b64 s[4:5], vcc, s[4:5]
	s_waitcnt vmcnt(0) lgkmcnt(0)
	v_pk_mul_f32 v[14:15], v[12:13], v[10:11] op_sel:[1,1] op_sel_hi:[0,1]
	v_pk_fma_f32 v[16:17], v[12:13], v[10:11], v[14:15] neg_lo:[0,0,1] neg_hi:[0,0,1]
	v_pk_fma_f32 v[10:11], v[12:13], v[10:11], v[14:15] op_sel_hi:[1,0,1]
	s_nop 0
	v_mov_b32_e32 v17, v11
	v_pk_add_f32 v[4:5], v[4:5], v[16:17]
	s_andn2_b64 exec, exec, s[4:5]
	s_cbranch_execnz .LBB58_149
; %bb.150:
	s_or_b64 exec, exec, s[4:5]
	v_mov_b32_e32 v3, 0
	ds_read_b64 v[8:9], v3 offset:272
	s_waitcnt lgkmcnt(0)
	v_pk_mul_f32 v[10:11], v[4:5], v[8:9] op_sel:[1,1] op_sel_hi:[0,1]
	v_pk_fma_f32 v[12:13], v[4:5], v[8:9], v[10:11] neg_lo:[0,0,1] neg_hi:[0,0,1]
	v_pk_fma_f32 v[4:5], v[4:5], v[8:9], v[10:11] op_sel_hi:[1,0,1]
	s_nop 0
	v_mov_b32_e32 v13, v5
	scratch_store_dwordx2 off, v[12:13], off offset:272
.LBB58_151:
	s_or_b64 exec, exec, s[0:1]
	; wave barrier
	scratch_load_dwordx2 v[4:5], off, off offset:280
	v_cmp_gt_u32_e32 vcc, 35, v0
	s_waitcnt vmcnt(0)
	ds_write_b64 v1, v[4:5]
	s_waitcnt lgkmcnt(0)
	; wave barrier
	s_and_saveexec_b64 s[0:1], vcc
	s_cbranch_execz .LBB58_155
; %bb.152:
	v_mov_b32_e32 v4, 0
	v_add_u32_e32 v3, -1, v0
	v_add_u32_e32 v7, 0x1e0, v2
	v_mov_b32_e32 v8, v2
	s_mov_b64 s[4:5], 0
	v_mov_b32_e32 v5, v4
.LBB58_153:                             ; =>This Inner Loop Header: Depth=1
	scratch_load_dwordx2 v[10:11], v8, off
	ds_read_b64 v[12:13], v7
	v_add_u32_e32 v3, 1, v3
	v_cmp_lt_u32_e32 vcc, 33, v3
	v_add_u32_e32 v7, 8, v7
	v_add_u32_e32 v8, 8, v8
	s_or_b64 s[4:5], vcc, s[4:5]
	s_waitcnt vmcnt(0) lgkmcnt(0)
	v_pk_mul_f32 v[14:15], v[12:13], v[10:11] op_sel:[1,1] op_sel_hi:[0,1]
	v_pk_fma_f32 v[16:17], v[12:13], v[10:11], v[14:15] neg_lo:[0,0,1] neg_hi:[0,0,1]
	v_pk_fma_f32 v[10:11], v[12:13], v[10:11], v[14:15] op_sel_hi:[1,0,1]
	s_nop 0
	v_mov_b32_e32 v17, v11
	v_pk_add_f32 v[4:5], v[4:5], v[16:17]
	s_andn2_b64 exec, exec, s[4:5]
	s_cbranch_execnz .LBB58_153
; %bb.154:
	s_or_b64 exec, exec, s[4:5]
	v_mov_b32_e32 v3, 0
	ds_read_b64 v[8:9], v3 offset:280
	s_waitcnt lgkmcnt(0)
	v_pk_mul_f32 v[10:11], v[4:5], v[8:9] op_sel:[1,1] op_sel_hi:[0,1]
	v_pk_fma_f32 v[12:13], v[4:5], v[8:9], v[10:11] neg_lo:[0,0,1] neg_hi:[0,0,1]
	v_pk_fma_f32 v[4:5], v[4:5], v[8:9], v[10:11] op_sel_hi:[1,0,1]
	s_nop 0
	v_mov_b32_e32 v13, v5
	scratch_store_dwordx2 off, v[12:13], off offset:280
.LBB58_155:
	s_or_b64 exec, exec, s[0:1]
	; wave barrier
	scratch_load_dwordx2 v[4:5], off, off offset:288
	v_cmp_gt_u32_e32 vcc, 36, v0
	s_waitcnt vmcnt(0)
	ds_write_b64 v1, v[4:5]
	s_waitcnt lgkmcnt(0)
	; wave barrier
	s_and_saveexec_b64 s[0:1], vcc
	s_cbranch_execz .LBB58_159
; %bb.156:
	v_mov_b32_e32 v4, 0
	v_add_u32_e32 v3, -1, v0
	v_add_u32_e32 v7, 0x1e0, v2
	v_mov_b32_e32 v8, v2
	s_mov_b64 s[4:5], 0
	v_mov_b32_e32 v5, v4
.LBB58_157:                             ; =>This Inner Loop Header: Depth=1
	scratch_load_dwordx2 v[10:11], v8, off
	ds_read_b64 v[12:13], v7
	v_add_u32_e32 v3, 1, v3
	v_cmp_lt_u32_e32 vcc, 34, v3
	v_add_u32_e32 v7, 8, v7
	v_add_u32_e32 v8, 8, v8
	s_or_b64 s[4:5], vcc, s[4:5]
	s_waitcnt vmcnt(0) lgkmcnt(0)
	v_pk_mul_f32 v[14:15], v[12:13], v[10:11] op_sel:[1,1] op_sel_hi:[0,1]
	v_pk_fma_f32 v[16:17], v[12:13], v[10:11], v[14:15] neg_lo:[0,0,1] neg_hi:[0,0,1]
	v_pk_fma_f32 v[10:11], v[12:13], v[10:11], v[14:15] op_sel_hi:[1,0,1]
	s_nop 0
	v_mov_b32_e32 v17, v11
	v_pk_add_f32 v[4:5], v[4:5], v[16:17]
	s_andn2_b64 exec, exec, s[4:5]
	s_cbranch_execnz .LBB58_157
; %bb.158:
	s_or_b64 exec, exec, s[4:5]
	v_mov_b32_e32 v3, 0
	ds_read_b64 v[8:9], v3 offset:288
	s_waitcnt lgkmcnt(0)
	v_pk_mul_f32 v[10:11], v[4:5], v[8:9] op_sel:[1,1] op_sel_hi:[0,1]
	v_pk_fma_f32 v[12:13], v[4:5], v[8:9], v[10:11] neg_lo:[0,0,1] neg_hi:[0,0,1]
	v_pk_fma_f32 v[4:5], v[4:5], v[8:9], v[10:11] op_sel_hi:[1,0,1]
	s_nop 0
	v_mov_b32_e32 v13, v5
	scratch_store_dwordx2 off, v[12:13], off offset:288
.LBB58_159:
	s_or_b64 exec, exec, s[0:1]
	; wave barrier
	scratch_load_dwordx2 v[4:5], off, off offset:296
	v_cmp_gt_u32_e32 vcc, 37, v0
	s_waitcnt vmcnt(0)
	ds_write_b64 v1, v[4:5]
	s_waitcnt lgkmcnt(0)
	; wave barrier
	s_and_saveexec_b64 s[0:1], vcc
	s_cbranch_execz .LBB58_163
; %bb.160:
	v_mov_b32_e32 v4, 0
	v_add_u32_e32 v3, -1, v0
	v_add_u32_e32 v7, 0x1e0, v2
	v_mov_b32_e32 v8, v2
	s_mov_b64 s[4:5], 0
	v_mov_b32_e32 v5, v4
.LBB58_161:                             ; =>This Inner Loop Header: Depth=1
	scratch_load_dwordx2 v[10:11], v8, off
	ds_read_b64 v[12:13], v7
	v_add_u32_e32 v3, 1, v3
	v_cmp_lt_u32_e32 vcc, 35, v3
	v_add_u32_e32 v7, 8, v7
	v_add_u32_e32 v8, 8, v8
	s_or_b64 s[4:5], vcc, s[4:5]
	s_waitcnt vmcnt(0) lgkmcnt(0)
	v_pk_mul_f32 v[14:15], v[12:13], v[10:11] op_sel:[1,1] op_sel_hi:[0,1]
	v_pk_fma_f32 v[16:17], v[12:13], v[10:11], v[14:15] neg_lo:[0,0,1] neg_hi:[0,0,1]
	v_pk_fma_f32 v[10:11], v[12:13], v[10:11], v[14:15] op_sel_hi:[1,0,1]
	s_nop 0
	v_mov_b32_e32 v17, v11
	v_pk_add_f32 v[4:5], v[4:5], v[16:17]
	s_andn2_b64 exec, exec, s[4:5]
	s_cbranch_execnz .LBB58_161
; %bb.162:
	s_or_b64 exec, exec, s[4:5]
	v_mov_b32_e32 v3, 0
	ds_read_b64 v[8:9], v3 offset:296
	s_waitcnt lgkmcnt(0)
	v_pk_mul_f32 v[10:11], v[4:5], v[8:9] op_sel:[1,1] op_sel_hi:[0,1]
	v_pk_fma_f32 v[12:13], v[4:5], v[8:9], v[10:11] neg_lo:[0,0,1] neg_hi:[0,0,1]
	v_pk_fma_f32 v[4:5], v[4:5], v[8:9], v[10:11] op_sel_hi:[1,0,1]
	s_nop 0
	v_mov_b32_e32 v13, v5
	scratch_store_dwordx2 off, v[12:13], off offset:296
.LBB58_163:
	s_or_b64 exec, exec, s[0:1]
	; wave barrier
	scratch_load_dwordx2 v[4:5], off, off offset:304
	v_cmp_gt_u32_e32 vcc, 38, v0
	s_waitcnt vmcnt(0)
	ds_write_b64 v1, v[4:5]
	s_waitcnt lgkmcnt(0)
	; wave barrier
	s_and_saveexec_b64 s[0:1], vcc
	s_cbranch_execz .LBB58_167
; %bb.164:
	v_mov_b32_e32 v4, 0
	v_add_u32_e32 v3, -1, v0
	v_add_u32_e32 v7, 0x1e0, v2
	v_mov_b32_e32 v8, v2
	s_mov_b64 s[4:5], 0
	v_mov_b32_e32 v5, v4
.LBB58_165:                             ; =>This Inner Loop Header: Depth=1
	scratch_load_dwordx2 v[10:11], v8, off
	ds_read_b64 v[12:13], v7
	v_add_u32_e32 v3, 1, v3
	v_cmp_lt_u32_e32 vcc, 36, v3
	v_add_u32_e32 v7, 8, v7
	v_add_u32_e32 v8, 8, v8
	s_or_b64 s[4:5], vcc, s[4:5]
	s_waitcnt vmcnt(0) lgkmcnt(0)
	v_pk_mul_f32 v[14:15], v[12:13], v[10:11] op_sel:[1,1] op_sel_hi:[0,1]
	v_pk_fma_f32 v[16:17], v[12:13], v[10:11], v[14:15] neg_lo:[0,0,1] neg_hi:[0,0,1]
	v_pk_fma_f32 v[10:11], v[12:13], v[10:11], v[14:15] op_sel_hi:[1,0,1]
	s_nop 0
	v_mov_b32_e32 v17, v11
	v_pk_add_f32 v[4:5], v[4:5], v[16:17]
	s_andn2_b64 exec, exec, s[4:5]
	s_cbranch_execnz .LBB58_165
; %bb.166:
	s_or_b64 exec, exec, s[4:5]
	v_mov_b32_e32 v3, 0
	ds_read_b64 v[8:9], v3 offset:304
	s_waitcnt lgkmcnt(0)
	v_pk_mul_f32 v[10:11], v[4:5], v[8:9] op_sel:[1,1] op_sel_hi:[0,1]
	v_pk_fma_f32 v[12:13], v[4:5], v[8:9], v[10:11] neg_lo:[0,0,1] neg_hi:[0,0,1]
	v_pk_fma_f32 v[4:5], v[4:5], v[8:9], v[10:11] op_sel_hi:[1,0,1]
	s_nop 0
	v_mov_b32_e32 v13, v5
	scratch_store_dwordx2 off, v[12:13], off offset:304
.LBB58_167:
	s_or_b64 exec, exec, s[0:1]
	; wave barrier
	scratch_load_dwordx2 v[4:5], off, off offset:312
	v_cmp_gt_u32_e32 vcc, 39, v0
	s_waitcnt vmcnt(0)
	ds_write_b64 v1, v[4:5]
	s_waitcnt lgkmcnt(0)
	; wave barrier
	s_and_saveexec_b64 s[0:1], vcc
	s_cbranch_execz .LBB58_171
; %bb.168:
	v_mov_b32_e32 v4, 0
	v_add_u32_e32 v3, -1, v0
	v_add_u32_e32 v7, 0x1e0, v2
	v_mov_b32_e32 v8, v2
	s_mov_b64 s[4:5], 0
	v_mov_b32_e32 v5, v4
.LBB58_169:                             ; =>This Inner Loop Header: Depth=1
	scratch_load_dwordx2 v[10:11], v8, off
	ds_read_b64 v[12:13], v7
	v_add_u32_e32 v3, 1, v3
	v_cmp_lt_u32_e32 vcc, 37, v3
	v_add_u32_e32 v7, 8, v7
	v_add_u32_e32 v8, 8, v8
	s_or_b64 s[4:5], vcc, s[4:5]
	s_waitcnt vmcnt(0) lgkmcnt(0)
	v_pk_mul_f32 v[14:15], v[12:13], v[10:11] op_sel:[1,1] op_sel_hi:[0,1]
	v_pk_fma_f32 v[16:17], v[12:13], v[10:11], v[14:15] neg_lo:[0,0,1] neg_hi:[0,0,1]
	v_pk_fma_f32 v[10:11], v[12:13], v[10:11], v[14:15] op_sel_hi:[1,0,1]
	s_nop 0
	v_mov_b32_e32 v17, v11
	v_pk_add_f32 v[4:5], v[4:5], v[16:17]
	s_andn2_b64 exec, exec, s[4:5]
	s_cbranch_execnz .LBB58_169
; %bb.170:
	s_or_b64 exec, exec, s[4:5]
	v_mov_b32_e32 v3, 0
	ds_read_b64 v[8:9], v3 offset:312
	s_waitcnt lgkmcnt(0)
	v_pk_mul_f32 v[10:11], v[4:5], v[8:9] op_sel:[1,1] op_sel_hi:[0,1]
	v_pk_fma_f32 v[12:13], v[4:5], v[8:9], v[10:11] neg_lo:[0,0,1] neg_hi:[0,0,1]
	v_pk_fma_f32 v[4:5], v[4:5], v[8:9], v[10:11] op_sel_hi:[1,0,1]
	s_nop 0
	v_mov_b32_e32 v13, v5
	scratch_store_dwordx2 off, v[12:13], off offset:312
.LBB58_171:
	s_or_b64 exec, exec, s[0:1]
	; wave barrier
	scratch_load_dwordx2 v[4:5], off, off offset:320
	v_cmp_gt_u32_e32 vcc, 40, v0
	s_waitcnt vmcnt(0)
	ds_write_b64 v1, v[4:5]
	s_waitcnt lgkmcnt(0)
	; wave barrier
	s_and_saveexec_b64 s[0:1], vcc
	s_cbranch_execz .LBB58_175
; %bb.172:
	v_mov_b32_e32 v4, 0
	v_add_u32_e32 v3, -1, v0
	v_add_u32_e32 v7, 0x1e0, v2
	v_mov_b32_e32 v8, v2
	s_mov_b64 s[4:5], 0
	v_mov_b32_e32 v5, v4
.LBB58_173:                             ; =>This Inner Loop Header: Depth=1
	scratch_load_dwordx2 v[10:11], v8, off
	ds_read_b64 v[12:13], v7
	v_add_u32_e32 v3, 1, v3
	v_cmp_lt_u32_e32 vcc, 38, v3
	v_add_u32_e32 v7, 8, v7
	v_add_u32_e32 v8, 8, v8
	s_or_b64 s[4:5], vcc, s[4:5]
	s_waitcnt vmcnt(0) lgkmcnt(0)
	v_pk_mul_f32 v[14:15], v[12:13], v[10:11] op_sel:[1,1] op_sel_hi:[0,1]
	v_pk_fma_f32 v[16:17], v[12:13], v[10:11], v[14:15] neg_lo:[0,0,1] neg_hi:[0,0,1]
	v_pk_fma_f32 v[10:11], v[12:13], v[10:11], v[14:15] op_sel_hi:[1,0,1]
	s_nop 0
	v_mov_b32_e32 v17, v11
	v_pk_add_f32 v[4:5], v[4:5], v[16:17]
	s_andn2_b64 exec, exec, s[4:5]
	s_cbranch_execnz .LBB58_173
; %bb.174:
	s_or_b64 exec, exec, s[4:5]
	v_mov_b32_e32 v3, 0
	ds_read_b64 v[8:9], v3 offset:320
	s_waitcnt lgkmcnt(0)
	v_pk_mul_f32 v[10:11], v[4:5], v[8:9] op_sel:[1,1] op_sel_hi:[0,1]
	v_pk_fma_f32 v[12:13], v[4:5], v[8:9], v[10:11] neg_lo:[0,0,1] neg_hi:[0,0,1]
	v_pk_fma_f32 v[4:5], v[4:5], v[8:9], v[10:11] op_sel_hi:[1,0,1]
	s_nop 0
	v_mov_b32_e32 v13, v5
	scratch_store_dwordx2 off, v[12:13], off offset:320
.LBB58_175:
	s_or_b64 exec, exec, s[0:1]
	; wave barrier
	scratch_load_dwordx2 v[4:5], off, off offset:328
	v_cmp_gt_u32_e32 vcc, 41, v0
	s_waitcnt vmcnt(0)
	ds_write_b64 v1, v[4:5]
	s_waitcnt lgkmcnt(0)
	; wave barrier
	s_and_saveexec_b64 s[0:1], vcc
	s_cbranch_execz .LBB58_179
; %bb.176:
	v_mov_b32_e32 v4, 0
	v_add_u32_e32 v3, -1, v0
	v_add_u32_e32 v7, 0x1e0, v2
	v_mov_b32_e32 v8, v2
	s_mov_b64 s[4:5], 0
	v_mov_b32_e32 v5, v4
.LBB58_177:                             ; =>This Inner Loop Header: Depth=1
	scratch_load_dwordx2 v[10:11], v8, off
	ds_read_b64 v[12:13], v7
	v_add_u32_e32 v3, 1, v3
	v_cmp_lt_u32_e32 vcc, 39, v3
	v_add_u32_e32 v7, 8, v7
	v_add_u32_e32 v8, 8, v8
	s_or_b64 s[4:5], vcc, s[4:5]
	s_waitcnt vmcnt(0) lgkmcnt(0)
	v_pk_mul_f32 v[14:15], v[12:13], v[10:11] op_sel:[1,1] op_sel_hi:[0,1]
	v_pk_fma_f32 v[16:17], v[12:13], v[10:11], v[14:15] neg_lo:[0,0,1] neg_hi:[0,0,1]
	v_pk_fma_f32 v[10:11], v[12:13], v[10:11], v[14:15] op_sel_hi:[1,0,1]
	s_nop 0
	v_mov_b32_e32 v17, v11
	v_pk_add_f32 v[4:5], v[4:5], v[16:17]
	s_andn2_b64 exec, exec, s[4:5]
	s_cbranch_execnz .LBB58_177
; %bb.178:
	s_or_b64 exec, exec, s[4:5]
	v_mov_b32_e32 v3, 0
	ds_read_b64 v[8:9], v3 offset:328
	s_waitcnt lgkmcnt(0)
	v_pk_mul_f32 v[10:11], v[4:5], v[8:9] op_sel:[1,1] op_sel_hi:[0,1]
	v_pk_fma_f32 v[12:13], v[4:5], v[8:9], v[10:11] neg_lo:[0,0,1] neg_hi:[0,0,1]
	v_pk_fma_f32 v[4:5], v[4:5], v[8:9], v[10:11] op_sel_hi:[1,0,1]
	s_nop 0
	v_mov_b32_e32 v13, v5
	scratch_store_dwordx2 off, v[12:13], off offset:328
.LBB58_179:
	s_or_b64 exec, exec, s[0:1]
	; wave barrier
	scratch_load_dwordx2 v[4:5], off, off offset:336
	v_cmp_gt_u32_e32 vcc, 42, v0
	s_waitcnt vmcnt(0)
	ds_write_b64 v1, v[4:5]
	s_waitcnt lgkmcnt(0)
	; wave barrier
	s_and_saveexec_b64 s[0:1], vcc
	s_cbranch_execz .LBB58_183
; %bb.180:
	v_mov_b32_e32 v4, 0
	v_add_u32_e32 v3, -1, v0
	v_add_u32_e32 v7, 0x1e0, v2
	v_mov_b32_e32 v8, v2
	s_mov_b64 s[4:5], 0
	v_mov_b32_e32 v5, v4
.LBB58_181:                             ; =>This Inner Loop Header: Depth=1
	scratch_load_dwordx2 v[10:11], v8, off
	ds_read_b64 v[12:13], v7
	v_add_u32_e32 v3, 1, v3
	v_cmp_lt_u32_e32 vcc, 40, v3
	v_add_u32_e32 v7, 8, v7
	v_add_u32_e32 v8, 8, v8
	s_or_b64 s[4:5], vcc, s[4:5]
	s_waitcnt vmcnt(0) lgkmcnt(0)
	v_pk_mul_f32 v[14:15], v[12:13], v[10:11] op_sel:[1,1] op_sel_hi:[0,1]
	v_pk_fma_f32 v[16:17], v[12:13], v[10:11], v[14:15] neg_lo:[0,0,1] neg_hi:[0,0,1]
	v_pk_fma_f32 v[10:11], v[12:13], v[10:11], v[14:15] op_sel_hi:[1,0,1]
	s_nop 0
	v_mov_b32_e32 v17, v11
	v_pk_add_f32 v[4:5], v[4:5], v[16:17]
	s_andn2_b64 exec, exec, s[4:5]
	s_cbranch_execnz .LBB58_181
; %bb.182:
	s_or_b64 exec, exec, s[4:5]
	v_mov_b32_e32 v3, 0
	ds_read_b64 v[8:9], v3 offset:336
	s_waitcnt lgkmcnt(0)
	v_pk_mul_f32 v[10:11], v[4:5], v[8:9] op_sel:[1,1] op_sel_hi:[0,1]
	v_pk_fma_f32 v[12:13], v[4:5], v[8:9], v[10:11] neg_lo:[0,0,1] neg_hi:[0,0,1]
	v_pk_fma_f32 v[4:5], v[4:5], v[8:9], v[10:11] op_sel_hi:[1,0,1]
	s_nop 0
	v_mov_b32_e32 v13, v5
	scratch_store_dwordx2 off, v[12:13], off offset:336
.LBB58_183:
	s_or_b64 exec, exec, s[0:1]
	; wave barrier
	scratch_load_dwordx2 v[4:5], off, off offset:344
	v_cmp_gt_u32_e32 vcc, 43, v0
	s_waitcnt vmcnt(0)
	ds_write_b64 v1, v[4:5]
	s_waitcnt lgkmcnt(0)
	; wave barrier
	s_and_saveexec_b64 s[0:1], vcc
	s_cbranch_execz .LBB58_187
; %bb.184:
	v_mov_b32_e32 v4, 0
	v_add_u32_e32 v3, -1, v0
	v_add_u32_e32 v7, 0x1e0, v2
	v_mov_b32_e32 v8, v2
	s_mov_b64 s[4:5], 0
	v_mov_b32_e32 v5, v4
.LBB58_185:                             ; =>This Inner Loop Header: Depth=1
	scratch_load_dwordx2 v[10:11], v8, off
	ds_read_b64 v[12:13], v7
	v_add_u32_e32 v3, 1, v3
	v_cmp_lt_u32_e32 vcc, 41, v3
	v_add_u32_e32 v7, 8, v7
	v_add_u32_e32 v8, 8, v8
	s_or_b64 s[4:5], vcc, s[4:5]
	s_waitcnt vmcnt(0) lgkmcnt(0)
	v_pk_mul_f32 v[14:15], v[12:13], v[10:11] op_sel:[1,1] op_sel_hi:[0,1]
	v_pk_fma_f32 v[16:17], v[12:13], v[10:11], v[14:15] neg_lo:[0,0,1] neg_hi:[0,0,1]
	v_pk_fma_f32 v[10:11], v[12:13], v[10:11], v[14:15] op_sel_hi:[1,0,1]
	s_nop 0
	v_mov_b32_e32 v17, v11
	v_pk_add_f32 v[4:5], v[4:5], v[16:17]
	s_andn2_b64 exec, exec, s[4:5]
	s_cbranch_execnz .LBB58_185
; %bb.186:
	s_or_b64 exec, exec, s[4:5]
	v_mov_b32_e32 v3, 0
	ds_read_b64 v[8:9], v3 offset:344
	s_waitcnt lgkmcnt(0)
	v_pk_mul_f32 v[10:11], v[4:5], v[8:9] op_sel:[1,1] op_sel_hi:[0,1]
	v_pk_fma_f32 v[12:13], v[4:5], v[8:9], v[10:11] neg_lo:[0,0,1] neg_hi:[0,0,1]
	v_pk_fma_f32 v[4:5], v[4:5], v[8:9], v[10:11] op_sel_hi:[1,0,1]
	s_nop 0
	v_mov_b32_e32 v13, v5
	scratch_store_dwordx2 off, v[12:13], off offset:344
.LBB58_187:
	s_or_b64 exec, exec, s[0:1]
	; wave barrier
	scratch_load_dwordx2 v[4:5], off, off offset:352
	v_cmp_gt_u32_e32 vcc, 44, v0
	s_waitcnt vmcnt(0)
	ds_write_b64 v1, v[4:5]
	s_waitcnt lgkmcnt(0)
	; wave barrier
	s_and_saveexec_b64 s[0:1], vcc
	s_cbranch_execz .LBB58_191
; %bb.188:
	v_mov_b32_e32 v4, 0
	v_add_u32_e32 v3, -1, v0
	v_add_u32_e32 v7, 0x1e0, v2
	v_mov_b32_e32 v8, v2
	s_mov_b64 s[4:5], 0
	v_mov_b32_e32 v5, v4
.LBB58_189:                             ; =>This Inner Loop Header: Depth=1
	scratch_load_dwordx2 v[10:11], v8, off
	ds_read_b64 v[12:13], v7
	v_add_u32_e32 v3, 1, v3
	v_cmp_lt_u32_e32 vcc, 42, v3
	v_add_u32_e32 v7, 8, v7
	v_add_u32_e32 v8, 8, v8
	s_or_b64 s[4:5], vcc, s[4:5]
	s_waitcnt vmcnt(0) lgkmcnt(0)
	v_pk_mul_f32 v[14:15], v[12:13], v[10:11] op_sel:[1,1] op_sel_hi:[0,1]
	v_pk_fma_f32 v[16:17], v[12:13], v[10:11], v[14:15] neg_lo:[0,0,1] neg_hi:[0,0,1]
	v_pk_fma_f32 v[10:11], v[12:13], v[10:11], v[14:15] op_sel_hi:[1,0,1]
	s_nop 0
	v_mov_b32_e32 v17, v11
	v_pk_add_f32 v[4:5], v[4:5], v[16:17]
	s_andn2_b64 exec, exec, s[4:5]
	s_cbranch_execnz .LBB58_189
; %bb.190:
	s_or_b64 exec, exec, s[4:5]
	v_mov_b32_e32 v3, 0
	ds_read_b64 v[8:9], v3 offset:352
	s_waitcnt lgkmcnt(0)
	v_pk_mul_f32 v[10:11], v[4:5], v[8:9] op_sel:[1,1] op_sel_hi:[0,1]
	v_pk_fma_f32 v[12:13], v[4:5], v[8:9], v[10:11] neg_lo:[0,0,1] neg_hi:[0,0,1]
	v_pk_fma_f32 v[4:5], v[4:5], v[8:9], v[10:11] op_sel_hi:[1,0,1]
	s_nop 0
	v_mov_b32_e32 v13, v5
	scratch_store_dwordx2 off, v[12:13], off offset:352
.LBB58_191:
	s_or_b64 exec, exec, s[0:1]
	; wave barrier
	scratch_load_dwordx2 v[4:5], off, off offset:360
	v_cmp_gt_u32_e32 vcc, 45, v0
	s_waitcnt vmcnt(0)
	ds_write_b64 v1, v[4:5]
	s_waitcnt lgkmcnt(0)
	; wave barrier
	s_and_saveexec_b64 s[0:1], vcc
	s_cbranch_execz .LBB58_195
; %bb.192:
	v_mov_b32_e32 v4, 0
	v_add_u32_e32 v3, -1, v0
	v_add_u32_e32 v7, 0x1e0, v2
	v_mov_b32_e32 v8, v2
	s_mov_b64 s[4:5], 0
	v_mov_b32_e32 v5, v4
.LBB58_193:                             ; =>This Inner Loop Header: Depth=1
	scratch_load_dwordx2 v[10:11], v8, off
	ds_read_b64 v[12:13], v7
	v_add_u32_e32 v3, 1, v3
	v_cmp_lt_u32_e32 vcc, 43, v3
	v_add_u32_e32 v7, 8, v7
	v_add_u32_e32 v8, 8, v8
	s_or_b64 s[4:5], vcc, s[4:5]
	s_waitcnt vmcnt(0) lgkmcnt(0)
	v_pk_mul_f32 v[14:15], v[12:13], v[10:11] op_sel:[1,1] op_sel_hi:[0,1]
	v_pk_fma_f32 v[16:17], v[12:13], v[10:11], v[14:15] neg_lo:[0,0,1] neg_hi:[0,0,1]
	v_pk_fma_f32 v[10:11], v[12:13], v[10:11], v[14:15] op_sel_hi:[1,0,1]
	s_nop 0
	v_mov_b32_e32 v17, v11
	v_pk_add_f32 v[4:5], v[4:5], v[16:17]
	s_andn2_b64 exec, exec, s[4:5]
	s_cbranch_execnz .LBB58_193
; %bb.194:
	s_or_b64 exec, exec, s[4:5]
	v_mov_b32_e32 v3, 0
	ds_read_b64 v[8:9], v3 offset:360
	s_waitcnt lgkmcnt(0)
	v_pk_mul_f32 v[10:11], v[4:5], v[8:9] op_sel:[1,1] op_sel_hi:[0,1]
	v_pk_fma_f32 v[12:13], v[4:5], v[8:9], v[10:11] neg_lo:[0,0,1] neg_hi:[0,0,1]
	v_pk_fma_f32 v[4:5], v[4:5], v[8:9], v[10:11] op_sel_hi:[1,0,1]
	s_nop 0
	v_mov_b32_e32 v13, v5
	scratch_store_dwordx2 off, v[12:13], off offset:360
.LBB58_195:
	s_or_b64 exec, exec, s[0:1]
	; wave barrier
	scratch_load_dwordx2 v[4:5], off, off offset:368
	v_cmp_gt_u32_e32 vcc, 46, v0
	s_waitcnt vmcnt(0)
	ds_write_b64 v1, v[4:5]
	s_waitcnt lgkmcnt(0)
	; wave barrier
	s_and_saveexec_b64 s[0:1], vcc
	s_cbranch_execz .LBB58_199
; %bb.196:
	v_mov_b32_e32 v4, 0
	v_add_u32_e32 v3, -1, v0
	v_add_u32_e32 v7, 0x1e0, v2
	v_mov_b32_e32 v8, v2
	s_mov_b64 s[4:5], 0
	v_mov_b32_e32 v5, v4
.LBB58_197:                             ; =>This Inner Loop Header: Depth=1
	scratch_load_dwordx2 v[10:11], v8, off
	ds_read_b64 v[12:13], v7
	v_add_u32_e32 v3, 1, v3
	v_cmp_lt_u32_e32 vcc, 44, v3
	v_add_u32_e32 v7, 8, v7
	v_add_u32_e32 v8, 8, v8
	s_or_b64 s[4:5], vcc, s[4:5]
	s_waitcnt vmcnt(0) lgkmcnt(0)
	v_pk_mul_f32 v[14:15], v[12:13], v[10:11] op_sel:[1,1] op_sel_hi:[0,1]
	v_pk_fma_f32 v[16:17], v[12:13], v[10:11], v[14:15] neg_lo:[0,0,1] neg_hi:[0,0,1]
	v_pk_fma_f32 v[10:11], v[12:13], v[10:11], v[14:15] op_sel_hi:[1,0,1]
	s_nop 0
	v_mov_b32_e32 v17, v11
	v_pk_add_f32 v[4:5], v[4:5], v[16:17]
	s_andn2_b64 exec, exec, s[4:5]
	s_cbranch_execnz .LBB58_197
; %bb.198:
	s_or_b64 exec, exec, s[4:5]
	v_mov_b32_e32 v3, 0
	ds_read_b64 v[8:9], v3 offset:368
	s_waitcnt lgkmcnt(0)
	v_pk_mul_f32 v[10:11], v[4:5], v[8:9] op_sel:[1,1] op_sel_hi:[0,1]
	v_pk_fma_f32 v[12:13], v[4:5], v[8:9], v[10:11] neg_lo:[0,0,1] neg_hi:[0,0,1]
	v_pk_fma_f32 v[4:5], v[4:5], v[8:9], v[10:11] op_sel_hi:[1,0,1]
	s_nop 0
	v_mov_b32_e32 v13, v5
	scratch_store_dwordx2 off, v[12:13], off offset:368
.LBB58_199:
	s_or_b64 exec, exec, s[0:1]
	; wave barrier
	scratch_load_dwordx2 v[4:5], off, off offset:376
	v_cmp_gt_u32_e32 vcc, 47, v0
	s_waitcnt vmcnt(0)
	ds_write_b64 v1, v[4:5]
	s_waitcnt lgkmcnt(0)
	; wave barrier
	s_and_saveexec_b64 s[0:1], vcc
	s_cbranch_execz .LBB58_203
; %bb.200:
	v_mov_b32_e32 v4, 0
	v_add_u32_e32 v3, -1, v0
	v_add_u32_e32 v7, 0x1e0, v2
	v_mov_b32_e32 v8, v2
	s_mov_b64 s[4:5], 0
	v_mov_b32_e32 v5, v4
.LBB58_201:                             ; =>This Inner Loop Header: Depth=1
	scratch_load_dwordx2 v[10:11], v8, off
	ds_read_b64 v[12:13], v7
	v_add_u32_e32 v3, 1, v3
	v_cmp_lt_u32_e32 vcc, 45, v3
	v_add_u32_e32 v7, 8, v7
	v_add_u32_e32 v8, 8, v8
	s_or_b64 s[4:5], vcc, s[4:5]
	s_waitcnt vmcnt(0) lgkmcnt(0)
	v_pk_mul_f32 v[14:15], v[12:13], v[10:11] op_sel:[1,1] op_sel_hi:[0,1]
	v_pk_fma_f32 v[16:17], v[12:13], v[10:11], v[14:15] neg_lo:[0,0,1] neg_hi:[0,0,1]
	v_pk_fma_f32 v[10:11], v[12:13], v[10:11], v[14:15] op_sel_hi:[1,0,1]
	s_nop 0
	v_mov_b32_e32 v17, v11
	v_pk_add_f32 v[4:5], v[4:5], v[16:17]
	s_andn2_b64 exec, exec, s[4:5]
	s_cbranch_execnz .LBB58_201
; %bb.202:
	s_or_b64 exec, exec, s[4:5]
	v_mov_b32_e32 v3, 0
	ds_read_b64 v[8:9], v3 offset:376
	s_waitcnt lgkmcnt(0)
	v_pk_mul_f32 v[10:11], v[4:5], v[8:9] op_sel:[1,1] op_sel_hi:[0,1]
	v_pk_fma_f32 v[12:13], v[4:5], v[8:9], v[10:11] neg_lo:[0,0,1] neg_hi:[0,0,1]
	v_pk_fma_f32 v[4:5], v[4:5], v[8:9], v[10:11] op_sel_hi:[1,0,1]
	s_nop 0
	v_mov_b32_e32 v13, v5
	scratch_store_dwordx2 off, v[12:13], off offset:376
.LBB58_203:
	s_or_b64 exec, exec, s[0:1]
	; wave barrier
	scratch_load_dwordx2 v[4:5], off, off offset:384
	v_cmp_gt_u32_e32 vcc, 48, v0
	s_waitcnt vmcnt(0)
	ds_write_b64 v1, v[4:5]
	s_waitcnt lgkmcnt(0)
	; wave barrier
	s_and_saveexec_b64 s[0:1], vcc
	s_cbranch_execz .LBB58_207
; %bb.204:
	v_mov_b32_e32 v4, 0
	v_add_u32_e32 v3, -1, v0
	v_add_u32_e32 v7, 0x1e0, v2
	v_mov_b32_e32 v8, v2
	s_mov_b64 s[4:5], 0
	v_mov_b32_e32 v5, v4
.LBB58_205:                             ; =>This Inner Loop Header: Depth=1
	scratch_load_dwordx2 v[10:11], v8, off
	ds_read_b64 v[12:13], v7
	v_add_u32_e32 v3, 1, v3
	v_cmp_lt_u32_e32 vcc, 46, v3
	v_add_u32_e32 v7, 8, v7
	v_add_u32_e32 v8, 8, v8
	s_or_b64 s[4:5], vcc, s[4:5]
	s_waitcnt vmcnt(0) lgkmcnt(0)
	v_pk_mul_f32 v[14:15], v[12:13], v[10:11] op_sel:[1,1] op_sel_hi:[0,1]
	v_pk_fma_f32 v[16:17], v[12:13], v[10:11], v[14:15] neg_lo:[0,0,1] neg_hi:[0,0,1]
	v_pk_fma_f32 v[10:11], v[12:13], v[10:11], v[14:15] op_sel_hi:[1,0,1]
	s_nop 0
	v_mov_b32_e32 v17, v11
	v_pk_add_f32 v[4:5], v[4:5], v[16:17]
	s_andn2_b64 exec, exec, s[4:5]
	s_cbranch_execnz .LBB58_205
; %bb.206:
	s_or_b64 exec, exec, s[4:5]
	v_mov_b32_e32 v3, 0
	ds_read_b64 v[8:9], v3 offset:384
	s_waitcnt lgkmcnt(0)
	v_pk_mul_f32 v[10:11], v[4:5], v[8:9] op_sel:[1,1] op_sel_hi:[0,1]
	v_pk_fma_f32 v[12:13], v[4:5], v[8:9], v[10:11] neg_lo:[0,0,1] neg_hi:[0,0,1]
	v_pk_fma_f32 v[4:5], v[4:5], v[8:9], v[10:11] op_sel_hi:[1,0,1]
	s_nop 0
	v_mov_b32_e32 v13, v5
	scratch_store_dwordx2 off, v[12:13], off offset:384
.LBB58_207:
	s_or_b64 exec, exec, s[0:1]
	; wave barrier
	scratch_load_dwordx2 v[4:5], off, off offset:392
	v_cmp_gt_u32_e32 vcc, 49, v0
	s_waitcnt vmcnt(0)
	ds_write_b64 v1, v[4:5]
	s_waitcnt lgkmcnt(0)
	; wave barrier
	s_and_saveexec_b64 s[0:1], vcc
	s_cbranch_execz .LBB58_211
; %bb.208:
	v_mov_b32_e32 v4, 0
	v_add_u32_e32 v3, -1, v0
	v_add_u32_e32 v7, 0x1e0, v2
	v_mov_b32_e32 v8, v2
	s_mov_b64 s[4:5], 0
	v_mov_b32_e32 v5, v4
.LBB58_209:                             ; =>This Inner Loop Header: Depth=1
	scratch_load_dwordx2 v[10:11], v8, off
	ds_read_b64 v[12:13], v7
	v_add_u32_e32 v3, 1, v3
	v_cmp_lt_u32_e32 vcc, 47, v3
	v_add_u32_e32 v7, 8, v7
	v_add_u32_e32 v8, 8, v8
	s_or_b64 s[4:5], vcc, s[4:5]
	s_waitcnt vmcnt(0) lgkmcnt(0)
	v_pk_mul_f32 v[14:15], v[12:13], v[10:11] op_sel:[1,1] op_sel_hi:[0,1]
	v_pk_fma_f32 v[16:17], v[12:13], v[10:11], v[14:15] neg_lo:[0,0,1] neg_hi:[0,0,1]
	v_pk_fma_f32 v[10:11], v[12:13], v[10:11], v[14:15] op_sel_hi:[1,0,1]
	s_nop 0
	v_mov_b32_e32 v17, v11
	v_pk_add_f32 v[4:5], v[4:5], v[16:17]
	s_andn2_b64 exec, exec, s[4:5]
	s_cbranch_execnz .LBB58_209
; %bb.210:
	s_or_b64 exec, exec, s[4:5]
	v_mov_b32_e32 v3, 0
	ds_read_b64 v[8:9], v3 offset:392
	s_waitcnt lgkmcnt(0)
	v_pk_mul_f32 v[10:11], v[4:5], v[8:9] op_sel:[1,1] op_sel_hi:[0,1]
	v_pk_fma_f32 v[12:13], v[4:5], v[8:9], v[10:11] neg_lo:[0,0,1] neg_hi:[0,0,1]
	v_pk_fma_f32 v[4:5], v[4:5], v[8:9], v[10:11] op_sel_hi:[1,0,1]
	s_nop 0
	v_mov_b32_e32 v13, v5
	scratch_store_dwordx2 off, v[12:13], off offset:392
.LBB58_211:
	s_or_b64 exec, exec, s[0:1]
	; wave barrier
	scratch_load_dwordx2 v[4:5], off, off offset:400
	v_cmp_gt_u32_e32 vcc, 50, v0
	s_waitcnt vmcnt(0)
	ds_write_b64 v1, v[4:5]
	s_waitcnt lgkmcnt(0)
	; wave barrier
	s_and_saveexec_b64 s[0:1], vcc
	s_cbranch_execz .LBB58_215
; %bb.212:
	v_mov_b32_e32 v4, 0
	v_add_u32_e32 v3, -1, v0
	v_add_u32_e32 v7, 0x1e0, v2
	v_mov_b32_e32 v8, v2
	s_mov_b64 s[4:5], 0
	v_mov_b32_e32 v5, v4
.LBB58_213:                             ; =>This Inner Loop Header: Depth=1
	scratch_load_dwordx2 v[10:11], v8, off
	ds_read_b64 v[12:13], v7
	v_add_u32_e32 v3, 1, v3
	v_cmp_lt_u32_e32 vcc, 48, v3
	v_add_u32_e32 v7, 8, v7
	v_add_u32_e32 v8, 8, v8
	s_or_b64 s[4:5], vcc, s[4:5]
	s_waitcnt vmcnt(0) lgkmcnt(0)
	v_pk_mul_f32 v[14:15], v[12:13], v[10:11] op_sel:[1,1] op_sel_hi:[0,1]
	v_pk_fma_f32 v[16:17], v[12:13], v[10:11], v[14:15] neg_lo:[0,0,1] neg_hi:[0,0,1]
	v_pk_fma_f32 v[10:11], v[12:13], v[10:11], v[14:15] op_sel_hi:[1,0,1]
	s_nop 0
	v_mov_b32_e32 v17, v11
	v_pk_add_f32 v[4:5], v[4:5], v[16:17]
	s_andn2_b64 exec, exec, s[4:5]
	s_cbranch_execnz .LBB58_213
; %bb.214:
	s_or_b64 exec, exec, s[4:5]
	v_mov_b32_e32 v3, 0
	ds_read_b64 v[8:9], v3 offset:400
	s_waitcnt lgkmcnt(0)
	v_pk_mul_f32 v[10:11], v[4:5], v[8:9] op_sel:[1,1] op_sel_hi:[0,1]
	v_pk_fma_f32 v[12:13], v[4:5], v[8:9], v[10:11] neg_lo:[0,0,1] neg_hi:[0,0,1]
	v_pk_fma_f32 v[4:5], v[4:5], v[8:9], v[10:11] op_sel_hi:[1,0,1]
	s_nop 0
	v_mov_b32_e32 v13, v5
	scratch_store_dwordx2 off, v[12:13], off offset:400
.LBB58_215:
	s_or_b64 exec, exec, s[0:1]
	; wave barrier
	scratch_load_dwordx2 v[4:5], off, off offset:408
	v_cmp_gt_u32_e32 vcc, 51, v0
	s_waitcnt vmcnt(0)
	ds_write_b64 v1, v[4:5]
	s_waitcnt lgkmcnt(0)
	; wave barrier
	s_and_saveexec_b64 s[0:1], vcc
	s_cbranch_execz .LBB58_219
; %bb.216:
	v_mov_b32_e32 v4, 0
	v_add_u32_e32 v3, -1, v0
	v_add_u32_e32 v7, 0x1e0, v2
	v_mov_b32_e32 v8, v2
	s_mov_b64 s[4:5], 0
	v_mov_b32_e32 v5, v4
.LBB58_217:                             ; =>This Inner Loop Header: Depth=1
	scratch_load_dwordx2 v[10:11], v8, off
	ds_read_b64 v[12:13], v7
	v_add_u32_e32 v3, 1, v3
	v_cmp_lt_u32_e32 vcc, 49, v3
	v_add_u32_e32 v7, 8, v7
	v_add_u32_e32 v8, 8, v8
	s_or_b64 s[4:5], vcc, s[4:5]
	s_waitcnt vmcnt(0) lgkmcnt(0)
	v_pk_mul_f32 v[14:15], v[12:13], v[10:11] op_sel:[1,1] op_sel_hi:[0,1]
	v_pk_fma_f32 v[16:17], v[12:13], v[10:11], v[14:15] neg_lo:[0,0,1] neg_hi:[0,0,1]
	v_pk_fma_f32 v[10:11], v[12:13], v[10:11], v[14:15] op_sel_hi:[1,0,1]
	s_nop 0
	v_mov_b32_e32 v17, v11
	v_pk_add_f32 v[4:5], v[4:5], v[16:17]
	s_andn2_b64 exec, exec, s[4:5]
	s_cbranch_execnz .LBB58_217
; %bb.218:
	s_or_b64 exec, exec, s[4:5]
	v_mov_b32_e32 v3, 0
	ds_read_b64 v[8:9], v3 offset:408
	s_waitcnt lgkmcnt(0)
	v_pk_mul_f32 v[10:11], v[4:5], v[8:9] op_sel:[1,1] op_sel_hi:[0,1]
	v_pk_fma_f32 v[12:13], v[4:5], v[8:9], v[10:11] neg_lo:[0,0,1] neg_hi:[0,0,1]
	v_pk_fma_f32 v[4:5], v[4:5], v[8:9], v[10:11] op_sel_hi:[1,0,1]
	s_nop 0
	v_mov_b32_e32 v13, v5
	scratch_store_dwordx2 off, v[12:13], off offset:408
.LBB58_219:
	s_or_b64 exec, exec, s[0:1]
	; wave barrier
	scratch_load_dwordx2 v[4:5], off, off offset:416
	v_cmp_gt_u32_e32 vcc, 52, v0
	s_waitcnt vmcnt(0)
	ds_write_b64 v1, v[4:5]
	s_waitcnt lgkmcnt(0)
	; wave barrier
	s_and_saveexec_b64 s[0:1], vcc
	s_cbranch_execz .LBB58_223
; %bb.220:
	v_mov_b32_e32 v4, 0
	v_add_u32_e32 v3, -1, v0
	v_add_u32_e32 v7, 0x1e0, v2
	v_mov_b32_e32 v8, v2
	s_mov_b64 s[4:5], 0
	v_mov_b32_e32 v5, v4
.LBB58_221:                             ; =>This Inner Loop Header: Depth=1
	scratch_load_dwordx2 v[10:11], v8, off
	ds_read_b64 v[12:13], v7
	v_add_u32_e32 v3, 1, v3
	v_cmp_lt_u32_e32 vcc, 50, v3
	v_add_u32_e32 v7, 8, v7
	v_add_u32_e32 v8, 8, v8
	s_or_b64 s[4:5], vcc, s[4:5]
	s_waitcnt vmcnt(0) lgkmcnt(0)
	v_pk_mul_f32 v[14:15], v[12:13], v[10:11] op_sel:[1,1] op_sel_hi:[0,1]
	v_pk_fma_f32 v[16:17], v[12:13], v[10:11], v[14:15] neg_lo:[0,0,1] neg_hi:[0,0,1]
	v_pk_fma_f32 v[10:11], v[12:13], v[10:11], v[14:15] op_sel_hi:[1,0,1]
	s_nop 0
	v_mov_b32_e32 v17, v11
	v_pk_add_f32 v[4:5], v[4:5], v[16:17]
	s_andn2_b64 exec, exec, s[4:5]
	s_cbranch_execnz .LBB58_221
; %bb.222:
	s_or_b64 exec, exec, s[4:5]
	v_mov_b32_e32 v3, 0
	ds_read_b64 v[8:9], v3 offset:416
	s_waitcnt lgkmcnt(0)
	v_pk_mul_f32 v[10:11], v[4:5], v[8:9] op_sel:[1,1] op_sel_hi:[0,1]
	v_pk_fma_f32 v[12:13], v[4:5], v[8:9], v[10:11] neg_lo:[0,0,1] neg_hi:[0,0,1]
	v_pk_fma_f32 v[4:5], v[4:5], v[8:9], v[10:11] op_sel_hi:[1,0,1]
	s_nop 0
	v_mov_b32_e32 v13, v5
	scratch_store_dwordx2 off, v[12:13], off offset:416
.LBB58_223:
	s_or_b64 exec, exec, s[0:1]
	; wave barrier
	scratch_load_dwordx2 v[4:5], off, off offset:424
	v_cmp_gt_u32_e32 vcc, 53, v0
	s_waitcnt vmcnt(0)
	ds_write_b64 v1, v[4:5]
	s_waitcnt lgkmcnt(0)
	; wave barrier
	s_and_saveexec_b64 s[0:1], vcc
	s_cbranch_execz .LBB58_227
; %bb.224:
	v_mov_b32_e32 v4, 0
	v_add_u32_e32 v3, -1, v0
	v_add_u32_e32 v7, 0x1e0, v2
	v_mov_b32_e32 v8, v2
	s_mov_b64 s[4:5], 0
	v_mov_b32_e32 v5, v4
.LBB58_225:                             ; =>This Inner Loop Header: Depth=1
	scratch_load_dwordx2 v[10:11], v8, off
	ds_read_b64 v[12:13], v7
	v_add_u32_e32 v3, 1, v3
	v_cmp_lt_u32_e32 vcc, 51, v3
	v_add_u32_e32 v7, 8, v7
	v_add_u32_e32 v8, 8, v8
	s_or_b64 s[4:5], vcc, s[4:5]
	s_waitcnt vmcnt(0) lgkmcnt(0)
	v_pk_mul_f32 v[14:15], v[12:13], v[10:11] op_sel:[1,1] op_sel_hi:[0,1]
	v_pk_fma_f32 v[16:17], v[12:13], v[10:11], v[14:15] neg_lo:[0,0,1] neg_hi:[0,0,1]
	v_pk_fma_f32 v[10:11], v[12:13], v[10:11], v[14:15] op_sel_hi:[1,0,1]
	s_nop 0
	v_mov_b32_e32 v17, v11
	v_pk_add_f32 v[4:5], v[4:5], v[16:17]
	s_andn2_b64 exec, exec, s[4:5]
	s_cbranch_execnz .LBB58_225
; %bb.226:
	s_or_b64 exec, exec, s[4:5]
	v_mov_b32_e32 v3, 0
	ds_read_b64 v[8:9], v3 offset:424
	s_waitcnt lgkmcnt(0)
	v_pk_mul_f32 v[10:11], v[4:5], v[8:9] op_sel:[1,1] op_sel_hi:[0,1]
	v_pk_fma_f32 v[12:13], v[4:5], v[8:9], v[10:11] neg_lo:[0,0,1] neg_hi:[0,0,1]
	v_pk_fma_f32 v[4:5], v[4:5], v[8:9], v[10:11] op_sel_hi:[1,0,1]
	s_nop 0
	v_mov_b32_e32 v13, v5
	scratch_store_dwordx2 off, v[12:13], off offset:424
.LBB58_227:
	s_or_b64 exec, exec, s[0:1]
	; wave barrier
	scratch_load_dwordx2 v[4:5], off, off offset:432
	v_cmp_gt_u32_e32 vcc, 54, v0
	s_waitcnt vmcnt(0)
	ds_write_b64 v1, v[4:5]
	s_waitcnt lgkmcnt(0)
	; wave barrier
	s_and_saveexec_b64 s[0:1], vcc
	s_cbranch_execz .LBB58_231
; %bb.228:
	v_mov_b32_e32 v4, 0
	v_add_u32_e32 v3, -1, v0
	v_add_u32_e32 v7, 0x1e0, v2
	v_mov_b32_e32 v8, v2
	s_mov_b64 s[4:5], 0
	v_mov_b32_e32 v5, v4
.LBB58_229:                             ; =>This Inner Loop Header: Depth=1
	scratch_load_dwordx2 v[10:11], v8, off
	ds_read_b64 v[12:13], v7
	v_add_u32_e32 v3, 1, v3
	v_cmp_lt_u32_e32 vcc, 52, v3
	v_add_u32_e32 v7, 8, v7
	v_add_u32_e32 v8, 8, v8
	s_or_b64 s[4:5], vcc, s[4:5]
	s_waitcnt vmcnt(0) lgkmcnt(0)
	v_pk_mul_f32 v[14:15], v[12:13], v[10:11] op_sel:[1,1] op_sel_hi:[0,1]
	v_pk_fma_f32 v[16:17], v[12:13], v[10:11], v[14:15] neg_lo:[0,0,1] neg_hi:[0,0,1]
	v_pk_fma_f32 v[10:11], v[12:13], v[10:11], v[14:15] op_sel_hi:[1,0,1]
	s_nop 0
	v_mov_b32_e32 v17, v11
	v_pk_add_f32 v[4:5], v[4:5], v[16:17]
	s_andn2_b64 exec, exec, s[4:5]
	s_cbranch_execnz .LBB58_229
; %bb.230:
	s_or_b64 exec, exec, s[4:5]
	v_mov_b32_e32 v3, 0
	ds_read_b64 v[8:9], v3 offset:432
	s_waitcnt lgkmcnt(0)
	v_pk_mul_f32 v[10:11], v[4:5], v[8:9] op_sel:[1,1] op_sel_hi:[0,1]
	v_pk_fma_f32 v[12:13], v[4:5], v[8:9], v[10:11] neg_lo:[0,0,1] neg_hi:[0,0,1]
	v_pk_fma_f32 v[4:5], v[4:5], v[8:9], v[10:11] op_sel_hi:[1,0,1]
	s_nop 0
	v_mov_b32_e32 v13, v5
	scratch_store_dwordx2 off, v[12:13], off offset:432
.LBB58_231:
	s_or_b64 exec, exec, s[0:1]
	; wave barrier
	scratch_load_dwordx2 v[4:5], off, off offset:440
	v_cmp_gt_u32_e32 vcc, 55, v0
	s_waitcnt vmcnt(0)
	ds_write_b64 v1, v[4:5]
	s_waitcnt lgkmcnt(0)
	; wave barrier
	s_and_saveexec_b64 s[0:1], vcc
	s_cbranch_execz .LBB58_235
; %bb.232:
	v_mov_b32_e32 v4, 0
	v_add_u32_e32 v3, -1, v0
	v_add_u32_e32 v7, 0x1e0, v2
	v_mov_b32_e32 v8, v2
	s_mov_b64 s[4:5], 0
	v_mov_b32_e32 v5, v4
.LBB58_233:                             ; =>This Inner Loop Header: Depth=1
	scratch_load_dwordx2 v[10:11], v8, off
	ds_read_b64 v[12:13], v7
	v_add_u32_e32 v3, 1, v3
	v_cmp_lt_u32_e32 vcc, 53, v3
	v_add_u32_e32 v7, 8, v7
	v_add_u32_e32 v8, 8, v8
	s_or_b64 s[4:5], vcc, s[4:5]
	s_waitcnt vmcnt(0) lgkmcnt(0)
	v_pk_mul_f32 v[14:15], v[12:13], v[10:11] op_sel:[1,1] op_sel_hi:[0,1]
	v_pk_fma_f32 v[16:17], v[12:13], v[10:11], v[14:15] neg_lo:[0,0,1] neg_hi:[0,0,1]
	v_pk_fma_f32 v[10:11], v[12:13], v[10:11], v[14:15] op_sel_hi:[1,0,1]
	s_nop 0
	v_mov_b32_e32 v17, v11
	v_pk_add_f32 v[4:5], v[4:5], v[16:17]
	s_andn2_b64 exec, exec, s[4:5]
	s_cbranch_execnz .LBB58_233
; %bb.234:
	s_or_b64 exec, exec, s[4:5]
	v_mov_b32_e32 v3, 0
	ds_read_b64 v[8:9], v3 offset:440
	s_waitcnt lgkmcnt(0)
	v_pk_mul_f32 v[10:11], v[4:5], v[8:9] op_sel:[1,1] op_sel_hi:[0,1]
	v_pk_fma_f32 v[12:13], v[4:5], v[8:9], v[10:11] neg_lo:[0,0,1] neg_hi:[0,0,1]
	v_pk_fma_f32 v[4:5], v[4:5], v[8:9], v[10:11] op_sel_hi:[1,0,1]
	s_nop 0
	v_mov_b32_e32 v13, v5
	scratch_store_dwordx2 off, v[12:13], off offset:440
.LBB58_235:
	s_or_b64 exec, exec, s[0:1]
	; wave barrier
	scratch_load_dwordx2 v[4:5], off, off offset:448
	v_cmp_gt_u32_e32 vcc, 56, v0
	s_waitcnt vmcnt(0)
	ds_write_b64 v1, v[4:5]
	s_waitcnt lgkmcnt(0)
	; wave barrier
	s_and_saveexec_b64 s[0:1], vcc
	s_cbranch_execz .LBB58_239
; %bb.236:
	v_mov_b32_e32 v4, 0
	v_add_u32_e32 v3, -1, v0
	v_add_u32_e32 v7, 0x1e0, v2
	v_mov_b32_e32 v8, v2
	s_mov_b64 s[4:5], 0
	v_mov_b32_e32 v5, v4
.LBB58_237:                             ; =>This Inner Loop Header: Depth=1
	scratch_load_dwordx2 v[10:11], v8, off
	ds_read_b64 v[12:13], v7
	v_add_u32_e32 v3, 1, v3
	v_cmp_lt_u32_e32 vcc, 54, v3
	v_add_u32_e32 v7, 8, v7
	v_add_u32_e32 v8, 8, v8
	s_or_b64 s[4:5], vcc, s[4:5]
	s_waitcnt vmcnt(0) lgkmcnt(0)
	v_pk_mul_f32 v[14:15], v[12:13], v[10:11] op_sel:[1,1] op_sel_hi:[0,1]
	v_pk_fma_f32 v[16:17], v[12:13], v[10:11], v[14:15] neg_lo:[0,0,1] neg_hi:[0,0,1]
	v_pk_fma_f32 v[10:11], v[12:13], v[10:11], v[14:15] op_sel_hi:[1,0,1]
	s_nop 0
	v_mov_b32_e32 v17, v11
	v_pk_add_f32 v[4:5], v[4:5], v[16:17]
	s_andn2_b64 exec, exec, s[4:5]
	s_cbranch_execnz .LBB58_237
; %bb.238:
	s_or_b64 exec, exec, s[4:5]
	v_mov_b32_e32 v3, 0
	ds_read_b64 v[8:9], v3 offset:448
	s_waitcnt lgkmcnt(0)
	v_pk_mul_f32 v[10:11], v[4:5], v[8:9] op_sel:[1,1] op_sel_hi:[0,1]
	v_pk_fma_f32 v[12:13], v[4:5], v[8:9], v[10:11] neg_lo:[0,0,1] neg_hi:[0,0,1]
	v_pk_fma_f32 v[4:5], v[4:5], v[8:9], v[10:11] op_sel_hi:[1,0,1]
	s_nop 0
	v_mov_b32_e32 v13, v5
	scratch_store_dwordx2 off, v[12:13], off offset:448
.LBB58_239:
	s_or_b64 exec, exec, s[0:1]
	; wave barrier
	scratch_load_dwordx2 v[4:5], off, off offset:456
	v_cmp_gt_u32_e32 vcc, 57, v0
	s_waitcnt vmcnt(0)
	ds_write_b64 v1, v[4:5]
	s_waitcnt lgkmcnt(0)
	; wave barrier
	s_and_saveexec_b64 s[0:1], vcc
	s_cbranch_execz .LBB58_243
; %bb.240:
	v_mov_b32_e32 v4, 0
	v_add_u32_e32 v3, -1, v0
	v_add_u32_e32 v7, 0x1e0, v2
	v_mov_b32_e32 v8, v2
	s_mov_b64 s[4:5], 0
	v_mov_b32_e32 v5, v4
.LBB58_241:                             ; =>This Inner Loop Header: Depth=1
	scratch_load_dwordx2 v[10:11], v8, off
	ds_read_b64 v[12:13], v7
	v_add_u32_e32 v3, 1, v3
	v_cmp_lt_u32_e32 vcc, 55, v3
	v_add_u32_e32 v7, 8, v7
	v_add_u32_e32 v8, 8, v8
	s_or_b64 s[4:5], vcc, s[4:5]
	s_waitcnt vmcnt(0) lgkmcnt(0)
	v_pk_mul_f32 v[14:15], v[12:13], v[10:11] op_sel:[1,1] op_sel_hi:[0,1]
	v_pk_fma_f32 v[16:17], v[12:13], v[10:11], v[14:15] neg_lo:[0,0,1] neg_hi:[0,0,1]
	v_pk_fma_f32 v[10:11], v[12:13], v[10:11], v[14:15] op_sel_hi:[1,0,1]
	s_nop 0
	v_mov_b32_e32 v17, v11
	v_pk_add_f32 v[4:5], v[4:5], v[16:17]
	s_andn2_b64 exec, exec, s[4:5]
	s_cbranch_execnz .LBB58_241
; %bb.242:
	s_or_b64 exec, exec, s[4:5]
	v_mov_b32_e32 v3, 0
	ds_read_b64 v[8:9], v3 offset:456
	s_waitcnt lgkmcnt(0)
	v_pk_mul_f32 v[10:11], v[4:5], v[8:9] op_sel:[1,1] op_sel_hi:[0,1]
	v_pk_fma_f32 v[12:13], v[4:5], v[8:9], v[10:11] neg_lo:[0,0,1] neg_hi:[0,0,1]
	v_pk_fma_f32 v[4:5], v[4:5], v[8:9], v[10:11] op_sel_hi:[1,0,1]
	s_nop 0
	v_mov_b32_e32 v13, v5
	scratch_store_dwordx2 off, v[12:13], off offset:456
.LBB58_243:
	s_or_b64 exec, exec, s[0:1]
	; wave barrier
	scratch_load_dwordx2 v[4:5], off, off offset:464
	v_cmp_ne_u32_e32 vcc, 58, v0
	s_waitcnt vmcnt(0)
	ds_write_b64 v1, v[4:5]
	s_waitcnt lgkmcnt(0)
	; wave barrier
	s_and_saveexec_b64 s[0:1], vcc
	s_cbranch_execz .LBB58_247
; %bb.244:
	v_add_u32_e32 v1, 0x1e0, v2
	v_mov_b32_e32 v4, v2
	v_mov_b32_e32 v2, 0
	s_mov_b64 s[4:5], 0
	v_mov_b32_e32 v3, v2
.LBB58_245:                             ; =>This Inner Loop Header: Depth=1
	scratch_load_dwordx2 v[8:9], v4, off
	ds_read_b64 v[10:11], v1
	v_add_u32_e32 v6, 1, v6
	v_cmp_lt_u32_e32 vcc, 56, v6
	v_add_u32_e32 v1, 8, v1
	v_add_u32_e32 v4, 8, v4
	s_or_b64 s[4:5], vcc, s[4:5]
	s_waitcnt vmcnt(0) lgkmcnt(0)
	v_pk_mul_f32 v[12:13], v[10:11], v[8:9] op_sel:[1,1] op_sel_hi:[0,1]
	v_pk_fma_f32 v[14:15], v[10:11], v[8:9], v[12:13] neg_lo:[0,0,1] neg_hi:[0,0,1]
	v_pk_fma_f32 v[8:9], v[10:11], v[8:9], v[12:13] op_sel_hi:[1,0,1]
	s_nop 0
	v_mov_b32_e32 v15, v9
	v_pk_add_f32 v[2:3], v[2:3], v[14:15]
	s_andn2_b64 exec, exec, s[4:5]
	s_cbranch_execnz .LBB58_245
; %bb.246:
	s_or_b64 exec, exec, s[4:5]
	v_mov_b32_e32 v1, 0
	ds_read_b64 v[4:5], v1 offset:464
	s_waitcnt lgkmcnt(0)
	v_pk_mul_f32 v[6:7], v[2:3], v[4:5] op_sel:[1,1] op_sel_hi:[0,1]
	v_pk_fma_f32 v[8:9], v[2:3], v[4:5], v[6:7] neg_lo:[0,0,1] neg_hi:[0,0,1]
	v_pk_fma_f32 v[2:3], v[2:3], v[4:5], v[6:7] op_sel_hi:[1,0,1]
	s_nop 0
	v_mov_b32_e32 v9, v3
	scratch_store_dwordx2 off, v[8:9], off offset:464
.LBB58_247:
	s_or_b64 exec, exec, s[0:1]
	s_mov_b64 s[4:5], -1
	; wave barrier
.LBB58_248:
	s_and_b64 vcc, exec, s[4:5]
	s_cbranch_vccz .LBB58_250
; %bb.249:
	s_lshl_b64 s[0:1], s[2:3], 2
	s_add_u32 s0, s6, s0
	s_addc_u32 s1, s7, s1
	v_mov_b32_e32 v1, 0
	global_load_dword v1, v1, s[0:1]
	s_waitcnt vmcnt(0)
	v_cmp_ne_u32_e32 vcc, 0, v1
	s_cbranch_vccz .LBB58_251
.LBB58_250:
	s_endpgm
.LBB58_251:
	v_mov_b32_e32 v1, 0x1e0
	v_lshl_add_u32 v1, v0, 3, v1
	v_cmp_eq_u32_e32 vcc, 58, v0
	s_and_saveexec_b64 s[0:1], vcc
	s_cbranch_execz .LBB58_253
; %bb.252:
	scratch_load_dwordx2 v[2:3], off, off offset:456
	v_mov_b32_e32 v4, 0
	v_mov_b32_e32 v5, v4
	scratch_store_dwordx2 off, v[4:5], off offset:456
	s_waitcnt vmcnt(1)
	ds_write_b64 v1, v[2:3]
.LBB58_253:
	s_or_b64 exec, exec, s[0:1]
	s_waitcnt lgkmcnt(0)
	; wave barrier
	scratch_load_dwordx2 v[4:5], off, off offset:464
	scratch_load_dwordx2 v[6:7], off, off offset:456
	v_mov_b32_e32 v2, 0
	ds_read_b64 v[8:9], v2 offset:944
	v_cmp_lt_u32_e32 vcc, 56, v0
	s_waitcnt vmcnt(1) lgkmcnt(0)
	v_pk_mul_f32 v[10:11], v[8:9], v[4:5] op_sel:[1,1] op_sel_hi:[0,1]
	v_pk_fma_f32 v[12:13], v[8:9], v[4:5], v[10:11] neg_lo:[0,0,1] neg_hi:[0,0,1]
	v_pk_fma_f32 v[4:5], v[8:9], v[4:5], v[10:11] op_sel_hi:[1,0,1]
	s_nop 0
	v_mov_b32_e32 v13, v5
	v_pk_add_f32 v[4:5], v[12:13], 0 op_sel_hi:[1,0]
	s_waitcnt vmcnt(0)
	v_pk_add_f32 v[4:5], v[6:7], v[4:5] neg_lo:[0,1] neg_hi:[0,1]
	scratch_store_dwordx2 off, v[4:5], off offset:456
	s_and_saveexec_b64 s[0:1], vcc
	s_cbranch_execz .LBB58_255
; %bb.254:
	scratch_load_dwordx2 v[4:5], off, off offset:448
	v_mov_b32_e32 v3, v2
	scratch_store_dwordx2 off, v[2:3], off offset:448
	s_waitcnt vmcnt(1)
	ds_write_b64 v1, v[4:5]
.LBB58_255:
	s_or_b64 exec, exec, s[0:1]
	s_waitcnt lgkmcnt(0)
	; wave barrier
	scratch_load_dwordx4 v[4:7], off, off offset:456
	scratch_load_dwordx2 v[12:13], off, off offset:448
	ds_read2_b64 v[8:11], v2 offset0:117 offset1:118
	v_cmp_lt_u32_e32 vcc, 55, v0
	s_waitcnt vmcnt(1) lgkmcnt(0)
	v_pk_mul_f32 v[2:3], v[8:9], v[4:5] op_sel:[1,1] op_sel_hi:[0,1]
	v_mov_b32_e32 v14, v7
	v_pk_fma_f32 v[16:17], v[8:9], v[4:5], v[2:3] neg_lo:[0,0,1] neg_hi:[0,0,1]
	v_pk_fma_f32 v[2:3], v[8:9], v[4:5], v[2:3] op_sel_hi:[1,0,1]
	v_pk_mul_f32 v[4:5], v[10:11], v[14:15] op_sel:[1,0] op_sel_hi:[0,0]
	v_mov_b32_e32 v17, v3
	v_pk_fma_f32 v[2:3], v[10:11], v[6:7], v[4:5] neg_lo:[0,0,1] neg_hi:[0,0,1]
	v_pk_fma_f32 v[4:5], v[10:11], v[6:7], v[4:5] op_sel_hi:[1,0,1]
	v_pk_add_f32 v[6:7], v[16:17], 0 op_sel_hi:[1,0]
	v_mov_b32_e32 v3, v5
	v_pk_add_f32 v[2:3], v[6:7], v[2:3]
	s_waitcnt vmcnt(0)
	v_pk_add_f32 v[2:3], v[12:13], v[2:3] neg_lo:[0,1] neg_hi:[0,1]
	scratch_store_dwordx2 off, v[2:3], off offset:448
	s_and_saveexec_b64 s[0:1], vcc
	s_cbranch_execz .LBB58_257
; %bb.256:
	scratch_load_dwordx2 v[2:3], off, off offset:440
	v_mov_b32_e32 v4, 0
	v_mov_b32_e32 v5, v4
	scratch_store_dwordx2 off, v[4:5], off offset:440
	s_waitcnt vmcnt(1)
	ds_write_b64 v1, v[2:3]
.LBB58_257:
	s_or_b64 exec, exec, s[0:1]
	s_waitcnt lgkmcnt(0)
	; wave barrier
	scratch_load_dwordx4 v[4:7], off, off offset:448
	scratch_load_dwordx2 v[12:13], off, off offset:464
	scratch_load_dwordx2 v[14:15], off, off offset:440
	v_mov_b32_e32 v2, 0
	ds_read_b128 v[8:11], v2 offset:928
	ds_read_b64 v[16:17], v2 offset:944
	v_cmp_lt_u32_e32 vcc, 54, v0
	s_waitcnt vmcnt(2) lgkmcnt(1)
	v_pk_mul_f32 v[18:19], v[8:9], v[4:5] op_sel:[1,1] op_sel_hi:[0,1]
	v_mov_b32_e32 v20, v7
	v_pk_fma_f32 v[24:25], v[8:9], v[4:5], v[18:19] neg_lo:[0,0,1] neg_hi:[0,0,1]
	v_pk_fma_f32 v[4:5], v[8:9], v[4:5], v[18:19] op_sel_hi:[1,0,1]
	v_pk_mul_f32 v[8:9], v[10:11], v[20:21] op_sel:[1,0] op_sel_hi:[0,0]
	s_waitcnt vmcnt(1) lgkmcnt(0)
	v_pk_mul_f32 v[22:23], v[16:17], v[12:13] op_sel:[1,1] op_sel_hi:[0,1]
	v_mov_b32_e32 v25, v5
	v_pk_fma_f32 v[4:5], v[10:11], v[6:7], v[8:9] neg_lo:[0,0,1] neg_hi:[0,0,1]
	v_pk_fma_f32 v[6:7], v[10:11], v[6:7], v[8:9] op_sel_hi:[1,0,1]
	v_pk_fma_f32 v[18:19], v[16:17], v[12:13], v[22:23] neg_lo:[0,0,1] neg_hi:[0,0,1]
	v_pk_fma_f32 v[12:13], v[16:17], v[12:13], v[22:23] op_sel_hi:[1,0,1]
	v_pk_add_f32 v[8:9], v[24:25], 0 op_sel_hi:[1,0]
	v_mov_b32_e32 v5, v7
	v_mov_b32_e32 v19, v13
	v_pk_add_f32 v[4:5], v[8:9], v[4:5]
	s_nop 0
	v_pk_add_f32 v[4:5], v[4:5], v[18:19]
	s_waitcnt vmcnt(0)
	v_pk_add_f32 v[4:5], v[14:15], v[4:5] neg_lo:[0,1] neg_hi:[0,1]
	scratch_store_dwordx2 off, v[4:5], off offset:440
	s_and_saveexec_b64 s[0:1], vcc
	s_cbranch_execz .LBB58_259
; %bb.258:
	scratch_load_dwordx2 v[4:5], off, off offset:432
	v_mov_b32_e32 v3, v2
	scratch_store_dwordx2 off, v[2:3], off offset:432
	s_waitcnt vmcnt(1)
	ds_write_b64 v1, v[4:5]
.LBB58_259:
	s_or_b64 exec, exec, s[0:1]
	s_waitcnt lgkmcnt(0)
	; wave barrier
	scratch_load_dwordx4 v[4:7], off, off offset:440
	scratch_load_dwordx4 v[8:11], off, off offset:456
	scratch_load_dwordx2 v[20:21], off, off offset:432
	ds_read2_b64 v[12:15], v2 offset0:115 offset1:116
	ds_read2_b64 v[16:19], v2 offset0:117 offset1:118
	v_cmp_lt_u32_e32 vcc, 53, v0
	s_waitcnt vmcnt(2) lgkmcnt(1)
	v_pk_mul_f32 v[2:3], v[12:13], v[4:5] op_sel:[1,1] op_sel_hi:[0,1]
	v_mov_b32_e32 v22, v7
	s_waitcnt vmcnt(1) lgkmcnt(0)
	v_pk_mul_f32 v[24:25], v[16:17], v[8:9] op_sel:[1,1] op_sel_hi:[0,1]
	v_mov_b32_e32 v26, v11
	v_pk_fma_f32 v[28:29], v[12:13], v[4:5], v[2:3] neg_lo:[0,0,1] neg_hi:[0,0,1]
	v_pk_fma_f32 v[2:3], v[12:13], v[4:5], v[2:3] op_sel_hi:[1,0,1]
	v_pk_mul_f32 v[4:5], v[14:15], v[22:23] op_sel:[1,0] op_sel_hi:[0,0]
	v_pk_fma_f32 v[12:13], v[16:17], v[8:9], v[24:25] neg_lo:[0,0,1] neg_hi:[0,0,1]
	v_pk_fma_f32 v[8:9], v[16:17], v[8:9], v[24:25] op_sel_hi:[1,0,1]
	v_pk_mul_f32 v[16:17], v[18:19], v[26:27] op_sel:[1,0] op_sel_hi:[0,0]
	v_mov_b32_e32 v29, v3
	v_pk_fma_f32 v[2:3], v[14:15], v[6:7], v[4:5] neg_lo:[0,0,1] neg_hi:[0,0,1]
	v_pk_fma_f32 v[4:5], v[14:15], v[6:7], v[4:5] op_sel_hi:[1,0,1]
	v_mov_b32_e32 v13, v9
	v_pk_fma_f32 v[6:7], v[18:19], v[10:11], v[16:17] neg_lo:[0,0,1] neg_hi:[0,0,1]
	v_pk_fma_f32 v[8:9], v[18:19], v[10:11], v[16:17] op_sel_hi:[1,0,1]
	v_pk_add_f32 v[10:11], v[28:29], 0 op_sel_hi:[1,0]
	v_mov_b32_e32 v3, v5
	v_pk_add_f32 v[2:3], v[10:11], v[2:3]
	v_mov_b32_e32 v7, v9
	v_pk_add_f32 v[2:3], v[2:3], v[12:13]
	s_nop 0
	v_pk_add_f32 v[2:3], v[2:3], v[6:7]
	s_waitcnt vmcnt(0)
	v_pk_add_f32 v[2:3], v[20:21], v[2:3] neg_lo:[0,1] neg_hi:[0,1]
	scratch_store_dwordx2 off, v[2:3], off offset:432
	s_and_saveexec_b64 s[0:1], vcc
	s_cbranch_execz .LBB58_261
; %bb.260:
	scratch_load_dwordx2 v[2:3], off, off offset:424
	v_mov_b32_e32 v4, 0
	v_mov_b32_e32 v5, v4
	scratch_store_dwordx2 off, v[4:5], off offset:424
	s_waitcnt vmcnt(1)
	ds_write_b64 v1, v[2:3]
.LBB58_261:
	s_or_b64 exec, exec, s[0:1]
	s_waitcnt lgkmcnt(0)
	; wave barrier
	scratch_load_dwordx4 v[4:7], off, off offset:432
	scratch_load_dwordx4 v[8:11], off, off offset:448
	scratch_load_dwordx2 v[20:21], off, off offset:464
	scratch_load_dwordx2 v[22:23], off, off offset:424
	v_mov_b32_e32 v2, 0
	ds_read_b128 v[12:15], v2 offset:912
	ds_read_b128 v[16:19], v2 offset:928
	ds_read_b64 v[24:25], v2 offset:944
	v_cmp_lt_u32_e32 vcc, 52, v0
	s_waitcnt vmcnt(3) lgkmcnt(2)
	v_pk_mul_f32 v[26:27], v[12:13], v[4:5] op_sel:[1,1] op_sel_hi:[0,1]
	v_mov_b32_e32 v28, v7
	v_pk_fma_f32 v[36:37], v[12:13], v[4:5], v[26:27] neg_lo:[0,0,1] neg_hi:[0,0,1]
	v_pk_fma_f32 v[4:5], v[12:13], v[4:5], v[26:27] op_sel_hi:[1,0,1]
	v_pk_mul_f32 v[12:13], v[14:15], v[28:29] op_sel:[1,0] op_sel_hi:[0,0]
	s_waitcnt vmcnt(2) lgkmcnt(1)
	v_pk_mul_f32 v[30:31], v[16:17], v[8:9] op_sel:[1,1] op_sel_hi:[0,1]
	v_mov_b32_e32 v32, v11
	v_mov_b32_e32 v37, v5
	v_pk_fma_f32 v[4:5], v[14:15], v[6:7], v[12:13] neg_lo:[0,0,1] neg_hi:[0,0,1]
	v_pk_fma_f32 v[6:7], v[14:15], v[6:7], v[12:13] op_sel_hi:[1,0,1]
	v_pk_fma_f32 v[26:27], v[16:17], v[8:9], v[30:31] neg_lo:[0,0,1] neg_hi:[0,0,1]
	v_pk_fma_f32 v[8:9], v[16:17], v[8:9], v[30:31] op_sel_hi:[1,0,1]
	v_pk_mul_f32 v[16:17], v[18:19], v[32:33] op_sel:[1,0] op_sel_hi:[0,0]
	v_pk_add_f32 v[12:13], v[36:37], 0 op_sel_hi:[1,0]
	v_mov_b32_e32 v5, v7
	s_waitcnt vmcnt(1) lgkmcnt(0)
	v_pk_mul_f32 v[34:35], v[24:25], v[20:21] op_sel:[1,1] op_sel_hi:[0,1]
	v_mov_b32_e32 v27, v9
	v_pk_fma_f32 v[8:9], v[18:19], v[10:11], v[16:17] neg_lo:[0,0,1] neg_hi:[0,0,1]
	v_pk_fma_f32 v[10:11], v[18:19], v[10:11], v[16:17] op_sel_hi:[1,0,1]
	v_pk_add_f32 v[4:5], v[12:13], v[4:5]
	v_pk_fma_f32 v[28:29], v[24:25], v[20:21], v[34:35] neg_lo:[0,0,1] neg_hi:[0,0,1]
	v_pk_fma_f32 v[20:21], v[24:25], v[20:21], v[34:35] op_sel_hi:[1,0,1]
	v_mov_b32_e32 v9, v11
	v_pk_add_f32 v[4:5], v[4:5], v[26:27]
	v_mov_b32_e32 v29, v21
	v_pk_add_f32 v[4:5], v[4:5], v[8:9]
	s_nop 0
	v_pk_add_f32 v[4:5], v[4:5], v[28:29]
	s_waitcnt vmcnt(0)
	v_pk_add_f32 v[4:5], v[22:23], v[4:5] neg_lo:[0,1] neg_hi:[0,1]
	scratch_store_dwordx2 off, v[4:5], off offset:424
	s_and_saveexec_b64 s[0:1], vcc
	s_cbranch_execz .LBB58_263
; %bb.262:
	scratch_load_dwordx2 v[4:5], off, off offset:416
	v_mov_b32_e32 v3, v2
	scratch_store_dwordx2 off, v[2:3], off offset:416
	s_waitcnt vmcnt(1)
	ds_write_b64 v1, v[4:5]
.LBB58_263:
	s_or_b64 exec, exec, s[0:1]
	s_waitcnt lgkmcnt(0)
	; wave barrier
	scratch_load_dwordx4 v[4:7], off, off offset:424
	scratch_load_dwordx4 v[8:11], off, off offset:440
	;; [unrolled: 1-line block ×3, first 2 shown]
	scratch_load_dwordx2 v[28:29], off, off offset:416
	ds_read2_b64 v[16:19], v2 offset0:113 offset1:114
	ds_read2_b64 v[20:23], v2 offset0:115 offset1:116
	;; [unrolled: 1-line block ×3, first 2 shown]
	v_cmp_lt_u32_e32 vcc, 51, v0
	s_waitcnt vmcnt(3) lgkmcnt(2)
	v_pk_mul_f32 v[2:3], v[16:17], v[4:5] op_sel:[1,1] op_sel_hi:[0,1]
	v_mov_b32_e32 v30, v7
	s_waitcnt vmcnt(2) lgkmcnt(1)
	v_pk_mul_f32 v[32:33], v[20:21], v[8:9] op_sel:[1,1] op_sel_hi:[0,1]
	v_mov_b32_e32 v34, v11
	;; [unrolled: 3-line block ×3, first 2 shown]
	v_pk_fma_f32 v[40:41], v[16:17], v[4:5], v[2:3] neg_lo:[0,0,1] neg_hi:[0,0,1]
	v_pk_fma_f32 v[2:3], v[16:17], v[4:5], v[2:3] op_sel_hi:[1,0,1]
	v_pk_mul_f32 v[4:5], v[18:19], v[30:31] op_sel:[1,0] op_sel_hi:[0,0]
	v_pk_fma_f32 v[16:17], v[20:21], v[8:9], v[32:33] neg_lo:[0,0,1] neg_hi:[0,0,1]
	v_pk_fma_f32 v[8:9], v[20:21], v[8:9], v[32:33] op_sel_hi:[1,0,1]
	v_pk_mul_f32 v[20:21], v[22:23], v[34:35] op_sel:[1,0] op_sel_hi:[0,0]
	;; [unrolled: 3-line block ×3, first 2 shown]
	v_mov_b32_e32 v41, v3
	v_pk_fma_f32 v[2:3], v[18:19], v[6:7], v[4:5] neg_lo:[0,0,1] neg_hi:[0,0,1]
	v_pk_fma_f32 v[4:5], v[18:19], v[6:7], v[4:5] op_sel_hi:[1,0,1]
	v_mov_b32_e32 v17, v9
	v_pk_fma_f32 v[6:7], v[22:23], v[10:11], v[20:21] neg_lo:[0,0,1] neg_hi:[0,0,1]
	v_pk_fma_f32 v[8:9], v[22:23], v[10:11], v[20:21] op_sel_hi:[1,0,1]
	;; [unrolled: 3-line block ×3, first 2 shown]
	v_pk_add_f32 v[14:15], v[40:41], 0 op_sel_hi:[1,0]
	v_mov_b32_e32 v3, v5
	v_pk_add_f32 v[2:3], v[14:15], v[2:3]
	v_mov_b32_e32 v7, v9
	v_pk_add_f32 v[2:3], v[2:3], v[16:17]
	v_mov_b32_e32 v11, v13
	v_pk_add_f32 v[2:3], v[2:3], v[6:7]
	s_nop 0
	v_pk_add_f32 v[2:3], v[2:3], v[30:31]
	s_nop 0
	v_pk_add_f32 v[2:3], v[2:3], v[10:11]
	s_waitcnt vmcnt(0)
	v_pk_add_f32 v[2:3], v[28:29], v[2:3] neg_lo:[0,1] neg_hi:[0,1]
	scratch_store_dwordx2 off, v[2:3], off offset:416
	s_and_saveexec_b64 s[0:1], vcc
	s_cbranch_execz .LBB58_265
; %bb.264:
	scratch_load_dwordx2 v[2:3], off, off offset:408
	v_mov_b32_e32 v4, 0
	v_mov_b32_e32 v5, v4
	scratch_store_dwordx2 off, v[4:5], off offset:408
	s_waitcnt vmcnt(1)
	ds_write_b64 v1, v[2:3]
.LBB58_265:
	s_or_b64 exec, exec, s[0:1]
	s_waitcnt lgkmcnt(0)
	; wave barrier
	scratch_load_dwordx4 v[4:7], off, off offset:416
	scratch_load_dwordx4 v[8:11], off, off offset:432
	;; [unrolled: 1-line block ×3, first 2 shown]
	scratch_load_dwordx2 v[28:29], off, off offset:464
	scratch_load_dwordx2 v[30:31], off, off offset:408
	v_mov_b32_e32 v2, 0
	ds_read_b128 v[16:19], v2 offset:896
	ds_read_b128 v[20:23], v2 offset:912
	;; [unrolled: 1-line block ×3, first 2 shown]
	ds_read_b64 v[32:33], v2 offset:944
	v_cmp_lt_u32_e32 vcc, 50, v0
	s_waitcnt vmcnt(4) lgkmcnt(3)
	v_pk_mul_f32 v[34:35], v[16:17], v[4:5] op_sel:[1,1] op_sel_hi:[0,1]
	v_mov_b32_e32 v36, v7
	v_pk_fma_f32 v[48:49], v[16:17], v[4:5], v[34:35] neg_lo:[0,0,1] neg_hi:[0,0,1]
	v_pk_fma_f32 v[4:5], v[16:17], v[4:5], v[34:35] op_sel_hi:[1,0,1]
	v_pk_mul_f32 v[16:17], v[18:19], v[36:37] op_sel:[1,0] op_sel_hi:[0,0]
	s_waitcnt vmcnt(3) lgkmcnt(2)
	v_pk_mul_f32 v[38:39], v[20:21], v[8:9] op_sel:[1,1] op_sel_hi:[0,1]
	v_mov_b32_e32 v40, v11
	v_mov_b32_e32 v49, v5
	v_pk_fma_f32 v[4:5], v[18:19], v[6:7], v[16:17] neg_lo:[0,0,1] neg_hi:[0,0,1]
	v_pk_fma_f32 v[6:7], v[18:19], v[6:7], v[16:17] op_sel_hi:[1,0,1]
	v_pk_fma_f32 v[34:35], v[20:21], v[8:9], v[38:39] neg_lo:[0,0,1] neg_hi:[0,0,1]
	v_pk_fma_f32 v[8:9], v[20:21], v[8:9], v[38:39] op_sel_hi:[1,0,1]
	v_pk_mul_f32 v[20:21], v[22:23], v[40:41] op_sel:[1,0] op_sel_hi:[0,0]
	v_pk_add_f32 v[16:17], v[48:49], 0 op_sel_hi:[1,0]
	v_mov_b32_e32 v5, v7
	s_waitcnt vmcnt(2) lgkmcnt(1)
	v_pk_mul_f32 v[42:43], v[24:25], v[12:13] op_sel:[1,1] op_sel_hi:[0,1]
	v_mov_b32_e32 v44, v15
	v_mov_b32_e32 v35, v9
	v_pk_fma_f32 v[8:9], v[22:23], v[10:11], v[20:21] neg_lo:[0,0,1] neg_hi:[0,0,1]
	v_pk_fma_f32 v[10:11], v[22:23], v[10:11], v[20:21] op_sel_hi:[1,0,1]
	v_pk_add_f32 v[4:5], v[16:17], v[4:5]
	v_pk_fma_f32 v[36:37], v[24:25], v[12:13], v[42:43] neg_lo:[0,0,1] neg_hi:[0,0,1]
	v_pk_fma_f32 v[12:13], v[24:25], v[12:13], v[42:43] op_sel_hi:[1,0,1]
	v_pk_mul_f32 v[24:25], v[26:27], v[44:45] op_sel:[1,0] op_sel_hi:[0,0]
	v_mov_b32_e32 v9, v11
	v_pk_add_f32 v[4:5], v[4:5], v[34:35]
	s_waitcnt vmcnt(1) lgkmcnt(0)
	v_pk_mul_f32 v[46:47], v[32:33], v[28:29] op_sel:[1,1] op_sel_hi:[0,1]
	v_mov_b32_e32 v37, v13
	v_pk_fma_f32 v[12:13], v[26:27], v[14:15], v[24:25] neg_lo:[0,0,1] neg_hi:[0,0,1]
	v_pk_fma_f32 v[14:15], v[26:27], v[14:15], v[24:25] op_sel_hi:[1,0,1]
	v_pk_add_f32 v[4:5], v[4:5], v[8:9]
	v_pk_fma_f32 v[38:39], v[32:33], v[28:29], v[46:47] neg_lo:[0,0,1] neg_hi:[0,0,1]
	v_pk_fma_f32 v[28:29], v[32:33], v[28:29], v[46:47] op_sel_hi:[1,0,1]
	v_mov_b32_e32 v13, v15
	v_pk_add_f32 v[4:5], v[4:5], v[36:37]
	v_mov_b32_e32 v39, v29
	v_pk_add_f32 v[4:5], v[4:5], v[12:13]
	s_nop 0
	v_pk_add_f32 v[4:5], v[4:5], v[38:39]
	s_waitcnt vmcnt(0)
	v_pk_add_f32 v[4:5], v[30:31], v[4:5] neg_lo:[0,1] neg_hi:[0,1]
	scratch_store_dwordx2 off, v[4:5], off offset:408
	s_and_saveexec_b64 s[0:1], vcc
	s_cbranch_execz .LBB58_267
; %bb.266:
	scratch_load_dwordx2 v[4:5], off, off offset:400
	v_mov_b32_e32 v3, v2
	scratch_store_dwordx2 off, v[2:3], off offset:400
	s_waitcnt vmcnt(1)
	ds_write_b64 v1, v[4:5]
.LBB58_267:
	s_or_b64 exec, exec, s[0:1]
	s_waitcnt lgkmcnt(0)
	; wave barrier
	scratch_load_dwordx4 v[4:7], off, off offset:408
	scratch_load_dwordx4 v[8:11], off, off offset:424
	;; [unrolled: 1-line block ×4, first 2 shown]
	ds_read2_b64 v[20:23], v2 offset0:111 offset1:112
	ds_read2_b64 v[24:27], v2 offset0:113 offset1:114
	;; [unrolled: 1-line block ×4, first 2 shown]
	v_cmp_lt_u32_e32 vcc, 49, v0
	s_waitcnt vmcnt(3) lgkmcnt(3)
	v_pk_mul_f32 v[2:3], v[20:21], v[4:5] op_sel:[1,1] op_sel_hi:[0,1]
	v_pk_fma_f32 v[36:37], v[20:21], v[4:5], v[2:3] neg_lo:[0,0,1] neg_hi:[0,0,1]
	v_pk_fma_f32 v[2:3], v[20:21], v[4:5], v[2:3] op_sel_hi:[1,0,1]
	v_mov_b32_e32 v4, v7
	v_pk_mul_f32 v[4:5], v[22:23], v[4:5] op_sel:[1,0] op_sel_hi:[0,0]
	v_pk_fma_f32 v[20:21], v[22:23], v[6:7], v[4:5] neg_lo:[0,0,1] neg_hi:[0,0,1]
	v_pk_fma_f32 v[4:5], v[22:23], v[6:7], v[4:5] op_sel_hi:[1,0,1]
	v_mov_b32_e32 v37, v3
	v_mov_b32_e32 v21, v5
	s_waitcnt vmcnt(2) lgkmcnt(2)
	v_pk_mul_f32 v[4:5], v[24:25], v[8:9] op_sel:[1,1] op_sel_hi:[0,1]
	v_pk_fma_f32 v[6:7], v[24:25], v[8:9], v[4:5] neg_lo:[0,0,1] neg_hi:[0,0,1]
	v_pk_fma_f32 v[4:5], v[24:25], v[8:9], v[4:5] op_sel_hi:[1,0,1]
	v_pk_add_f32 v[2:3], v[36:37], 0 op_sel_hi:[1,0]
	v_mov_b32_e32 v4, v11
	v_pk_add_f32 v[2:3], v[2:3], v[20:21]
	v_mov_b32_e32 v7, v5
	v_pk_mul_f32 v[4:5], v[26:27], v[4:5] op_sel:[1,0] op_sel_hi:[0,0]
	v_pk_add_f32 v[2:3], v[2:3], v[6:7]
	v_pk_fma_f32 v[6:7], v[26:27], v[10:11], v[4:5] neg_lo:[0,0,1] neg_hi:[0,0,1]
	v_pk_fma_f32 v[4:5], v[26:27], v[10:11], v[4:5] op_sel_hi:[1,0,1]
	s_nop 0
	v_mov_b32_e32 v7, v5
	s_waitcnt vmcnt(1) lgkmcnt(1)
	v_pk_mul_f32 v[4:5], v[28:29], v[12:13] op_sel:[1,1] op_sel_hi:[0,1]
	v_pk_add_f32 v[2:3], v[2:3], v[6:7]
	v_pk_fma_f32 v[6:7], v[28:29], v[12:13], v[4:5] neg_lo:[0,0,1] neg_hi:[0,0,1]
	v_pk_fma_f32 v[4:5], v[28:29], v[12:13], v[4:5] op_sel_hi:[1,0,1]
	s_nop 0
	v_mov_b32_e32 v4, v15
	v_mov_b32_e32 v7, v5
	v_pk_mul_f32 v[4:5], v[30:31], v[4:5] op_sel:[1,0] op_sel_hi:[0,0]
	v_pk_add_f32 v[2:3], v[2:3], v[6:7]
	v_pk_fma_f32 v[6:7], v[30:31], v[14:15], v[4:5] neg_lo:[0,0,1] neg_hi:[0,0,1]
	v_pk_fma_f32 v[4:5], v[30:31], v[14:15], v[4:5] op_sel_hi:[1,0,1]
	s_nop 0
	v_mov_b32_e32 v7, v5
	s_waitcnt vmcnt(0) lgkmcnt(0)
	v_pk_mul_f32 v[4:5], v[32:33], v[16:17] op_sel:[1,1] op_sel_hi:[0,1]
	v_pk_add_f32 v[2:3], v[2:3], v[6:7]
	v_pk_fma_f32 v[6:7], v[32:33], v[16:17], v[4:5] neg_lo:[0,0,1] neg_hi:[0,0,1]
	v_pk_fma_f32 v[4:5], v[32:33], v[16:17], v[4:5] op_sel_hi:[1,0,1]
	s_nop 0
	v_mov_b32_e32 v4, v19
	v_mov_b32_e32 v7, v5
	v_pk_mul_f32 v[4:5], v[34:35], v[4:5] op_sel:[1,0] op_sel_hi:[0,0]
	v_pk_add_f32 v[2:3], v[2:3], v[6:7]
	v_pk_fma_f32 v[6:7], v[34:35], v[18:19], v[4:5] neg_lo:[0,0,1] neg_hi:[0,0,1]
	v_pk_fma_f32 v[4:5], v[34:35], v[18:19], v[4:5] op_sel_hi:[1,0,1]
	s_nop 0
	v_mov_b32_e32 v7, v5
	scratch_load_dwordx2 v[4:5], off, off offset:400
	v_pk_add_f32 v[2:3], v[2:3], v[6:7]
	s_waitcnt vmcnt(0)
	v_pk_add_f32 v[2:3], v[4:5], v[2:3] neg_lo:[0,1] neg_hi:[0,1]
	scratch_store_dwordx2 off, v[2:3], off offset:400
	s_and_saveexec_b64 s[0:1], vcc
	s_cbranch_execz .LBB58_269
; %bb.268:
	scratch_load_dwordx2 v[2:3], off, off offset:392
	v_mov_b32_e32 v4, 0
	v_mov_b32_e32 v5, v4
	scratch_store_dwordx2 off, v[4:5], off offset:392
	s_waitcnt vmcnt(1)
	ds_write_b64 v1, v[2:3]
.LBB58_269:
	s_or_b64 exec, exec, s[0:1]
	v_mov_b32_e32 v2, 0
	s_waitcnt lgkmcnt(0)
	; wave barrier
	ds_read_b128 v[4:7], v2 offset:880
	ds_read_b128 v[8:11], v2 offset:896
	;; [unrolled: 1-line block ×4, first 2 shown]
	scratch_load_dwordx4 v[20:23], off, off offset:400
	scratch_load_dwordx4 v[24:27], off, off offset:416
	;; [unrolled: 1-line block ×4, first 2 shown]
	scratch_load_dwordx2 v[38:39], off, off offset:464
	v_cmp_lt_u32_e32 vcc, 48, v0
	s_waitcnt vmcnt(4) lgkmcnt(3)
	v_mul_f32_e32 v37, v4, v21
	v_mul_f32_e32 v3, v5, v21
	v_fmac_f32_e32 v37, v5, v20
	v_fma_f32 v36, v4, v20, -v3
	v_pk_add_f32 v[20:21], v[36:37], 0 op_sel_hi:[1,0]
	v_mov_b32_e32 v36, v23
	v_pk_mul_f32 v[36:37], v[6:7], v[36:37] op_sel:[1,0] op_sel_hi:[0,0]
	v_pk_fma_f32 v[40:41], v[6:7], v[22:23], v[36:37] neg_lo:[0,0,1] neg_hi:[0,0,1]
	v_pk_fma_f32 v[6:7], v[6:7], v[22:23], v[36:37] op_sel_hi:[1,0,1]
	ds_read_b64 v[4:5], v2 offset:944
	v_mov_b32_e32 v41, v7
	v_pk_add_f32 v[6:7], v[20:21], v[40:41]
	s_waitcnt vmcnt(3) lgkmcnt(3)
	v_pk_mul_f32 v[20:21], v[8:9], v[24:25] op_sel:[1,1] op_sel_hi:[0,1]
	v_pk_fma_f32 v[22:23], v[8:9], v[24:25], v[20:21] neg_lo:[0,0,1] neg_hi:[0,0,1]
	v_pk_fma_f32 v[8:9], v[8:9], v[24:25], v[20:21] op_sel_hi:[1,0,1]
	s_nop 0
	v_mov_b32_e32 v8, v27
	v_mov_b32_e32 v23, v9
	v_pk_mul_f32 v[8:9], v[10:11], v[8:9] op_sel:[1,0] op_sel_hi:[0,0]
	v_pk_fma_f32 v[20:21], v[10:11], v[26:27], v[8:9] neg_lo:[0,0,1] neg_hi:[0,0,1]
	v_pk_fma_f32 v[8:9], v[10:11], v[26:27], v[8:9] op_sel_hi:[1,0,1]
	v_pk_add_f32 v[6:7], v[6:7], v[22:23]
	v_mov_b32_e32 v21, v9
	s_waitcnt vmcnt(2) lgkmcnt(2)
	v_pk_mul_f32 v[8:9], v[12:13], v[28:29] op_sel:[1,1] op_sel_hi:[0,1]
	v_pk_fma_f32 v[10:11], v[12:13], v[28:29], v[8:9] neg_lo:[0,0,1] neg_hi:[0,0,1]
	v_pk_fma_f32 v[8:9], v[12:13], v[28:29], v[8:9] op_sel_hi:[1,0,1]
	v_pk_add_f32 v[6:7], v[6:7], v[20:21]
	v_mov_b32_e32 v8, v31
	v_mov_b32_e32 v11, v9
	v_pk_mul_f32 v[8:9], v[14:15], v[8:9] op_sel:[1,0] op_sel_hi:[0,0]
	v_pk_add_f32 v[6:7], v[6:7], v[10:11]
	v_pk_fma_f32 v[10:11], v[14:15], v[30:31], v[8:9] neg_lo:[0,0,1] neg_hi:[0,0,1]
	v_pk_fma_f32 v[8:9], v[14:15], v[30:31], v[8:9] op_sel_hi:[1,0,1]
	s_nop 0
	v_mov_b32_e32 v11, v9
	s_waitcnt vmcnt(1) lgkmcnt(1)
	v_pk_mul_f32 v[8:9], v[16:17], v[32:33] op_sel:[1,1] op_sel_hi:[0,1]
	v_pk_add_f32 v[6:7], v[6:7], v[10:11]
	v_pk_fma_f32 v[10:11], v[16:17], v[32:33], v[8:9] neg_lo:[0,0,1] neg_hi:[0,0,1]
	v_pk_fma_f32 v[8:9], v[16:17], v[32:33], v[8:9] op_sel_hi:[1,0,1]
	s_nop 0
	v_mov_b32_e32 v8, v35
	v_mov_b32_e32 v11, v9
	v_pk_mul_f32 v[8:9], v[18:19], v[8:9] op_sel:[1,0] op_sel_hi:[0,0]
	v_pk_add_f32 v[6:7], v[6:7], v[10:11]
	v_pk_fma_f32 v[10:11], v[18:19], v[34:35], v[8:9] neg_lo:[0,0,1] neg_hi:[0,0,1]
	v_pk_fma_f32 v[8:9], v[18:19], v[34:35], v[8:9] op_sel_hi:[1,0,1]
	s_nop 0
	v_mov_b32_e32 v11, v9
	s_waitcnt vmcnt(0) lgkmcnt(0)
	v_pk_mul_f32 v[8:9], v[4:5], v[38:39] op_sel:[1,1] op_sel_hi:[0,1]
	v_pk_add_f32 v[6:7], v[6:7], v[10:11]
	v_pk_fma_f32 v[10:11], v[4:5], v[38:39], v[8:9] neg_lo:[0,0,1] neg_hi:[0,0,1]
	v_pk_fma_f32 v[4:5], v[4:5], v[38:39], v[8:9] op_sel_hi:[1,0,1]
	s_nop 0
	v_mov_b32_e32 v11, v5
	v_pk_add_f32 v[4:5], v[6:7], v[10:11]
	scratch_load_dwordx2 v[6:7], off, off offset:392
	s_waitcnt vmcnt(0)
	v_pk_add_f32 v[4:5], v[6:7], v[4:5] neg_lo:[0,1] neg_hi:[0,1]
	scratch_store_dwordx2 off, v[4:5], off offset:392
	s_and_saveexec_b64 s[0:1], vcc
	s_cbranch_execz .LBB58_271
; %bb.270:
	scratch_load_dwordx2 v[4:5], off, off offset:384
	v_mov_b32_e32 v3, v2
	scratch_store_dwordx2 off, v[2:3], off offset:384
	s_waitcnt vmcnt(1)
	ds_write_b64 v1, v[4:5]
.LBB58_271:
	s_or_b64 exec, exec, s[0:1]
	s_waitcnt lgkmcnt(0)
	; wave barrier
	scratch_load_dwordx4 v[8:11], off, off offset:392
	ds_read2_b64 v[4:7], v2 offset0:109 offset1:110
	scratch_load_dwordx4 v[12:15], off, off offset:408
	scratch_load_dwordx4 v[16:19], off, off offset:424
	;; [unrolled: 1-line block ×4, first 2 shown]
	v_cmp_lt_u32_e32 vcc, 47, v0
	s_waitcnt vmcnt(4) lgkmcnt(0)
	v_mul_f32_e32 v3, v5, v9
	v_mul_f32_e32 v37, v4, v9
	;; [unrolled: 1-line block ×3, first 2 shown]
	v_fma_f32 v36, v4, v8, -v3
	v_mul_f32_e32 v3, v7, v11
	v_fmac_f32_e32 v37, v5, v8
	v_fmac_f32_e32 v39, v7, v10
	v_fma_f32 v38, v6, v10, -v3
	ds_read2_b64 v[4:7], v2 offset0:111 offset1:112
	ds_read2_b64 v[8:11], v2 offset0:113 offset1:114
	;; [unrolled: 1-line block ×4, first 2 shown]
	v_pk_add_f32 v[2:3], v[36:37], 0 op_sel_hi:[1,0]
	s_waitcnt vmcnt(3) lgkmcnt(3)
	v_pk_mul_f32 v[36:37], v[4:5], v[12:13] op_sel:[1,1] op_sel_hi:[0,1]
	v_pk_add_f32 v[2:3], v[2:3], v[38:39]
	v_pk_fma_f32 v[38:39], v[4:5], v[12:13], v[36:37] neg_lo:[0,0,1] neg_hi:[0,0,1]
	v_pk_fma_f32 v[4:5], v[4:5], v[12:13], v[36:37] op_sel_hi:[1,0,1]
	s_nop 0
	v_mov_b32_e32 v4, v15
	v_mov_b32_e32 v39, v5
	v_pk_mul_f32 v[4:5], v[6:7], v[4:5] op_sel:[1,0] op_sel_hi:[0,0]
	v_pk_fma_f32 v[12:13], v[6:7], v[14:15], v[4:5] neg_lo:[0,0,1] neg_hi:[0,0,1]
	v_pk_fma_f32 v[4:5], v[6:7], v[14:15], v[4:5] op_sel_hi:[1,0,1]
	v_pk_add_f32 v[2:3], v[2:3], v[38:39]
	v_mov_b32_e32 v13, v5
	s_waitcnt vmcnt(2) lgkmcnt(2)
	v_pk_mul_f32 v[4:5], v[8:9], v[16:17] op_sel:[1,1] op_sel_hi:[0,1]
	v_pk_fma_f32 v[6:7], v[8:9], v[16:17], v[4:5] neg_lo:[0,0,1] neg_hi:[0,0,1]
	v_pk_fma_f32 v[4:5], v[8:9], v[16:17], v[4:5] op_sel_hi:[1,0,1]
	v_pk_add_f32 v[2:3], v[2:3], v[12:13]
	v_mov_b32_e32 v4, v19
	v_mov_b32_e32 v7, v5
	v_pk_mul_f32 v[4:5], v[10:11], v[4:5] op_sel:[1,0] op_sel_hi:[0,0]
	v_pk_add_f32 v[2:3], v[2:3], v[6:7]
	v_pk_fma_f32 v[6:7], v[10:11], v[18:19], v[4:5] neg_lo:[0,0,1] neg_hi:[0,0,1]
	v_pk_fma_f32 v[4:5], v[10:11], v[18:19], v[4:5] op_sel_hi:[1,0,1]
	s_nop 0
	v_mov_b32_e32 v7, v5
	s_waitcnt vmcnt(1) lgkmcnt(1)
	v_pk_mul_f32 v[4:5], v[28:29], v[20:21] op_sel:[1,1] op_sel_hi:[0,1]
	v_pk_add_f32 v[2:3], v[2:3], v[6:7]
	v_pk_fma_f32 v[6:7], v[28:29], v[20:21], v[4:5] neg_lo:[0,0,1] neg_hi:[0,0,1]
	v_pk_fma_f32 v[4:5], v[28:29], v[20:21], v[4:5] op_sel_hi:[1,0,1]
	s_nop 0
	v_mov_b32_e32 v4, v23
	v_mov_b32_e32 v7, v5
	v_pk_mul_f32 v[4:5], v[30:31], v[4:5] op_sel:[1,0] op_sel_hi:[0,0]
	v_pk_add_f32 v[2:3], v[2:3], v[6:7]
	v_pk_fma_f32 v[6:7], v[30:31], v[22:23], v[4:5] neg_lo:[0,0,1] neg_hi:[0,0,1]
	v_pk_fma_f32 v[4:5], v[30:31], v[22:23], v[4:5] op_sel_hi:[1,0,1]
	s_nop 0
	v_mov_b32_e32 v7, v5
	s_waitcnt vmcnt(0) lgkmcnt(0)
	v_pk_mul_f32 v[4:5], v[32:33], v[24:25] op_sel:[1,1] op_sel_hi:[0,1]
	v_pk_add_f32 v[2:3], v[2:3], v[6:7]
	v_pk_fma_f32 v[6:7], v[32:33], v[24:25], v[4:5] neg_lo:[0,0,1] neg_hi:[0,0,1]
	v_pk_fma_f32 v[4:5], v[32:33], v[24:25], v[4:5] op_sel_hi:[1,0,1]
	s_nop 0
	v_mov_b32_e32 v4, v27
	v_mov_b32_e32 v7, v5
	v_pk_mul_f32 v[4:5], v[34:35], v[4:5] op_sel:[1,0] op_sel_hi:[0,0]
	v_pk_add_f32 v[2:3], v[2:3], v[6:7]
	v_pk_fma_f32 v[6:7], v[34:35], v[26:27], v[4:5] neg_lo:[0,0,1] neg_hi:[0,0,1]
	v_pk_fma_f32 v[4:5], v[34:35], v[26:27], v[4:5] op_sel_hi:[1,0,1]
	s_nop 0
	v_mov_b32_e32 v7, v5
	scratch_load_dwordx2 v[4:5], off, off offset:384
	v_pk_add_f32 v[2:3], v[2:3], v[6:7]
	s_waitcnt vmcnt(0)
	v_pk_add_f32 v[2:3], v[4:5], v[2:3] neg_lo:[0,1] neg_hi:[0,1]
	scratch_store_dwordx2 off, v[2:3], off offset:384
	s_and_saveexec_b64 s[0:1], vcc
	s_cbranch_execz .LBB58_273
; %bb.272:
	scratch_load_dwordx2 v[2:3], off, off offset:376
	v_mov_b32_e32 v4, 0
	v_mov_b32_e32 v5, v4
	scratch_store_dwordx2 off, v[4:5], off offset:376
	s_waitcnt vmcnt(1)
	ds_write_b64 v1, v[2:3]
.LBB58_273:
	s_or_b64 exec, exec, s[0:1]
	v_mov_b32_e32 v2, 0
	s_waitcnt lgkmcnt(0)
	; wave barrier
	ds_read_b128 v[4:7], v2 offset:864
	ds_read_b128 v[8:11], v2 offset:880
	ds_read_b128 v[12:15], v2 offset:896
	ds_read_b128 v[16:19], v2 offset:912
	scratch_load_dwordx4 v[20:23], off, off offset:384
	scratch_load_dwordx4 v[24:27], off, off offset:400
	;; [unrolled: 1-line block ×5, first 2 shown]
	scratch_load_dwordx2 v[46:47], off, off offset:464
	v_cmp_lt_u32_e32 vcc, 46, v0
	s_waitcnt vmcnt(5) lgkmcnt(3)
	v_mul_f32_e32 v3, v4, v21
	v_fmac_f32_e32 v3, v5, v20
	v_add_f32_e32 v41, 0, v3
	v_mul_f32_e32 v3, v5, v21
	v_fma_f32 v3, v4, v20, -v3
	v_mul_f32_e32 v43, v6, v23
	v_add_f32_e32 v40, 0, v3
	v_mul_f32_e32 v3, v7, v23
	v_fmac_f32_e32 v43, v7, v22
	v_fma_f32 v42, v6, v22, -v3
	s_waitcnt vmcnt(4)
	v_mov_b32_e32 v22, v27
	s_waitcnt lgkmcnt(2)
	v_mul_f32_e32 v45, v8, v25
	v_mul_f32_e32 v3, v9, v25
	v_pk_mul_f32 v[22:23], v[10:11], v[22:23] op_sel:[1,0] op_sel_hi:[0,0]
	v_fmac_f32_e32 v45, v9, v24
	v_fma_f32 v44, v8, v24, -v3
	v_pk_add_f32 v[20:21], v[40:41], v[42:43]
	v_pk_fma_f32 v[24:25], v[10:11], v[26:27], v[22:23] neg_lo:[0,0,1] neg_hi:[0,0,1]
	v_pk_fma_f32 v[10:11], v[10:11], v[26:27], v[22:23] op_sel_hi:[1,0,1]
	v_pk_add_f32 v[20:21], v[20:21], v[44:45]
	v_mov_b32_e32 v25, v11
	v_pk_add_f32 v[10:11], v[20:21], v[24:25]
	s_waitcnt vmcnt(3) lgkmcnt(1)
	v_pk_mul_f32 v[20:21], v[12:13], v[28:29] op_sel:[1,1] op_sel_hi:[0,1]
	v_pk_fma_f32 v[22:23], v[12:13], v[28:29], v[20:21] neg_lo:[0,0,1] neg_hi:[0,0,1]
	v_pk_fma_f32 v[12:13], v[12:13], v[28:29], v[20:21] op_sel_hi:[1,0,1]
	ds_read_b128 v[4:7], v2 offset:928
	ds_read_b64 v[8:9], v2 offset:944
	v_mov_b32_e32 v12, v31
	v_mov_b32_e32 v23, v13
	v_pk_mul_f32 v[12:13], v[14:15], v[12:13] op_sel:[1,0] op_sel_hi:[0,0]
	v_pk_fma_f32 v[20:21], v[14:15], v[30:31], v[12:13] neg_lo:[0,0,1] neg_hi:[0,0,1]
	v_pk_fma_f32 v[12:13], v[14:15], v[30:31], v[12:13] op_sel_hi:[1,0,1]
	v_pk_add_f32 v[10:11], v[10:11], v[22:23]
	v_mov_b32_e32 v21, v13
	s_waitcnt vmcnt(2) lgkmcnt(2)
	v_pk_mul_f32 v[12:13], v[16:17], v[32:33] op_sel:[1,1] op_sel_hi:[0,1]
	v_pk_fma_f32 v[14:15], v[16:17], v[32:33], v[12:13] neg_lo:[0,0,1] neg_hi:[0,0,1]
	v_pk_fma_f32 v[12:13], v[16:17], v[32:33], v[12:13] op_sel_hi:[1,0,1]
	v_pk_add_f32 v[10:11], v[10:11], v[20:21]
	v_mov_b32_e32 v12, v35
	v_mov_b32_e32 v15, v13
	v_pk_mul_f32 v[12:13], v[18:19], v[12:13] op_sel:[1,0] op_sel_hi:[0,0]
	v_pk_add_f32 v[10:11], v[10:11], v[14:15]
	v_pk_fma_f32 v[14:15], v[18:19], v[34:35], v[12:13] neg_lo:[0,0,1] neg_hi:[0,0,1]
	v_pk_fma_f32 v[12:13], v[18:19], v[34:35], v[12:13] op_sel_hi:[1,0,1]
	s_nop 0
	v_mov_b32_e32 v15, v13
	s_waitcnt vmcnt(1) lgkmcnt(1)
	v_pk_mul_f32 v[12:13], v[4:5], v[36:37] op_sel:[1,1] op_sel_hi:[0,1]
	v_pk_add_f32 v[10:11], v[10:11], v[14:15]
	v_pk_fma_f32 v[14:15], v[4:5], v[36:37], v[12:13] neg_lo:[0,0,1] neg_hi:[0,0,1]
	v_pk_fma_f32 v[4:5], v[4:5], v[36:37], v[12:13] op_sel_hi:[1,0,1]
	s_nop 0
	v_mov_b32_e32 v15, v5
	v_pk_add_f32 v[4:5], v[10:11], v[14:15]
	v_mov_b32_e32 v10, v39
	v_pk_mul_f32 v[10:11], v[6:7], v[10:11] op_sel:[1,0] op_sel_hi:[0,0]
	v_pk_fma_f32 v[12:13], v[6:7], v[38:39], v[10:11] neg_lo:[0,0,1] neg_hi:[0,0,1]
	v_pk_fma_f32 v[6:7], v[6:7], v[38:39], v[10:11] op_sel_hi:[1,0,1]
	s_nop 0
	v_mov_b32_e32 v13, v7
	s_waitcnt vmcnt(0) lgkmcnt(0)
	v_pk_mul_f32 v[6:7], v[8:9], v[46:47] op_sel:[1,1] op_sel_hi:[0,1]
	v_pk_fma_f32 v[10:11], v[8:9], v[46:47], v[6:7] neg_lo:[0,0,1] neg_hi:[0,0,1]
	v_pk_fma_f32 v[6:7], v[8:9], v[46:47], v[6:7] op_sel_hi:[1,0,1]
	v_pk_add_f32 v[4:5], v[4:5], v[12:13]
	v_mov_b32_e32 v11, v7
	scratch_load_dwordx2 v[6:7], off, off offset:376
	v_pk_add_f32 v[4:5], v[4:5], v[10:11]
	s_waitcnt vmcnt(0)
	v_pk_add_f32 v[4:5], v[6:7], v[4:5] neg_lo:[0,1] neg_hi:[0,1]
	scratch_store_dwordx2 off, v[4:5], off offset:376
	s_and_saveexec_b64 s[0:1], vcc
	s_cbranch_execz .LBB58_275
; %bb.274:
	scratch_load_dwordx2 v[4:5], off, off offset:368
	v_mov_b32_e32 v3, v2
	scratch_store_dwordx2 off, v[2:3], off offset:368
	s_waitcnt vmcnt(1)
	ds_write_b64 v1, v[4:5]
.LBB58_275:
	s_or_b64 exec, exec, s[0:1]
	s_waitcnt lgkmcnt(0)
	; wave barrier
	scratch_load_dwordx4 v[8:11], off, off offset:376
	scratch_load_dwordx4 v[16:19], off, off offset:392
	ds_read2_b64 v[4:7], v2 offset0:107 offset1:108
	v_cmp_lt_u32_e32 vcc, 45, v0
	s_waitcnt vmcnt(1) lgkmcnt(0)
	v_mul_f32_e32 v3, v4, v9
	v_fmac_f32_e32 v3, v5, v8
	v_mul_f32_e32 v12, v6, v11
	v_add_f32_e32 v3, 0, v3
	v_fmac_f32_e32 v12, v7, v10
	v_add_f32_e32 v37, v3, v12
	ds_read2_b64 v[12:15], v2 offset0:109 offset1:110
	scratch_load_dwordx4 v[20:23], off, off offset:408
	scratch_load_dwordx4 v[24:27], off, off offset:424
	;; [unrolled: 1-line block ×4, first 2 shown]
	v_mul_f32_e32 v3, v5, v9
	v_fma_f32 v3, v4, v8, -v3
	v_mul_f32_e32 v4, v7, v11
	v_add_f32_e32 v3, 0, v3
	v_fma_f32 v4, v6, v10, -v4
	v_add_f32_e32 v36, v3, v4
	s_waitcnt vmcnt(4) lgkmcnt(0)
	v_mul_f32_e32 v3, v13, v17
	v_mul_f32_e32 v39, v12, v17
	;; [unrolled: 1-line block ×3, first 2 shown]
	v_fma_f32 v38, v12, v16, -v3
	v_mul_f32_e32 v3, v15, v19
	v_fmac_f32_e32 v39, v13, v16
	v_fmac_f32_e32 v41, v15, v18
	v_fma_f32 v40, v14, v18, -v3
	ds_read2_b64 v[4:7], v2 offset0:111 offset1:112
	ds_read2_b64 v[8:11], v2 offset0:113 offset1:114
	;; [unrolled: 1-line block ×4, first 2 shown]
	v_pk_add_f32 v[2:3], v[36:37], v[38:39]
	s_waitcnt vmcnt(3) lgkmcnt(3)
	v_pk_mul_f32 v[36:37], v[4:5], v[20:21] op_sel:[1,1] op_sel_hi:[0,1]
	v_pk_fma_f32 v[38:39], v[4:5], v[20:21], v[36:37] neg_lo:[0,0,1] neg_hi:[0,0,1]
	v_pk_fma_f32 v[4:5], v[4:5], v[20:21], v[36:37] op_sel_hi:[1,0,1]
	v_pk_add_f32 v[2:3], v[2:3], v[40:41]
	v_mov_b32_e32 v4, v23
	v_mov_b32_e32 v39, v5
	v_pk_mul_f32 v[4:5], v[6:7], v[4:5] op_sel:[1,0] op_sel_hi:[0,0]
	v_pk_fma_f32 v[20:21], v[6:7], v[22:23], v[4:5] neg_lo:[0,0,1] neg_hi:[0,0,1]
	v_pk_fma_f32 v[4:5], v[6:7], v[22:23], v[4:5] op_sel_hi:[1,0,1]
	v_pk_add_f32 v[2:3], v[2:3], v[38:39]
	v_mov_b32_e32 v21, v5
	s_waitcnt vmcnt(2) lgkmcnt(2)
	v_pk_mul_f32 v[4:5], v[8:9], v[24:25] op_sel:[1,1] op_sel_hi:[0,1]
	v_pk_fma_f32 v[6:7], v[8:9], v[24:25], v[4:5] neg_lo:[0,0,1] neg_hi:[0,0,1]
	v_pk_fma_f32 v[4:5], v[8:9], v[24:25], v[4:5] op_sel_hi:[1,0,1]
	v_pk_add_f32 v[2:3], v[2:3], v[20:21]
	v_mov_b32_e32 v4, v27
	v_mov_b32_e32 v7, v5
	v_pk_mul_f32 v[4:5], v[10:11], v[4:5] op_sel:[1,0] op_sel_hi:[0,0]
	v_pk_add_f32 v[2:3], v[2:3], v[6:7]
	v_pk_fma_f32 v[6:7], v[10:11], v[26:27], v[4:5] neg_lo:[0,0,1] neg_hi:[0,0,1]
	v_pk_fma_f32 v[4:5], v[10:11], v[26:27], v[4:5] op_sel_hi:[1,0,1]
	s_nop 0
	v_mov_b32_e32 v7, v5
	s_waitcnt vmcnt(1) lgkmcnt(1)
	v_pk_mul_f32 v[4:5], v[12:13], v[28:29] op_sel:[1,1] op_sel_hi:[0,1]
	v_pk_add_f32 v[2:3], v[2:3], v[6:7]
	v_pk_fma_f32 v[6:7], v[12:13], v[28:29], v[4:5] neg_lo:[0,0,1] neg_hi:[0,0,1]
	v_pk_fma_f32 v[4:5], v[12:13], v[28:29], v[4:5] op_sel_hi:[1,0,1]
	s_nop 0
	v_mov_b32_e32 v4, v31
	v_mov_b32_e32 v7, v5
	v_pk_mul_f32 v[4:5], v[14:15], v[4:5] op_sel:[1,0] op_sel_hi:[0,0]
	v_pk_add_f32 v[2:3], v[2:3], v[6:7]
	v_pk_fma_f32 v[6:7], v[14:15], v[30:31], v[4:5] neg_lo:[0,0,1] neg_hi:[0,0,1]
	v_pk_fma_f32 v[4:5], v[14:15], v[30:31], v[4:5] op_sel_hi:[1,0,1]
	s_nop 0
	v_mov_b32_e32 v7, v5
	s_waitcnt vmcnt(0) lgkmcnt(0)
	v_pk_mul_f32 v[4:5], v[16:17], v[32:33] op_sel:[1,1] op_sel_hi:[0,1]
	v_pk_add_f32 v[2:3], v[2:3], v[6:7]
	v_pk_fma_f32 v[6:7], v[16:17], v[32:33], v[4:5] neg_lo:[0,0,1] neg_hi:[0,0,1]
	v_pk_fma_f32 v[4:5], v[16:17], v[32:33], v[4:5] op_sel_hi:[1,0,1]
	s_nop 0
	v_mov_b32_e32 v4, v35
	v_mov_b32_e32 v7, v5
	v_pk_mul_f32 v[4:5], v[18:19], v[4:5] op_sel:[1,0] op_sel_hi:[0,0]
	v_pk_add_f32 v[2:3], v[2:3], v[6:7]
	v_pk_fma_f32 v[6:7], v[18:19], v[34:35], v[4:5] neg_lo:[0,0,1] neg_hi:[0,0,1]
	v_pk_fma_f32 v[4:5], v[18:19], v[34:35], v[4:5] op_sel_hi:[1,0,1]
	s_nop 0
	v_mov_b32_e32 v7, v5
	scratch_load_dwordx2 v[4:5], off, off offset:368
	v_pk_add_f32 v[2:3], v[2:3], v[6:7]
	s_waitcnt vmcnt(0)
	v_pk_add_f32 v[2:3], v[4:5], v[2:3] neg_lo:[0,1] neg_hi:[0,1]
	scratch_store_dwordx2 off, v[2:3], off offset:368
	s_and_saveexec_b64 s[0:1], vcc
	s_cbranch_execz .LBB58_277
; %bb.276:
	scratch_load_dwordx2 v[2:3], off, off offset:360
	v_mov_b32_e32 v4, 0
	v_mov_b32_e32 v5, v4
	scratch_store_dwordx2 off, v[4:5], off offset:360
	s_waitcnt vmcnt(1)
	ds_write_b64 v1, v[2:3]
.LBB58_277:
	s_or_b64 exec, exec, s[0:1]
	v_mov_b32_e32 v2, 0
	s_waitcnt lgkmcnt(0)
	; wave barrier
	ds_read_b128 v[4:7], v2 offset:848
	ds_read_b128 v[8:11], v2 offset:864
	;; [unrolled: 1-line block ×4, first 2 shown]
	scratch_load_dwordx4 v[20:23], off, off offset:368
	v_cmp_lt_u32_e32 vcc, 44, v0
	s_waitcnt vmcnt(0) lgkmcnt(3)
	v_mul_f32_e32 v3, v4, v21
	v_fmac_f32_e32 v3, v5, v20
	v_mul_f32_e32 v24, v6, v23
	v_add_f32_e32 v3, 0, v3
	v_fmac_f32_e32 v24, v7, v22
	v_add_f32_e32 v3, v3, v24
	scratch_load_dwordx4 v[24:27], off, off offset:384
	s_waitcnt vmcnt(0) lgkmcnt(2)
	v_mul_f32_e32 v28, v8, v25
	v_fmac_f32_e32 v28, v9, v24
	v_add_f32_e32 v45, v3, v28
	scratch_load_dwordx4 v[28:31], off, off offset:400
	scratch_load_dwordx4 v[32:35], off, off offset:416
	;; [unrolled: 1-line block ×4, first 2 shown]
	scratch_load_dwordx2 v[50:51], off, off offset:464
	v_mul_f32_e32 v3, v5, v21
	v_fma_f32 v3, v4, v20, -v3
	v_mul_f32_e32 v4, v7, v23
	v_add_f32_e32 v3, 0, v3
	v_fma_f32 v4, v6, v22, -v4
	v_add_f32_e32 v3, v3, v4
	v_mul_f32_e32 v4, v9, v25
	v_fma_f32 v4, v8, v24, -v4
	v_mul_f32_e32 v47, v10, v27
	v_add_f32_e32 v44, v3, v4
	v_mul_f32_e32 v3, v11, v27
	v_fmac_f32_e32 v47, v11, v26
	v_fma_f32 v46, v10, v26, -v3
	v_pk_add_f32 v[20:21], v[44:45], v[46:47]
	s_waitcnt vmcnt(4)
	v_mov_b32_e32 v22, v31
	s_waitcnt lgkmcnt(1)
	v_mul_f32_e32 v49, v12, v29
	v_mul_f32_e32 v3, v13, v29
	v_pk_mul_f32 v[22:23], v[14:15], v[22:23] op_sel:[1,0] op_sel_hi:[0,0]
	v_fmac_f32_e32 v49, v13, v28
	v_fma_f32 v48, v12, v28, -v3
	v_pk_fma_f32 v[24:25], v[14:15], v[30:31], v[22:23] neg_lo:[0,0,1] neg_hi:[0,0,1]
	v_pk_fma_f32 v[14:15], v[14:15], v[30:31], v[22:23] op_sel_hi:[1,0,1]
	v_pk_add_f32 v[20:21], v[20:21], v[48:49]
	v_mov_b32_e32 v25, v15
	v_pk_add_f32 v[14:15], v[20:21], v[24:25]
	s_waitcnt vmcnt(3) lgkmcnt(0)
	v_pk_mul_f32 v[20:21], v[16:17], v[32:33] op_sel:[1,1] op_sel_hi:[0,1]
	v_pk_fma_f32 v[22:23], v[16:17], v[32:33], v[20:21] neg_lo:[0,0,1] neg_hi:[0,0,1]
	v_pk_fma_f32 v[16:17], v[16:17], v[32:33], v[20:21] op_sel_hi:[1,0,1]
	ds_read_b128 v[4:7], v2 offset:912
	ds_read_b128 v[8:11], v2 offset:928
	ds_read_b64 v[12:13], v2 offset:944
	v_mov_b32_e32 v16, v35
	v_mov_b32_e32 v23, v17
	v_pk_mul_f32 v[16:17], v[18:19], v[16:17] op_sel:[1,0] op_sel_hi:[0,0]
	v_pk_fma_f32 v[20:21], v[18:19], v[34:35], v[16:17] neg_lo:[0,0,1] neg_hi:[0,0,1]
	v_pk_fma_f32 v[16:17], v[18:19], v[34:35], v[16:17] op_sel_hi:[1,0,1]
	v_pk_add_f32 v[14:15], v[14:15], v[22:23]
	v_mov_b32_e32 v21, v17
	s_waitcnt vmcnt(2) lgkmcnt(2)
	v_pk_mul_f32 v[16:17], v[4:5], v[36:37] op_sel:[1,1] op_sel_hi:[0,1]
	v_pk_fma_f32 v[18:19], v[4:5], v[36:37], v[16:17] neg_lo:[0,0,1] neg_hi:[0,0,1]
	v_pk_fma_f32 v[4:5], v[4:5], v[36:37], v[16:17] op_sel_hi:[1,0,1]
	v_pk_add_f32 v[14:15], v[14:15], v[20:21]
	v_mov_b32_e32 v19, v5
	v_pk_add_f32 v[4:5], v[14:15], v[18:19]
	v_mov_b32_e32 v14, v39
	v_pk_mul_f32 v[14:15], v[6:7], v[14:15] op_sel:[1,0] op_sel_hi:[0,0]
	v_pk_fma_f32 v[16:17], v[6:7], v[38:39], v[14:15] neg_lo:[0,0,1] neg_hi:[0,0,1]
	v_pk_fma_f32 v[6:7], v[6:7], v[38:39], v[14:15] op_sel_hi:[1,0,1]
	s_nop 0
	v_mov_b32_e32 v17, v7
	s_waitcnt vmcnt(1) lgkmcnt(1)
	v_pk_mul_f32 v[6:7], v[8:9], v[40:41] op_sel:[1,1] op_sel_hi:[0,1]
	v_pk_fma_f32 v[14:15], v[8:9], v[40:41], v[6:7] neg_lo:[0,0,1] neg_hi:[0,0,1]
	v_pk_fma_f32 v[6:7], v[8:9], v[40:41], v[6:7] op_sel_hi:[1,0,1]
	v_pk_add_f32 v[4:5], v[4:5], v[16:17]
	v_mov_b32_e32 v6, v43
	v_mov_b32_e32 v15, v7
	v_pk_mul_f32 v[6:7], v[10:11], v[6:7] op_sel:[1,0] op_sel_hi:[0,0]
	v_pk_fma_f32 v[8:9], v[10:11], v[42:43], v[6:7] neg_lo:[0,0,1] neg_hi:[0,0,1]
	v_pk_fma_f32 v[6:7], v[10:11], v[42:43], v[6:7] op_sel_hi:[1,0,1]
	v_pk_add_f32 v[4:5], v[4:5], v[14:15]
	v_mov_b32_e32 v9, v7
	s_waitcnt vmcnt(0) lgkmcnt(0)
	v_pk_mul_f32 v[6:7], v[12:13], v[50:51] op_sel:[1,1] op_sel_hi:[0,1]
	v_pk_add_f32 v[4:5], v[4:5], v[8:9]
	v_pk_fma_f32 v[8:9], v[12:13], v[50:51], v[6:7] neg_lo:[0,0,1] neg_hi:[0,0,1]
	v_pk_fma_f32 v[6:7], v[12:13], v[50:51], v[6:7] op_sel_hi:[1,0,1]
	s_nop 0
	v_mov_b32_e32 v9, v7
	scratch_load_dwordx2 v[6:7], off, off offset:360
	v_pk_add_f32 v[4:5], v[4:5], v[8:9]
	s_waitcnt vmcnt(0)
	v_pk_add_f32 v[4:5], v[6:7], v[4:5] neg_lo:[0,1] neg_hi:[0,1]
	scratch_store_dwordx2 off, v[4:5], off offset:360
	s_and_saveexec_b64 s[0:1], vcc
	s_cbranch_execz .LBB58_279
; %bb.278:
	scratch_load_dwordx2 v[4:5], off, off offset:352
	v_mov_b32_e32 v3, v2
	scratch_store_dwordx2 off, v[2:3], off offset:352
	s_waitcnt vmcnt(1)
	ds_write_b64 v1, v[4:5]
.LBB58_279:
	s_or_b64 exec, exec, s[0:1]
	s_waitcnt lgkmcnt(0)
	; wave barrier
	scratch_load_dwordx4 v[8:11], off, off offset:360
	scratch_load_dwordx4 v[16:19], off, off offset:376
	ds_read2_b64 v[4:7], v2 offset0:105 offset1:106
	scratch_load_dwordx4 v[24:27], off, off offset:392
	v_cmp_lt_u32_e32 vcc, 43, v0
	s_waitcnt vmcnt(2) lgkmcnt(0)
	v_mul_f32_e32 v3, v4, v9
	v_fmac_f32_e32 v3, v5, v8
	v_mul_f32_e32 v12, v6, v11
	v_add_f32_e32 v3, 0, v3
	v_fmac_f32_e32 v12, v7, v10
	v_add_f32_e32 v3, v3, v12
	ds_read2_b64 v[12:15], v2 offset0:107 offset1:108
	s_waitcnt vmcnt(1) lgkmcnt(0)
	v_mul_f32_e32 v20, v12, v17
	v_fmac_f32_e32 v20, v13, v16
	v_add_f32_e32 v3, v3, v20
	v_mul_f32_e32 v20, v14, v19
	v_fmac_f32_e32 v20, v15, v18
	v_add_f32_e32 v45, v3, v20
	ds_read2_b64 v[20:23], v2 offset0:109 offset1:110
	scratch_load_dwordx4 v[28:31], off, off offset:408
	scratch_load_dwordx4 v[32:35], off, off offset:424
	;; [unrolled: 1-line block ×4, first 2 shown]
	v_mul_f32_e32 v3, v5, v9
	v_fma_f32 v3, v4, v8, -v3
	v_mul_f32_e32 v4, v7, v11
	v_add_f32_e32 v3, 0, v3
	v_fma_f32 v4, v6, v10, -v4
	v_add_f32_e32 v3, v3, v4
	v_mul_f32_e32 v4, v13, v17
	v_fma_f32 v4, v12, v16, -v4
	v_add_f32_e32 v3, v3, v4
	v_mul_f32_e32 v4, v15, v19
	v_fma_f32 v4, v14, v18, -v4
	v_add_f32_e32 v44, v3, v4
	ds_read2_b64 v[4:7], v2 offset0:111 offset1:112
	ds_read2_b64 v[8:11], v2 offset0:113 offset1:114
	;; [unrolled: 1-line block ×4, first 2 shown]
	s_waitcnt vmcnt(4) lgkmcnt(4)
	v_mul_f32_e32 v47, v20, v25
	v_mul_f32_e32 v3, v21, v25
	v_fmac_f32_e32 v47, v21, v24
	v_mul_f32_e32 v49, v22, v27
	v_fma_f32 v46, v20, v24, -v3
	v_mul_f32_e32 v3, v23, v27
	v_fmac_f32_e32 v49, v23, v26
	v_fma_f32 v48, v22, v26, -v3
	v_pk_add_f32 v[2:3], v[44:45], v[46:47]
	s_waitcnt vmcnt(3) lgkmcnt(3)
	v_pk_mul_f32 v[20:21], v[4:5], v[28:29] op_sel:[1,1] op_sel_hi:[0,1]
	v_pk_fma_f32 v[22:23], v[4:5], v[28:29], v[20:21] neg_lo:[0,0,1] neg_hi:[0,0,1]
	v_pk_fma_f32 v[4:5], v[4:5], v[28:29], v[20:21] op_sel_hi:[1,0,1]
	v_pk_add_f32 v[2:3], v[2:3], v[48:49]
	v_mov_b32_e32 v4, v31
	v_mov_b32_e32 v23, v5
	v_pk_mul_f32 v[4:5], v[6:7], v[4:5] op_sel:[1,0] op_sel_hi:[0,0]
	v_pk_fma_f32 v[20:21], v[6:7], v[30:31], v[4:5] neg_lo:[0,0,1] neg_hi:[0,0,1]
	v_pk_fma_f32 v[4:5], v[6:7], v[30:31], v[4:5] op_sel_hi:[1,0,1]
	v_pk_add_f32 v[2:3], v[2:3], v[22:23]
	v_mov_b32_e32 v21, v5
	s_waitcnt vmcnt(2) lgkmcnt(2)
	v_pk_mul_f32 v[4:5], v[8:9], v[32:33] op_sel:[1,1] op_sel_hi:[0,1]
	v_pk_fma_f32 v[6:7], v[8:9], v[32:33], v[4:5] neg_lo:[0,0,1] neg_hi:[0,0,1]
	v_pk_fma_f32 v[4:5], v[8:9], v[32:33], v[4:5] op_sel_hi:[1,0,1]
	v_pk_add_f32 v[2:3], v[2:3], v[20:21]
	v_mov_b32_e32 v4, v35
	v_mov_b32_e32 v7, v5
	v_pk_mul_f32 v[4:5], v[10:11], v[4:5] op_sel:[1,0] op_sel_hi:[0,0]
	v_pk_add_f32 v[2:3], v[2:3], v[6:7]
	v_pk_fma_f32 v[6:7], v[10:11], v[34:35], v[4:5] neg_lo:[0,0,1] neg_hi:[0,0,1]
	v_pk_fma_f32 v[4:5], v[10:11], v[34:35], v[4:5] op_sel_hi:[1,0,1]
	s_nop 0
	v_mov_b32_e32 v7, v5
	s_waitcnt vmcnt(1) lgkmcnt(1)
	v_pk_mul_f32 v[4:5], v[12:13], v[36:37] op_sel:[1,1] op_sel_hi:[0,1]
	v_pk_add_f32 v[2:3], v[2:3], v[6:7]
	v_pk_fma_f32 v[6:7], v[12:13], v[36:37], v[4:5] neg_lo:[0,0,1] neg_hi:[0,0,1]
	v_pk_fma_f32 v[4:5], v[12:13], v[36:37], v[4:5] op_sel_hi:[1,0,1]
	s_nop 0
	v_mov_b32_e32 v4, v39
	v_mov_b32_e32 v7, v5
	v_pk_mul_f32 v[4:5], v[14:15], v[4:5] op_sel:[1,0] op_sel_hi:[0,0]
	v_pk_add_f32 v[2:3], v[2:3], v[6:7]
	v_pk_fma_f32 v[6:7], v[14:15], v[38:39], v[4:5] neg_lo:[0,0,1] neg_hi:[0,0,1]
	v_pk_fma_f32 v[4:5], v[14:15], v[38:39], v[4:5] op_sel_hi:[1,0,1]
	s_nop 0
	v_mov_b32_e32 v7, v5
	s_waitcnt vmcnt(0) lgkmcnt(0)
	v_pk_mul_f32 v[4:5], v[16:17], v[40:41] op_sel:[1,1] op_sel_hi:[0,1]
	v_pk_add_f32 v[2:3], v[2:3], v[6:7]
	v_pk_fma_f32 v[6:7], v[16:17], v[40:41], v[4:5] neg_lo:[0,0,1] neg_hi:[0,0,1]
	v_pk_fma_f32 v[4:5], v[16:17], v[40:41], v[4:5] op_sel_hi:[1,0,1]
	s_nop 0
	v_mov_b32_e32 v4, v43
	v_mov_b32_e32 v7, v5
	v_pk_mul_f32 v[4:5], v[18:19], v[4:5] op_sel:[1,0] op_sel_hi:[0,0]
	v_pk_add_f32 v[2:3], v[2:3], v[6:7]
	v_pk_fma_f32 v[6:7], v[18:19], v[42:43], v[4:5] neg_lo:[0,0,1] neg_hi:[0,0,1]
	v_pk_fma_f32 v[4:5], v[18:19], v[42:43], v[4:5] op_sel_hi:[1,0,1]
	s_nop 0
	v_mov_b32_e32 v7, v5
	scratch_load_dwordx2 v[4:5], off, off offset:352
	v_pk_add_f32 v[2:3], v[2:3], v[6:7]
	s_waitcnt vmcnt(0)
	v_pk_add_f32 v[2:3], v[4:5], v[2:3] neg_lo:[0,1] neg_hi:[0,1]
	scratch_store_dwordx2 off, v[2:3], off offset:352
	s_and_saveexec_b64 s[0:1], vcc
	s_cbranch_execz .LBB58_281
; %bb.280:
	scratch_load_dwordx2 v[2:3], off, off offset:344
	v_mov_b32_e32 v4, 0
	v_mov_b32_e32 v5, v4
	scratch_store_dwordx2 off, v[4:5], off offset:344
	s_waitcnt vmcnt(1)
	ds_write_b64 v1, v[2:3]
.LBB58_281:
	s_or_b64 exec, exec, s[0:1]
	s_waitcnt lgkmcnt(0)
	; wave barrier
	scratch_load_dwordx4 v[4:7], off, off offset:352
	scratch_load_dwordx4 v[8:11], off, off offset:368
	;; [unrolled: 1-line block ×7, first 2 shown]
	scratch_load_dwordx2 v[60:61], off, off offset:464
	scratch_load_dwordx2 v[62:63], off, off offset:344
	v_mov_b32_e32 v2, 0
	ds_read_b128 v[32:35], v2 offset:832
	ds_read_b128 v[36:39], v2 offset:848
	;; [unrolled: 1-line block ×7, first 2 shown]
	ds_read_b64 v[64:65], v2 offset:944
	v_cmp_lt_u32_e32 vcc, 42, v0
	s_waitcnt vmcnt(8) lgkmcnt(7)
	v_mul_f32_e32 v71, v34, v7
	v_mul_f32_e32 v3, v32, v5
	s_waitcnt vmcnt(7) lgkmcnt(6)
	v_mul_f32_e32 v75, v36, v9
	s_waitcnt vmcnt(6) lgkmcnt(5)
	v_mul_f32_e32 v83, v40, v13
	v_mul_f32_e32 v67, v42, v15
	;; [unrolled: 1-line block ×5, first 2 shown]
	s_waitcnt vmcnt(5)
	v_mov_b32_e32 v70, v19
	s_waitcnt vmcnt(3) lgkmcnt(2)
	v_pk_mul_f32 v[76:77], v[52:53], v[24:25] op_sel:[1,1] op_sel_hi:[0,1]
	s_waitcnt vmcnt(2) lgkmcnt(1)
	v_pk_mul_f32 v[80:81], v[56:57], v[28:29] op_sel:[1,1] op_sel_hi:[0,1]
	v_fmac_f32_e32 v71, v35, v6
	v_mul_f32_e32 v7, v35, v7
	v_mul_f32_e32 v9, v37, v9
	v_fmac_f32_e32 v3, v33, v4
	v_fmac_f32_e32 v75, v37, v8
	;; [unrolled: 1-line block ×4, first 2 shown]
	v_fma_f32 v32, v32, v4, -v5
	v_fma_f32 v37, v40, v12, -v13
	;; [unrolled: 1-line block ×3, first 2 shown]
	v_pk_mul_f32 v[4:5], v[46:47], v[70:71] op_sel:[1,0] op_sel_hi:[0,0]
	v_pk_fma_f32 v[12:13], v[52:53], v[24:25], v[76:77] neg_lo:[0,0,1] neg_hi:[0,0,1]
	v_pk_fma_f32 v[14:15], v[52:53], v[24:25], v[76:77] op_sel_hi:[1,0,1]
	v_pk_fma_f32 v[24:25], v[56:57], v[28:29], v[80:81] op_sel_hi:[1,0,1]
	v_fma_f32 v34, v34, v6, -v7
	v_add_f32_e32 v3, 0, v3
	v_add_f32_e32 v24, 0, v32
	v_pk_fma_f32 v[32:33], v[46:47], v[18:19], v[4:5] neg_lo:[0,0,1] neg_hi:[0,0,1]
	v_pk_fma_f32 v[4:5], v[46:47], v[18:19], v[4:5] op_sel_hi:[1,0,1]
	v_mul_f32_e32 v79, v38, v11
	v_mul_f32_e32 v11, v39, v11
	v_fma_f32 v35, v36, v8, -v9
	v_add_f32_e32 v3, v3, v71
	v_add_f32_e32 v4, v24, v34
	v_fmac_f32_e32 v79, v39, v10
	v_fma_f32 v36, v38, v10, -v11
	v_add_f32_e32 v3, v3, v75
	v_add_f32_e32 v4, v4, v35
	;; [unrolled: 1-line block ×4, first 2 shown]
	v_mul_f32_e32 v69, v44, v17
	v_mul_f32_e32 v17, v45, v17
	v_mov_b32_e32 v33, v5
	v_add_f32_e32 v5, v3, v83
	v_add_f32_e32 v4, v4, v37
	v_pk_mul_f32 v[72:73], v[48:49], v[20:21] op_sel:[1,1] op_sel_hi:[0,1]
	v_mov_b32_e32 v74, v23
	v_fmac_f32_e32 v69, v45, v16
	v_fma_f32 v68, v44, v16, -v17
	v_pk_add_f32 v[4:5], v[4:5], v[66:67]
	v_pk_fma_f32 v[6:7], v[48:49], v[20:21], v[72:73] neg_lo:[0,0,1] neg_hi:[0,0,1]
	v_pk_fma_f32 v[8:9], v[48:49], v[20:21], v[72:73] op_sel_hi:[1,0,1]
	v_pk_mul_f32 v[10:11], v[50:51], v[74:75] op_sel:[1,0] op_sel_hi:[0,0]
	v_pk_add_f32 v[4:5], v[4:5], v[68:69]
	v_mov_b32_e32 v78, v27
	v_mov_b32_e32 v7, v9
	v_pk_fma_f32 v[8:9], v[50:51], v[22:23], v[10:11] neg_lo:[0,0,1] neg_hi:[0,0,1]
	v_pk_fma_f32 v[10:11], v[50:51], v[22:23], v[10:11] op_sel_hi:[1,0,1]
	v_pk_add_f32 v[4:5], v[4:5], v[32:33]
	v_pk_mul_f32 v[16:17], v[54:55], v[78:79] op_sel:[1,0] op_sel_hi:[0,0]
	v_mov_b32_e32 v9, v11
	v_pk_add_f32 v[4:5], v[4:5], v[6:7]
	v_mov_b32_e32 v82, v31
	v_mov_b32_e32 v13, v15
	v_pk_fma_f32 v[14:15], v[54:55], v[26:27], v[16:17] neg_lo:[0,0,1] neg_hi:[0,0,1]
	v_pk_fma_f32 v[16:17], v[54:55], v[26:27], v[16:17] op_sel_hi:[1,0,1]
	v_pk_add_f32 v[4:5], v[4:5], v[8:9]
	v_pk_fma_f32 v[20:21], v[56:57], v[28:29], v[80:81] neg_lo:[0,0,1] neg_hi:[0,0,1]
	v_pk_mul_f32 v[28:29], v[58:59], v[82:83] op_sel:[1,0] op_sel_hi:[0,0]
	v_mov_b32_e32 v15, v17
	v_pk_add_f32 v[4:5], v[4:5], v[12:13]
	v_mov_b32_e32 v21, v25
	v_pk_add_f32 v[4:5], v[4:5], v[14:15]
	v_pk_fma_f32 v[6:7], v[58:59], v[30:31], v[28:29] neg_lo:[0,0,1] neg_hi:[0,0,1]
	v_pk_fma_f32 v[8:9], v[58:59], v[30:31], v[28:29] op_sel_hi:[1,0,1]
	v_pk_add_f32 v[4:5], v[4:5], v[20:21]
	v_mov_b32_e32 v7, v9
	v_pk_add_f32 v[4:5], v[4:5], v[6:7]
	s_waitcnt vmcnt(1) lgkmcnt(0)
	v_pk_mul_f32 v[6:7], v[64:65], v[60:61] op_sel:[1,1] op_sel_hi:[0,1]
	v_pk_fma_f32 v[8:9], v[64:65], v[60:61], v[6:7] neg_lo:[0,0,1] neg_hi:[0,0,1]
	v_pk_fma_f32 v[6:7], v[64:65], v[60:61], v[6:7] op_sel_hi:[1,0,1]
	s_nop 0
	v_mov_b32_e32 v9, v7
	v_pk_add_f32 v[4:5], v[4:5], v[8:9]
	s_waitcnt vmcnt(0)
	v_pk_add_f32 v[4:5], v[62:63], v[4:5] neg_lo:[0,1] neg_hi:[0,1]
	scratch_store_dwordx2 off, v[4:5], off offset:344
	s_and_saveexec_b64 s[0:1], vcc
	s_cbranch_execz .LBB58_283
; %bb.282:
	scratch_load_dwordx2 v[4:5], off, off offset:336
	v_mov_b32_e32 v3, v2
	scratch_store_dwordx2 off, v[2:3], off offset:336
	s_waitcnt vmcnt(1)
	ds_write_b64 v1, v[4:5]
.LBB58_283:
	s_or_b64 exec, exec, s[0:1]
	s_waitcnt lgkmcnt(0)
	; wave barrier
	scratch_load_dwordx4 v[4:7], off, off offset:344
	scratch_load_dwordx4 v[8:11], off, off offset:360
	;; [unrolled: 1-line block ×7, first 2 shown]
	ds_read2_b64 v[32:35], v2 offset0:103 offset1:104
	ds_read2_b64 v[36:39], v2 offset0:105 offset1:106
	;; [unrolled: 1-line block ×4, first 2 shown]
	scratch_load_dwordx4 v[48:51], off, off offset:456
	ds_read2_b64 v[52:55], v2 offset0:111 offset1:112
	ds_read2_b64 v[56:59], v2 offset0:113 offset1:114
	;; [unrolled: 1-line block ×4, first 2 shown]
	scratch_load_dwordx2 v[2:3], off, off offset:336
	v_cmp_lt_u32_e32 vcc, 41, v0
	s_waitcnt vmcnt(8) lgkmcnt(7)
	v_mul_f32_e32 v75, v32, v5
	v_mul_f32_e32 v79, v34, v7
	s_waitcnt vmcnt(7) lgkmcnt(6)
	v_mul_f32_e32 v83, v36, v9
	v_mul_f32_e32 v84, v38, v11
	s_waitcnt vmcnt(6) lgkmcnt(5)
	v_mul_f32_e32 v85, v40, v13
	v_mul_f32_e32 v86, v42, v15
	v_mul_f32_e32 v5, v33, v5
	v_mul_f32_e32 v7, v35, v7
	;; [unrolled: 1-line block ×6, first 2 shown]
	s_waitcnt vmcnt(4) lgkmcnt(3)
	v_pk_mul_f32 v[72:73], v[52:53], v[20:21] op_sel:[1,1] op_sel_hi:[0,1]
	v_mov_b32_e32 v74, v23
	s_waitcnt vmcnt(3) lgkmcnt(2)
	v_pk_mul_f32 v[76:77], v[56:57], v[24:25] op_sel:[1,1] op_sel_hi:[0,1]
	v_mov_b32_e32 v78, v27
	v_fmac_f32_e32 v75, v33, v4
	v_fmac_f32_e32 v79, v35, v6
	;; [unrolled: 1-line block ×6, first 2 shown]
	v_fma_f32 v32, v32, v4, -v5
	v_fma_f32 v33, v34, v6, -v7
	;; [unrolled: 1-line block ×6, first 2 shown]
	v_pk_fma_f32 v[4:5], v[52:53], v[20:21], v[72:73] neg_lo:[0,0,1] neg_hi:[0,0,1]
	v_pk_fma_f32 v[6:7], v[52:53], v[20:21], v[72:73] op_sel_hi:[1,0,1]
	v_pk_mul_f32 v[8:9], v[54:55], v[74:75] op_sel:[1,0] op_sel_hi:[0,0]
	v_pk_fma_f32 v[10:11], v[56:57], v[24:25], v[76:77] neg_lo:[0,0,1] neg_hi:[0,0,1]
	v_pk_fma_f32 v[12:13], v[56:57], v[24:25], v[76:77] op_sel_hi:[1,0,1]
	v_pk_mul_f32 v[14:15], v[58:59], v[78:79] op_sel:[1,0] op_sel_hi:[0,0]
	v_add_f32_e32 v24, 0, v75
	v_add_f32_e32 v25, 0, v32
	v_mov_b32_e32 v5, v7
	v_pk_fma_f32 v[6:7], v[54:55], v[22:23], v[8:9] neg_lo:[0,0,1] neg_hi:[0,0,1]
	v_pk_fma_f32 v[8:9], v[54:55], v[22:23], v[8:9] op_sel_hi:[1,0,1]
	v_mov_b32_e32 v11, v13
	v_pk_fma_f32 v[12:13], v[58:59], v[26:27], v[14:15] neg_lo:[0,0,1] neg_hi:[0,0,1]
	v_pk_fma_f32 v[14:15], v[58:59], v[26:27], v[14:15] op_sel_hi:[1,0,1]
	v_add_f32_e32 v8, v24, v79
	v_add_f32_e32 v14, v25, v33
	v_mov_b32_e32 v7, v9
	v_add_f32_e32 v8, v8, v83
	v_add_f32_e32 v9, v14, v34
	;; [unrolled: 1-line block ×4, first 2 shown]
	v_mul_f32_e32 v69, v44, v17
	v_mul_f32_e32 v17, v45, v17
	v_add_f32_e32 v8, v8, v85
	v_add_f32_e32 v14, v9, v36
	v_mul_f32_e32 v71, v46, v19
	v_mul_f32_e32 v19, v47, v19
	v_fmac_f32_e32 v69, v45, v16
	v_fma_f32 v68, v44, v16, -v17
	v_add_f32_e32 v9, v8, v86
	v_add_f32_e32 v8, v14, v37
	v_fmac_f32_e32 v71, v47, v18
	v_fma_f32 v70, v46, v18, -v19
	v_pk_add_f32 v[8:9], v[8:9], v[68:69]
	s_waitcnt vmcnt(2) lgkmcnt(1)
	v_pk_mul_f32 v[80:81], v[60:61], v[28:29] op_sel:[1,1] op_sel_hi:[0,1]
	v_mov_b32_e32 v82, v31
	v_pk_add_f32 v[8:9], v[8:9], v[70:71]
	v_pk_fma_f32 v[16:17], v[60:61], v[28:29], v[80:81] neg_lo:[0,0,1] neg_hi:[0,0,1]
	v_pk_fma_f32 v[18:19], v[60:61], v[28:29], v[80:81] op_sel_hi:[1,0,1]
	v_pk_mul_f32 v[20:21], v[62:63], v[82:83] op_sel:[1,0] op_sel_hi:[0,0]
	v_pk_add_f32 v[4:5], v[8:9], v[4:5]
	v_mov_b32_e32 v17, v19
	v_pk_fma_f32 v[18:19], v[62:63], v[30:31], v[20:21] neg_lo:[0,0,1] neg_hi:[0,0,1]
	v_pk_add_f32 v[4:5], v[4:5], v[6:7]
	v_pk_fma_f32 v[6:7], v[62:63], v[30:31], v[20:21] op_sel_hi:[1,0,1]
	v_mov_b32_e32 v13, v15
	v_pk_add_f32 v[4:5], v[4:5], v[10:11]
	v_mov_b32_e32 v19, v7
	s_waitcnt vmcnt(1) lgkmcnt(0)
	v_pk_mul_f32 v[6:7], v[64:65], v[48:49] op_sel:[1,1] op_sel_hi:[0,1]
	v_pk_add_f32 v[4:5], v[4:5], v[12:13]
	v_pk_fma_f32 v[8:9], v[64:65], v[48:49], v[6:7] neg_lo:[0,0,1] neg_hi:[0,0,1]
	v_pk_fma_f32 v[6:7], v[64:65], v[48:49], v[6:7] op_sel_hi:[1,0,1]
	v_pk_add_f32 v[4:5], v[4:5], v[16:17]
	v_mov_b32_e32 v6, v51
	v_pk_add_f32 v[4:5], v[4:5], v[18:19]
	v_mov_b32_e32 v9, v7
	v_pk_mul_f32 v[6:7], v[66:67], v[6:7] op_sel:[1,0] op_sel_hi:[0,0]
	v_pk_add_f32 v[4:5], v[4:5], v[8:9]
	v_pk_fma_f32 v[8:9], v[66:67], v[50:51], v[6:7] neg_lo:[0,0,1] neg_hi:[0,0,1]
	v_pk_fma_f32 v[6:7], v[66:67], v[50:51], v[6:7] op_sel_hi:[1,0,1]
	s_nop 0
	v_mov_b32_e32 v9, v7
	v_pk_add_f32 v[4:5], v[4:5], v[8:9]
	s_waitcnt vmcnt(0)
	v_pk_add_f32 v[2:3], v[2:3], v[4:5] neg_lo:[0,1] neg_hi:[0,1]
	scratch_store_dwordx2 off, v[2:3], off offset:336
	s_and_saveexec_b64 s[0:1], vcc
	s_cbranch_execz .LBB58_285
; %bb.284:
	scratch_load_dwordx2 v[2:3], off, off offset:328
	v_mov_b32_e32 v4, 0
	v_mov_b32_e32 v5, v4
	scratch_store_dwordx2 off, v[4:5], off offset:328
	s_waitcnt vmcnt(1)
	ds_write_b64 v1, v[2:3]
.LBB58_285:
	s_or_b64 exec, exec, s[0:1]
	s_waitcnt lgkmcnt(0)
	; wave barrier
	scratch_load_dwordx4 v[4:7], off, off offset:336
	scratch_load_dwordx4 v[8:11], off, off offset:352
	;; [unrolled: 1-line block ×8, first 2 shown]
	scratch_load_dwordx2 v[68:69], off, off offset:464
	scratch_load_dwordx2 v[70:71], off, off offset:328
	v_mov_b32_e32 v2, 0
	ds_read_b128 v[36:39], v2 offset:816
	ds_read_b128 v[40:43], v2 offset:832
	;; [unrolled: 1-line block ×8, first 2 shown]
	ds_read_b64 v[72:73], v2 offset:944
	v_cmp_lt_u32_e32 vcc, 40, v0
	s_waitcnt vmcnt(9) lgkmcnt(8)
	v_mul_f32_e32 v79, v38, v7
	v_mul_f32_e32 v3, v36, v5
	s_waitcnt vmcnt(8) lgkmcnt(7)
	v_mul_f32_e32 v83, v40, v9
	s_waitcnt vmcnt(7) lgkmcnt(6)
	v_mul_f32_e32 v87, v44, v13
	v_mul_f32_e32 v5, v37, v5
	;; [unrolled: 1-line block ×5, first 2 shown]
	s_waitcnt vmcnt(5)
	v_mov_b32_e32 v78, v23
	s_waitcnt vmcnt(3) lgkmcnt(2)
	v_pk_mul_f32 v[84:85], v[60:61], v[28:29] op_sel:[1,1] op_sel_hi:[0,1]
	v_fmac_f32_e32 v79, v39, v6
	v_mul_f32_e32 v86, v42, v11
	v_mul_f32_e32 v89, v48, v17
	;; [unrolled: 1-line block ×4, first 2 shown]
	v_fmac_f32_e32 v3, v37, v4
	v_fmac_f32_e32 v87, v45, v12
	v_fma_f32 v36, v36, v4, -v5
	v_fma_f32 v37, v38, v6, -v7
	;; [unrolled: 1-line block ×4, first 2 shown]
	v_pk_mul_f32 v[4:5], v[54:55], v[78:79] op_sel:[1,0] op_sel_hi:[0,0]
	v_pk_fma_f32 v[12:13], v[60:61], v[28:29], v[84:85] neg_lo:[0,0,1] neg_hi:[0,0,1]
	v_fmac_f32_e32 v89, v49, v16
	v_fma_f32 v39, v42, v10, -v11
	v_fma_f32 v42, v48, v16, -v17
	v_add_f32_e32 v3, 0, v3
	v_add_f32_e32 v13, 0, v36
	v_pk_fma_f32 v[16:17], v[54:55], v[22:23], v[4:5] neg_lo:[0,0,1] neg_hi:[0,0,1]
	v_pk_fma_f32 v[4:5], v[54:55], v[22:23], v[4:5] op_sel_hi:[1,0,1]
	v_fmac_f32_e32 v83, v41, v8
	v_add_f32_e32 v3, v3, v79
	v_add_f32_e32 v4, v13, v37
	v_fmac_f32_e32 v86, v43, v10
	v_add_f32_e32 v3, v3, v83
	v_add_f32_e32 v4, v4, v38
	v_mul_f32_e32 v88, v46, v15
	v_mul_f32_e32 v15, v47, v15
	v_add_f32_e32 v3, v3, v86
	v_add_f32_e32 v4, v4, v39
	v_fmac_f32_e32 v88, v47, v14
	v_fma_f32 v41, v46, v14, -v15
	v_add_f32_e32 v3, v3, v87
	v_add_f32_e32 v4, v4, v40
	v_mul_f32_e32 v75, v50, v19
	v_mul_f32_e32 v19, v51, v19
	v_add_f32_e32 v3, v3, v88
	v_add_f32_e32 v4, v4, v41
	v_mul_f32_e32 v77, v52, v21
	v_mul_f32_e32 v21, v53, v21
	v_fmac_f32_e32 v75, v51, v18
	v_fma_f32 v74, v50, v18, -v19
	v_mov_b32_e32 v17, v5
	v_add_f32_e32 v5, v3, v89
	v_add_f32_e32 v4, v4, v42
	v_pk_mul_f32 v[80:81], v[56:57], v[24:25] op_sel:[1,1] op_sel_hi:[0,1]
	v_fmac_f32_e32 v77, v53, v20
	v_fma_f32 v76, v52, v20, -v21
	v_pk_add_f32 v[4:5], v[4:5], v[74:75]
	v_mov_b32_e32 v82, v27
	v_pk_fma_f32 v[6:7], v[56:57], v[24:25], v[80:81] neg_lo:[0,0,1] neg_hi:[0,0,1]
	v_pk_fma_f32 v[8:9], v[56:57], v[24:25], v[80:81] op_sel_hi:[1,0,1]
	v_pk_add_f32 v[4:5], v[4:5], v[76:77]
	v_pk_mul_f32 v[10:11], v[58:59], v[82:83] op_sel:[1,0] op_sel_hi:[0,0]
	v_mov_b32_e32 v7, v9
	v_pk_add_f32 v[4:5], v[4:5], v[16:17]
	v_pk_fma_f32 v[8:9], v[58:59], v[26:27], v[10:11] neg_lo:[0,0,1] neg_hi:[0,0,1]
	v_pk_fma_f32 v[10:11], v[58:59], v[26:27], v[10:11] op_sel_hi:[1,0,1]
	v_pk_add_f32 v[4:5], v[4:5], v[6:7]
	v_mov_b32_e32 v6, v31
	v_pk_fma_f32 v[14:15], v[60:61], v[28:29], v[84:85] op_sel_hi:[1,0,1]
	v_mov_b32_e32 v9, v11
	v_pk_mul_f32 v[6:7], v[62:63], v[6:7] op_sel:[1,0] op_sel_hi:[0,0]
	v_pk_add_f32 v[4:5], v[4:5], v[8:9]
	v_mov_b32_e32 v13, v15
	v_pk_fma_f32 v[8:9], v[62:63], v[30:31], v[6:7] neg_lo:[0,0,1] neg_hi:[0,0,1]
	v_pk_fma_f32 v[6:7], v[62:63], v[30:31], v[6:7] op_sel_hi:[1,0,1]
	v_pk_add_f32 v[4:5], v[4:5], v[12:13]
	v_mov_b32_e32 v9, v7
	s_waitcnt vmcnt(2) lgkmcnt(1)
	v_pk_mul_f32 v[6:7], v[64:65], v[32:33] op_sel:[1,1] op_sel_hi:[0,1]
	v_pk_add_f32 v[4:5], v[4:5], v[8:9]
	v_pk_fma_f32 v[8:9], v[64:65], v[32:33], v[6:7] neg_lo:[0,0,1] neg_hi:[0,0,1]
	v_pk_fma_f32 v[6:7], v[64:65], v[32:33], v[6:7] op_sel_hi:[1,0,1]
	s_nop 0
	v_mov_b32_e32 v6, v35
	v_mov_b32_e32 v9, v7
	v_pk_mul_f32 v[6:7], v[66:67], v[6:7] op_sel:[1,0] op_sel_hi:[0,0]
	v_pk_add_f32 v[4:5], v[4:5], v[8:9]
	v_pk_fma_f32 v[8:9], v[66:67], v[34:35], v[6:7] neg_lo:[0,0,1] neg_hi:[0,0,1]
	v_pk_fma_f32 v[6:7], v[66:67], v[34:35], v[6:7] op_sel_hi:[1,0,1]
	s_nop 0
	v_mov_b32_e32 v9, v7
	s_waitcnt vmcnt(1) lgkmcnt(0)
	v_pk_mul_f32 v[6:7], v[72:73], v[68:69] op_sel:[1,1] op_sel_hi:[0,1]
	v_pk_add_f32 v[4:5], v[4:5], v[8:9]
	v_pk_fma_f32 v[8:9], v[72:73], v[68:69], v[6:7] neg_lo:[0,0,1] neg_hi:[0,0,1]
	v_pk_fma_f32 v[6:7], v[72:73], v[68:69], v[6:7] op_sel_hi:[1,0,1]
	s_nop 0
	v_mov_b32_e32 v9, v7
	v_pk_add_f32 v[4:5], v[4:5], v[8:9]
	s_waitcnt vmcnt(0)
	v_pk_add_f32 v[4:5], v[70:71], v[4:5] neg_lo:[0,1] neg_hi:[0,1]
	scratch_store_dwordx2 off, v[4:5], off offset:328
	s_and_saveexec_b64 s[0:1], vcc
	s_cbranch_execz .LBB58_287
; %bb.286:
	scratch_load_dwordx2 v[4:5], off, off offset:320
	v_mov_b32_e32 v3, v2
	scratch_store_dwordx2 off, v[2:3], off offset:320
	s_waitcnt vmcnt(1)
	ds_write_b64 v1, v[4:5]
.LBB58_287:
	s_or_b64 exec, exec, s[0:1]
	s_waitcnt lgkmcnt(0)
	; wave barrier
	scratch_load_dwordx4 v[4:7], off, off offset:328
	scratch_load_dwordx4 v[8:11], off, off offset:344
	scratch_load_dwordx4 v[12:15], off, off offset:360
	scratch_load_dwordx4 v[16:19], off, off offset:376
	scratch_load_dwordx4 v[20:23], off, off offset:392
	scratch_load_dwordx4 v[24:27], off, off offset:408
	scratch_load_dwordx4 v[28:31], off, off offset:424
	ds_read2_b64 v[32:35], v2 offset0:101 offset1:102
	ds_read2_b64 v[36:39], v2 offset0:103 offset1:104
	;; [unrolled: 1-line block ×4, first 2 shown]
	scratch_load_dwordx4 v[48:51], off, off offset:440
	scratch_load_dwordx4 v[52:55], off, off offset:456
	ds_read2_b64 v[56:59], v2 offset0:109 offset1:110
	ds_read2_b64 v[60:63], v2 offset0:111 offset1:112
	;; [unrolled: 1-line block ×5, first 2 shown]
	scratch_load_dwordx2 v[2:3], off, off offset:320
	v_cmp_lt_u32_e32 vcc, 39, v0
	s_waitcnt vmcnt(9) lgkmcnt(8)
	v_mul_f32_e32 v83, v32, v5
	v_mul_f32_e32 v86, v34, v7
	s_waitcnt vmcnt(8) lgkmcnt(7)
	v_mul_f32_e32 v87, v36, v9
	s_waitcnt vmcnt(7) lgkmcnt(6)
	v_mul_f32_e32 v89, v40, v13
	v_mul_f32_e32 v5, v33, v5
	;; [unrolled: 1-line block ×5, first 2 shown]
	s_waitcnt vmcnt(4) lgkmcnt(3)
	v_pk_mul_f32 v[80:81], v[60:61], v[24:25] op_sel:[1,1] op_sel_hi:[0,1]
	v_mov_b32_e32 v82, v27
	s_waitcnt vmcnt(3) lgkmcnt(2)
	v_pk_mul_f32 v[84:85], v[64:65], v[28:29] op_sel:[1,1] op_sel_hi:[0,1]
	v_fmac_f32_e32 v83, v33, v4
	v_mul_f32_e32 v90, v42, v15
	v_mul_f32_e32 v91, v44, v17
	;; [unrolled: 1-line block ×4, first 2 shown]
	v_fmac_f32_e32 v86, v35, v6
	v_fmac_f32_e32 v87, v37, v8
	;; [unrolled: 1-line block ×3, first 2 shown]
	v_fma_f32 v32, v32, v4, -v5
	v_fma_f32 v33, v34, v6, -v7
	;; [unrolled: 1-line block ×4, first 2 shown]
	v_pk_fma_f32 v[4:5], v[60:61], v[24:25], v[80:81] neg_lo:[0,0,1] neg_hi:[0,0,1]
	v_pk_fma_f32 v[6:7], v[60:61], v[24:25], v[80:81] op_sel_hi:[1,0,1]
	v_pk_mul_f32 v[8:9], v[62:63], v[82:83] op_sel:[1,0] op_sel_hi:[0,0]
	v_pk_fma_f32 v[12:13], v[64:65], v[28:29], v[84:85] op_sel_hi:[1,0,1]
	v_fmac_f32_e32 v90, v43, v14
	v_fma_f32 v14, v42, v14, -v15
	v_fma_f32 v15, v44, v16, -v17
	v_add_f32_e32 v12, 0, v83
	v_add_f32_e32 v17, 0, v32
	v_mov_b32_e32 v5, v7
	v_pk_fma_f32 v[6:7], v[62:63], v[26:27], v[8:9] neg_lo:[0,0,1] neg_hi:[0,0,1]
	v_pk_fma_f32 v[8:9], v[62:63], v[26:27], v[8:9] op_sel_hi:[1,0,1]
	v_mul_f32_e32 v88, v38, v11
	v_mul_f32_e32 v11, v39, v11
	v_add_f32_e32 v8, v12, v86
	v_add_f32_e32 v12, v17, v33
	v_fmac_f32_e32 v88, v39, v10
	v_fma_f32 v35, v38, v10, -v11
	v_mov_b32_e32 v7, v9
	v_add_f32_e32 v8, v8, v87
	v_add_f32_e32 v9, v12, v34
	;; [unrolled: 1-line block ×6, first 2 shown]
	v_mul_f32_e32 v92, v46, v19
	v_mul_f32_e32 v19, v47, v19
	v_fmac_f32_e32 v91, v45, v16
	v_add_f32_e32 v8, v8, v90
	v_add_f32_e32 v9, v9, v14
	v_mul_f32_e32 v77, v56, v21
	v_mul_f32_e32 v21, v57, v21
	v_fmac_f32_e32 v92, v47, v18
	v_fma_f32 v16, v46, v18, -v19
	v_add_f32_e32 v8, v8, v91
	v_add_f32_e32 v12, v9, v15
	v_mul_f32_e32 v79, v58, v23
	v_mul_f32_e32 v23, v59, v23
	v_fmac_f32_e32 v77, v57, v20
	v_fma_f32 v76, v56, v20, -v21
	v_add_f32_e32 v9, v8, v92
	v_add_f32_e32 v8, v12, v16
	v_fmac_f32_e32 v79, v59, v22
	v_fma_f32 v78, v58, v22, -v23
	v_pk_add_f32 v[8:9], v[8:9], v[76:77]
	v_pk_fma_f32 v[10:11], v[64:65], v[28:29], v[84:85] neg_lo:[0,0,1] neg_hi:[0,0,1]
	v_pk_add_f32 v[8:9], v[8:9], v[78:79]
	v_mov_b32_e32 v11, v13
	v_pk_add_f32 v[4:5], v[8:9], v[4:5]
	s_nop 0
	v_pk_add_f32 v[4:5], v[4:5], v[6:7]
	v_mov_b32_e32 v6, v31
	v_pk_mul_f32 v[6:7], v[66:67], v[6:7] op_sel:[1,0] op_sel_hi:[0,0]
	v_pk_fma_f32 v[8:9], v[66:67], v[30:31], v[6:7] neg_lo:[0,0,1] neg_hi:[0,0,1]
	v_pk_fma_f32 v[6:7], v[66:67], v[30:31], v[6:7] op_sel_hi:[1,0,1]
	v_pk_add_f32 v[4:5], v[4:5], v[10:11]
	v_mov_b32_e32 v9, v7
	s_waitcnt vmcnt(2) lgkmcnt(1)
	v_pk_mul_f32 v[6:7], v[68:69], v[48:49] op_sel:[1,1] op_sel_hi:[0,1]
	v_pk_add_f32 v[4:5], v[4:5], v[8:9]
	v_pk_fma_f32 v[8:9], v[68:69], v[48:49], v[6:7] neg_lo:[0,0,1] neg_hi:[0,0,1]
	v_pk_fma_f32 v[6:7], v[68:69], v[48:49], v[6:7] op_sel_hi:[1,0,1]
	s_nop 0
	v_mov_b32_e32 v6, v51
	v_mov_b32_e32 v9, v7
	v_pk_mul_f32 v[6:7], v[70:71], v[6:7] op_sel:[1,0] op_sel_hi:[0,0]
	v_pk_add_f32 v[4:5], v[4:5], v[8:9]
	v_pk_fma_f32 v[8:9], v[70:71], v[50:51], v[6:7] neg_lo:[0,0,1] neg_hi:[0,0,1]
	v_pk_fma_f32 v[6:7], v[70:71], v[50:51], v[6:7] op_sel_hi:[1,0,1]
	s_nop 0
	v_mov_b32_e32 v9, v7
	s_waitcnt vmcnt(1) lgkmcnt(0)
	v_pk_mul_f32 v[6:7], v[72:73], v[52:53] op_sel:[1,1] op_sel_hi:[0,1]
	v_pk_add_f32 v[4:5], v[4:5], v[8:9]
	v_pk_fma_f32 v[8:9], v[72:73], v[52:53], v[6:7] neg_lo:[0,0,1] neg_hi:[0,0,1]
	v_pk_fma_f32 v[6:7], v[72:73], v[52:53], v[6:7] op_sel_hi:[1,0,1]
	s_nop 0
	v_mov_b32_e32 v6, v55
	v_mov_b32_e32 v9, v7
	v_pk_mul_f32 v[6:7], v[74:75], v[6:7] op_sel:[1,0] op_sel_hi:[0,0]
	v_pk_add_f32 v[4:5], v[4:5], v[8:9]
	v_pk_fma_f32 v[8:9], v[74:75], v[54:55], v[6:7] neg_lo:[0,0,1] neg_hi:[0,0,1]
	v_pk_fma_f32 v[6:7], v[74:75], v[54:55], v[6:7] op_sel_hi:[1,0,1]
	s_nop 0
	v_mov_b32_e32 v9, v7
	v_pk_add_f32 v[4:5], v[4:5], v[8:9]
	s_waitcnt vmcnt(0)
	v_pk_add_f32 v[2:3], v[2:3], v[4:5] neg_lo:[0,1] neg_hi:[0,1]
	scratch_store_dwordx2 off, v[2:3], off offset:320
	s_and_saveexec_b64 s[0:1], vcc
	s_cbranch_execz .LBB58_289
; %bb.288:
	scratch_load_dwordx2 v[2:3], off, off offset:312
	v_mov_b32_e32 v4, 0
	v_mov_b32_e32 v5, v4
	scratch_store_dwordx2 off, v[4:5], off offset:312
	s_waitcnt vmcnt(1)
	ds_write_b64 v1, v[2:3]
.LBB58_289:
	s_or_b64 exec, exec, s[0:1]
	s_waitcnt lgkmcnt(0)
	; wave barrier
	scratch_load_dwordx4 v[4:7], off, off offset:320
	scratch_load_dwordx4 v[8:11], off, off offset:336
	;; [unrolled: 1-line block ×9, first 2 shown]
	scratch_load_dwordx2 v[76:77], off, off offset:464
	scratch_load_dwordx2 v[78:79], off, off offset:312
	v_mov_b32_e32 v2, 0
	ds_read_b128 v[40:43], v2 offset:800
	ds_read_b128 v[44:47], v2 offset:816
	;; [unrolled: 1-line block ×9, first 2 shown]
	ds_read_b64 v[80:81], v2 offset:944
	v_cmp_lt_u32_e32 vcc, 38, v0
	s_waitcnt vmcnt(10) lgkmcnt(9)
	v_mul_f32_e32 v87, v42, v7
	v_mul_f32_e32 v3, v40, v5
	;; [unrolled: 1-line block ×3, first 2 shown]
	v_fmac_f32_e32 v87, v43, v6
	s_waitcnt vmcnt(9) lgkmcnt(8)
	v_mul_f32_e32 v88, v44, v9
	s_waitcnt vmcnt(5)
	v_mov_b32_e32 v86, v27
	v_mul_f32_e32 v89, v46, v11
	s_waitcnt lgkmcnt(7)
	v_mul_f32_e32 v91, v50, v15
	v_mul_f32_e32 v7, v43, v7
	;; [unrolled: 1-line block ×5, first 2 shown]
	v_fmac_f32_e32 v3, v41, v4
	v_fma_f32 v40, v40, v4, -v5
	s_waitcnt lgkmcnt(4)
	v_pk_mul_f32 v[4:5], v[62:63], v[86:87] op_sel:[1,0] op_sel_hi:[0,0]
	v_fmac_f32_e32 v88, v45, v8
	v_fma_f32 v41, v42, v6, -v7
	v_fma_f32 v8, v44, v8, -v9
	;; [unrolled: 1-line block ×4, first 2 shown]
	v_add_f32_e32 v3, 0, v3
	v_add_f32_e32 v15, 0, v40
	v_pk_fma_f32 v[6:7], v[62:63], v[26:27], v[4:5] neg_lo:[0,0,1] neg_hi:[0,0,1]
	v_pk_fma_f32 v[4:5], v[62:63], v[26:27], v[4:5] op_sel_hi:[1,0,1]
	v_add_f32_e32 v3, v3, v87
	v_add_f32_e32 v4, v15, v41
	v_mul_f32_e32 v90, v48, v13
	v_mul_f32_e32 v13, v49, v13
	v_fmac_f32_e32 v89, v47, v10
	v_add_f32_e32 v3, v3, v88
	v_add_f32_e32 v4, v4, v8
	v_fmac_f32_e32 v90, v49, v12
	v_fma_f32 v10, v48, v12, -v13
	v_add_f32_e32 v3, v3, v89
	v_add_f32_e32 v4, v4, v9
	v_mul_f32_e32 v92, v52, v17
	v_mul_f32_e32 v17, v53, v17
	v_fmac_f32_e32 v91, v51, v14
	v_add_f32_e32 v3, v3, v90
	v_add_f32_e32 v4, v4, v10
	v_mul_f32_e32 v93, v54, v19
	v_mul_f32_e32 v19, v55, v19
	v_fmac_f32_e32 v92, v53, v16
	v_fma_f32 v12, v52, v16, -v17
	v_add_f32_e32 v3, v3, v91
	v_add_f32_e32 v4, v4, v11
	v_mul_f32_e32 v94, v56, v21
	v_mul_f32_e32 v21, v57, v21
	v_fmac_f32_e32 v93, v55, v18
	v_fma_f32 v13, v54, v18, -v19
	;; [unrolled: 6-line block ×4, first 2 shown]
	v_mov_b32_e32 v7, v5
	v_add_f32_e32 v5, v3, v94
	v_add_f32_e32 v4, v4, v14
	v_fmac_f32_e32 v85, v61, v24
	v_fma_f32 v84, v60, v24, -v25
	v_pk_add_f32 v[4:5], v[4:5], v[82:83]
	s_nop 0
	v_pk_add_f32 v[4:5], v[4:5], v[84:85]
	s_nop 0
	v_pk_add_f32 v[4:5], v[4:5], v[6:7]
	s_waitcnt vmcnt(4) lgkmcnt(3)
	v_pk_mul_f32 v[6:7], v[64:65], v[28:29] op_sel:[1,1] op_sel_hi:[0,1]
	v_pk_fma_f32 v[8:9], v[64:65], v[28:29], v[6:7] neg_lo:[0,0,1] neg_hi:[0,0,1]
	v_pk_fma_f32 v[6:7], v[64:65], v[28:29], v[6:7] op_sel_hi:[1,0,1]
	s_nop 0
	v_mov_b32_e32 v6, v31
	v_mov_b32_e32 v9, v7
	v_pk_mul_f32 v[6:7], v[66:67], v[6:7] op_sel:[1,0] op_sel_hi:[0,0]
	v_pk_add_f32 v[4:5], v[4:5], v[8:9]
	v_pk_fma_f32 v[8:9], v[66:67], v[30:31], v[6:7] neg_lo:[0,0,1] neg_hi:[0,0,1]
	v_pk_fma_f32 v[6:7], v[66:67], v[30:31], v[6:7] op_sel_hi:[1,0,1]
	s_nop 0
	v_mov_b32_e32 v9, v7
	s_waitcnt vmcnt(3) lgkmcnt(2)
	v_pk_mul_f32 v[6:7], v[68:69], v[32:33] op_sel:[1,1] op_sel_hi:[0,1]
	v_pk_add_f32 v[4:5], v[4:5], v[8:9]
	v_pk_fma_f32 v[8:9], v[68:69], v[32:33], v[6:7] neg_lo:[0,0,1] neg_hi:[0,0,1]
	v_pk_fma_f32 v[6:7], v[68:69], v[32:33], v[6:7] op_sel_hi:[1,0,1]
	s_nop 0
	v_mov_b32_e32 v6, v35
	v_mov_b32_e32 v9, v7
	v_pk_mul_f32 v[6:7], v[70:71], v[6:7] op_sel:[1,0] op_sel_hi:[0,0]
	v_pk_add_f32 v[4:5], v[4:5], v[8:9]
	v_pk_fma_f32 v[8:9], v[70:71], v[34:35], v[6:7] neg_lo:[0,0,1] neg_hi:[0,0,1]
	v_pk_fma_f32 v[6:7], v[70:71], v[34:35], v[6:7] op_sel_hi:[1,0,1]
	s_nop 0
	v_mov_b32_e32 v9, v7
	s_waitcnt vmcnt(2) lgkmcnt(1)
	v_pk_mul_f32 v[6:7], v[72:73], v[36:37] op_sel:[1,1] op_sel_hi:[0,1]
	v_pk_add_f32 v[4:5], v[4:5], v[8:9]
	;; [unrolled: 14-line block ×3, first 2 shown]
	v_pk_fma_f32 v[8:9], v[80:81], v[76:77], v[6:7] neg_lo:[0,0,1] neg_hi:[0,0,1]
	v_pk_fma_f32 v[6:7], v[80:81], v[76:77], v[6:7] op_sel_hi:[1,0,1]
	s_nop 0
	v_mov_b32_e32 v9, v7
	v_pk_add_f32 v[4:5], v[4:5], v[8:9]
	s_waitcnt vmcnt(0)
	v_pk_add_f32 v[4:5], v[78:79], v[4:5] neg_lo:[0,1] neg_hi:[0,1]
	scratch_store_dwordx2 off, v[4:5], off offset:312
	s_and_saveexec_b64 s[0:1], vcc
	s_cbranch_execz .LBB58_291
; %bb.290:
	scratch_load_dwordx2 v[4:5], off, off offset:304
	v_mov_b32_e32 v3, v2
	scratch_store_dwordx2 off, v[2:3], off offset:304
	s_waitcnt vmcnt(1)
	ds_write_b64 v1, v[4:5]
.LBB58_291:
	s_or_b64 exec, exec, s[0:1]
	s_waitcnt lgkmcnt(0)
	; wave barrier
	scratch_load_dwordx4 v[4:7], off, off offset:312
	scratch_load_dwordx4 v[8:11], off, off offset:328
	scratch_load_dwordx4 v[12:15], off, off offset:344
	scratch_load_dwordx4 v[16:19], off, off offset:360
	scratch_load_dwordx4 v[20:23], off, off offset:376
	scratch_load_dwordx4 v[24:27], off, off offset:392
	scratch_load_dwordx4 v[28:31], off, off offset:408
	ds_read2_b64 v[32:35], v2 offset0:99 offset1:100
	ds_read2_b64 v[36:39], v2 offset0:101 offset1:102
	;; [unrolled: 1-line block ×6, first 2 shown]
	scratch_load_dwordx4 v[56:59], off, off offset:424
	scratch_load_dwordx4 v[60:63], off, off offset:440
	;; [unrolled: 1-line block ×3, first 2 shown]
	ds_read2_b64 v[68:71], v2 offset0:111 offset1:112
	ds_read2_b64 v[72:75], v2 offset0:113 offset1:114
	;; [unrolled: 1-line block ×4, first 2 shown]
	scratch_load_dwordx2 v[2:3], off, off offset:304
	v_cmp_lt_u32_e32 vcc, 37, v0
	s_waitcnt vmcnt(10) lgkmcnt(9)
	v_mul_f32_e32 v90, v32, v5
	v_mul_f32_e32 v5, v33, v5
	v_mul_f32_e32 v91, v34, v7
	s_waitcnt vmcnt(9) lgkmcnt(8)
	v_mul_f32_e32 v92, v36, v9
	s_waitcnt vmcnt(8) lgkmcnt(7)
	v_mul_f32_e32 v95, v42, v15
	v_mul_f32_e32 v7, v35, v7
	;; [unrolled: 1-line block ×4, first 2 shown]
	v_fmac_f32_e32 v90, v33, v4
	v_fma_f32 v4, v32, v4, -v5
	v_fmac_f32_e32 v91, v35, v6
	v_fmac_f32_e32 v95, v43, v14
	v_fma_f32 v5, v34, v6, -v7
	v_fma_f32 v6, v36, v8, -v9
	;; [unrolled: 1-line block ×3, first 2 shown]
	v_add_f32_e32 v14, 0, v90
	v_add_f32_e32 v4, 0, v4
	v_mul_f32_e32 v93, v38, v11
	v_mul_f32_e32 v11, v39, v11
	v_fmac_f32_e32 v92, v37, v8
	v_add_f32_e32 v14, v14, v91
	v_add_f32_e32 v4, v4, v5
	v_mul_f32_e32 v94, v40, v13
	v_mul_f32_e32 v13, v41, v13
	v_fmac_f32_e32 v93, v39, v10
	v_fma_f32 v7, v38, v10, -v11
	v_add_f32_e32 v5, v14, v92
	v_add_f32_e32 v4, v4, v6
	v_fmac_f32_e32 v94, v41, v12
	v_fma_f32 v8, v40, v12, -v13
	v_add_f32_e32 v5, v5, v93
	v_add_f32_e32 v4, v4, v7
	s_waitcnt vmcnt(7) lgkmcnt(6)
	v_mul_f32_e32 v96, v44, v17
	v_mul_f32_e32 v17, v45, v17
	v_add_f32_e32 v5, v5, v94
	v_add_f32_e32 v4, v4, v8
	v_mul_f32_e32 v97, v46, v19
	v_mul_f32_e32 v19, v47, v19
	v_fmac_f32_e32 v96, v45, v16
	v_fma_f32 v10, v44, v16, -v17
	v_add_f32_e32 v5, v5, v95
	v_add_f32_e32 v4, v4, v9
	s_waitcnt vmcnt(6) lgkmcnt(5)
	v_mul_f32_e32 v98, v48, v21
	v_mul_f32_e32 v21, v49, v21
	v_fmac_f32_e32 v97, v47, v18
	v_fma_f32 v11, v46, v18, -v19
	v_add_f32_e32 v5, v5, v96
	v_add_f32_e32 v4, v4, v10
	v_mul_f32_e32 v99, v50, v23
	v_mul_f32_e32 v23, v51, v23
	v_fmac_f32_e32 v98, v49, v20
	v_fma_f32 v12, v48, v20, -v21
	v_add_f32_e32 v5, v5, v97
	v_add_f32_e32 v4, v4, v11
	s_waitcnt vmcnt(5) lgkmcnt(4)
	v_mul_f32_e32 v85, v52, v25
	v_mul_f32_e32 v25, v53, v25
	v_fmac_f32_e32 v99, v51, v22
	v_fma_f32 v13, v50, v22, -v23
	v_add_f32_e32 v5, v5, v98
	v_add_f32_e32 v4, v4, v12
	v_mul_f32_e32 v87, v54, v27
	v_mul_f32_e32 v27, v55, v27
	s_waitcnt vmcnt(4) lgkmcnt(3)
	v_pk_mul_f32 v[88:89], v[68:69], v[28:29] op_sel:[1,1] op_sel_hi:[0,1]
	v_fmac_f32_e32 v85, v53, v24
	v_fma_f32 v84, v52, v24, -v25
	v_add_f32_e32 v5, v5, v99
	v_add_f32_e32 v4, v4, v13
	v_fmac_f32_e32 v87, v55, v26
	v_fma_f32 v86, v54, v26, -v27
	v_pk_add_f32 v[4:5], v[4:5], v[84:85]
	v_pk_fma_f32 v[6:7], v[68:69], v[28:29], v[88:89] neg_lo:[0,0,1] neg_hi:[0,0,1]
	v_pk_fma_f32 v[8:9], v[68:69], v[28:29], v[88:89] op_sel_hi:[1,0,1]
	v_pk_add_f32 v[4:5], v[4:5], v[86:87]
	v_mov_b32_e32 v7, v9
	v_pk_add_f32 v[4:5], v[4:5], v[6:7]
	v_mov_b32_e32 v6, v31
	v_pk_mul_f32 v[6:7], v[70:71], v[6:7] op_sel:[1,0] op_sel_hi:[0,0]
	v_pk_fma_f32 v[8:9], v[70:71], v[30:31], v[6:7] neg_lo:[0,0,1] neg_hi:[0,0,1]
	v_pk_fma_f32 v[6:7], v[70:71], v[30:31], v[6:7] op_sel_hi:[1,0,1]
	s_nop 0
	v_mov_b32_e32 v9, v7
	s_waitcnt vmcnt(3) lgkmcnt(2)
	v_pk_mul_f32 v[6:7], v[72:73], v[56:57] op_sel:[1,1] op_sel_hi:[0,1]
	v_pk_add_f32 v[4:5], v[4:5], v[8:9]
	v_pk_fma_f32 v[8:9], v[72:73], v[56:57], v[6:7] neg_lo:[0,0,1] neg_hi:[0,0,1]
	v_pk_fma_f32 v[6:7], v[72:73], v[56:57], v[6:7] op_sel_hi:[1,0,1]
	s_nop 0
	v_mov_b32_e32 v6, v59
	v_mov_b32_e32 v9, v7
	v_pk_mul_f32 v[6:7], v[74:75], v[6:7] op_sel:[1,0] op_sel_hi:[0,0]
	v_pk_add_f32 v[4:5], v[4:5], v[8:9]
	v_pk_fma_f32 v[8:9], v[74:75], v[58:59], v[6:7] neg_lo:[0,0,1] neg_hi:[0,0,1]
	v_pk_fma_f32 v[6:7], v[74:75], v[58:59], v[6:7] op_sel_hi:[1,0,1]
	s_nop 0
	v_mov_b32_e32 v9, v7
	s_waitcnt vmcnt(2) lgkmcnt(1)
	v_pk_mul_f32 v[6:7], v[76:77], v[60:61] op_sel:[1,1] op_sel_hi:[0,1]
	v_pk_add_f32 v[4:5], v[4:5], v[8:9]
	v_pk_fma_f32 v[8:9], v[76:77], v[60:61], v[6:7] neg_lo:[0,0,1] neg_hi:[0,0,1]
	v_pk_fma_f32 v[6:7], v[76:77], v[60:61], v[6:7] op_sel_hi:[1,0,1]
	s_nop 0
	v_mov_b32_e32 v6, v63
	v_mov_b32_e32 v9, v7
	v_pk_mul_f32 v[6:7], v[78:79], v[6:7] op_sel:[1,0] op_sel_hi:[0,0]
	v_pk_add_f32 v[4:5], v[4:5], v[8:9]
	;; [unrolled: 14-line block ×3, first 2 shown]
	v_pk_fma_f32 v[8:9], v[82:83], v[66:67], v[6:7] neg_lo:[0,0,1] neg_hi:[0,0,1]
	v_pk_fma_f32 v[6:7], v[82:83], v[66:67], v[6:7] op_sel_hi:[1,0,1]
	s_nop 0
	v_mov_b32_e32 v9, v7
	v_pk_add_f32 v[4:5], v[4:5], v[8:9]
	s_waitcnt vmcnt(0)
	v_pk_add_f32 v[2:3], v[2:3], v[4:5] neg_lo:[0,1] neg_hi:[0,1]
	scratch_store_dwordx2 off, v[2:3], off offset:304
	s_and_saveexec_b64 s[0:1], vcc
	s_cbranch_execz .LBB58_293
; %bb.292:
	scratch_load_dwordx2 v[2:3], off, off offset:296
	v_mov_b32_e32 v4, 0
	v_mov_b32_e32 v5, v4
	scratch_store_dwordx2 off, v[4:5], off offset:296
	s_waitcnt vmcnt(1)
	ds_write_b64 v1, v[2:3]
.LBB58_293:
	s_or_b64 exec, exec, s[0:1]
	s_waitcnt lgkmcnt(0)
	; wave barrier
	scratch_load_dwordx4 v[2:5], off, off offset:304
	scratch_load_dwordx4 v[6:9], off, off offset:320
	;; [unrolled: 1-line block ×10, first 2 shown]
	scratch_load_dwordx2 v[76:77], off, off offset:464
	scratch_load_dwordx2 v[78:79], off, off offset:296
	v_mov_b32_e32 v10, 0
	ds_read_b128 v[44:47], v10 offset:784
	ds_read_b128 v[48:51], v10 offset:800
	ds_read_b128 v[52:55], v10 offset:816
	ds_read_b128 v[56:59], v10 offset:832
	ds_read_b128 v[60:63], v10 offset:848
	ds_read_b128 v[64:67], v10 offset:864
	ds_read_b128 v[68:71], v10 offset:880
	ds_read_b128 v[72:75], v10 offset:896
	v_cmp_lt_u32_e32 vcc, 36, v0
	s_waitcnt vmcnt(11) lgkmcnt(7)
	v_mul_f32_e32 v11, v44, v3
	v_mul_f32_e32 v3, v45, v3
	;; [unrolled: 1-line block ×4, first 2 shown]
	v_fmac_f32_e32 v11, v45, v2
	v_fma_f32 v2, v44, v2, -v3
	s_waitcnt vmcnt(10) lgkmcnt(6)
	v_mul_f32_e32 v82, v48, v7
	v_mul_f32_e32 v7, v49, v7
	v_fma_f32 v3, v46, v4, -v5
	v_add_f32_e32 v2, 0, v2
	v_mul_f32_e32 v84, v50, v9
	v_mul_f32_e32 v9, v51, v9
	v_fmac_f32_e32 v80, v47, v4
	v_fma_f32 v4, v48, v6, -v7
	v_add_f32_e32 v11, 0, v11
	v_add_f32_e32 v2, v2, v3
	s_waitcnt vmcnt(9) lgkmcnt(5)
	v_mul_f32_e32 v85, v52, v13
	v_mul_f32_e32 v13, v53, v13
	v_fmac_f32_e32 v82, v49, v6
	v_fma_f32 v5, v50, v8, -v9
	v_add_f32_e32 v11, v11, v80
	v_add_f32_e32 v2, v2, v4
	v_mul_f32_e32 v86, v54, v15
	v_mul_f32_e32 v15, v55, v15
	v_fmac_f32_e32 v84, v51, v8
	v_fma_f32 v6, v52, v12, -v13
	v_add_f32_e32 v3, v11, v82
	v_add_f32_e32 v2, v2, v5
	s_waitcnt vmcnt(8) lgkmcnt(4)
	v_mul_f32_e32 v87, v56, v17
	v_mul_f32_e32 v17, v57, v17
	v_fmac_f32_e32 v85, v53, v12
	v_fma_f32 v7, v54, v14, -v15
	v_add_f32_e32 v3, v3, v84
	;; [unrolled: 13-line block ×4, first 2 shown]
	v_add_f32_e32 v2, v2, v12
	v_fmac_f32_e32 v90, v63, v22
	v_fma_f32 v14, v64, v24, -v25
	v_add_f32_e32 v3, v3, v89
	v_add_f32_e32 v2, v2, v13
	v_mul_f32_e32 v81, v66, v27
	v_fmac_f32_e32 v91, v65, v24
	v_add_f32_e32 v3, v3, v90
	v_add_f32_e32 v12, v2, v14
	v_mul_f32_e32 v2, v67, v27
	s_waitcnt vmcnt(5)
	v_mov_b32_e32 v16, v31
	s_waitcnt lgkmcnt(1)
	v_mul_f32_e32 v83, v68, v29
	v_fmac_f32_e32 v81, v67, v26
	v_add_f32_e32 v13, v3, v91
	v_fma_f32 v80, v66, v26, -v2
	v_mul_f32_e32 v2, v69, v29
	v_pk_mul_f32 v[16:17], v[70:71], v[16:17] op_sel:[1,0] op_sel_hi:[0,0]
	v_fmac_f32_e32 v83, v69, v28
	v_fma_f32 v82, v68, v28, -v2
	v_pk_add_f32 v[12:13], v[12:13], v[80:81]
	v_pk_fma_f32 v[18:19], v[70:71], v[30:31], v[16:17] neg_lo:[0,0,1] neg_hi:[0,0,1]
	v_pk_fma_f32 v[16:17], v[70:71], v[30:31], v[16:17] op_sel_hi:[1,0,1]
	v_pk_add_f32 v[12:13], v[12:13], v[82:83]
	v_mov_b32_e32 v19, v17
	s_waitcnt vmcnt(4) lgkmcnt(0)
	v_pk_mul_f32 v[16:17], v[72:73], v[32:33] op_sel:[1,1] op_sel_hi:[0,1]
	v_pk_add_f32 v[12:13], v[12:13], v[18:19]
	v_pk_fma_f32 v[18:19], v[72:73], v[32:33], v[16:17] neg_lo:[0,0,1] neg_hi:[0,0,1]
	v_pk_fma_f32 v[16:17], v[72:73], v[32:33], v[16:17] op_sel_hi:[1,0,1]
	ds_read_b128 v[2:5], v10 offset:912
	ds_read_b128 v[6:9], v10 offset:928
	ds_read_b64 v[14:15], v10 offset:944
	v_mov_b32_e32 v16, v35
	v_mov_b32_e32 v19, v17
	v_pk_mul_f32 v[16:17], v[74:75], v[16:17] op_sel:[1,0] op_sel_hi:[0,0]
	v_pk_add_f32 v[12:13], v[12:13], v[18:19]
	v_pk_fma_f32 v[18:19], v[74:75], v[34:35], v[16:17] neg_lo:[0,0,1] neg_hi:[0,0,1]
	v_pk_fma_f32 v[16:17], v[74:75], v[34:35], v[16:17] op_sel_hi:[1,0,1]
	s_nop 0
	v_mov_b32_e32 v19, v17
	s_waitcnt vmcnt(3) lgkmcnt(2)
	v_pk_mul_f32 v[16:17], v[2:3], v[36:37] op_sel:[1,1] op_sel_hi:[0,1]
	v_pk_add_f32 v[12:13], v[12:13], v[18:19]
	v_pk_fma_f32 v[18:19], v[2:3], v[36:37], v[16:17] neg_lo:[0,0,1] neg_hi:[0,0,1]
	v_pk_fma_f32 v[2:3], v[2:3], v[36:37], v[16:17] op_sel_hi:[1,0,1]
	s_nop 0
	v_mov_b32_e32 v19, v3
	v_pk_add_f32 v[2:3], v[12:13], v[18:19]
	v_mov_b32_e32 v12, v39
	v_pk_mul_f32 v[12:13], v[4:5], v[12:13] op_sel:[1,0] op_sel_hi:[0,0]
	v_pk_fma_f32 v[16:17], v[4:5], v[38:39], v[12:13] neg_lo:[0,0,1] neg_hi:[0,0,1]
	v_pk_fma_f32 v[4:5], v[4:5], v[38:39], v[12:13] op_sel_hi:[1,0,1]
	s_nop 0
	v_mov_b32_e32 v17, v5
	s_waitcnt vmcnt(2) lgkmcnt(1)
	v_pk_mul_f32 v[4:5], v[6:7], v[40:41] op_sel:[1,1] op_sel_hi:[0,1]
	v_pk_fma_f32 v[12:13], v[6:7], v[40:41], v[4:5] neg_lo:[0,0,1] neg_hi:[0,0,1]
	v_pk_fma_f32 v[4:5], v[6:7], v[40:41], v[4:5] op_sel_hi:[1,0,1]
	v_pk_add_f32 v[2:3], v[2:3], v[16:17]
	v_mov_b32_e32 v4, v43
	v_mov_b32_e32 v13, v5
	v_pk_mul_f32 v[4:5], v[8:9], v[4:5] op_sel:[1,0] op_sel_hi:[0,0]
	v_pk_fma_f32 v[6:7], v[8:9], v[42:43], v[4:5] neg_lo:[0,0,1] neg_hi:[0,0,1]
	v_pk_fma_f32 v[4:5], v[8:9], v[42:43], v[4:5] op_sel_hi:[1,0,1]
	v_pk_add_f32 v[2:3], v[2:3], v[12:13]
	v_mov_b32_e32 v7, v5
	s_waitcnt vmcnt(1) lgkmcnt(0)
	v_pk_mul_f32 v[4:5], v[14:15], v[76:77] op_sel:[1,1] op_sel_hi:[0,1]
	v_pk_add_f32 v[2:3], v[2:3], v[6:7]
	v_pk_fma_f32 v[6:7], v[14:15], v[76:77], v[4:5] neg_lo:[0,0,1] neg_hi:[0,0,1]
	v_pk_fma_f32 v[4:5], v[14:15], v[76:77], v[4:5] op_sel_hi:[1,0,1]
	s_nop 0
	v_mov_b32_e32 v7, v5
	v_pk_add_f32 v[2:3], v[2:3], v[6:7]
	s_waitcnt vmcnt(0)
	v_pk_add_f32 v[2:3], v[78:79], v[2:3] neg_lo:[0,1] neg_hi:[0,1]
	scratch_store_dwordx2 off, v[2:3], off offset:296
	s_and_saveexec_b64 s[0:1], vcc
	s_cbranch_execz .LBB58_295
; %bb.294:
	scratch_load_dwordx2 v[2:3], off, off offset:288
	v_mov_b32_e32 v11, v10
	scratch_store_dwordx2 off, v[10:11], off offset:288
	s_waitcnt vmcnt(1)
	ds_write_b64 v1, v[2:3]
.LBB58_295:
	s_or_b64 exec, exec, s[0:1]
	s_waitcnt lgkmcnt(0)
	; wave barrier
	scratch_load_dwordx4 v[6:9], off, off offset:296
	scratch_load_dwordx4 v[12:15], off, off offset:312
	;; [unrolled: 1-line block ×7, first 2 shown]
	ds_read2_b64 v[36:39], v10 offset0:97 offset1:98
	ds_read2_b64 v[40:43], v10 offset0:99 offset1:100
	;; [unrolled: 1-line block ×6, first 2 shown]
	scratch_load_dwordx4 v[60:63], off, off offset:408
	scratch_load_dwordx4 v[64:67], off, off offset:424
	;; [unrolled: 1-line block ×4, first 2 shown]
	ds_read2_b64 v[72:75], v10 offset0:109 offset1:110
	ds_read2_b64 v[76:79], v10 offset0:111 offset1:112
	scratch_load_dwordx2 v[80:81], off, off offset:288
	v_cmp_lt_u32_e32 vcc, 35, v0
	s_waitcnt vmcnt(11) lgkmcnt(7)
	v_mul_f32_e32 v11, v36, v7
	v_mul_f32_e32 v82, v38, v9
	;; [unrolled: 1-line block ×3, first 2 shown]
	v_fmac_f32_e32 v11, v37, v6
	s_waitcnt vmcnt(10) lgkmcnt(6)
	v_mul_f32_e32 v84, v40, v13
	v_mul_f32_e32 v9, v39, v9
	v_fmac_f32_e32 v82, v39, v8
	v_fma_f32 v6, v36, v6, -v7
	v_add_f32_e32 v11, 0, v11
	v_mul_f32_e32 v86, v42, v15
	v_fmac_f32_e32 v84, v41, v12
	v_fma_f32 v7, v38, v8, -v9
	v_add_f32_e32 v6, 0, v6
	v_add_f32_e32 v11, v11, v82
	s_waitcnt vmcnt(9) lgkmcnt(5)
	v_mul_f32_e32 v87, v44, v17
	v_mul_f32_e32 v13, v41, v13
	v_fmac_f32_e32 v86, v43, v14
	v_add_f32_e32 v6, v6, v7
	v_add_f32_e32 v7, v11, v84
	v_mul_f32_e32 v88, v46, v19
	v_mul_f32_e32 v15, v43, v15
	v_fmac_f32_e32 v87, v45, v16
	v_fma_f32 v8, v40, v12, -v13
	v_add_f32_e32 v7, v7, v86
	s_waitcnt vmcnt(8) lgkmcnt(4)
	v_mul_f32_e32 v89, v48, v21
	v_mul_f32_e32 v17, v45, v17
	v_fmac_f32_e32 v88, v47, v18
	v_fma_f32 v9, v42, v14, -v15
	v_add_f32_e32 v6, v6, v8
	v_add_f32_e32 v7, v7, v87
	v_mul_f32_e32 v90, v50, v23
	v_mul_f32_e32 v19, v47, v19
	v_fmac_f32_e32 v89, v49, v20
	v_fma_f32 v12, v44, v16, -v17
	v_add_f32_e32 v6, v6, v9
	v_add_f32_e32 v7, v7, v88
	s_waitcnt vmcnt(7) lgkmcnt(3)
	v_mul_f32_e32 v91, v52, v25
	v_mul_f32_e32 v21, v49, v21
	v_fmac_f32_e32 v90, v51, v22
	v_fma_f32 v13, v46, v18, -v19
	v_add_f32_e32 v6, v6, v12
	v_add_f32_e32 v7, v7, v89
	v_mul_f32_e32 v92, v54, v27
	v_mul_f32_e32 v23, v51, v23
	v_fmac_f32_e32 v91, v53, v24
	v_fma_f32 v14, v48, v20, -v21
	v_add_f32_e32 v6, v6, v13
	;; [unrolled: 13-line block ×3, first 2 shown]
	v_add_f32_e32 v7, v7, v92
	v_mul_f32_e32 v29, v57, v29
	v_fmac_f32_e32 v94, v59, v30
	v_fma_f32 v17, v54, v26, -v27
	v_add_f32_e32 v6, v6, v16
	v_add_f32_e32 v7, v7, v93
	v_fma_f32 v18, v56, v28, -v29
	v_add_f32_e32 v6, v6, v17
	v_add_f32_e32 v21, v7, v94
	v_mul_f32_e32 v7, v59, v31
	v_add_f32_e32 v6, v6, v18
	v_fma_f32 v7, v58, v30, -v7
	s_waitcnt vmcnt(5) lgkmcnt(1)
	v_mul_f32_e32 v83, v72, v33
	v_add_f32_e32 v20, v6, v7
	v_mul_f32_e32 v6, v73, v33
	v_fmac_f32_e32 v83, v73, v32
	v_fma_f32 v82, v72, v32, -v6
	v_mul_f32_e32 v6, v75, v35
	v_fma_f32 v84, v74, v34, -v6
	ds_read2_b64 v[6:9], v10 offset0:113 offset1:114
	ds_read2_b64 v[12:15], v10 offset0:115 offset1:116
	;; [unrolled: 1-line block ×3, first 2 shown]
	v_pk_add_f32 v[10:11], v[20:21], v[82:83]
	s_waitcnt vmcnt(4) lgkmcnt(3)
	v_pk_mul_f32 v[20:21], v[76:77], v[60:61] op_sel:[1,1] op_sel_hi:[0,1]
	v_mul_f32_e32 v85, v74, v35
	v_pk_fma_f32 v[22:23], v[76:77], v[60:61], v[20:21] neg_lo:[0,0,1] neg_hi:[0,0,1]
	v_pk_fma_f32 v[20:21], v[76:77], v[60:61], v[20:21] op_sel_hi:[1,0,1]
	v_fmac_f32_e32 v85, v75, v34
	v_mov_b32_e32 v20, v63
	v_pk_add_f32 v[10:11], v[10:11], v[84:85]
	v_mov_b32_e32 v23, v21
	v_pk_mul_f32 v[20:21], v[78:79], v[20:21] op_sel:[1,0] op_sel_hi:[0,0]
	v_pk_add_f32 v[10:11], v[10:11], v[22:23]
	v_pk_fma_f32 v[22:23], v[78:79], v[62:63], v[20:21] neg_lo:[0,0,1] neg_hi:[0,0,1]
	v_pk_fma_f32 v[20:21], v[78:79], v[62:63], v[20:21] op_sel_hi:[1,0,1]
	s_nop 0
	v_mov_b32_e32 v23, v21
	s_waitcnt vmcnt(3) lgkmcnt(2)
	v_pk_mul_f32 v[20:21], v[6:7], v[64:65] op_sel:[1,1] op_sel_hi:[0,1]
	v_pk_add_f32 v[10:11], v[10:11], v[22:23]
	v_pk_fma_f32 v[22:23], v[6:7], v[64:65], v[20:21] neg_lo:[0,0,1] neg_hi:[0,0,1]
	v_pk_fma_f32 v[6:7], v[6:7], v[64:65], v[20:21] op_sel_hi:[1,0,1]
	s_nop 0
	v_mov_b32_e32 v23, v7
	v_pk_add_f32 v[6:7], v[10:11], v[22:23]
	v_mov_b32_e32 v10, v67
	v_pk_mul_f32 v[10:11], v[8:9], v[10:11] op_sel:[1,0] op_sel_hi:[0,0]
	v_pk_fma_f32 v[20:21], v[8:9], v[66:67], v[10:11] neg_lo:[0,0,1] neg_hi:[0,0,1]
	v_pk_fma_f32 v[8:9], v[8:9], v[66:67], v[10:11] op_sel_hi:[1,0,1]
	s_nop 0
	v_mov_b32_e32 v21, v9
	s_waitcnt vmcnt(2) lgkmcnt(1)
	v_pk_mul_f32 v[8:9], v[12:13], v[68:69] op_sel:[1,1] op_sel_hi:[0,1]
	v_pk_fma_f32 v[10:11], v[12:13], v[68:69], v[8:9] neg_lo:[0,0,1] neg_hi:[0,0,1]
	v_pk_fma_f32 v[8:9], v[12:13], v[68:69], v[8:9] op_sel_hi:[1,0,1]
	v_pk_add_f32 v[6:7], v[6:7], v[20:21]
	v_mov_b32_e32 v8, v71
	v_mov_b32_e32 v11, v9
	v_pk_mul_f32 v[8:9], v[14:15], v[8:9] op_sel:[1,0] op_sel_hi:[0,0]
	v_pk_add_f32 v[6:7], v[6:7], v[10:11]
	v_pk_fma_f32 v[10:11], v[14:15], v[70:71], v[8:9] neg_lo:[0,0,1] neg_hi:[0,0,1]
	v_pk_fma_f32 v[8:9], v[14:15], v[70:71], v[8:9] op_sel_hi:[1,0,1]
	s_nop 0
	v_mov_b32_e32 v11, v9
	s_waitcnt vmcnt(1) lgkmcnt(0)
	v_pk_mul_f32 v[8:9], v[16:17], v[2:3] op_sel:[1,1] op_sel_hi:[0,1]
	v_pk_add_f32 v[6:7], v[6:7], v[10:11]
	v_pk_fma_f32 v[10:11], v[16:17], v[2:3], v[8:9] neg_lo:[0,0,1] neg_hi:[0,0,1]
	v_pk_fma_f32 v[2:3], v[16:17], v[2:3], v[8:9] op_sel_hi:[1,0,1]
	s_nop 0
	v_mov_b32_e32 v11, v3
	v_pk_add_f32 v[2:3], v[6:7], v[10:11]
	v_mov_b32_e32 v6, v5
	v_pk_mul_f32 v[6:7], v[18:19], v[6:7] op_sel:[1,0] op_sel_hi:[0,0]
	v_pk_fma_f32 v[8:9], v[18:19], v[4:5], v[6:7] neg_lo:[0,0,1] neg_hi:[0,0,1]
	v_pk_fma_f32 v[4:5], v[18:19], v[4:5], v[6:7] op_sel_hi:[1,0,1]
	s_nop 0
	v_mov_b32_e32 v9, v5
	v_pk_add_f32 v[2:3], v[2:3], v[8:9]
	s_waitcnt vmcnt(0)
	v_pk_add_f32 v[2:3], v[80:81], v[2:3] neg_lo:[0,1] neg_hi:[0,1]
	scratch_store_dwordx2 off, v[2:3], off offset:288
	s_and_saveexec_b64 s[0:1], vcc
	s_cbranch_execz .LBB58_297
; %bb.296:
	scratch_load_dwordx2 v[2:3], off, off offset:280
	v_mov_b32_e32 v4, 0
	v_mov_b32_e32 v5, v4
	scratch_store_dwordx2 off, v[4:5], off offset:280
	s_waitcnt vmcnt(1)
	ds_write_b64 v1, v[2:3]
.LBB58_297:
	s_or_b64 exec, exec, s[0:1]
	s_waitcnt lgkmcnt(0)
	; wave barrier
	scratch_load_dwordx4 v[6:9], off, off offset:288
	scratch_load_dwordx4 v[14:17], off, off offset:304
	scratch_load_dwordx4 v[24:27], off, off offset:320
	scratch_load_dwordx4 v[28:31], off, off offset:336
	scratch_load_dwordx4 v[18:21], off, off offset:352
	scratch_load_dwordx4 v[32:35], off, off offset:368
	scratch_load_dwordx4 v[40:43], off, off offset:384
	scratch_load_dwordx4 v[44:47], off, off offset:400
	scratch_load_dwordx4 v[48:51], off, off offset:416
	scratch_load_dwordx4 v[10:13], off, off offset:432
	scratch_load_dwordx4 v[2:5], off, off offset:448
	scratch_load_dwordx2 v[22:23], off, off offset:464
	scratch_load_dwordx2 v[36:37], off, off offset:280
	v_mov_b32_e32 v38, 0
	ds_read_b128 v[52:55], v38 offset:768
	ds_read_b128 v[56:59], v38 offset:784
	;; [unrolled: 1-line block ×8, first 2 shown]
	v_cmp_lt_u32_e32 vcc, 34, v0
	s_waitcnt vmcnt(12) lgkmcnt(7)
	v_mul_f32_e32 v39, v52, v7
	v_mul_f32_e32 v84, v54, v9
	;; [unrolled: 1-line block ×3, first 2 shown]
	v_fmac_f32_e32 v39, v53, v6
	s_waitcnt vmcnt(8) lgkmcnt(3)
	v_mul_f32_e32 v93, v68, v19
	v_mul_f32_e32 v19, v69, v19
	v_mul_f32_e32 v86, v56, v15
	v_mul_f32_e32 v9, v55, v9
	v_fmac_f32_e32 v84, v55, v8
	v_fmac_f32_e32 v93, v69, v18
	v_fma_f32 v6, v52, v6, -v7
	v_fma_f32 v18, v68, v18, -v19
	v_add_f32_e32 v19, 0, v39
	v_mul_f32_e32 v88, v58, v17
	v_fmac_f32_e32 v86, v57, v14
	v_fma_f32 v7, v54, v8, -v9
	v_add_f32_e32 v6, 0, v6
	v_add_f32_e32 v19, v19, v84
	v_mul_f32_e32 v89, v60, v25
	v_fmac_f32_e32 v88, v59, v16
	v_add_f32_e32 v6, v6, v7
	v_add_f32_e32 v7, v19, v86
	v_mul_f32_e32 v90, v62, v27
	v_fmac_f32_e32 v89, v61, v24
	v_add_f32_e32 v7, v7, v88
	v_mul_f32_e32 v91, v64, v29
	v_mul_f32_e32 v15, v57, v15
	v_fmac_f32_e32 v90, v63, v26
	v_add_f32_e32 v7, v7, v89
	v_mul_f32_e32 v92, v66, v31
	v_mul_f32_e32 v17, v59, v17
	v_fmac_f32_e32 v91, v65, v28
	v_fma_f32 v8, v56, v14, -v15
	v_add_f32_e32 v7, v7, v90
	v_mul_f32_e32 v25, v61, v25
	v_fmac_f32_e32 v92, v67, v30
	v_fma_f32 v9, v58, v16, -v17
	v_add_f32_e32 v6, v6, v8
	v_add_f32_e32 v7, v7, v91
	v_mul_f32_e32 v94, v70, v21
	v_mul_f32_e32 v27, v63, v27
	v_fma_f32 v14, v60, v24, -v25
	v_add_f32_e32 v6, v6, v9
	v_add_f32_e32 v7, v7, v92
	s_waitcnt vmcnt(7) lgkmcnt(2)
	v_mul_f32_e32 v95, v72, v33
	v_mul_f32_e32 v29, v65, v29
	v_fmac_f32_e32 v94, v71, v20
	v_fma_f32 v15, v62, v26, -v27
	v_add_f32_e32 v6, v6, v14
	v_add_f32_e32 v7, v7, v93
	v_mul_f32_e32 v96, v74, v35
	v_mul_f32_e32 v31, v67, v31
	v_fmac_f32_e32 v95, v73, v32
	v_fma_f32 v16, v64, v28, -v29
	v_add_f32_e32 v6, v6, v15
	v_add_f32_e32 v7, v7, v94
	s_waitcnt vmcnt(6) lgkmcnt(1)
	v_mul_f32_e32 v97, v76, v41
	v_fmac_f32_e32 v96, v75, v34
	v_fma_f32 v17, v66, v30, -v31
	v_add_f32_e32 v6, v6, v16
	v_add_f32_e32 v7, v7, v95
	v_mul_f32_e32 v21, v71, v21
	v_fmac_f32_e32 v97, v77, v40
	v_add_f32_e32 v6, v6, v17
	v_add_f32_e32 v7, v7, v96
	;; [unrolled: 1-line block ×4, first 2 shown]
	v_fma_f32 v7, v70, v20, -v21
	v_add_f32_e32 v6, v6, v7
	v_mul_f32_e32 v7, v73, v33
	v_fma_f32 v7, v72, v32, -v7
	v_add_f32_e32 v6, v6, v7
	v_mul_f32_e32 v7, v75, v35
	;; [unrolled: 3-line block ×4, first 2 shown]
	v_mul_f32_e32 v85, v78, v43
	v_fma_f32 v84, v78, v42, -v6
	s_waitcnt vmcnt(5) lgkmcnt(0)
	v_mul_f32_e32 v6, v81, v45
	v_mov_b32_e32 v28, v47
	v_mul_f32_e32 v87, v80, v45
	v_fmac_f32_e32 v85, v79, v42
	v_fma_f32 v86, v80, v44, -v6
	ds_read_b128 v[6:9], v38 offset:896
	ds_read_b128 v[14:17], v38 offset:912
	ds_read_b128 v[18:21], v38 offset:928
	ds_read_b64 v[26:27], v38 offset:944
	v_pk_mul_f32 v[28:29], v[82:83], v[28:29] op_sel:[1,0] op_sel_hi:[0,0]
	v_fmac_f32_e32 v87, v81, v44
	v_pk_add_f32 v[24:25], v[24:25], v[84:85]
	v_pk_fma_f32 v[30:31], v[82:83], v[46:47], v[28:29] neg_lo:[0,0,1] neg_hi:[0,0,1]
	v_pk_fma_f32 v[28:29], v[82:83], v[46:47], v[28:29] op_sel_hi:[1,0,1]
	v_pk_add_f32 v[24:25], v[24:25], v[86:87]
	v_mov_b32_e32 v31, v29
	s_waitcnt vmcnt(4) lgkmcnt(3)
	v_pk_mul_f32 v[28:29], v[6:7], v[48:49] op_sel:[1,1] op_sel_hi:[0,1]
	v_pk_add_f32 v[24:25], v[24:25], v[30:31]
	v_pk_fma_f32 v[30:31], v[6:7], v[48:49], v[28:29] neg_lo:[0,0,1] neg_hi:[0,0,1]
	v_pk_fma_f32 v[6:7], v[6:7], v[48:49], v[28:29] op_sel_hi:[1,0,1]
	s_nop 0
	v_mov_b32_e32 v31, v7
	v_pk_add_f32 v[6:7], v[24:25], v[30:31]
	v_mov_b32_e32 v24, v51
	v_pk_mul_f32 v[24:25], v[8:9], v[24:25] op_sel:[1,0] op_sel_hi:[0,0]
	v_pk_fma_f32 v[28:29], v[8:9], v[50:51], v[24:25] neg_lo:[0,0,1] neg_hi:[0,0,1]
	v_pk_fma_f32 v[8:9], v[8:9], v[50:51], v[24:25] op_sel_hi:[1,0,1]
	s_nop 0
	v_mov_b32_e32 v29, v9
	s_waitcnt vmcnt(3) lgkmcnt(2)
	v_pk_mul_f32 v[8:9], v[14:15], v[10:11] op_sel:[1,1] op_sel_hi:[0,1]
	v_pk_fma_f32 v[24:25], v[14:15], v[10:11], v[8:9] neg_lo:[0,0,1] neg_hi:[0,0,1]
	v_pk_fma_f32 v[8:9], v[14:15], v[10:11], v[8:9] op_sel_hi:[1,0,1]
	v_pk_add_f32 v[6:7], v[6:7], v[28:29]
	v_mov_b32_e32 v8, v13
	v_mov_b32_e32 v25, v9
	v_pk_mul_f32 v[8:9], v[16:17], v[8:9] op_sel:[1,0] op_sel_hi:[0,0]
	v_pk_fma_f32 v[10:11], v[16:17], v[12:13], v[8:9] neg_lo:[0,0,1] neg_hi:[0,0,1]
	v_pk_fma_f32 v[8:9], v[16:17], v[12:13], v[8:9] op_sel_hi:[1,0,1]
	v_pk_add_f32 v[6:7], v[6:7], v[24:25]
	v_mov_b32_e32 v11, v9
	s_waitcnt vmcnt(2) lgkmcnt(1)
	v_pk_mul_f32 v[8:9], v[18:19], v[2:3] op_sel:[1,1] op_sel_hi:[0,1]
	v_pk_add_f32 v[6:7], v[6:7], v[10:11]
	v_pk_fma_f32 v[10:11], v[18:19], v[2:3], v[8:9] neg_lo:[0,0,1] neg_hi:[0,0,1]
	v_pk_fma_f32 v[2:3], v[18:19], v[2:3], v[8:9] op_sel_hi:[1,0,1]
	s_nop 0
	v_mov_b32_e32 v11, v3
	v_pk_add_f32 v[2:3], v[6:7], v[10:11]
	v_mov_b32_e32 v6, v5
	v_pk_mul_f32 v[6:7], v[20:21], v[6:7] op_sel:[1,0] op_sel_hi:[0,0]
	v_pk_fma_f32 v[8:9], v[20:21], v[4:5], v[6:7] neg_lo:[0,0,1] neg_hi:[0,0,1]
	v_pk_fma_f32 v[4:5], v[20:21], v[4:5], v[6:7] op_sel_hi:[1,0,1]
	s_nop 0
	v_mov_b32_e32 v9, v5
	s_waitcnt vmcnt(1) lgkmcnt(0)
	v_pk_mul_f32 v[4:5], v[26:27], v[22:23] op_sel:[1,1] op_sel_hi:[0,1]
	v_pk_fma_f32 v[6:7], v[26:27], v[22:23], v[4:5] neg_lo:[0,0,1] neg_hi:[0,0,1]
	v_pk_fma_f32 v[4:5], v[26:27], v[22:23], v[4:5] op_sel_hi:[1,0,1]
	v_pk_add_f32 v[2:3], v[2:3], v[8:9]
	v_mov_b32_e32 v7, v5
	v_pk_add_f32 v[2:3], v[2:3], v[6:7]
	s_waitcnt vmcnt(0)
	v_pk_add_f32 v[2:3], v[36:37], v[2:3] neg_lo:[0,1] neg_hi:[0,1]
	scratch_store_dwordx2 off, v[2:3], off offset:280
	s_and_saveexec_b64 s[0:1], vcc
	s_cbranch_execz .LBB58_299
; %bb.298:
	scratch_load_dwordx2 v[2:3], off, off offset:272
	v_mov_b32_e32 v39, v38
	scratch_store_dwordx2 off, v[38:39], off offset:272
	s_waitcnt vmcnt(1)
	ds_write_b64 v1, v[2:3]
.LBB58_299:
	s_or_b64 exec, exec, s[0:1]
	s_waitcnt lgkmcnt(0)
	; wave barrier
	scratch_load_dwordx4 v[2:5], off, off offset:280
	scratch_load_dwordx4 v[14:17], off, off offset:296
	;; [unrolled: 1-line block ×8, first 2 shown]
	ds_read2_b64 v[48:51], v38 offset0:95 offset1:96
	ds_read2_b64 v[52:55], v38 offset0:97 offset1:98
	;; [unrolled: 1-line block ×8, first 2 shown]
	scratch_load_dwordx4 v[80:83], off, off offset:408
	scratch_load_dwordx4 v[26:29], off, off offset:424
	;; [unrolled: 1-line block ×4, first 2 shown]
	scratch_load_dwordx2 v[84:85], off, off offset:272
	v_cmp_lt_u32_e32 vcc, 33, v0
	s_waitcnt vmcnt(12) lgkmcnt(7)
	v_mul_f32_e32 v39, v48, v3
	v_mul_f32_e32 v86, v50, v5
	;; [unrolled: 1-line block ×3, first 2 shown]
	v_fmac_f32_e32 v39, v49, v2
	s_waitcnt vmcnt(8) lgkmcnt(3)
	v_mul_f32_e32 v95, v64, v19
	v_mul_f32_e32 v19, v65, v19
	v_mul_f32_e32 v88, v52, v15
	v_mul_f32_e32 v5, v51, v5
	v_fmac_f32_e32 v86, v51, v4
	v_fmac_f32_e32 v95, v65, v18
	v_fma_f32 v2, v48, v2, -v3
	v_fma_f32 v18, v64, v18, -v19
	v_add_f32_e32 v19, 0, v39
	v_mul_f32_e32 v90, v54, v17
	v_fmac_f32_e32 v88, v53, v14
	v_fma_f32 v3, v50, v4, -v5
	v_add_f32_e32 v2, 0, v2
	v_add_f32_e32 v19, v19, v86
	v_mul_f32_e32 v91, v56, v31
	v_fmac_f32_e32 v90, v55, v16
	v_add_f32_e32 v2, v2, v3
	v_add_f32_e32 v3, v19, v88
	v_mul_f32_e32 v92, v58, v33
	v_fmac_f32_e32 v91, v57, v30
	v_add_f32_e32 v3, v3, v90
	v_mul_f32_e32 v93, v60, v41
	v_fmac_f32_e32 v92, v59, v32
	;; [unrolled: 3-line block ×4, first 2 shown]
	v_add_f32_e32 v3, v3, v93
	v_mul_f32_e32 v96, v66, v21
	v_mul_f32_e32 v17, v55, v17
	v_fma_f32 v4, v52, v14, -v15
	v_add_f32_e32 v3, v3, v94
	s_waitcnt vmcnt(7) lgkmcnt(2)
	v_mul_f32_e32 v97, v68, v23
	v_mul_f32_e32 v31, v57, v31
	v_fmac_f32_e32 v96, v67, v20
	v_fma_f32 v5, v54, v16, -v17
	v_add_f32_e32 v2, v2, v4
	v_add_f32_e32 v3, v3, v95
	v_mul_f32_e32 v98, v70, v25
	v_mul_f32_e32 v33, v59, v33
	v_fmac_f32_e32 v97, v69, v22
	v_fma_f32 v14, v56, v30, -v31
	v_add_f32_e32 v2, v2, v5
	v_add_f32_e32 v3, v3, v96
	s_waitcnt vmcnt(6) lgkmcnt(1)
	v_mul_f32_e32 v99, v72, v35
	v_mul_f32_e32 v41, v61, v41
	v_fmac_f32_e32 v98, v71, v24
	v_fma_f32 v15, v58, v32, -v33
	v_add_f32_e32 v2, v2, v14
	v_add_f32_e32 v3, v3, v97
	v_mul_f32_e32 v100, v74, v37
	v_mul_f32_e32 v43, v63, v43
	v_fmac_f32_e32 v99, v73, v34
	v_fma_f32 v16, v60, v40, -v41
	v_add_f32_e32 v2, v2, v15
	v_add_f32_e32 v3, v3, v98
	v_fmac_f32_e32 v100, v75, v36
	v_fma_f32 v17, v62, v42, -v43
	v_add_f32_e32 v2, v2, v16
	v_add_f32_e32 v3, v3, v99
	;; [unrolled: 1-line block ×4, first 2 shown]
	v_mul_f32_e32 v3, v67, v21
	v_add_f32_e32 v2, v2, v18
	v_fma_f32 v3, v66, v20, -v3
	v_add_f32_e32 v2, v2, v3
	v_mul_f32_e32 v3, v69, v23
	v_fma_f32 v3, v68, v22, -v3
	v_add_f32_e32 v2, v2, v3
	v_mul_f32_e32 v3, v71, v25
	;; [unrolled: 3-line block ×4, first 2 shown]
	v_fma_f32 v3, v74, v36, -v3
	v_add_f32_e32 v30, v2, v3
	s_waitcnt vmcnt(5) lgkmcnt(0)
	v_mul_f32_e32 v2, v77, v45
	v_fma_f32 v86, v76, v44, -v2
	v_mul_f32_e32 v2, v79, v47
	v_fma_f32 v88, v78, v46, -v2
	ds_read2_b64 v[2:5], v38 offset0:111 offset1:112
	ds_read2_b64 v[14:17], v38 offset0:113 offset1:114
	;; [unrolled: 1-line block ×4, first 2 shown]
	v_mul_f32_e32 v87, v76, v45
	v_mul_f32_e32 v89, v78, v47
	v_fmac_f32_e32 v87, v77, v44
	s_waitcnt vmcnt(4) lgkmcnt(3)
	v_pk_mul_f32 v[32:33], v[2:3], v[80:81] op_sel:[1,1] op_sel_hi:[0,1]
	v_fmac_f32_e32 v89, v79, v46
	v_pk_add_f32 v[30:31], v[30:31], v[86:87]
	v_pk_fma_f32 v[34:35], v[2:3], v[80:81], v[32:33] neg_lo:[0,0,1] neg_hi:[0,0,1]
	v_pk_fma_f32 v[2:3], v[2:3], v[80:81], v[32:33] op_sel_hi:[1,0,1]
	v_pk_add_f32 v[30:31], v[30:31], v[88:89]
	v_mov_b32_e32 v35, v3
	v_pk_add_f32 v[2:3], v[30:31], v[34:35]
	v_mov_b32_e32 v30, v83
	v_pk_mul_f32 v[30:31], v[4:5], v[30:31] op_sel:[1,0] op_sel_hi:[0,0]
	v_pk_fma_f32 v[32:33], v[4:5], v[82:83], v[30:31] neg_lo:[0,0,1] neg_hi:[0,0,1]
	v_pk_fma_f32 v[4:5], v[4:5], v[82:83], v[30:31] op_sel_hi:[1,0,1]
	s_nop 0
	v_mov_b32_e32 v33, v5
	s_waitcnt vmcnt(3) lgkmcnt(2)
	v_pk_mul_f32 v[4:5], v[14:15], v[26:27] op_sel:[1,1] op_sel_hi:[0,1]
	v_pk_fma_f32 v[30:31], v[14:15], v[26:27], v[4:5] neg_lo:[0,0,1] neg_hi:[0,0,1]
	v_pk_fma_f32 v[4:5], v[14:15], v[26:27], v[4:5] op_sel_hi:[1,0,1]
	v_pk_add_f32 v[2:3], v[2:3], v[32:33]
	v_mov_b32_e32 v4, v29
	v_mov_b32_e32 v31, v5
	v_pk_mul_f32 v[4:5], v[16:17], v[4:5] op_sel:[1,0] op_sel_hi:[0,0]
	v_pk_fma_f32 v[14:15], v[16:17], v[28:29], v[4:5] neg_lo:[0,0,1] neg_hi:[0,0,1]
	v_pk_fma_f32 v[4:5], v[16:17], v[28:29], v[4:5] op_sel_hi:[1,0,1]
	v_pk_add_f32 v[2:3], v[2:3], v[30:31]
	v_mov_b32_e32 v15, v5
	s_waitcnt vmcnt(2) lgkmcnt(1)
	v_pk_mul_f32 v[4:5], v[18:19], v[10:11] op_sel:[1,1] op_sel_hi:[0,1]
	v_pk_add_f32 v[2:3], v[2:3], v[14:15]
	v_pk_fma_f32 v[14:15], v[18:19], v[10:11], v[4:5] neg_lo:[0,0,1] neg_hi:[0,0,1]
	v_pk_fma_f32 v[4:5], v[18:19], v[10:11], v[4:5] op_sel_hi:[1,0,1]
	s_nop 0
	v_mov_b32_e32 v4, v13
	v_mov_b32_e32 v15, v5
	v_pk_mul_f32 v[4:5], v[20:21], v[4:5] op_sel:[1,0] op_sel_hi:[0,0]
	v_pk_fma_f32 v[10:11], v[20:21], v[12:13], v[4:5] neg_lo:[0,0,1] neg_hi:[0,0,1]
	v_pk_fma_f32 v[4:5], v[20:21], v[12:13], v[4:5] op_sel_hi:[1,0,1]
	v_pk_add_f32 v[2:3], v[2:3], v[14:15]
	v_mov_b32_e32 v11, v5
	s_waitcnt vmcnt(1) lgkmcnt(0)
	v_pk_mul_f32 v[4:5], v[22:23], v[6:7] op_sel:[1,1] op_sel_hi:[0,1]
	v_pk_add_f32 v[2:3], v[2:3], v[10:11]
	v_pk_fma_f32 v[10:11], v[22:23], v[6:7], v[4:5] neg_lo:[0,0,1] neg_hi:[0,0,1]
	v_pk_fma_f32 v[4:5], v[22:23], v[6:7], v[4:5] op_sel_hi:[1,0,1]
	s_nop 0
	v_mov_b32_e32 v4, v9
	v_mov_b32_e32 v11, v5
	v_pk_mul_f32 v[4:5], v[24:25], v[4:5] op_sel:[1,0] op_sel_hi:[0,0]
	v_pk_fma_f32 v[6:7], v[24:25], v[8:9], v[4:5] neg_lo:[0,0,1] neg_hi:[0,0,1]
	v_pk_fma_f32 v[4:5], v[24:25], v[8:9], v[4:5] op_sel_hi:[1,0,1]
	v_pk_add_f32 v[2:3], v[2:3], v[10:11]
	v_mov_b32_e32 v7, v5
	v_pk_add_f32 v[2:3], v[2:3], v[6:7]
	s_waitcnt vmcnt(0)
	v_pk_add_f32 v[2:3], v[84:85], v[2:3] neg_lo:[0,1] neg_hi:[0,1]
	scratch_store_dwordx2 off, v[2:3], off offset:272
	s_and_saveexec_b64 s[0:1], vcc
	s_cbranch_execz .LBB58_301
; %bb.300:
	scratch_load_dwordx2 v[2:3], off, off offset:264
	v_mov_b32_e32 v4, 0
	v_mov_b32_e32 v5, v4
	scratch_store_dwordx2 off, v[4:5], off offset:264
	s_waitcnt vmcnt(1)
	ds_write_b64 v1, v[2:3]
.LBB58_301:
	s_or_b64 exec, exec, s[0:1]
	s_waitcnt lgkmcnt(0)
	; wave barrier
	scratch_load_dwordx4 v[10:13], off, off offset:272
	scratch_load_dwordx4 v[26:29], off, off offset:288
	;; [unrolled: 1-line block ×12, first 2 shown]
	scratch_load_dwordx2 v[50:51], off, off offset:464
	scratch_load_dwordx2 v[56:57], off, off offset:264
	v_mov_b32_e32 v58, 0
	ds_read_b128 v[52:55], v58 offset:752
	ds_read_b128 v[60:63], v58 offset:768
	;; [unrolled: 1-line block ×10, first 2 shown]
	v_cmp_lt_u32_e32 vcc, 32, v0
	s_waitcnt vmcnt(13) lgkmcnt(9)
	v_mul_f32_e32 v59, v52, v11
	v_mul_f32_e32 v96, v54, v13
	v_fmac_f32_e32 v59, v53, v10
	s_waitcnt vmcnt(10) lgkmcnt(6)
	v_mul_f32_e32 v103, v68, v7
	v_mul_f32_e32 v7, v69, v7
	;; [unrolled: 1-line block ×3, first 2 shown]
	v_fmac_f32_e32 v96, v55, v12
	v_fmac_f32_e32 v103, v69, v6
	v_fma_f32 v6, v68, v6, -v7
	v_add_f32_e32 v7, 0, v59
	v_mul_f32_e32 v100, v62, v29
	v_fmac_f32_e32 v98, v61, v26
	v_add_f32_e32 v7, v7, v96
	v_mul_f32_e32 v101, v64, v39
	v_fmac_f32_e32 v100, v63, v28
	;; [unrolled: 3-line block ×3, first 2 shown]
	v_add_f32_e32 v7, v7, v100
	v_fmac_f32_e32 v102, v67, v40
	v_add_f32_e32 v7, v7, v101
	v_mul_f32_e32 v104, v70, v9
	v_add_f32_e32 v7, v7, v102
	s_waitcnt vmcnt(9) lgkmcnt(5)
	v_mul_f32_e32 v105, v72, v15
	v_fmac_f32_e32 v104, v71, v8
	v_add_f32_e32 v7, v7, v103
	v_mul_f32_e32 v106, v74, v17
	v_mul_f32_e32 v11, v53, v11
	v_fmac_f32_e32 v105, v73, v14
	v_add_f32_e32 v7, v7, v104
	s_waitcnt vmcnt(8) lgkmcnt(4)
	v_mul_f32_e32 v107, v76, v23
	v_mul_f32_e32 v13, v55, v13
	v_fmac_f32_e32 v106, v75, v16
	v_fma_f32 v10, v52, v10, -v11
	v_add_f32_e32 v7, v7, v105
	v_mul_f32_e32 v108, v78, v25
	v_mul_f32_e32 v27, v61, v27
	v_fmac_f32_e32 v107, v77, v22
	v_fma_f32 v11, v54, v12, -v13
	v_add_f32_e32 v10, 0, v10
	v_add_f32_e32 v7, v7, v106
	s_waitcnt vmcnt(7) lgkmcnt(3)
	v_mul_f32_e32 v109, v80, v31
	v_mul_f32_e32 v29, v63, v29
	v_fmac_f32_e32 v108, v79, v24
	v_fma_f32 v12, v60, v26, -v27
	v_add_f32_e32 v10, v10, v11
	v_add_f32_e32 v7, v7, v107
	v_mul_f32_e32 v110, v82, v33
	v_mul_f32_e32 v39, v65, v39
	v_fmac_f32_e32 v109, v81, v30
	v_fma_f32 v13, v62, v28, -v29
	v_add_f32_e32 v10, v10, v12
	v_add_f32_e32 v7, v7, v108
	s_waitcnt vmcnt(6) lgkmcnt(2)
	v_mul_f32_e32 v111, v84, v43
	v_mul_f32_e32 v41, v67, v41
	v_fmac_f32_e32 v110, v83, v32
	v_fma_f32 v26, v64, v38, -v39
	v_add_f32_e32 v10, v10, v13
	v_add_f32_e32 v7, v7, v109
	v_fmac_f32_e32 v111, v85, v42
	v_fma_f32 v27, v66, v40, -v41
	v_add_f32_e32 v10, v10, v26
	v_add_f32_e32 v7, v7, v110
	;; [unrolled: 1-line block ×4, first 2 shown]
	v_mul_f32_e32 v7, v71, v9
	v_add_f32_e32 v6, v10, v6
	v_fma_f32 v7, v70, v8, -v7
	v_add_f32_e32 v6, v6, v7
	v_mul_f32_e32 v7, v73, v15
	v_fma_f32 v7, v72, v14, -v7
	v_add_f32_e32 v6, v6, v7
	v_mul_f32_e32 v7, v75, v17
	;; [unrolled: 3-line block ×7, first 2 shown]
	v_fma_f32 v7, v84, v42, -v7
	v_mul_f32_e32 v97, v86, v45
	v_add_f32_e32 v26, v6, v7
	v_mul_f32_e32 v6, v87, v45
	s_waitcnt vmcnt(5)
	v_mov_b32_e32 v22, v49
	s_waitcnt lgkmcnt(1)
	v_mul_f32_e32 v99, v88, v47
	v_fmac_f32_e32 v97, v87, v44
	v_fma_f32 v96, v86, v44, -v6
	v_mul_f32_e32 v6, v89, v47
	v_pk_mul_f32 v[22:23], v[90:91], v[22:23] op_sel:[1,0] op_sel_hi:[0,0]
	v_fmac_f32_e32 v99, v89, v46
	v_fma_f32 v98, v88, v46, -v6
	v_pk_add_f32 v[16:17], v[26:27], v[96:97]
	v_pk_fma_f32 v[24:25], v[90:91], v[48:49], v[22:23] neg_lo:[0,0,1] neg_hi:[0,0,1]
	v_pk_fma_f32 v[22:23], v[90:91], v[48:49], v[22:23] op_sel_hi:[1,0,1]
	v_pk_add_f32 v[16:17], v[16:17], v[98:99]
	v_mov_b32_e32 v25, v23
	s_waitcnt vmcnt(4) lgkmcnt(0)
	v_pk_mul_f32 v[22:23], v[92:93], v[34:35] op_sel:[1,1] op_sel_hi:[0,1]
	v_pk_add_f32 v[16:17], v[16:17], v[24:25]
	v_pk_fma_f32 v[24:25], v[92:93], v[34:35], v[22:23] neg_lo:[0,0,1] neg_hi:[0,0,1]
	v_pk_fma_f32 v[22:23], v[92:93], v[34:35], v[22:23] op_sel_hi:[1,0,1]
	ds_read_b128 v[6:9], v58 offset:912
	ds_read_b128 v[10:13], v58 offset:928
	ds_read_b64 v[14:15], v58 offset:944
	v_mov_b32_e32 v22, v37
	v_mov_b32_e32 v25, v23
	v_pk_mul_f32 v[22:23], v[94:95], v[22:23] op_sel:[1,0] op_sel_hi:[0,0]
	v_pk_add_f32 v[16:17], v[16:17], v[24:25]
	v_pk_fma_f32 v[24:25], v[94:95], v[36:37], v[22:23] neg_lo:[0,0,1] neg_hi:[0,0,1]
	v_pk_fma_f32 v[22:23], v[94:95], v[36:37], v[22:23] op_sel_hi:[1,0,1]
	s_nop 0
	v_mov_b32_e32 v25, v23
	s_waitcnt vmcnt(3) lgkmcnt(2)
	v_pk_mul_f32 v[22:23], v[6:7], v[18:19] op_sel:[1,1] op_sel_hi:[0,1]
	v_pk_add_f32 v[16:17], v[16:17], v[24:25]
	v_pk_fma_f32 v[24:25], v[6:7], v[18:19], v[22:23] neg_lo:[0,0,1] neg_hi:[0,0,1]
	v_pk_fma_f32 v[6:7], v[6:7], v[18:19], v[22:23] op_sel_hi:[1,0,1]
	s_nop 0
	v_mov_b32_e32 v25, v7
	v_pk_add_f32 v[6:7], v[16:17], v[24:25]
	v_mov_b32_e32 v16, v21
	v_pk_mul_f32 v[16:17], v[8:9], v[16:17] op_sel:[1,0] op_sel_hi:[0,0]
	v_pk_fma_f32 v[18:19], v[8:9], v[20:21], v[16:17] neg_lo:[0,0,1] neg_hi:[0,0,1]
	v_pk_fma_f32 v[8:9], v[8:9], v[20:21], v[16:17] op_sel_hi:[1,0,1]
	s_nop 0
	v_mov_b32_e32 v19, v9
	s_waitcnt vmcnt(2) lgkmcnt(1)
	v_pk_mul_f32 v[8:9], v[10:11], v[2:3] op_sel:[1,1] op_sel_hi:[0,1]
	v_pk_fma_f32 v[16:17], v[10:11], v[2:3], v[8:9] neg_lo:[0,0,1] neg_hi:[0,0,1]
	v_pk_fma_f32 v[2:3], v[10:11], v[2:3], v[8:9] op_sel_hi:[1,0,1]
	v_pk_add_f32 v[6:7], v[6:7], v[18:19]
	v_mov_b32_e32 v17, v3
	v_pk_add_f32 v[2:3], v[6:7], v[16:17]
	v_mov_b32_e32 v6, v5
	v_pk_mul_f32 v[6:7], v[12:13], v[6:7] op_sel:[1,0] op_sel_hi:[0,0]
	v_pk_fma_f32 v[8:9], v[12:13], v[4:5], v[6:7] neg_lo:[0,0,1] neg_hi:[0,0,1]
	v_pk_fma_f32 v[4:5], v[12:13], v[4:5], v[6:7] op_sel_hi:[1,0,1]
	s_nop 0
	v_mov_b32_e32 v9, v5
	s_waitcnt vmcnt(1) lgkmcnt(0)
	v_pk_mul_f32 v[4:5], v[14:15], v[50:51] op_sel:[1,1] op_sel_hi:[0,1]
	v_pk_fma_f32 v[6:7], v[14:15], v[50:51], v[4:5] neg_lo:[0,0,1] neg_hi:[0,0,1]
	v_pk_fma_f32 v[4:5], v[14:15], v[50:51], v[4:5] op_sel_hi:[1,0,1]
	v_pk_add_f32 v[2:3], v[2:3], v[8:9]
	v_mov_b32_e32 v7, v5
	v_pk_add_f32 v[2:3], v[2:3], v[6:7]
	s_waitcnt vmcnt(0)
	v_pk_add_f32 v[2:3], v[56:57], v[2:3] neg_lo:[0,1] neg_hi:[0,1]
	scratch_store_dwordx2 off, v[2:3], off offset:264
	s_and_saveexec_b64 s[0:1], vcc
	s_cbranch_execz .LBB58_303
; %bb.302:
	scratch_load_dwordx2 v[2:3], off, off offset:256
	v_mov_b32_e32 v59, v58
	scratch_store_dwordx2 off, v[58:59], off offset:256
	s_waitcnt vmcnt(1)
	ds_write_b64 v1, v[2:3]
.LBB58_303:
	s_or_b64 exec, exec, s[0:1]
	s_waitcnt lgkmcnt(0)
	; wave barrier
	scratch_load_dwordx4 v[2:5], off, off offset:264
	scratch_load_dwordx4 v[18:21], off, off offset:280
	;; [unrolled: 1-line block ×9, first 2 shown]
	ds_read2_b64 v[60:63], v58 offset0:93 offset1:94
	ds_read2_b64 v[64:67], v58 offset0:95 offset1:96
	;; [unrolled: 1-line block ×8, first 2 shown]
	scratch_load_dwordx4 v[50:53], off, off offset:408
	scratch_load_dwordx4 v[34:37], off, off offset:424
	;; [unrolled: 1-line block ×4, first 2 shown]
	ds_read2_b64 v[88:91], v58 offset0:109 offset1:110
	ds_read2_b64 v[92:95], v58 offset0:111 offset1:112
	scratch_load_dwordx2 v[96:97], off, off offset:256
	v_cmp_lt_u32_e32 vcc, 31, v0
	s_waitcnt vmcnt(13) lgkmcnt(9)
	v_mul_f32_e32 v59, v60, v3
	v_mul_f32_e32 v98, v62, v5
	;; [unrolled: 1-line block ×3, first 2 shown]
	s_waitcnt vmcnt(10) lgkmcnt(6)
	v_mul_f32_e32 v105, v72, v7
	v_mul_f32_e32 v7, v73, v7
	v_fmac_f32_e32 v59, v61, v2
	v_mul_f32_e32 v100, v64, v19
	v_mul_f32_e32 v5, v63, v5
	v_fmac_f32_e32 v98, v63, v4
	v_fmac_f32_e32 v105, v73, v6
	v_fma_f32 v2, v60, v2, -v3
	v_fma_f32 v6, v72, v6, -v7
	v_add_f32_e32 v7, 0, v59
	v_mul_f32_e32 v102, v66, v21
	v_fmac_f32_e32 v100, v65, v18
	v_fma_f32 v3, v62, v4, -v5
	v_add_f32_e32 v2, 0, v2
	v_add_f32_e32 v7, v7, v98
	v_mul_f32_e32 v103, v68, v39
	v_fmac_f32_e32 v102, v67, v20
	v_add_f32_e32 v2, v2, v3
	v_add_f32_e32 v3, v7, v100
	v_mul_f32_e32 v104, v70, v41
	v_fmac_f32_e32 v103, v69, v38
	v_add_f32_e32 v3, v3, v102
	v_fmac_f32_e32 v104, v71, v40
	v_add_f32_e32 v3, v3, v103
	v_mul_f32_e32 v106, v74, v9
	v_add_f32_e32 v3, v3, v104
	s_waitcnt vmcnt(9) lgkmcnt(5)
	v_mul_f32_e32 v107, v76, v15
	v_fmac_f32_e32 v106, v75, v8
	v_add_f32_e32 v3, v3, v105
	v_mul_f32_e32 v108, v78, v17
	v_fmac_f32_e32 v107, v77, v14
	v_add_f32_e32 v3, v3, v106
	s_waitcnt vmcnt(8) lgkmcnt(4)
	v_mul_f32_e32 v109, v80, v23
	v_fmac_f32_e32 v108, v79, v16
	v_add_f32_e32 v3, v3, v107
	v_mul_f32_e32 v110, v82, v25
	v_fmac_f32_e32 v109, v81, v22
	v_add_f32_e32 v3, v3, v108
	s_waitcnt vmcnt(7) lgkmcnt(3)
	v_mul_f32_e32 v111, v84, v31
	v_mul_f32_e32 v19, v65, v19
	v_fmac_f32_e32 v110, v83, v24
	v_add_f32_e32 v3, v3, v109
	v_mul_f32_e32 v112, v86, v33
	v_mul_f32_e32 v21, v67, v21
	v_fmac_f32_e32 v111, v85, v30
	v_fma_f32 v4, v64, v18, -v19
	v_add_f32_e32 v3, v3, v110
	s_waitcnt vmcnt(6) lgkmcnt(2)
	v_mul_f32_e32 v113, v54, v43
	v_mul_f32_e32 v39, v69, v39
	v_fmac_f32_e32 v112, v87, v32
	v_fma_f32 v5, v66, v20, -v21
	v_add_f32_e32 v2, v2, v4
	v_add_f32_e32 v3, v3, v111
	v_mul_f32_e32 v114, v56, v45
	v_mul_f32_e32 v41, v71, v41
	v_fmac_f32_e32 v113, v55, v42
	v_fma_f32 v18, v68, v38, -v39
	v_add_f32_e32 v2, v2, v5
	v_add_f32_e32 v3, v3, v112
	v_fmac_f32_e32 v114, v57, v44
	v_fma_f32 v19, v70, v40, -v41
	v_add_f32_e32 v2, v2, v18
	v_add_f32_e32 v3, v3, v113
	;; [unrolled: 1-line block ×4, first 2 shown]
	v_mul_f32_e32 v3, v75, v9
	v_add_f32_e32 v2, v2, v6
	v_fma_f32 v3, v74, v8, -v3
	v_add_f32_e32 v2, v2, v3
	v_mul_f32_e32 v3, v77, v15
	v_fma_f32 v3, v76, v14, -v3
	v_add_f32_e32 v2, v2, v3
	v_mul_f32_e32 v3, v79, v17
	v_fma_f32 v3, v78, v16, -v3
	v_add_f32_e32 v2, v2, v3
	v_mul_f32_e32 v3, v81, v23
	v_fma_f32 v3, v80, v22, -v3
	v_add_f32_e32 v2, v2, v3
	v_mul_f32_e32 v3, v83, v25
	v_fma_f32 v3, v82, v24, -v3
	v_add_f32_e32 v2, v2, v3
	v_mul_f32_e32 v3, v85, v31
	v_fma_f32 v3, v84, v30, -v3
	v_add_f32_e32 v2, v2, v3
	v_mul_f32_e32 v3, v87, v33
	v_fma_f32 v3, v86, v32, -v3
	v_add_f32_e32 v2, v2, v3
	v_mul_f32_e32 v3, v55, v43
	v_fma_f32 v3, v54, v42, -v3
	v_add_f32_e32 v2, v2, v3
	v_mul_f32_e32 v3, v57, v45
	v_fma_f32 v3, v56, v44, -v3
	s_waitcnt vmcnt(5) lgkmcnt(1)
	v_mul_f32_e32 v99, v88, v47
	v_add_f32_e32 v18, v2, v3
	v_mul_f32_e32 v2, v89, v47
	s_waitcnt vmcnt(4) lgkmcnt(0)
	v_pk_mul_f32 v[20:21], v[92:93], v[50:51] op_sel:[1,1] op_sel_hi:[0,1]
	v_mul_f32_e32 v101, v90, v49
	v_fmac_f32_e32 v99, v89, v46
	v_fma_f32 v98, v88, v46, -v2
	v_mul_f32_e32 v2, v91, v49
	v_pk_fma_f32 v[22:23], v[92:93], v[50:51], v[20:21] neg_lo:[0,0,1] neg_hi:[0,0,1]
	v_pk_fma_f32 v[20:21], v[92:93], v[50:51], v[20:21] op_sel_hi:[1,0,1]
	v_fmac_f32_e32 v101, v91, v48
	v_fma_f32 v100, v90, v48, -v2
	ds_read2_b64 v[2:5], v58 offset0:113 offset1:114
	ds_read2_b64 v[6:9], v58 offset0:115 offset1:116
	;; [unrolled: 1-line block ×3, first 2 shown]
	v_pk_add_f32 v[18:19], v[18:19], v[98:99]
	v_mov_b32_e32 v20, v53
	v_pk_add_f32 v[18:19], v[18:19], v[100:101]
	v_mov_b32_e32 v23, v21
	v_pk_mul_f32 v[20:21], v[94:95], v[20:21] op_sel:[1,0] op_sel_hi:[0,0]
	v_pk_add_f32 v[18:19], v[18:19], v[22:23]
	v_pk_fma_f32 v[22:23], v[94:95], v[52:53], v[20:21] neg_lo:[0,0,1] neg_hi:[0,0,1]
	v_pk_fma_f32 v[20:21], v[94:95], v[52:53], v[20:21] op_sel_hi:[1,0,1]
	s_nop 0
	v_mov_b32_e32 v23, v21
	s_waitcnt vmcnt(3) lgkmcnt(2)
	v_pk_mul_f32 v[20:21], v[2:3], v[34:35] op_sel:[1,1] op_sel_hi:[0,1]
	v_pk_add_f32 v[18:19], v[18:19], v[22:23]
	v_pk_fma_f32 v[22:23], v[2:3], v[34:35], v[20:21] neg_lo:[0,0,1] neg_hi:[0,0,1]
	v_pk_fma_f32 v[2:3], v[2:3], v[34:35], v[20:21] op_sel_hi:[1,0,1]
	s_nop 0
	v_mov_b32_e32 v23, v3
	v_pk_add_f32 v[2:3], v[18:19], v[22:23]
	v_mov_b32_e32 v18, v37
	v_pk_mul_f32 v[18:19], v[4:5], v[18:19] op_sel:[1,0] op_sel_hi:[0,0]
	v_pk_fma_f32 v[20:21], v[4:5], v[36:37], v[18:19] neg_lo:[0,0,1] neg_hi:[0,0,1]
	v_pk_fma_f32 v[4:5], v[4:5], v[36:37], v[18:19] op_sel_hi:[1,0,1]
	s_nop 0
	v_mov_b32_e32 v21, v5
	s_waitcnt vmcnt(2) lgkmcnt(1)
	v_pk_mul_f32 v[4:5], v[6:7], v[26:27] op_sel:[1,1] op_sel_hi:[0,1]
	v_pk_fma_f32 v[18:19], v[6:7], v[26:27], v[4:5] neg_lo:[0,0,1] neg_hi:[0,0,1]
	v_pk_fma_f32 v[4:5], v[6:7], v[26:27], v[4:5] op_sel_hi:[1,0,1]
	v_pk_add_f32 v[2:3], v[2:3], v[20:21]
	v_mov_b32_e32 v4, v29
	v_mov_b32_e32 v19, v5
	v_pk_mul_f32 v[4:5], v[8:9], v[4:5] op_sel:[1,0] op_sel_hi:[0,0]
	v_pk_fma_f32 v[6:7], v[8:9], v[28:29], v[4:5] neg_lo:[0,0,1] neg_hi:[0,0,1]
	v_pk_fma_f32 v[4:5], v[8:9], v[28:29], v[4:5] op_sel_hi:[1,0,1]
	v_pk_add_f32 v[2:3], v[2:3], v[18:19]
	v_mov_b32_e32 v7, v5
	s_waitcnt vmcnt(1) lgkmcnt(0)
	v_pk_mul_f32 v[4:5], v[14:15], v[10:11] op_sel:[1,1] op_sel_hi:[0,1]
	v_pk_add_f32 v[2:3], v[2:3], v[6:7]
	v_pk_fma_f32 v[6:7], v[14:15], v[10:11], v[4:5] neg_lo:[0,0,1] neg_hi:[0,0,1]
	v_pk_fma_f32 v[4:5], v[14:15], v[10:11], v[4:5] op_sel_hi:[1,0,1]
	s_nop 0
	v_mov_b32_e32 v4, v13
	v_mov_b32_e32 v7, v5
	v_pk_mul_f32 v[4:5], v[16:17], v[4:5] op_sel:[1,0] op_sel_hi:[0,0]
	v_pk_add_f32 v[2:3], v[2:3], v[6:7]
	v_pk_fma_f32 v[6:7], v[16:17], v[12:13], v[4:5] neg_lo:[0,0,1] neg_hi:[0,0,1]
	v_pk_fma_f32 v[4:5], v[16:17], v[12:13], v[4:5] op_sel_hi:[1,0,1]
	s_nop 0
	v_mov_b32_e32 v7, v5
	v_pk_add_f32 v[2:3], v[2:3], v[6:7]
	s_waitcnt vmcnt(0)
	v_pk_add_f32 v[2:3], v[96:97], v[2:3] neg_lo:[0,1] neg_hi:[0,1]
	scratch_store_dwordx2 off, v[2:3], off offset:256
	s_and_saveexec_b64 s[0:1], vcc
	s_cbranch_execz .LBB58_305
; %bb.304:
	scratch_load_dwordx2 v[2:3], off, off offset:248
	v_mov_b32_e32 v4, 0
	v_mov_b32_e32 v5, v4
	scratch_store_dwordx2 off, v[4:5], off offset:248
	s_waitcnt vmcnt(1)
	ds_write_b64 v1, v[2:3]
.LBB58_305:
	s_or_b64 exec, exec, s[0:1]
	s_waitcnt lgkmcnt(0)
	; wave barrier
	scratch_load_dwordx4 v[18:21], off, off offset:256
	scratch_load_dwordx4 v[30:33], off, off offset:272
	;; [unrolled: 1-line block ×13, first 2 shown]
	scratch_load_dwordx2 v[54:55], off, off offset:464
	scratch_load_dwordx2 v[80:81], off, off offset:248
	v_mov_b32_e32 v82, 0
	ds_read_b128 v[56:59], v82 offset:736
	ds_read_b128 v[60:63], v82 offset:752
	;; [unrolled: 1-line block ×10, first 2 shown]
	v_cmp_lt_u32_e32 vcc, 30, v0
	s_waitcnt vmcnt(14) lgkmcnt(9)
	v_mul_f32_e32 v83, v56, v19
	v_mul_f32_e32 v100, v58, v21
	s_waitcnt vmcnt(12) lgkmcnt(7)
	v_mul_f32_e32 v105, v64, v3
	v_mul_f32_e32 v3, v65, v3
	v_fmac_f32_e32 v83, v57, v18
	v_mul_f32_e32 v102, v60, v31
	v_fmac_f32_e32 v100, v59, v20
	v_fmac_f32_e32 v105, v65, v2
	v_fma_f32 v2, v64, v2, -v3
	v_add_f32_e32 v3, 0, v83
	v_mul_f32_e32 v104, v62, v33
	v_fmac_f32_e32 v102, v61, v30
	v_add_f32_e32 v3, v3, v100
	v_fmac_f32_e32 v104, v63, v32
	v_add_f32_e32 v3, v3, v102
	v_mul_f32_e32 v106, v66, v5
	v_add_f32_e32 v3, v3, v104
	s_waitcnt vmcnt(11) lgkmcnt(6)
	v_mul_f32_e32 v107, v68, v7
	v_fmac_f32_e32 v106, v67, v4
	v_add_f32_e32 v3, v3, v105
	v_mul_f32_e32 v108, v70, v9
	v_fmac_f32_e32 v107, v69, v6
	v_add_f32_e32 v3, v3, v106
	s_waitcnt vmcnt(10) lgkmcnt(5)
	v_mul_f32_e32 v109, v72, v15
	v_fmac_f32_e32 v108, v71, v8
	v_add_f32_e32 v3, v3, v107
	v_mul_f32_e32 v110, v74, v17
	v_fmac_f32_e32 v109, v73, v14
	;; [unrolled: 7-line block ×3, first 2 shown]
	v_add_f32_e32 v3, v3, v110
	s_waitcnt vmcnt(8) lgkmcnt(3)
	v_mul_f32_e32 v113, v84, v35
	v_mul_f32_e32 v19, v57, v19
	v_fmac_f32_e32 v112, v79, v24
	v_add_f32_e32 v3, v3, v111
	v_mul_f32_e32 v114, v86, v37
	v_mul_f32_e32 v21, v59, v21
	v_fmac_f32_e32 v113, v85, v34
	v_fma_f32 v18, v56, v18, -v19
	v_add_f32_e32 v3, v3, v112
	s_waitcnt vmcnt(7) lgkmcnt(2)
	v_mul_f32_e32 v115, v88, v39
	v_mul_f32_e32 v31, v61, v31
	v_fmac_f32_e32 v114, v87, v36
	v_fma_f32 v19, v58, v20, -v21
	v_add_f32_e32 v18, 0, v18
	v_add_f32_e32 v3, v3, v113
	v_mul_f32_e32 v116, v90, v41
	v_mul_f32_e32 v33, v63, v33
	v_fmac_f32_e32 v115, v89, v38
	v_fma_f32 v20, v60, v30, -v31
	v_add_f32_e32 v18, v18, v19
	v_add_f32_e32 v3, v3, v114
	s_waitcnt vmcnt(6) lgkmcnt(1)
	v_mul_f32_e32 v117, v92, v51
	v_fmac_f32_e32 v116, v91, v40
	v_fma_f32 v21, v62, v32, -v33
	v_add_f32_e32 v18, v18, v20
	v_add_f32_e32 v3, v3, v115
	v_mul_f32_e32 v5, v67, v5
	v_fmac_f32_e32 v117, v93, v50
	v_add_f32_e32 v18, v18, v21
	v_add_f32_e32 v3, v3, v116
	;; [unrolled: 1-line block ×4, first 2 shown]
	v_fma_f32 v3, v66, v4, -v5
	v_add_f32_e32 v2, v2, v3
	v_mul_f32_e32 v3, v69, v7
	v_fma_f32 v3, v68, v6, -v3
	v_add_f32_e32 v2, v2, v3
	v_mul_f32_e32 v3, v71, v9
	;; [unrolled: 3-line block ×12, first 2 shown]
	v_mul_f32_e32 v101, v94, v53
	v_fma_f32 v100, v94, v52, -v2
	s_waitcnt vmcnt(5) lgkmcnt(0)
	v_mul_f32_e32 v2, v97, v47
	v_mov_b32_e32 v22, v49
	v_mul_f32_e32 v103, v96, v47
	v_fmac_f32_e32 v101, v95, v52
	v_fma_f32 v102, v96, v46, -v2
	ds_read_b128 v[2:5], v82 offset:896
	ds_read_b128 v[6:9], v82 offset:912
	;; [unrolled: 1-line block ×3, first 2 shown]
	ds_read_b64 v[20:21], v82 offset:944
	v_pk_mul_f32 v[22:23], v[98:99], v[22:23] op_sel:[1,0] op_sel_hi:[0,0]
	v_fmac_f32_e32 v103, v97, v46
	v_pk_add_f32 v[18:19], v[18:19], v[100:101]
	v_pk_fma_f32 v[24:25], v[98:99], v[48:49], v[22:23] neg_lo:[0,0,1] neg_hi:[0,0,1]
	v_pk_fma_f32 v[22:23], v[98:99], v[48:49], v[22:23] op_sel_hi:[1,0,1]
	v_pk_add_f32 v[18:19], v[18:19], v[102:103]
	v_mov_b32_e32 v25, v23
	s_waitcnt vmcnt(4) lgkmcnt(3)
	v_pk_mul_f32 v[22:23], v[2:3], v[42:43] op_sel:[1,1] op_sel_hi:[0,1]
	v_pk_add_f32 v[18:19], v[18:19], v[24:25]
	v_pk_fma_f32 v[24:25], v[2:3], v[42:43], v[22:23] neg_lo:[0,0,1] neg_hi:[0,0,1]
	v_pk_fma_f32 v[2:3], v[2:3], v[42:43], v[22:23] op_sel_hi:[1,0,1]
	s_nop 0
	v_mov_b32_e32 v25, v3
	v_pk_add_f32 v[2:3], v[18:19], v[24:25]
	v_mov_b32_e32 v18, v45
	v_pk_mul_f32 v[18:19], v[4:5], v[18:19] op_sel:[1,0] op_sel_hi:[0,0]
	v_pk_fma_f32 v[22:23], v[4:5], v[44:45], v[18:19] neg_lo:[0,0,1] neg_hi:[0,0,1]
	v_pk_fma_f32 v[4:5], v[4:5], v[44:45], v[18:19] op_sel_hi:[1,0,1]
	s_nop 0
	v_mov_b32_e32 v23, v5
	s_waitcnt vmcnt(3) lgkmcnt(2)
	v_pk_mul_f32 v[4:5], v[6:7], v[26:27] op_sel:[1,1] op_sel_hi:[0,1]
	v_pk_fma_f32 v[18:19], v[6:7], v[26:27], v[4:5] neg_lo:[0,0,1] neg_hi:[0,0,1]
	v_pk_fma_f32 v[4:5], v[6:7], v[26:27], v[4:5] op_sel_hi:[1,0,1]
	v_pk_add_f32 v[2:3], v[2:3], v[22:23]
	v_mov_b32_e32 v4, v29
	v_mov_b32_e32 v19, v5
	v_pk_mul_f32 v[4:5], v[8:9], v[4:5] op_sel:[1,0] op_sel_hi:[0,0]
	v_pk_fma_f32 v[6:7], v[8:9], v[28:29], v[4:5] neg_lo:[0,0,1] neg_hi:[0,0,1]
	v_pk_fma_f32 v[4:5], v[8:9], v[28:29], v[4:5] op_sel_hi:[1,0,1]
	v_pk_add_f32 v[2:3], v[2:3], v[18:19]
	v_mov_b32_e32 v7, v5
	s_waitcnt vmcnt(2) lgkmcnt(1)
	v_pk_mul_f32 v[4:5], v[14:15], v[10:11] op_sel:[1,1] op_sel_hi:[0,1]
	v_pk_add_f32 v[2:3], v[2:3], v[6:7]
	v_pk_fma_f32 v[6:7], v[14:15], v[10:11], v[4:5] neg_lo:[0,0,1] neg_hi:[0,0,1]
	v_pk_fma_f32 v[4:5], v[14:15], v[10:11], v[4:5] op_sel_hi:[1,0,1]
	s_nop 0
	v_mov_b32_e32 v4, v13
	v_mov_b32_e32 v7, v5
	v_pk_mul_f32 v[4:5], v[16:17], v[4:5] op_sel:[1,0] op_sel_hi:[0,0]
	v_pk_add_f32 v[2:3], v[2:3], v[6:7]
	v_pk_fma_f32 v[6:7], v[16:17], v[12:13], v[4:5] neg_lo:[0,0,1] neg_hi:[0,0,1]
	v_pk_fma_f32 v[4:5], v[16:17], v[12:13], v[4:5] op_sel_hi:[1,0,1]
	s_nop 0
	v_mov_b32_e32 v7, v5
	s_waitcnt vmcnt(1) lgkmcnt(0)
	v_pk_mul_f32 v[4:5], v[20:21], v[54:55] op_sel:[1,1] op_sel_hi:[0,1]
	v_pk_add_f32 v[2:3], v[2:3], v[6:7]
	v_pk_fma_f32 v[6:7], v[20:21], v[54:55], v[4:5] neg_lo:[0,0,1] neg_hi:[0,0,1]
	v_pk_fma_f32 v[4:5], v[20:21], v[54:55], v[4:5] op_sel_hi:[1,0,1]
	s_nop 0
	v_mov_b32_e32 v7, v5
	v_pk_add_f32 v[2:3], v[2:3], v[6:7]
	s_waitcnt vmcnt(0)
	v_pk_add_f32 v[2:3], v[80:81], v[2:3] neg_lo:[0,1] neg_hi:[0,1]
	scratch_store_dwordx2 off, v[2:3], off offset:248
	s_and_saveexec_b64 s[0:1], vcc
	s_cbranch_execz .LBB58_307
; %bb.306:
	scratch_load_dwordx2 v[2:3], off, off offset:240
	v_mov_b32_e32 v83, v82
	scratch_store_dwordx2 off, v[82:83], off offset:240
	s_waitcnt vmcnt(1)
	ds_write_b64 v1, v[2:3]
.LBB58_307:
	s_or_b64 exec, exec, s[0:1]
	s_waitcnt lgkmcnt(0)
	; wave barrier
	scratch_load_dwordx4 v[10:13], off, off offset:248
	scratch_load_dwordx4 v[26:29], off, off offset:264
	;; [unrolled: 1-line block ×10, first 2 shown]
	ds_read2_b64 v[84:87], v82 offset0:91 offset1:92
	ds_read2_b64 v[88:91], v82 offset0:93 offset1:94
	;; [unrolled: 1-line block ×10, first 2 shown]
	scratch_load_dwordx4 v[54:57], off, off offset:408
	scratch_load_dwordx4 v[46:49], off, off offset:424
	;; [unrolled: 1-line block ×4, first 2 shown]
	scratch_load_dwordx2 v[100:101], off, off offset:240
	v_cmp_lt_u32_e32 vcc, 29, v0
	s_waitcnt vmcnt(14) lgkmcnt(9)
	v_mul_f32_e32 v83, v84, v11
	v_mul_f32_e32 v102, v86, v13
	s_waitcnt vmcnt(12) lgkmcnt(7)
	v_mul_f32_e32 v107, v92, v3
	v_mul_f32_e32 v3, v93, v3
	v_fmac_f32_e32 v83, v85, v10
	v_mul_f32_e32 v104, v88, v27
	v_fmac_f32_e32 v102, v87, v12
	v_fmac_f32_e32 v107, v93, v2
	v_fma_f32 v2, v92, v2, -v3
	v_add_f32_e32 v3, 0, v83
	v_mul_f32_e32 v106, v90, v29
	v_fmac_f32_e32 v104, v89, v26
	v_add_f32_e32 v3, v3, v102
	v_fmac_f32_e32 v106, v91, v28
	v_add_f32_e32 v3, v3, v104
	v_mul_f32_e32 v108, v94, v5
	v_add_f32_e32 v3, v3, v106
	s_waitcnt vmcnt(11) lgkmcnt(6)
	v_mul_f32_e32 v109, v96, v7
	v_fmac_f32_e32 v108, v95, v4
	v_add_f32_e32 v3, v3, v107
	v_mul_f32_e32 v110, v98, v9
	v_fmac_f32_e32 v109, v97, v6
	v_add_f32_e32 v3, v3, v108
	s_waitcnt vmcnt(10) lgkmcnt(5)
	v_mul_f32_e32 v111, v78, v15
	v_fmac_f32_e32 v110, v99, v8
	v_add_f32_e32 v3, v3, v109
	v_mul_f32_e32 v112, v80, v17
	v_fmac_f32_e32 v111, v79, v14
	;; [unrolled: 7-line block ×4, first 2 shown]
	v_add_f32_e32 v3, v3, v114
	s_waitcnt vmcnt(7) lgkmcnt(2)
	v_mul_f32_e32 v117, v66, v39
	v_mul_f32_e32 v11, v85, v11
	v_fmac_f32_e32 v116, v73, v32
	v_add_f32_e32 v3, v3, v115
	v_mul_f32_e32 v118, v68, v41
	v_mul_f32_e32 v13, v87, v13
	v_fmac_f32_e32 v117, v67, v38
	v_fma_f32 v10, v84, v10, -v11
	v_add_f32_e32 v3, v3, v116
	s_waitcnt vmcnt(6) lgkmcnt(1)
	v_mul_f32_e32 v119, v62, v43
	v_mul_f32_e32 v27, v89, v27
	v_fmac_f32_e32 v118, v69, v40
	v_fma_f32 v11, v86, v12, -v13
	v_add_f32_e32 v10, 0, v10
	v_add_f32_e32 v3, v3, v117
	v_mul_f32_e32 v120, v64, v45
	v_mul_f32_e32 v29, v91, v29
	v_fmac_f32_e32 v119, v63, v42
	v_fma_f32 v12, v88, v26, -v27
	v_add_f32_e32 v10, v10, v11
	v_add_f32_e32 v3, v3, v118
	v_fmac_f32_e32 v120, v65, v44
	v_fma_f32 v13, v90, v28, -v29
	v_add_f32_e32 v10, v10, v12
	v_add_f32_e32 v3, v3, v119
	;; [unrolled: 1-line block ×4, first 2 shown]
	v_mul_f32_e32 v3, v95, v5
	v_add_f32_e32 v2, v10, v2
	v_fma_f32 v3, v94, v4, -v3
	v_add_f32_e32 v2, v2, v3
	v_mul_f32_e32 v3, v97, v7
	v_fma_f32 v3, v96, v6, -v3
	v_add_f32_e32 v2, v2, v3
	v_mul_f32_e32 v3, v99, v9
	;; [unrolled: 3-line block ×12, first 2 shown]
	v_fma_f32 v3, v64, v44, -v3
	v_add_f32_e32 v26, v2, v3
	s_waitcnt vmcnt(5) lgkmcnt(0)
	v_mul_f32_e32 v2, v59, v51
	v_fma_f32 v102, v58, v50, -v2
	v_mul_f32_e32 v2, v61, v53
	v_fma_f32 v104, v60, v52, -v2
	ds_read2_b64 v[2:5], v82 offset0:111 offset1:112
	ds_read2_b64 v[6:9], v82 offset0:113 offset1:114
	;; [unrolled: 1-line block ×4, first 2 shown]
	v_mul_f32_e32 v103, v58, v51
	v_mul_f32_e32 v105, v60, v53
	v_fmac_f32_e32 v103, v59, v50
	s_waitcnt vmcnt(4) lgkmcnt(3)
	v_pk_mul_f32 v[24:25], v[2:3], v[54:55] op_sel:[1,1] op_sel_hi:[0,1]
	v_fmac_f32_e32 v105, v61, v52
	v_pk_add_f32 v[22:23], v[26:27], v[102:103]
	v_pk_fma_f32 v[26:27], v[2:3], v[54:55], v[24:25] neg_lo:[0,0,1] neg_hi:[0,0,1]
	v_pk_fma_f32 v[2:3], v[2:3], v[54:55], v[24:25] op_sel_hi:[1,0,1]
	v_pk_add_f32 v[22:23], v[22:23], v[104:105]
	v_mov_b32_e32 v27, v3
	v_pk_add_f32 v[2:3], v[22:23], v[26:27]
	v_mov_b32_e32 v22, v57
	v_pk_mul_f32 v[22:23], v[4:5], v[22:23] op_sel:[1,0] op_sel_hi:[0,0]
	v_pk_fma_f32 v[24:25], v[4:5], v[56:57], v[22:23] neg_lo:[0,0,1] neg_hi:[0,0,1]
	v_pk_fma_f32 v[4:5], v[4:5], v[56:57], v[22:23] op_sel_hi:[1,0,1]
	s_nop 0
	v_mov_b32_e32 v25, v5
	s_waitcnt vmcnt(3) lgkmcnt(2)
	v_pk_mul_f32 v[4:5], v[6:7], v[46:47] op_sel:[1,1] op_sel_hi:[0,1]
	v_pk_fma_f32 v[22:23], v[6:7], v[46:47], v[4:5] neg_lo:[0,0,1] neg_hi:[0,0,1]
	v_pk_fma_f32 v[4:5], v[6:7], v[46:47], v[4:5] op_sel_hi:[1,0,1]
	v_pk_add_f32 v[2:3], v[2:3], v[24:25]
	v_mov_b32_e32 v4, v49
	v_mov_b32_e32 v23, v5
	v_pk_mul_f32 v[4:5], v[8:9], v[4:5] op_sel:[1,0] op_sel_hi:[0,0]
	v_pk_fma_f32 v[6:7], v[8:9], v[48:49], v[4:5] neg_lo:[0,0,1] neg_hi:[0,0,1]
	v_pk_fma_f32 v[4:5], v[8:9], v[48:49], v[4:5] op_sel_hi:[1,0,1]
	v_pk_add_f32 v[2:3], v[2:3], v[22:23]
	v_mov_b32_e32 v7, v5
	s_waitcnt vmcnt(2) lgkmcnt(1)
	v_pk_mul_f32 v[4:5], v[10:11], v[34:35] op_sel:[1,1] op_sel_hi:[0,1]
	v_pk_add_f32 v[2:3], v[2:3], v[6:7]
	v_pk_fma_f32 v[6:7], v[10:11], v[34:35], v[4:5] neg_lo:[0,0,1] neg_hi:[0,0,1]
	v_pk_fma_f32 v[4:5], v[10:11], v[34:35], v[4:5] op_sel_hi:[1,0,1]
	s_nop 0
	v_mov_b32_e32 v4, v37
	v_mov_b32_e32 v7, v5
	v_pk_mul_f32 v[4:5], v[12:13], v[4:5] op_sel:[1,0] op_sel_hi:[0,0]
	v_pk_add_f32 v[2:3], v[2:3], v[6:7]
	v_pk_fma_f32 v[6:7], v[12:13], v[36:37], v[4:5] neg_lo:[0,0,1] neg_hi:[0,0,1]
	v_pk_fma_f32 v[4:5], v[12:13], v[36:37], v[4:5] op_sel_hi:[1,0,1]
	s_nop 0
	v_mov_b32_e32 v7, v5
	s_waitcnt vmcnt(1) lgkmcnt(0)
	v_pk_mul_f32 v[4:5], v[14:15], v[18:19] op_sel:[1,1] op_sel_hi:[0,1]
	v_pk_add_f32 v[2:3], v[2:3], v[6:7]
	v_pk_fma_f32 v[6:7], v[14:15], v[18:19], v[4:5] neg_lo:[0,0,1] neg_hi:[0,0,1]
	v_pk_fma_f32 v[4:5], v[14:15], v[18:19], v[4:5] op_sel_hi:[1,0,1]
	s_nop 0
	v_mov_b32_e32 v4, v21
	v_mov_b32_e32 v7, v5
	v_pk_mul_f32 v[4:5], v[16:17], v[4:5] op_sel:[1,0] op_sel_hi:[0,0]
	v_pk_add_f32 v[2:3], v[2:3], v[6:7]
	v_pk_fma_f32 v[6:7], v[16:17], v[20:21], v[4:5] neg_lo:[0,0,1] neg_hi:[0,0,1]
	v_pk_fma_f32 v[4:5], v[16:17], v[20:21], v[4:5] op_sel_hi:[1,0,1]
	s_nop 0
	v_mov_b32_e32 v7, v5
	v_pk_add_f32 v[2:3], v[2:3], v[6:7]
	s_waitcnt vmcnt(0)
	v_pk_add_f32 v[2:3], v[100:101], v[2:3] neg_lo:[0,1] neg_hi:[0,1]
	scratch_store_dwordx2 off, v[2:3], off offset:240
	s_and_saveexec_b64 s[0:1], vcc
	s_cbranch_execz .LBB58_309
; %bb.308:
	scratch_load_dwordx2 v[2:3], off, off offset:232
	v_mov_b32_e32 v4, 0
	v_mov_b32_e32 v5, v4
	scratch_store_dwordx2 off, v[4:5], off offset:232
	s_waitcnt vmcnt(1)
	ds_write_b64 v1, v[2:3]
.LBB58_309:
	s_or_b64 exec, exec, s[0:1]
	s_waitcnt lgkmcnt(0)
	; wave barrier
	scratch_load_dwordx4 v[26:29], off, off offset:240
	scratch_load_dwordx4 v[2:5], off, off offset:256
	;; [unrolled: 1-line block ×14, first 2 shown]
	scratch_load_dwordx2 v[58:59], off, off offset:464
	scratch_load_dwordx2 v[100:101], off, off offset:232
	v_mov_b32_e32 v102, 0
	ds_read_b128 v[60:63], v102 offset:720
	ds_read_b128 v[64:67], v102 offset:736
	ds_read_b128 v[68:71], v102 offset:752
	ds_read_b128 v[72:75], v102 offset:768
	ds_read_b128 v[76:79], v102 offset:784
	ds_read_b128 v[80:83], v102 offset:800
	ds_read_b128 v[84:87], v102 offset:816
	ds_read_b128 v[88:91], v102 offset:832
	ds_read_b128 v[92:95], v102 offset:848
	ds_read_b128 v[96:99], v102 offset:864
	ds_read_b128 v[104:107], v102 offset:880
	ds_read_b128 v[108:111], v102 offset:896
	v_cmp_lt_u32_e32 vcc, 28, v0
	s_waitcnt vmcnt(15) lgkmcnt(11)
	v_mul_f32_e32 v103, v60, v27
	v_mul_f32_e32 v112, v62, v29
	s_waitcnt vmcnt(14) lgkmcnt(10)
	v_mul_f32_e32 v114, v64, v3
	v_mul_f32_e32 v3, v65, v3
	v_fmac_f32_e32 v103, v61, v26
	v_fmac_f32_e32 v112, v63, v28
	;; [unrolled: 1-line block ×3, first 2 shown]
	v_fma_f32 v2, v64, v2, -v3
	v_add_f32_e32 v3, 0, v103
	v_mul_f32_e32 v116, v66, v5
	v_add_f32_e32 v3, v3, v112
	s_waitcnt vmcnt(13) lgkmcnt(9)
	v_mul_f32_e32 v117, v68, v7
	v_fmac_f32_e32 v116, v67, v4
	v_add_f32_e32 v3, v3, v114
	v_mul_f32_e32 v118, v70, v9
	v_fmac_f32_e32 v117, v69, v6
	v_add_f32_e32 v3, v3, v116
	s_waitcnt vmcnt(12) lgkmcnt(8)
	v_mul_f32_e32 v119, v72, v11
	v_fmac_f32_e32 v118, v71, v8
	v_add_f32_e32 v3, v3, v117
	v_mul_f32_e32 v120, v74, v13
	v_fmac_f32_e32 v119, v73, v10
	;; [unrolled: 7-line block ×6, first 2 shown]
	v_add_f32_e32 v3, v3, v126
	s_waitcnt vmcnt(7) lgkmcnt(3)
	v_mul_f32_e32 v129, v92, v43
	v_fmac_f32_e32 v128, v91, v40
	v_add_f32_e32 v3, v3, v127
	v_mul_f32_e32 v130, v94, v45
	v_mul_f32_e32 v27, v61, v27
	v_fmac_f32_e32 v129, v93, v42
	v_add_f32_e32 v3, v3, v128
	s_waitcnt vmcnt(6) lgkmcnt(2)
	v_mul_f32_e32 v131, v96, v51
	v_mul_f32_e32 v29, v63, v29
	v_fmac_f32_e32 v130, v95, v44
	v_fma_f32 v26, v60, v26, -v27
	v_add_f32_e32 v3, v3, v129
	v_fmac_f32_e32 v131, v97, v50
	v_fma_f32 v27, v62, v28, -v29
	v_add_f32_e32 v26, 0, v26
	v_add_f32_e32 v3, v3, v130
	;; [unrolled: 1-line block ×4, first 2 shown]
	v_mul_f32_e32 v3, v67, v5
	v_add_f32_e32 v2, v26, v2
	v_fma_f32 v3, v66, v4, -v3
	v_add_f32_e32 v2, v2, v3
	v_mul_f32_e32 v3, v69, v7
	v_fma_f32 v3, v68, v6, -v3
	v_add_f32_e32 v2, v2, v3
	v_mul_f32_e32 v3, v71, v9
	;; [unrolled: 3-line block ×15, first 2 shown]
	v_fma_f32 v3, v96, v50, -v3
	v_mul_f32_e32 v113, v98, v53
	v_add_f32_e32 v26, v2, v3
	v_mul_f32_e32 v2, v99, v53
	s_waitcnt vmcnt(5)
	v_mov_b32_e32 v14, v57
	s_waitcnt lgkmcnt(1)
	v_mul_f32_e32 v115, v104, v55
	v_fmac_f32_e32 v113, v99, v52
	v_fma_f32 v112, v98, v52, -v2
	v_mul_f32_e32 v2, v105, v55
	v_pk_mul_f32 v[14:15], v[106:107], v[14:15] op_sel:[1,0] op_sel_hi:[0,0]
	v_fmac_f32_e32 v115, v105, v54
	v_fma_f32 v114, v104, v54, -v2
	v_pk_add_f32 v[12:13], v[26:27], v[112:113]
	v_pk_fma_f32 v[16:17], v[106:107], v[56:57], v[14:15] neg_lo:[0,0,1] neg_hi:[0,0,1]
	v_pk_fma_f32 v[14:15], v[106:107], v[56:57], v[14:15] op_sel_hi:[1,0,1]
	v_pk_add_f32 v[12:13], v[12:13], v[114:115]
	v_mov_b32_e32 v17, v15
	s_waitcnt vmcnt(4) lgkmcnt(0)
	v_pk_mul_f32 v[14:15], v[108:109], v[46:47] op_sel:[1,1] op_sel_hi:[0,1]
	v_pk_add_f32 v[12:13], v[12:13], v[16:17]
	v_pk_fma_f32 v[16:17], v[108:109], v[46:47], v[14:15] neg_lo:[0,0,1] neg_hi:[0,0,1]
	v_pk_fma_f32 v[14:15], v[108:109], v[46:47], v[14:15] op_sel_hi:[1,0,1]
	ds_read_b128 v[2:5], v102 offset:912
	ds_read_b128 v[6:9], v102 offset:928
	ds_read_b64 v[10:11], v102 offset:944
	v_mov_b32_e32 v14, v49
	v_mov_b32_e32 v17, v15
	v_pk_mul_f32 v[14:15], v[110:111], v[14:15] op_sel:[1,0] op_sel_hi:[0,0]
	v_pk_add_f32 v[12:13], v[12:13], v[16:17]
	v_pk_fma_f32 v[16:17], v[110:111], v[48:49], v[14:15] neg_lo:[0,0,1] neg_hi:[0,0,1]
	v_pk_fma_f32 v[14:15], v[110:111], v[48:49], v[14:15] op_sel_hi:[1,0,1]
	s_nop 0
	v_mov_b32_e32 v17, v15
	s_waitcnt vmcnt(3) lgkmcnt(2)
	v_pk_mul_f32 v[14:15], v[2:3], v[34:35] op_sel:[1,1] op_sel_hi:[0,1]
	v_pk_add_f32 v[12:13], v[12:13], v[16:17]
	v_pk_fma_f32 v[16:17], v[2:3], v[34:35], v[14:15] neg_lo:[0,0,1] neg_hi:[0,0,1]
	v_pk_fma_f32 v[2:3], v[2:3], v[34:35], v[14:15] op_sel_hi:[1,0,1]
	s_nop 0
	v_mov_b32_e32 v17, v3
	v_pk_add_f32 v[2:3], v[12:13], v[16:17]
	v_mov_b32_e32 v12, v37
	v_pk_mul_f32 v[12:13], v[4:5], v[12:13] op_sel:[1,0] op_sel_hi:[0,0]
	v_pk_fma_f32 v[14:15], v[4:5], v[36:37], v[12:13] neg_lo:[0,0,1] neg_hi:[0,0,1]
	v_pk_fma_f32 v[4:5], v[4:5], v[36:37], v[12:13] op_sel_hi:[1,0,1]
	s_nop 0
	v_mov_b32_e32 v15, v5
	s_waitcnt vmcnt(2) lgkmcnt(1)
	v_pk_mul_f32 v[4:5], v[6:7], v[18:19] op_sel:[1,1] op_sel_hi:[0,1]
	v_pk_fma_f32 v[12:13], v[6:7], v[18:19], v[4:5] neg_lo:[0,0,1] neg_hi:[0,0,1]
	v_pk_fma_f32 v[4:5], v[6:7], v[18:19], v[4:5] op_sel_hi:[1,0,1]
	v_pk_add_f32 v[2:3], v[2:3], v[14:15]
	v_mov_b32_e32 v4, v21
	v_mov_b32_e32 v13, v5
	v_pk_mul_f32 v[4:5], v[8:9], v[4:5] op_sel:[1,0] op_sel_hi:[0,0]
	v_pk_fma_f32 v[6:7], v[8:9], v[20:21], v[4:5] neg_lo:[0,0,1] neg_hi:[0,0,1]
	v_pk_fma_f32 v[4:5], v[8:9], v[20:21], v[4:5] op_sel_hi:[1,0,1]
	v_pk_add_f32 v[2:3], v[2:3], v[12:13]
	v_mov_b32_e32 v7, v5
	s_waitcnt vmcnt(1) lgkmcnt(0)
	v_pk_mul_f32 v[4:5], v[10:11], v[58:59] op_sel:[1,1] op_sel_hi:[0,1]
	v_pk_add_f32 v[2:3], v[2:3], v[6:7]
	v_pk_fma_f32 v[6:7], v[10:11], v[58:59], v[4:5] neg_lo:[0,0,1] neg_hi:[0,0,1]
	v_pk_fma_f32 v[4:5], v[10:11], v[58:59], v[4:5] op_sel_hi:[1,0,1]
	s_nop 0
	v_mov_b32_e32 v7, v5
	v_pk_add_f32 v[2:3], v[2:3], v[6:7]
	s_waitcnt vmcnt(0)
	v_pk_add_f32 v[2:3], v[100:101], v[2:3] neg_lo:[0,1] neg_hi:[0,1]
	scratch_store_dwordx2 off, v[2:3], off offset:232
	s_and_saveexec_b64 s[0:1], vcc
	s_cbranch_execz .LBB58_311
; %bb.310:
	scratch_load_dwordx2 v[2:3], off, off offset:224
	v_mov_b32_e32 v103, v102
	scratch_store_dwordx2 off, v[102:103], off offset:224
	s_waitcnt vmcnt(1)
	ds_write_b64 v1, v[2:3]
.LBB58_311:
	s_or_b64 exec, exec, s[0:1]
	s_waitcnt lgkmcnt(0)
	; wave barrier
	scratch_load_dwordx4 v[18:21], off, off offset:232
	scratch_load_dwordx4 v[2:5], off, off offset:248
	;; [unrolled: 1-line block ×11, first 2 shown]
	ds_read2_b64 v[104:107], v102 offset0:89 offset1:90
	ds_read2_b64 v[98:101], v102 offset0:91 offset1:92
	;; [unrolled: 1-line block ×10, first 2 shown]
	scratch_load_dwordx4 v[58:61], off, off offset:408
	scratch_load_dwordx4 v[50:53], off, off offset:424
	;; [unrolled: 1-line block ×4, first 2 shown]
	ds_read2_b64 v[78:81], v102 offset0:109 offset1:110
	ds_read2_b64 v[108:111], v102 offset0:111 offset1:112
	scratch_load_dwordx2 v[112:113], off, off offset:224
	v_cmp_lt_u32_e32 vcc, 27, v0
	s_waitcnt vmcnt(15) lgkmcnt(11)
	v_mul_f32_e32 v103, v104, v19
	v_mul_f32_e32 v114, v106, v21
	s_waitcnt vmcnt(14) lgkmcnt(10)
	v_mul_f32_e32 v116, v98, v3
	v_mul_f32_e32 v3, v99, v3
	v_fmac_f32_e32 v103, v105, v18
	v_fmac_f32_e32 v114, v107, v20
	;; [unrolled: 1-line block ×3, first 2 shown]
	v_fma_f32 v2, v98, v2, -v3
	v_add_f32_e32 v3, 0, v103
	v_mul_f32_e32 v118, v100, v5
	v_add_f32_e32 v3, v3, v114
	s_waitcnt vmcnt(13) lgkmcnt(9)
	v_mul_f32_e32 v119, v94, v7
	v_fmac_f32_e32 v118, v101, v4
	v_add_f32_e32 v3, v3, v116
	v_mul_f32_e32 v120, v96, v9
	v_fmac_f32_e32 v119, v95, v6
	v_add_f32_e32 v3, v3, v118
	s_waitcnt vmcnt(12) lgkmcnt(8)
	v_mul_f32_e32 v121, v90, v11
	v_fmac_f32_e32 v120, v97, v8
	v_add_f32_e32 v3, v3, v119
	v_mul_f32_e32 v122, v92, v13
	v_fmac_f32_e32 v121, v91, v10
	;; [unrolled: 7-line block ×7, first 2 shown]
	v_add_f32_e32 v3, v3, v130
	s_waitcnt vmcnt(6) lgkmcnt(2)
	v_mul_f32_e32 v133, v62, v47
	v_mul_f32_e32 v19, v105, v19
	v_fmac_f32_e32 v132, v69, v44
	v_add_f32_e32 v3, v3, v131
	v_mul_f32_e32 v134, v64, v49
	v_mul_f32_e32 v21, v107, v21
	v_fmac_f32_e32 v133, v63, v46
	v_fma_f32 v18, v104, v18, -v19
	v_add_f32_e32 v3, v3, v132
	v_fmac_f32_e32 v134, v65, v48
	v_fma_f32 v19, v106, v20, -v21
	v_add_f32_e32 v18, 0, v18
	v_add_f32_e32 v3, v3, v133
	;; [unrolled: 1-line block ×4, first 2 shown]
	v_mul_f32_e32 v3, v101, v5
	v_add_f32_e32 v2, v18, v2
	v_fma_f32 v3, v100, v4, -v3
	v_add_f32_e32 v2, v2, v3
	v_mul_f32_e32 v3, v95, v7
	v_fma_f32 v3, v94, v6, -v3
	v_add_f32_e32 v2, v2, v3
	v_mul_f32_e32 v3, v97, v9
	;; [unrolled: 3-line block ×16, first 2 shown]
	v_fma_f32 v3, v64, v48, -v3
	s_waitcnt vmcnt(5) lgkmcnt(1)
	v_mul_f32_e32 v115, v78, v55
	v_add_f32_e32 v18, v2, v3
	v_mul_f32_e32 v2, v79, v55
	v_fmac_f32_e32 v115, v79, v54
	v_fma_f32 v114, v78, v54, -v2
	s_waitcnt vmcnt(4) lgkmcnt(0)
	v_pk_mul_f32 v[16:17], v[108:109], v[58:59] op_sel:[1,1] op_sel_hi:[0,1]
	v_mul_f32_e32 v117, v80, v57
	v_mul_f32_e32 v2, v81, v57
	v_pk_add_f32 v[14:15], v[18:19], v[114:115]
	v_pk_fma_f32 v[18:19], v[108:109], v[58:59], v[16:17] neg_lo:[0,0,1] neg_hi:[0,0,1]
	v_pk_fma_f32 v[16:17], v[108:109], v[58:59], v[16:17] op_sel_hi:[1,0,1]
	v_fmac_f32_e32 v117, v81, v56
	v_fma_f32 v116, v80, v56, -v2
	ds_read2_b64 v[2:5], v102 offset0:113 offset1:114
	ds_read2_b64 v[6:9], v102 offset0:115 offset1:116
	;; [unrolled: 1-line block ×3, first 2 shown]
	v_mov_b32_e32 v16, v61
	v_pk_add_f32 v[14:15], v[14:15], v[116:117]
	v_mov_b32_e32 v19, v17
	v_pk_mul_f32 v[16:17], v[110:111], v[16:17] op_sel:[1,0] op_sel_hi:[0,0]
	v_pk_add_f32 v[14:15], v[14:15], v[18:19]
	v_pk_fma_f32 v[18:19], v[110:111], v[60:61], v[16:17] neg_lo:[0,0,1] neg_hi:[0,0,1]
	v_pk_fma_f32 v[16:17], v[110:111], v[60:61], v[16:17] op_sel_hi:[1,0,1]
	s_nop 0
	v_mov_b32_e32 v19, v17
	s_waitcnt vmcnt(3) lgkmcnt(2)
	v_pk_mul_f32 v[16:17], v[2:3], v[50:51] op_sel:[1,1] op_sel_hi:[0,1]
	v_pk_add_f32 v[14:15], v[14:15], v[18:19]
	v_pk_fma_f32 v[18:19], v[2:3], v[50:51], v[16:17] neg_lo:[0,0,1] neg_hi:[0,0,1]
	v_pk_fma_f32 v[2:3], v[2:3], v[50:51], v[16:17] op_sel_hi:[1,0,1]
	s_nop 0
	v_mov_b32_e32 v19, v3
	v_pk_add_f32 v[2:3], v[14:15], v[18:19]
	v_mov_b32_e32 v14, v53
	v_pk_mul_f32 v[14:15], v[4:5], v[14:15] op_sel:[1,0] op_sel_hi:[0,0]
	v_pk_fma_f32 v[16:17], v[4:5], v[52:53], v[14:15] neg_lo:[0,0,1] neg_hi:[0,0,1]
	v_pk_fma_f32 v[4:5], v[4:5], v[52:53], v[14:15] op_sel_hi:[1,0,1]
	s_nop 0
	v_mov_b32_e32 v17, v5
	s_waitcnt vmcnt(2) lgkmcnt(1)
	v_pk_mul_f32 v[4:5], v[6:7], v[38:39] op_sel:[1,1] op_sel_hi:[0,1]
	v_pk_fma_f32 v[14:15], v[6:7], v[38:39], v[4:5] neg_lo:[0,0,1] neg_hi:[0,0,1]
	v_pk_fma_f32 v[4:5], v[6:7], v[38:39], v[4:5] op_sel_hi:[1,0,1]
	v_pk_add_f32 v[2:3], v[2:3], v[16:17]
	v_mov_b32_e32 v4, v41
	v_mov_b32_e32 v15, v5
	v_pk_mul_f32 v[4:5], v[8:9], v[4:5] op_sel:[1,0] op_sel_hi:[0,0]
	v_pk_fma_f32 v[6:7], v[8:9], v[40:41], v[4:5] neg_lo:[0,0,1] neg_hi:[0,0,1]
	v_pk_fma_f32 v[4:5], v[8:9], v[40:41], v[4:5] op_sel_hi:[1,0,1]
	v_pk_add_f32 v[2:3], v[2:3], v[14:15]
	v_mov_b32_e32 v7, v5
	s_waitcnt vmcnt(1) lgkmcnt(0)
	v_pk_mul_f32 v[4:5], v[10:11], v[26:27] op_sel:[1,1] op_sel_hi:[0,1]
	v_pk_add_f32 v[2:3], v[2:3], v[6:7]
	v_pk_fma_f32 v[6:7], v[10:11], v[26:27], v[4:5] neg_lo:[0,0,1] neg_hi:[0,0,1]
	v_pk_fma_f32 v[4:5], v[10:11], v[26:27], v[4:5] op_sel_hi:[1,0,1]
	s_nop 0
	v_mov_b32_e32 v4, v29
	v_mov_b32_e32 v7, v5
	v_pk_mul_f32 v[4:5], v[12:13], v[4:5] op_sel:[1,0] op_sel_hi:[0,0]
	v_pk_add_f32 v[2:3], v[2:3], v[6:7]
	v_pk_fma_f32 v[6:7], v[12:13], v[28:29], v[4:5] neg_lo:[0,0,1] neg_hi:[0,0,1]
	v_pk_fma_f32 v[4:5], v[12:13], v[28:29], v[4:5] op_sel_hi:[1,0,1]
	s_nop 0
	v_mov_b32_e32 v7, v5
	v_pk_add_f32 v[2:3], v[2:3], v[6:7]
	s_waitcnt vmcnt(0)
	v_pk_add_f32 v[2:3], v[112:113], v[2:3] neg_lo:[0,1] neg_hi:[0,1]
	scratch_store_dwordx2 off, v[2:3], off offset:224
	s_and_saveexec_b64 s[0:1], vcc
	s_cbranch_execz .LBB58_313
; %bb.312:
	scratch_load_dwordx2 v[2:3], off, off offset:216
	v_mov_b32_e32 v4, 0
	v_mov_b32_e32 v5, v4
	scratch_store_dwordx2 off, v[4:5], off offset:216
	s_waitcnt vmcnt(1)
	ds_write_b64 v1, v[2:3]
.LBB58_313:
	s_or_b64 exec, exec, s[0:1]
	s_waitcnt lgkmcnt(0)
	; wave barrier
	scratch_load_dwordx4 v[70:73], off, off offset:224
	scratch_load_dwordx4 v[62:65], off, off offset:240
	;; [unrolled: 1-line block ×15, first 2 shown]
	scratch_load_dwordx2 v[80:81], off, off offset:464
	v_mov_b32_e32 v78, 0
	ds_read_b128 v[94:97], v78 offset:704
	ds_read_b128 v[98:101], v78 offset:720
	;; [unrolled: 1-line block ×12, first 2 shown]
	v_cmp_lt_u32_e32 vcc, 26, v0
	s_waitcnt vmcnt(15) lgkmcnt(11)
	v_mul_f32_e32 v79, v94, v71
	v_mul_f32_e32 v71, v95, v71
	;; [unrolled: 1-line block ×4, first 2 shown]
	v_fmac_f32_e32 v79, v95, v70
	v_fma_f32 v70, v94, v70, -v71
	s_waitcnt vmcnt(9) lgkmcnt(5)
	v_mul_f32_e32 v127, v58, v3
	v_mul_f32_e32 v3, v59, v3
	v_fmac_f32_e32 v127, v59, v2
	v_fma_f32 v58, v58, v2, -v3
	scratch_load_dwordx2 v[2:3], off, off offset:216
	v_mul_f32_e32 v84, v98, v63
	v_fmac_f32_e32 v82, v97, v72
	v_fma_f32 v72, v96, v72, -v73
	v_add_f32_e32 v70, 0, v70
	v_mul_f32_e32 v63, v99, v63
	v_fmac_f32_e32 v84, v99, v62
	v_add_f32_e32 v70, v70, v72
	v_fma_f32 v62, v98, v62, -v63
	v_mul_f32_e32 v63, v101, v65
	v_add_f32_e32 v62, v70, v62
	v_fma_f32 v63, v100, v64, -v63
	v_add_f32_e32 v62, v62, v63
	v_mul_f32_e32 v63, v103, v67
	v_fma_f32 v63, v102, v66, -v63
	v_add_f32_e32 v62, v62, v63
	v_mul_f32_e32 v63, v105, v69
	;; [unrolled: 3-line block ×7, first 2 shown]
	v_add_f32_e32 v71, 0, v79
	v_fma_f32 v63, v114, v90, -v63
	v_mul_f32_e32 v118, v100, v65
	v_add_f32_e32 v71, v71, v82
	v_add_f32_e32 v62, v62, v63
	v_mul_f32_e32 v63, v117, v93
	v_mul_f32_e32 v119, v102, v67
	v_fmac_f32_e32 v118, v101, v64
	v_add_f32_e32 v71, v71, v84
	v_fma_f32 v63, v116, v92, -v63
	v_mul_f32_e32 v120, v104, v69
	v_mul_f32_e32 v128, v60, v5
	v_fmac_f32_e32 v119, v103, v66
	v_add_f32_e32 v71, v71, v118
	v_add_f32_e32 v62, v62, v63
	v_mul_f32_e32 v5, v61, v5
	v_mul_f32_e32 v121, v106, v75
	v_fmac_f32_e32 v120, v105, v68
	v_fmac_f32_e32 v128, v61, v4
	v_add_f32_e32 v71, v71, v119
	v_add_f32_e32 v58, v62, v58
	v_fma_f32 v4, v60, v4, -v5
	s_waitcnt vmcnt(9) lgkmcnt(4)
	v_mul_f32_e32 v5, v55, v7
	v_mul_f32_e32 v122, v108, v77
	v_fmac_f32_e32 v121, v107, v74
	v_add_f32_e32 v71, v71, v120
	v_add_f32_e32 v4, v58, v4
	v_fma_f32 v5, v54, v6, -v5
	v_mul_f32_e32 v123, v110, v87
	v_fmac_f32_e32 v122, v109, v76
	v_add_f32_e32 v71, v71, v121
	v_add_f32_e32 v4, v4, v5
	v_mul_f32_e32 v5, v57, v9
	v_mul_f32_e32 v124, v112, v89
	v_fmac_f32_e32 v123, v111, v86
	v_add_f32_e32 v71, v71, v122
	v_fma_f32 v5, v56, v8, -v5
	v_mul_f32_e32 v125, v114, v91
	v_fmac_f32_e32 v124, v113, v88
	v_add_f32_e32 v71, v71, v123
	v_add_f32_e32 v4, v4, v5
	s_waitcnt vmcnt(8) lgkmcnt(3)
	v_mul_f32_e32 v5, v51, v11
	v_mul_f32_e32 v126, v116, v93
	v_fmac_f32_e32 v125, v115, v90
	v_add_f32_e32 v71, v71, v124
	v_fma_f32 v5, v50, v10, -v5
	v_fmac_f32_e32 v126, v117, v92
	v_add_f32_e32 v71, v71, v125
	v_add_f32_e32 v4, v4, v5
	v_mul_f32_e32 v5, v53, v13
	v_add_f32_e32 v71, v71, v126
	v_fma_f32 v5, v52, v12, -v5
	v_mul_f32_e32 v129, v54, v7
	v_add_f32_e32 v71, v71, v127
	v_add_f32_e32 v4, v4, v5
	s_waitcnt vmcnt(7) lgkmcnt(2)
	v_mul_f32_e32 v5, v47, v15
	v_mul_f32_e32 v130, v56, v9
	v_fmac_f32_e32 v129, v55, v6
	v_add_f32_e32 v71, v71, v128
	v_fma_f32 v5, v46, v14, -v5
	v_mul_f32_e32 v131, v50, v11
	v_fmac_f32_e32 v130, v57, v8
	v_add_f32_e32 v71, v71, v129
	v_add_f32_e32 v4, v4, v5
	v_mul_f32_e32 v5, v49, v17
	v_mul_f32_e32 v132, v52, v13
	v_fmac_f32_e32 v131, v51, v10
	v_add_f32_e32 v71, v71, v130
	v_fma_f32 v5, v48, v16, -v5
	v_mul_f32_e32 v133, v46, v15
	v_fmac_f32_e32 v132, v53, v12
	v_add_f32_e32 v71, v71, v131
	v_add_f32_e32 v4, v4, v5
	s_waitcnt vmcnt(6) lgkmcnt(1)
	v_mul_f32_e32 v5, v43, v27
	v_mul_f32_e32 v134, v48, v17
	v_fmac_f32_e32 v133, v47, v14
	v_add_f32_e32 v71, v71, v132
	v_fma_f32 v5, v42, v26, -v5
	v_mul_f32_e32 v135, v42, v27
	v_mul_f32_e32 v85, v44, v29
	v_fmac_f32_e32 v134, v49, v16
	v_add_f32_e32 v71, v71, v133
	v_add_f32_e32 v70, v4, v5
	v_mul_f32_e32 v4, v45, v29
	v_fmac_f32_e32 v135, v43, v26
	v_fmac_f32_e32 v85, v45, v28
	v_add_f32_e32 v71, v71, v134
	v_fma_f32 v84, v44, v28, -v4
	s_waitcnt vmcnt(5) lgkmcnt(0)
	v_mul_f32_e32 v4, v39, v31
	v_mov_b32_e32 v28, v33
	v_mul_f32_e32 v83, v38, v31
	v_add_f32_e32 v71, v71, v135
	v_fma_f32 v82, v38, v30, -v4
	ds_read_b128 v[4:7], v78 offset:896
	ds_read_b128 v[8:11], v78 offset:912
	;; [unrolled: 1-line block ×3, first 2 shown]
	ds_read_b64 v[16:17], v78 offset:944
	v_pk_mul_f32 v[28:29], v[40:41], v[28:29] op_sel:[1,0] op_sel_hi:[0,0]
	v_fmac_f32_e32 v83, v39, v30
	v_pk_add_f32 v[26:27], v[70:71], v[84:85]
	v_pk_fma_f32 v[30:31], v[40:41], v[32:33], v[28:29] neg_lo:[0,0,1] neg_hi:[0,0,1]
	v_pk_fma_f32 v[28:29], v[40:41], v[32:33], v[28:29] op_sel_hi:[1,0,1]
	v_pk_add_f32 v[26:27], v[26:27], v[82:83]
	v_mov_b32_e32 v31, v29
	s_waitcnt vmcnt(4) lgkmcnt(3)
	v_pk_mul_f32 v[28:29], v[4:5], v[34:35] op_sel:[1,1] op_sel_hi:[0,1]
	v_pk_add_f32 v[26:27], v[26:27], v[30:31]
	v_pk_fma_f32 v[30:31], v[4:5], v[34:35], v[28:29] neg_lo:[0,0,1] neg_hi:[0,0,1]
	v_pk_fma_f32 v[4:5], v[4:5], v[34:35], v[28:29] op_sel_hi:[1,0,1]
	s_nop 0
	v_mov_b32_e32 v31, v5
	v_pk_add_f32 v[4:5], v[26:27], v[30:31]
	v_mov_b32_e32 v26, v37
	v_pk_mul_f32 v[26:27], v[6:7], v[26:27] op_sel:[1,0] op_sel_hi:[0,0]
	v_pk_fma_f32 v[28:29], v[6:7], v[36:37], v[26:27] neg_lo:[0,0,1] neg_hi:[0,0,1]
	v_pk_fma_f32 v[6:7], v[6:7], v[36:37], v[26:27] op_sel_hi:[1,0,1]
	s_nop 0
	v_mov_b32_e32 v29, v7
	s_waitcnt vmcnt(3) lgkmcnt(2)
	v_pk_mul_f32 v[6:7], v[8:9], v[22:23] op_sel:[1,1] op_sel_hi:[0,1]
	v_pk_fma_f32 v[26:27], v[8:9], v[22:23], v[6:7] neg_lo:[0,0,1] neg_hi:[0,0,1]
	v_pk_fma_f32 v[6:7], v[8:9], v[22:23], v[6:7] op_sel_hi:[1,0,1]
	v_pk_add_f32 v[4:5], v[4:5], v[28:29]
	v_mov_b32_e32 v6, v25
	v_mov_b32_e32 v27, v7
	v_pk_mul_f32 v[6:7], v[10:11], v[6:7] op_sel:[1,0] op_sel_hi:[0,0]
	v_pk_fma_f32 v[8:9], v[10:11], v[24:25], v[6:7] neg_lo:[0,0,1] neg_hi:[0,0,1]
	v_pk_fma_f32 v[6:7], v[10:11], v[24:25], v[6:7] op_sel_hi:[1,0,1]
	v_pk_add_f32 v[4:5], v[4:5], v[26:27]
	v_mov_b32_e32 v9, v7
	s_waitcnt vmcnt(2) lgkmcnt(1)
	v_pk_mul_f32 v[6:7], v[12:13], v[18:19] op_sel:[1,1] op_sel_hi:[0,1]
	v_pk_add_f32 v[4:5], v[4:5], v[8:9]
	v_pk_fma_f32 v[8:9], v[12:13], v[18:19], v[6:7] neg_lo:[0,0,1] neg_hi:[0,0,1]
	v_pk_fma_f32 v[6:7], v[12:13], v[18:19], v[6:7] op_sel_hi:[1,0,1]
	s_nop 0
	v_mov_b32_e32 v6, v21
	v_mov_b32_e32 v9, v7
	v_pk_mul_f32 v[6:7], v[14:15], v[6:7] op_sel:[1,0] op_sel_hi:[0,0]
	v_pk_add_f32 v[4:5], v[4:5], v[8:9]
	v_pk_fma_f32 v[8:9], v[14:15], v[20:21], v[6:7] neg_lo:[0,0,1] neg_hi:[0,0,1]
	v_pk_fma_f32 v[6:7], v[14:15], v[20:21], v[6:7] op_sel_hi:[1,0,1]
	s_nop 0
	v_mov_b32_e32 v9, v7
	s_waitcnt vmcnt(1) lgkmcnt(0)
	v_pk_mul_f32 v[6:7], v[16:17], v[80:81] op_sel:[1,1] op_sel_hi:[0,1]
	v_pk_add_f32 v[4:5], v[4:5], v[8:9]
	v_pk_fma_f32 v[8:9], v[16:17], v[80:81], v[6:7] neg_lo:[0,0,1] neg_hi:[0,0,1]
	v_pk_fma_f32 v[6:7], v[16:17], v[80:81], v[6:7] op_sel_hi:[1,0,1]
	s_nop 0
	v_mov_b32_e32 v9, v7
	v_pk_add_f32 v[4:5], v[4:5], v[8:9]
	s_waitcnt vmcnt(0)
	v_pk_add_f32 v[2:3], v[2:3], v[4:5] neg_lo:[0,1] neg_hi:[0,1]
	scratch_store_dwordx2 off, v[2:3], off offset:216
	s_and_saveexec_b64 s[0:1], vcc
	s_cbranch_execz .LBB58_315
; %bb.314:
	scratch_load_dwordx2 v[2:3], off, off offset:208
	v_mov_b32_e32 v79, v78
	scratch_store_dwordx2 off, v[78:79], off offset:208
	s_waitcnt vmcnt(1)
	ds_write_b64 v1, v[2:3]
.LBB58_315:
	s_or_b64 exec, exec, s[0:1]
	s_waitcnt lgkmcnt(0)
	; wave barrier
	scratch_load_dwordx4 v[6:9], off, off offset:216
	scratch_load_dwordx4 v[14:17], off, off offset:232
	;; [unrolled: 1-line block ×10, first 2 shown]
	ds_read2_b64 v[2:5], v78 offset0:87 offset1:88
	scratch_load_dwordx4 v[88:91], off, off offset:376
	scratch_load_dwordx4 v[96:99], off, off offset:392
	v_cmp_lt_u32_e32 vcc, 25, v0
	s_waitcnt vmcnt(11) lgkmcnt(0)
	v_mul_f32_e32 v10, v2, v7
	v_fmac_f32_e32 v10, v3, v6
	v_mul_f32_e32 v11, v4, v9
	v_add_f32_e32 v10, 0, v10
	v_fmac_f32_e32 v11, v5, v8
	v_add_f32_e32 v18, v10, v11
	ds_read2_b64 v[10:13], v78 offset0:89 offset1:90
	v_mul_f32_e32 v3, v3, v7
	v_fma_f32 v2, v2, v6, -v3
	v_mul_f32_e32 v3, v5, v9
	v_add_f32_e32 v2, 0, v2
	s_waitcnt vmcnt(10) lgkmcnt(0)
	v_mul_f32_e32 v19, v10, v15
	v_fmac_f32_e32 v19, v11, v14
	v_add_f32_e32 v18, v18, v19
	v_mul_f32_e32 v19, v12, v17
	v_fmac_f32_e32 v19, v13, v16
	v_add_f32_e32 v26, v18, v19
	ds_read2_b64 v[18:21], v78 offset0:91 offset1:92
	v_fma_f32 v3, v4, v8, -v3
	v_add_f32_e32 v2, v2, v3
	v_mul_f32_e32 v3, v11, v15
	v_fma_f32 v3, v10, v14, -v3
	s_waitcnt vmcnt(9) lgkmcnt(0)
	v_mul_f32_e32 v27, v18, v23
	v_fmac_f32_e32 v27, v19, v22
	v_add_f32_e32 v26, v26, v27
	v_mul_f32_e32 v27, v20, v25
	v_fmac_f32_e32 v27, v21, v24
	v_add_f32_e32 v34, v26, v27
	ds_read2_b64 v[26:29], v78 offset0:93 offset1:94
	v_add_f32_e32 v2, v2, v3
	v_mul_f32_e32 v3, v13, v17
	v_fma_f32 v3, v12, v16, -v3
	v_add_f32_e32 v2, v2, v3
	s_waitcnt vmcnt(8) lgkmcnt(0)
	v_mul_f32_e32 v35, v26, v31
	v_fmac_f32_e32 v35, v27, v30
	v_add_f32_e32 v34, v34, v35
	v_mul_f32_e32 v35, v28, v33
	v_fmac_f32_e32 v35, v29, v32
	v_add_f32_e32 v42, v34, v35
	ds_read2_b64 v[34:37], v78 offset0:95 offset1:96
	v_mul_f32_e32 v3, v19, v23
	v_fma_f32 v3, v18, v22, -v3
	v_add_f32_e32 v2, v2, v3
	v_mul_f32_e32 v3, v21, v25
	s_waitcnt vmcnt(7) lgkmcnt(0)
	v_mul_f32_e32 v43, v34, v39
	v_fmac_f32_e32 v43, v35, v38
	v_add_f32_e32 v42, v42, v43
	v_mul_f32_e32 v43, v36, v41
	v_fmac_f32_e32 v43, v37, v40
	v_add_f32_e32 v50, v42, v43
	ds_read2_b64 v[42:45], v78 offset0:97 offset1:98
	v_fma_f32 v3, v20, v24, -v3
	v_add_f32_e32 v2, v2, v3
	v_mul_f32_e32 v3, v27, v31
	v_fma_f32 v3, v26, v30, -v3
	s_waitcnt vmcnt(6) lgkmcnt(0)
	v_mul_f32_e32 v51, v42, v47
	v_fmac_f32_e32 v51, v43, v46
	v_add_f32_e32 v50, v50, v51
	v_mul_f32_e32 v51, v44, v49
	v_fmac_f32_e32 v51, v45, v48
	v_add_f32_e32 v58, v50, v51
	ds_read2_b64 v[50:53], v78 offset0:99 offset1:100
	v_add_f32_e32 v2, v2, v3
	v_mul_f32_e32 v3, v29, v33
	v_fma_f32 v3, v28, v32, -v3
	v_add_f32_e32 v2, v2, v3
	s_waitcnt vmcnt(5) lgkmcnt(0)
	v_mul_f32_e32 v59, v50, v55
	v_fmac_f32_e32 v59, v51, v54
	v_add_f32_e32 v58, v58, v59
	v_mul_f32_e32 v59, v52, v57
	v_fmac_f32_e32 v59, v53, v56
	v_add_f32_e32 v66, v58, v59
	ds_read2_b64 v[58:61], v78 offset0:101 offset1:102
	v_mul_f32_e32 v3, v35, v39
	v_fma_f32 v3, v34, v38, -v3
	v_add_f32_e32 v2, v2, v3
	v_mul_f32_e32 v3, v37, v41
	s_waitcnt vmcnt(4) lgkmcnt(0)
	v_mul_f32_e32 v67, v58, v63
	v_fmac_f32_e32 v67, v59, v62
	v_add_f32_e32 v66, v66, v67
	v_mul_f32_e32 v67, v60, v65
	v_fmac_f32_e32 v67, v61, v64
	v_add_f32_e32 v74, v66, v67
	ds_read2_b64 v[66:69], v78 offset0:103 offset1:104
	v_fma_f32 v3, v36, v40, -v3
	v_add_f32_e32 v2, v2, v3
	v_mul_f32_e32 v3, v43, v47
	v_fma_f32 v3, v42, v46, -v3
	s_waitcnt vmcnt(3) lgkmcnt(0)
	v_mul_f32_e32 v75, v66, v71
	v_fmac_f32_e32 v75, v67, v70
	v_add_f32_e32 v74, v74, v75
	v_mul_f32_e32 v75, v68, v73
	v_fmac_f32_e32 v75, v69, v72
	v_add_f32_e32 v79, v74, v75
	ds_read2_b64 v[74:77], v78 offset0:105 offset1:106
	v_add_f32_e32 v2, v2, v3
	v_mul_f32_e32 v3, v45, v49
	v_fma_f32 v3, v44, v48, -v3
	v_add_f32_e32 v2, v2, v3
	s_waitcnt vmcnt(2) lgkmcnt(0)
	v_mul_f32_e32 v84, v74, v81
	v_fmac_f32_e32 v84, v75, v80
	v_add_f32_e32 v79, v79, v84
	v_mul_f32_e32 v84, v76, v83
	v_fmac_f32_e32 v84, v77, v82
	v_add_f32_e32 v79, v79, v84
	ds_read2_b64 v[84:87], v78 offset0:107 offset1:108
	v_mul_f32_e32 v3, v51, v55
	v_fma_f32 v3, v50, v54, -v3
	v_add_f32_e32 v2, v2, v3
	v_mul_f32_e32 v3, v53, v57
	s_waitcnt vmcnt(1) lgkmcnt(0)
	v_mul_f32_e32 v92, v84, v89
	v_fmac_f32_e32 v92, v85, v88
	v_add_f32_e32 v79, v79, v92
	v_mul_f32_e32 v92, v86, v91
	v_fmac_f32_e32 v92, v87, v90
	v_add_f32_e32 v117, v79, v92
	ds_read2_b64 v[92:95], v78 offset0:109 offset1:110
	scratch_load_dwordx4 v[100:103], off, off offset:408
	scratch_load_dwordx4 v[104:107], off, off offset:424
	;; [unrolled: 1-line block ×4, first 2 shown]
	v_fma_f32 v3, v52, v56, -v3
	v_add_f32_e32 v2, v2, v3
	v_mul_f32_e32 v3, v59, v63
	v_fma_f32 v3, v58, v62, -v3
	v_add_f32_e32 v2, v2, v3
	v_mul_f32_e32 v3, v61, v65
	;; [unrolled: 3-line block ×8, first 2 shown]
	v_fma_f32 v3, v86, v90, -v3
	v_add_f32_e32 v116, v2, v3
	s_waitcnt vmcnt(4) lgkmcnt(0)
	v_mul_f32_e32 v2, v93, v97
	v_fma_f32 v118, v92, v96, -v2
	v_mul_f32_e32 v2, v95, v99
	v_fma_f32 v120, v94, v98, -v2
	ds_read2_b64 v[2:5], v78 offset0:111 offset1:112
	ds_read2_b64 v[6:9], v78 offset0:113 offset1:114
	;; [unrolled: 1-line block ×4, first 2 shown]
	v_mul_f32_e32 v119, v92, v97
	v_fmac_f32_e32 v119, v93, v96
	v_mul_f32_e32 v121, v94, v99
	v_fmac_f32_e32 v121, v95, v98
	v_pk_add_f32 v[18:19], v[116:117], v[118:119]
	s_waitcnt vmcnt(3) lgkmcnt(3)
	v_pk_mul_f32 v[20:21], v[2:3], v[100:101] op_sel:[1,1] op_sel_hi:[0,1]
	v_pk_fma_f32 v[22:23], v[2:3], v[100:101], v[20:21] neg_lo:[0,0,1] neg_hi:[0,0,1]
	v_pk_fma_f32 v[2:3], v[2:3], v[100:101], v[20:21] op_sel_hi:[1,0,1]
	v_pk_add_f32 v[18:19], v[18:19], v[120:121]
	v_mov_b32_e32 v23, v3
	v_pk_add_f32 v[2:3], v[18:19], v[22:23]
	v_mov_b32_e32 v18, v103
	v_pk_mul_f32 v[18:19], v[4:5], v[18:19] op_sel:[1,0] op_sel_hi:[0,0]
	v_pk_fma_f32 v[20:21], v[4:5], v[102:103], v[18:19] neg_lo:[0,0,1] neg_hi:[0,0,1]
	v_pk_fma_f32 v[4:5], v[4:5], v[102:103], v[18:19] op_sel_hi:[1,0,1]
	s_nop 0
	v_mov_b32_e32 v21, v5
	s_waitcnt vmcnt(2) lgkmcnt(2)
	v_pk_mul_f32 v[4:5], v[6:7], v[104:105] op_sel:[1,1] op_sel_hi:[0,1]
	v_pk_fma_f32 v[18:19], v[6:7], v[104:105], v[4:5] neg_lo:[0,0,1] neg_hi:[0,0,1]
	v_pk_fma_f32 v[4:5], v[6:7], v[104:105], v[4:5] op_sel_hi:[1,0,1]
	v_pk_add_f32 v[2:3], v[2:3], v[20:21]
	v_mov_b32_e32 v4, v107
	v_mov_b32_e32 v19, v5
	v_pk_mul_f32 v[4:5], v[8:9], v[4:5] op_sel:[1,0] op_sel_hi:[0,0]
	v_pk_fma_f32 v[6:7], v[8:9], v[106:107], v[4:5] neg_lo:[0,0,1] neg_hi:[0,0,1]
	v_pk_fma_f32 v[4:5], v[8:9], v[106:107], v[4:5] op_sel_hi:[1,0,1]
	v_pk_add_f32 v[2:3], v[2:3], v[18:19]
	v_mov_b32_e32 v7, v5
	s_waitcnt vmcnt(1) lgkmcnt(1)
	v_pk_mul_f32 v[4:5], v[10:11], v[108:109] op_sel:[1,1] op_sel_hi:[0,1]
	v_pk_add_f32 v[2:3], v[2:3], v[6:7]
	v_pk_fma_f32 v[6:7], v[10:11], v[108:109], v[4:5] neg_lo:[0,0,1] neg_hi:[0,0,1]
	v_pk_fma_f32 v[4:5], v[10:11], v[108:109], v[4:5] op_sel_hi:[1,0,1]
	s_nop 0
	v_mov_b32_e32 v4, v111
	v_mov_b32_e32 v7, v5
	v_pk_mul_f32 v[4:5], v[12:13], v[4:5] op_sel:[1,0] op_sel_hi:[0,0]
	v_pk_add_f32 v[2:3], v[2:3], v[6:7]
	v_pk_fma_f32 v[6:7], v[12:13], v[110:111], v[4:5] neg_lo:[0,0,1] neg_hi:[0,0,1]
	v_pk_fma_f32 v[4:5], v[12:13], v[110:111], v[4:5] op_sel_hi:[1,0,1]
	s_nop 0
	v_mov_b32_e32 v7, v5
	s_waitcnt vmcnt(0) lgkmcnt(0)
	v_pk_mul_f32 v[4:5], v[14:15], v[112:113] op_sel:[1,1] op_sel_hi:[0,1]
	v_pk_add_f32 v[2:3], v[2:3], v[6:7]
	v_pk_fma_f32 v[6:7], v[14:15], v[112:113], v[4:5] neg_lo:[0,0,1] neg_hi:[0,0,1]
	v_pk_fma_f32 v[4:5], v[14:15], v[112:113], v[4:5] op_sel_hi:[1,0,1]
	s_nop 0
	v_mov_b32_e32 v4, v115
	v_mov_b32_e32 v7, v5
	v_pk_mul_f32 v[4:5], v[16:17], v[4:5] op_sel:[1,0] op_sel_hi:[0,0]
	v_pk_add_f32 v[2:3], v[2:3], v[6:7]
	v_pk_fma_f32 v[6:7], v[16:17], v[114:115], v[4:5] neg_lo:[0,0,1] neg_hi:[0,0,1]
	v_pk_fma_f32 v[4:5], v[16:17], v[114:115], v[4:5] op_sel_hi:[1,0,1]
	s_nop 0
	v_mov_b32_e32 v7, v5
	scratch_load_dwordx2 v[4:5], off, off offset:208
	v_pk_add_f32 v[2:3], v[2:3], v[6:7]
	s_waitcnt vmcnt(0)
	v_pk_add_f32 v[2:3], v[4:5], v[2:3] neg_lo:[0,1] neg_hi:[0,1]
	scratch_store_dwordx2 off, v[2:3], off offset:208
	s_and_saveexec_b64 s[0:1], vcc
	s_cbranch_execz .LBB58_317
; %bb.316:
	scratch_load_dwordx2 v[2:3], off, off offset:200
	v_mov_b32_e32 v4, 0
	v_mov_b32_e32 v5, v4
	scratch_store_dwordx2 off, v[4:5], off offset:200
	s_waitcnt vmcnt(1)
	ds_write_b64 v1, v[2:3]
.LBB58_317:
	s_or_b64 exec, exec, s[0:1]
	v_mov_b32_e32 v70, 0
	s_waitcnt lgkmcnt(0)
	; wave barrier
	ds_read_b128 v[14:17], v70 offset:688
	ds_read_b128 v[10:13], v70 offset:704
	ds_read_b128 v[6:9], v70 offset:720
	ds_read_b128 v[2:5], v70 offset:736
	scratch_load_dwordx4 v[18:21], off, off offset:208
	scratch_load_dwordx4 v[38:41], off, off offset:272
	;; [unrolled: 1-line block ×7, first 2 shown]
	v_cmp_lt_u32_e32 vcc, 24, v0
	scratch_load_dwordx4 v[46:49], off, off offset:288
	scratch_load_dwordx4 v[54:57], off, off offset:304
	;; [unrolled: 1-line block ×3, first 2 shown]
	s_waitcnt vmcnt(9) lgkmcnt(3)
	v_mul_f32_e32 v22, v14, v19
	v_fmac_f32_e32 v22, v15, v18
	v_mul_f32_e32 v23, v16, v21
	v_add_f32_e32 v22, 0, v22
	v_fmac_f32_e32 v23, v17, v20
	v_add_f32_e32 v26, v22, v23
	scratch_load_dwordx4 v[22:25], off, off offset:224
	v_mul_f32_e32 v15, v15, v19
	v_fma_f32 v14, v14, v18, -v15
	v_mul_f32_e32 v15, v17, v21
	v_add_f32_e32 v14, 0, v14
	v_fma_f32 v15, v16, v20, -v15
	v_add_f32_e32 v14, v14, v15
	s_waitcnt vmcnt(4)
	v_mov_b32_e32 v18, v107
	s_waitcnt vmcnt(0) lgkmcnt(2)
	v_mul_f32_e32 v27, v10, v23
	v_fmac_f32_e32 v27, v11, v22
	v_add_f32_e32 v26, v26, v27
	v_mul_f32_e32 v27, v12, v25
	v_fmac_f32_e32 v27, v13, v24
	v_add_f32_e32 v30, v26, v27
	scratch_load_dwordx4 v[26:29], off, off offset:240
	v_mul_f32_e32 v11, v11, v23
	v_fma_f32 v10, v10, v22, -v11
	v_mul_f32_e32 v11, v13, v25
	v_add_f32_e32 v10, v14, v10
	v_fma_f32 v11, v12, v24, -v11
	v_add_f32_e32 v10, v10, v11
	s_waitcnt vmcnt(0) lgkmcnt(1)
	v_mul_f32_e32 v31, v6, v27
	v_fmac_f32_e32 v31, v7, v26
	v_add_f32_e32 v30, v30, v31
	v_mul_f32_e32 v31, v8, v29
	v_fmac_f32_e32 v31, v9, v28
	v_add_f32_e32 v34, v30, v31
	scratch_load_dwordx4 v[30:33], off, off offset:256
	v_mul_f32_e32 v7, v7, v27
	v_fma_f32 v6, v6, v26, -v7
	v_mul_f32_e32 v7, v9, v29
	v_add_f32_e32 v6, v10, v6
	v_fma_f32 v7, v8, v28, -v7
	v_add_f32_e32 v6, v6, v7
	s_waitcnt vmcnt(0) lgkmcnt(0)
	v_mul_f32_e32 v35, v2, v31
	v_fmac_f32_e32 v35, v3, v30
	v_add_f32_e32 v34, v34, v35
	v_mul_f32_e32 v35, v4, v33
	v_fmac_f32_e32 v35, v5, v32
	v_add_f32_e32 v42, v34, v35
	ds_read_b128 v[34:37], v70 offset:752
	v_mul_f32_e32 v3, v3, v31
	v_fma_f32 v2, v2, v30, -v3
	v_mul_f32_e32 v3, v5, v33
	v_add_f32_e32 v2, v6, v2
	s_waitcnt lgkmcnt(0)
	v_mul_f32_e32 v43, v34, v39
	v_fmac_f32_e32 v43, v35, v38
	v_add_f32_e32 v42, v42, v43
	v_mul_f32_e32 v43, v36, v41
	v_fmac_f32_e32 v43, v37, v40
	v_add_f32_e32 v50, v42, v43
	ds_read_b128 v[42:45], v70 offset:768
	v_fma_f32 v3, v4, v32, -v3
	v_add_f32_e32 v2, v2, v3
	v_mul_f32_e32 v3, v35, v39
	v_fma_f32 v3, v34, v38, -v3
	s_waitcnt lgkmcnt(0)
	v_mul_f32_e32 v51, v42, v47
	v_fmac_f32_e32 v51, v43, v46
	v_add_f32_e32 v50, v50, v51
	v_mul_f32_e32 v51, v44, v49
	v_fmac_f32_e32 v51, v45, v48
	v_add_f32_e32 v58, v50, v51
	ds_read_b128 v[50:53], v70 offset:784
	v_add_f32_e32 v2, v2, v3
	v_mul_f32_e32 v3, v37, v41
	v_fma_f32 v3, v36, v40, -v3
	v_add_f32_e32 v2, v2, v3
	s_waitcnt lgkmcnt(0)
	v_mul_f32_e32 v59, v50, v55
	v_fmac_f32_e32 v59, v51, v54
	v_add_f32_e32 v58, v58, v59
	v_mul_f32_e32 v59, v52, v57
	v_fmac_f32_e32 v59, v53, v56
	v_add_f32_e32 v66, v58, v59
	ds_read_b128 v[58:61], v70 offset:800
	v_mul_f32_e32 v3, v43, v47
	v_fma_f32 v3, v42, v46, -v3
	v_add_f32_e32 v2, v2, v3
	v_mul_f32_e32 v3, v45, v49
	s_waitcnt lgkmcnt(0)
	v_mul_f32_e32 v67, v58, v63
	v_fmac_f32_e32 v67, v59, v62
	v_add_f32_e32 v66, v66, v67
	v_mul_f32_e32 v67, v60, v65
	v_fmac_f32_e32 v67, v61, v64
	v_add_f32_e32 v71, v66, v67
	ds_read_b128 v[66:69], v70 offset:816
	v_fma_f32 v3, v44, v48, -v3
	v_add_f32_e32 v2, v2, v3
	v_mul_f32_e32 v3, v51, v55
	v_fma_f32 v3, v50, v54, -v3
	s_waitcnt lgkmcnt(0)
	v_mul_f32_e32 v76, v66, v73
	v_fmac_f32_e32 v76, v67, v72
	v_add_f32_e32 v71, v71, v76
	v_mul_f32_e32 v76, v68, v75
	v_fmac_f32_e32 v76, v69, v74
	v_add_f32_e32 v71, v71, v76
	ds_read_b128 v[76:79], v70 offset:832
	v_add_f32_e32 v2, v2, v3
	v_mul_f32_e32 v3, v53, v57
	v_fma_f32 v3, v52, v56, -v3
	v_add_f32_e32 v2, v2, v3
	s_waitcnt lgkmcnt(0)
	v_mul_f32_e32 v84, v76, v81
	v_fmac_f32_e32 v84, v77, v80
	v_add_f32_e32 v71, v71, v84
	v_mul_f32_e32 v84, v78, v83
	v_fmac_f32_e32 v84, v79, v82
	v_add_f32_e32 v71, v71, v84
	ds_read_b128 v[84:87], v70 offset:848
	v_mul_f32_e32 v3, v59, v63
	v_fma_f32 v3, v58, v62, -v3
	v_add_f32_e32 v2, v2, v3
	v_mul_f32_e32 v3, v61, v65
	s_waitcnt lgkmcnt(0)
	v_mul_f32_e32 v92, v84, v89
	v_fmac_f32_e32 v92, v85, v88
	v_add_f32_e32 v71, v71, v92
	v_mul_f32_e32 v92, v86, v91
	v_fmac_f32_e32 v92, v87, v90
	v_add_f32_e32 v71, v71, v92
	ds_read_b128 v[92:95], v70 offset:864
	v_fma_f32 v3, v60, v64, -v3
	v_add_f32_e32 v2, v2, v3
	v_mul_f32_e32 v3, v67, v73
	v_fma_f32 v3, v66, v72, -v3
	s_waitcnt lgkmcnt(0)
	v_mul_f32_e32 v100, v92, v97
	v_fmac_f32_e32 v100, v93, v96
	v_add_f32_e32 v121, v71, v100
	ds_read_b128 v[100:103], v70 offset:880
	scratch_load_dwordx4 v[108:111], off, off offset:416
	scratch_load_dwordx4 v[112:115], off, off offset:432
	;; [unrolled: 1-line block ×3, first 2 shown]
	scratch_load_dwordx2 v[126:127], off, off offset:464
	v_add_f32_e32 v2, v2, v3
	v_mul_f32_e32 v3, v69, v75
	v_fma_f32 v3, v68, v74, -v3
	v_add_f32_e32 v2, v2, v3
	v_mul_f32_e32 v3, v77, v81
	v_fma_f32 v3, v76, v80, -v3
	;; [unrolled: 3-line block ×6, first 2 shown]
	v_add_f32_e32 v120, v2, v3
	v_mul_f32_e32 v2, v95, v99
	v_mul_f32_e32 v123, v94, v99
	v_fma_f32 v122, v94, v98, -v2
	s_waitcnt lgkmcnt(0)
	v_mul_f32_e32 v2, v101, v105
	v_fmac_f32_e32 v123, v95, v98
	v_mul_f32_e32 v125, v100, v105
	v_fma_f32 v124, v100, v104, -v2
	ds_read_b128 v[2:5], v70 offset:896
	ds_read_b128 v[6:9], v70 offset:912
	;; [unrolled: 1-line block ×3, first 2 shown]
	ds_read_b64 v[14:15], v70 offset:944
	v_pk_mul_f32 v[18:19], v[102:103], v[18:19] op_sel:[1,0] op_sel_hi:[0,0]
	v_fmac_f32_e32 v125, v101, v104
	v_pk_add_f32 v[16:17], v[120:121], v[122:123]
	v_pk_fma_f32 v[20:21], v[102:103], v[106:107], v[18:19] neg_lo:[0,0,1] neg_hi:[0,0,1]
	v_pk_fma_f32 v[18:19], v[102:103], v[106:107], v[18:19] op_sel_hi:[1,0,1]
	v_pk_add_f32 v[16:17], v[16:17], v[124:125]
	v_mov_b32_e32 v21, v19
	v_pk_add_f32 v[16:17], v[16:17], v[20:21]
	s_waitcnt vmcnt(3) lgkmcnt(3)
	v_pk_mul_f32 v[18:19], v[2:3], v[108:109] op_sel:[1,1] op_sel_hi:[0,1]
	v_pk_fma_f32 v[20:21], v[2:3], v[108:109], v[18:19] neg_lo:[0,0,1] neg_hi:[0,0,1]
	v_pk_fma_f32 v[2:3], v[2:3], v[108:109], v[18:19] op_sel_hi:[1,0,1]
	s_nop 0
	v_mov_b32_e32 v21, v3
	v_pk_add_f32 v[2:3], v[16:17], v[20:21]
	v_mov_b32_e32 v16, v111
	v_pk_mul_f32 v[16:17], v[4:5], v[16:17] op_sel:[1,0] op_sel_hi:[0,0]
	v_pk_fma_f32 v[18:19], v[4:5], v[110:111], v[16:17] neg_lo:[0,0,1] neg_hi:[0,0,1]
	v_pk_fma_f32 v[4:5], v[4:5], v[110:111], v[16:17] op_sel_hi:[1,0,1]
	s_nop 0
	v_mov_b32_e32 v19, v5
	s_waitcnt vmcnt(2) lgkmcnt(2)
	v_pk_mul_f32 v[4:5], v[6:7], v[112:113] op_sel:[1,1] op_sel_hi:[0,1]
	v_pk_fma_f32 v[16:17], v[6:7], v[112:113], v[4:5] neg_lo:[0,0,1] neg_hi:[0,0,1]
	v_pk_fma_f32 v[4:5], v[6:7], v[112:113], v[4:5] op_sel_hi:[1,0,1]
	v_pk_add_f32 v[2:3], v[2:3], v[18:19]
	v_mov_b32_e32 v4, v115
	v_mov_b32_e32 v17, v5
	v_pk_mul_f32 v[4:5], v[8:9], v[4:5] op_sel:[1,0] op_sel_hi:[0,0]
	v_pk_fma_f32 v[6:7], v[8:9], v[114:115], v[4:5] neg_lo:[0,0,1] neg_hi:[0,0,1]
	v_pk_fma_f32 v[4:5], v[8:9], v[114:115], v[4:5] op_sel_hi:[1,0,1]
	v_pk_add_f32 v[2:3], v[2:3], v[16:17]
	v_mov_b32_e32 v7, v5
	s_waitcnt vmcnt(1) lgkmcnt(1)
	v_pk_mul_f32 v[4:5], v[10:11], v[116:117] op_sel:[1,1] op_sel_hi:[0,1]
	v_pk_add_f32 v[2:3], v[2:3], v[6:7]
	v_pk_fma_f32 v[6:7], v[10:11], v[116:117], v[4:5] neg_lo:[0,0,1] neg_hi:[0,0,1]
	v_pk_fma_f32 v[4:5], v[10:11], v[116:117], v[4:5] op_sel_hi:[1,0,1]
	s_nop 0
	v_mov_b32_e32 v4, v119
	v_mov_b32_e32 v7, v5
	v_pk_mul_f32 v[4:5], v[12:13], v[4:5] op_sel:[1,0] op_sel_hi:[0,0]
	v_pk_add_f32 v[2:3], v[2:3], v[6:7]
	v_pk_fma_f32 v[6:7], v[12:13], v[118:119], v[4:5] neg_lo:[0,0,1] neg_hi:[0,0,1]
	v_pk_fma_f32 v[4:5], v[12:13], v[118:119], v[4:5] op_sel_hi:[1,0,1]
	s_nop 0
	v_mov_b32_e32 v7, v5
	s_waitcnt vmcnt(0) lgkmcnt(0)
	v_pk_mul_f32 v[4:5], v[14:15], v[126:127] op_sel:[1,1] op_sel_hi:[0,1]
	v_pk_add_f32 v[2:3], v[2:3], v[6:7]
	v_pk_fma_f32 v[6:7], v[14:15], v[126:127], v[4:5] neg_lo:[0,0,1] neg_hi:[0,0,1]
	v_pk_fma_f32 v[4:5], v[14:15], v[126:127], v[4:5] op_sel_hi:[1,0,1]
	s_nop 0
	v_mov_b32_e32 v7, v5
	scratch_load_dwordx2 v[4:5], off, off offset:200
	v_pk_add_f32 v[2:3], v[2:3], v[6:7]
	s_waitcnt vmcnt(0)
	v_pk_add_f32 v[2:3], v[4:5], v[2:3] neg_lo:[0,1] neg_hi:[0,1]
	scratch_store_dwordx2 off, v[2:3], off offset:200
	s_and_saveexec_b64 s[0:1], vcc
	s_cbranch_execz .LBB58_319
; %bb.318:
	scratch_load_dwordx2 v[2:3], off, off offset:192
	v_mov_b32_e32 v71, v70
	scratch_store_dwordx2 off, v[70:71], off offset:192
	s_waitcnt vmcnt(1)
	ds_write_b64 v1, v[2:3]
.LBB58_319:
	s_or_b64 exec, exec, s[0:1]
	s_waitcnt lgkmcnt(0)
	; wave barrier
	scratch_load_dwordx4 v[6:9], off, off offset:200
	scratch_load_dwordx4 v[14:17], off, off offset:216
	;; [unrolled: 1-line block ×12, first 2 shown]
	ds_read2_b64 v[2:5], v70 offset0:85 offset1:86
	ds_read2_b64 v[38:41], v70 offset0:93 offset1:94
	;; [unrolled: 1-line block ×6, first 2 shown]
	scratch_load_dwordx4 v[126:129], off, off offset:392
	ds_read2_b64 v[122:125], v70 offset0:109 offset1:110
	v_cmp_lt_u32_e32 vcc, 23, v0
	ds_read2_b64 v[54:57], v70 offset0:95 offset1:96
	ds_read2_b64 v[66:69], v70 offset0:97 offset1:98
	;; [unrolled: 1-line block ×3, first 2 shown]
	s_waitcnt vmcnt(12) lgkmcnt(9)
	v_mul_f32_e32 v10, v2, v7
	v_fmac_f32_e32 v10, v3, v6
	v_mul_f32_e32 v11, v4, v9
	v_add_f32_e32 v10, 0, v10
	v_fmac_f32_e32 v11, v5, v8
	v_add_f32_e32 v18, v10, v11
	ds_read2_b64 v[10:13], v70 offset0:87 offset1:88
	v_mul_f32_e32 v3, v3, v7
	v_fma_f32 v2, v2, v6, -v3
	v_mul_f32_e32 v3, v5, v9
	v_add_f32_e32 v2, 0, v2
	s_waitcnt vmcnt(11) lgkmcnt(0)
	v_mul_f32_e32 v19, v10, v15
	v_fmac_f32_e32 v19, v11, v14
	v_add_f32_e32 v18, v18, v19
	v_mul_f32_e32 v19, v12, v17
	v_fmac_f32_e32 v19, v13, v16
	v_add_f32_e32 v26, v18, v19
	ds_read2_b64 v[18:21], v70 offset0:89 offset1:90
	v_fma_f32 v3, v4, v8, -v3
	v_add_f32_e32 v2, v2, v3
	v_mul_f32_e32 v3, v11, v15
	v_fma_f32 v3, v10, v14, -v3
	s_waitcnt vmcnt(10) lgkmcnt(0)
	v_mul_f32_e32 v27, v18, v23
	v_fmac_f32_e32 v27, v19, v22
	v_add_f32_e32 v26, v26, v27
	v_mul_f32_e32 v27, v20, v25
	v_fmac_f32_e32 v27, v21, v24
	v_add_f32_e32 v30, v26, v27
	ds_read2_b64 v[26:29], v70 offset0:91 offset1:92
	v_add_f32_e32 v2, v2, v3
	v_mul_f32_e32 v3, v13, v17
	v_fma_f32 v3, v12, v16, -v3
	v_add_f32_e32 v2, v2, v3
	s_waitcnt vmcnt(9) lgkmcnt(0)
	v_mul_f32_e32 v31, v26, v35
	v_fmac_f32_e32 v31, v27, v34
	v_add_f32_e32 v30, v30, v31
	v_mul_f32_e32 v31, v28, v37
	v_fmac_f32_e32 v31, v29, v36
	v_add_f32_e32 v30, v30, v31
	s_waitcnt vmcnt(8)
	v_mul_f32_e32 v31, v38, v51
	v_fmac_f32_e32 v31, v39, v50
	v_add_f32_e32 v30, v30, v31
	v_mul_f32_e32 v31, v40, v53
	v_fmac_f32_e32 v31, v41, v52
	v_add_f32_e32 v30, v30, v31
	s_waitcnt vmcnt(7)
	;; [unrolled: 7-line block ×8, first 2 shown]
	v_mul_f32_e32 v31, v114, v119
	v_fmac_f32_e32 v31, v115, v118
	v_add_f32_e32 v30, v30, v31
	v_mul_f32_e32 v31, v116, v121
	v_fmac_f32_e32 v31, v117, v120
	v_add_f32_e32 v73, v30, v31
	scratch_load_dwordx4 v[58:61], off, off offset:408
	scratch_load_dwordx4 v[46:49], off, off offset:424
	;; [unrolled: 1-line block ×4, first 2 shown]
	v_mul_f32_e32 v3, v19, v23
	v_fma_f32 v3, v18, v22, -v3
	v_add_f32_e32 v2, v2, v3
	v_mul_f32_e32 v3, v21, v25
	v_fma_f32 v3, v20, v24, -v3
	v_add_f32_e32 v2, v2, v3
	;; [unrolled: 3-line block ×20, first 2 shown]
	s_waitcnt vmcnt(4)
	v_mul_f32_e32 v2, v123, v127
	v_fma_f32 v74, v122, v126, -v2
	v_mul_f32_e32 v2, v125, v129
	v_fma_f32 v76, v124, v128, -v2
	ds_read2_b64 v[2:5], v70 offset0:111 offset1:112
	ds_read2_b64 v[6:9], v70 offset0:113 offset1:114
	;; [unrolled: 1-line block ×4, first 2 shown]
	v_mul_f32_e32 v75, v122, v127
	v_fmac_f32_e32 v75, v123, v126
	v_mul_f32_e32 v77, v124, v129
	v_fmac_f32_e32 v77, v125, v128
	v_pk_add_f32 v[18:19], v[72:73], v[74:75]
	s_waitcnt vmcnt(3) lgkmcnt(3)
	v_pk_mul_f32 v[20:21], v[2:3], v[58:59] op_sel:[1,1] op_sel_hi:[0,1]
	v_pk_fma_f32 v[22:23], v[2:3], v[58:59], v[20:21] neg_lo:[0,0,1] neg_hi:[0,0,1]
	v_pk_fma_f32 v[2:3], v[2:3], v[58:59], v[20:21] op_sel_hi:[1,0,1]
	v_pk_add_f32 v[18:19], v[18:19], v[76:77]
	v_mov_b32_e32 v23, v3
	v_pk_add_f32 v[2:3], v[18:19], v[22:23]
	v_mov_b32_e32 v18, v61
	v_pk_mul_f32 v[18:19], v[4:5], v[18:19] op_sel:[1,0] op_sel_hi:[0,0]
	v_pk_fma_f32 v[20:21], v[4:5], v[60:61], v[18:19] neg_lo:[0,0,1] neg_hi:[0,0,1]
	v_pk_fma_f32 v[4:5], v[4:5], v[60:61], v[18:19] op_sel_hi:[1,0,1]
	s_nop 0
	v_mov_b32_e32 v21, v5
	s_waitcnt vmcnt(2) lgkmcnt(2)
	v_pk_mul_f32 v[4:5], v[6:7], v[46:47] op_sel:[1,1] op_sel_hi:[0,1]
	v_pk_fma_f32 v[18:19], v[6:7], v[46:47], v[4:5] neg_lo:[0,0,1] neg_hi:[0,0,1]
	v_pk_fma_f32 v[4:5], v[6:7], v[46:47], v[4:5] op_sel_hi:[1,0,1]
	v_pk_add_f32 v[2:3], v[2:3], v[20:21]
	v_mov_b32_e32 v4, v49
	v_mov_b32_e32 v19, v5
	v_pk_mul_f32 v[4:5], v[8:9], v[4:5] op_sel:[1,0] op_sel_hi:[0,0]
	v_pk_fma_f32 v[6:7], v[8:9], v[48:49], v[4:5] neg_lo:[0,0,1] neg_hi:[0,0,1]
	v_pk_fma_f32 v[4:5], v[8:9], v[48:49], v[4:5] op_sel_hi:[1,0,1]
	v_pk_add_f32 v[2:3], v[2:3], v[18:19]
	v_mov_b32_e32 v7, v5
	s_waitcnt vmcnt(1) lgkmcnt(1)
	v_pk_mul_f32 v[4:5], v[10:11], v[42:43] op_sel:[1,1] op_sel_hi:[0,1]
	v_pk_add_f32 v[2:3], v[2:3], v[6:7]
	v_pk_fma_f32 v[6:7], v[10:11], v[42:43], v[4:5] neg_lo:[0,0,1] neg_hi:[0,0,1]
	v_pk_fma_f32 v[4:5], v[10:11], v[42:43], v[4:5] op_sel_hi:[1,0,1]
	s_nop 0
	v_mov_b32_e32 v4, v45
	v_mov_b32_e32 v7, v5
	v_pk_mul_f32 v[4:5], v[12:13], v[4:5] op_sel:[1,0] op_sel_hi:[0,0]
	v_pk_add_f32 v[2:3], v[2:3], v[6:7]
	v_pk_fma_f32 v[6:7], v[12:13], v[44:45], v[4:5] neg_lo:[0,0,1] neg_hi:[0,0,1]
	v_pk_fma_f32 v[4:5], v[12:13], v[44:45], v[4:5] op_sel_hi:[1,0,1]
	s_nop 0
	v_mov_b32_e32 v7, v5
	s_waitcnt vmcnt(0) lgkmcnt(0)
	v_pk_mul_f32 v[4:5], v[14:15], v[30:31] op_sel:[1,1] op_sel_hi:[0,1]
	v_pk_add_f32 v[2:3], v[2:3], v[6:7]
	v_pk_fma_f32 v[6:7], v[14:15], v[30:31], v[4:5] neg_lo:[0,0,1] neg_hi:[0,0,1]
	v_pk_fma_f32 v[4:5], v[14:15], v[30:31], v[4:5] op_sel_hi:[1,0,1]
	s_nop 0
	v_mov_b32_e32 v4, v33
	v_mov_b32_e32 v7, v5
	v_pk_mul_f32 v[4:5], v[16:17], v[4:5] op_sel:[1,0] op_sel_hi:[0,0]
	v_pk_add_f32 v[2:3], v[2:3], v[6:7]
	v_pk_fma_f32 v[6:7], v[16:17], v[32:33], v[4:5] neg_lo:[0,0,1] neg_hi:[0,0,1]
	v_pk_fma_f32 v[4:5], v[16:17], v[32:33], v[4:5] op_sel_hi:[1,0,1]
	s_nop 0
	v_mov_b32_e32 v7, v5
	scratch_load_dwordx2 v[4:5], off, off offset:192
	v_pk_add_f32 v[2:3], v[2:3], v[6:7]
	s_waitcnt vmcnt(0)
	v_pk_add_f32 v[2:3], v[4:5], v[2:3] neg_lo:[0,1] neg_hi:[0,1]
	scratch_store_dwordx2 off, v[2:3], off offset:192
	s_and_saveexec_b64 s[0:1], vcc
	s_cbranch_execz .LBB58_321
; %bb.320:
	scratch_load_dwordx2 v[2:3], off, off offset:184
	v_mov_b32_e32 v4, 0
	v_mov_b32_e32 v5, v4
	scratch_store_dwordx2 off, v[4:5], off offset:184
	s_waitcnt vmcnt(1)
	ds_write_b64 v1, v[2:3]
.LBB58_321:
	s_or_b64 exec, exec, s[0:1]
	v_mov_b32_e32 v70, 0
	s_waitcnt lgkmcnt(0)
	; wave barrier
	ds_read_b128 v[14:17], v70 offset:672
	ds_read_b128 v[10:13], v70 offset:688
	;; [unrolled: 1-line block ×4, first 2 shown]
	scratch_load_dwordx4 v[18:21], off, off offset:192
	scratch_load_dwordx4 v[38:41], off, off offset:256
	;; [unrolled: 1-line block ×8, first 2 shown]
	v_cmp_lt_u32_e32 vcc, 22, v0
	scratch_load_dwordx4 v[46:49], off, off offset:272
	scratch_load_dwordx4 v[54:57], off, off offset:288
	;; [unrolled: 1-line block ×3, first 2 shown]
	s_waitcnt vmcnt(10) lgkmcnt(3)
	v_mul_f32_e32 v22, v14, v19
	v_fmac_f32_e32 v22, v15, v18
	v_mul_f32_e32 v23, v16, v21
	v_add_f32_e32 v22, 0, v22
	v_fmac_f32_e32 v23, v17, v20
	v_add_f32_e32 v26, v22, v23
	scratch_load_dwordx4 v[22:25], off, off offset:208
	v_mul_f32_e32 v15, v15, v19
	v_fma_f32 v14, v14, v18, -v15
	v_mul_f32_e32 v15, v17, v21
	v_add_f32_e32 v14, 0, v14
	v_fma_f32 v15, v16, v20, -v15
	v_add_f32_e32 v14, v14, v15
	s_waitcnt vmcnt(4)
	v_mov_b32_e32 v18, v115
	s_waitcnt vmcnt(0) lgkmcnt(2)
	v_mul_f32_e32 v27, v10, v23
	v_fmac_f32_e32 v27, v11, v22
	v_add_f32_e32 v26, v26, v27
	v_mul_f32_e32 v27, v12, v25
	v_fmac_f32_e32 v27, v13, v24
	v_add_f32_e32 v30, v26, v27
	scratch_load_dwordx4 v[26:29], off, off offset:224
	v_mul_f32_e32 v11, v11, v23
	v_fma_f32 v10, v10, v22, -v11
	v_mul_f32_e32 v11, v13, v25
	v_add_f32_e32 v10, v14, v10
	v_fma_f32 v11, v12, v24, -v11
	v_add_f32_e32 v10, v10, v11
	s_waitcnt vmcnt(0) lgkmcnt(1)
	v_mul_f32_e32 v31, v6, v27
	v_fmac_f32_e32 v31, v7, v26
	v_add_f32_e32 v30, v30, v31
	v_mul_f32_e32 v31, v8, v29
	v_fmac_f32_e32 v31, v9, v28
	v_add_f32_e32 v34, v30, v31
	scratch_load_dwordx4 v[30:33], off, off offset:240
	v_mul_f32_e32 v7, v7, v27
	v_fma_f32 v6, v6, v26, -v7
	v_mul_f32_e32 v7, v9, v29
	v_add_f32_e32 v6, v10, v6
	v_fma_f32 v7, v8, v28, -v7
	v_add_f32_e32 v6, v6, v7
	s_waitcnt vmcnt(0) lgkmcnt(0)
	v_mul_f32_e32 v35, v2, v31
	v_fmac_f32_e32 v35, v3, v30
	v_add_f32_e32 v34, v34, v35
	v_mul_f32_e32 v35, v4, v33
	v_fmac_f32_e32 v35, v5, v32
	v_add_f32_e32 v42, v34, v35
	ds_read_b128 v[34:37], v70 offset:736
	v_mul_f32_e32 v3, v3, v31
	v_fma_f32 v2, v2, v30, -v3
	v_mul_f32_e32 v3, v5, v33
	v_add_f32_e32 v2, v6, v2
	s_waitcnt lgkmcnt(0)
	v_mul_f32_e32 v43, v34, v39
	v_fmac_f32_e32 v43, v35, v38
	v_add_f32_e32 v42, v42, v43
	v_mul_f32_e32 v43, v36, v41
	v_fmac_f32_e32 v43, v37, v40
	v_add_f32_e32 v50, v42, v43
	ds_read_b128 v[42:45], v70 offset:752
	v_fma_f32 v3, v4, v32, -v3
	v_add_f32_e32 v2, v2, v3
	v_mul_f32_e32 v3, v35, v39
	v_fma_f32 v3, v34, v38, -v3
	s_waitcnt lgkmcnt(0)
	v_mul_f32_e32 v51, v42, v47
	v_fmac_f32_e32 v51, v43, v46
	v_add_f32_e32 v50, v50, v51
	v_mul_f32_e32 v51, v44, v49
	v_fmac_f32_e32 v51, v45, v48
	v_add_f32_e32 v58, v50, v51
	ds_read_b128 v[50:53], v70 offset:768
	v_add_f32_e32 v2, v2, v3
	v_mul_f32_e32 v3, v37, v41
	v_fma_f32 v3, v36, v40, -v3
	v_add_f32_e32 v2, v2, v3
	s_waitcnt lgkmcnt(0)
	v_mul_f32_e32 v59, v50, v55
	v_fmac_f32_e32 v59, v51, v54
	v_add_f32_e32 v58, v58, v59
	v_mul_f32_e32 v59, v52, v57
	v_fmac_f32_e32 v59, v53, v56
	v_add_f32_e32 v66, v58, v59
	ds_read_b128 v[58:61], v70 offset:784
	v_mul_f32_e32 v3, v43, v47
	v_fma_f32 v3, v42, v46, -v3
	v_add_f32_e32 v2, v2, v3
	v_mul_f32_e32 v3, v45, v49
	s_waitcnt lgkmcnt(0)
	v_mul_f32_e32 v67, v58, v63
	v_fmac_f32_e32 v67, v59, v62
	v_add_f32_e32 v66, v66, v67
	v_mul_f32_e32 v67, v60, v65
	v_fmac_f32_e32 v67, v61, v64
	v_add_f32_e32 v71, v66, v67
	ds_read_b128 v[66:69], v70 offset:800
	v_fma_f32 v3, v44, v48, -v3
	v_add_f32_e32 v2, v2, v3
	v_mul_f32_e32 v3, v51, v55
	v_fma_f32 v3, v50, v54, -v3
	s_waitcnt lgkmcnt(0)
	v_mul_f32_e32 v76, v66, v73
	v_fmac_f32_e32 v76, v67, v72
	v_add_f32_e32 v71, v71, v76
	v_mul_f32_e32 v76, v68, v75
	v_fmac_f32_e32 v76, v69, v74
	v_add_f32_e32 v71, v71, v76
	ds_read_b128 v[76:79], v70 offset:816
	v_add_f32_e32 v2, v2, v3
	v_mul_f32_e32 v3, v53, v57
	v_fma_f32 v3, v52, v56, -v3
	v_add_f32_e32 v2, v2, v3
	s_waitcnt lgkmcnt(0)
	v_mul_f32_e32 v84, v76, v81
	v_fmac_f32_e32 v84, v77, v80
	v_add_f32_e32 v71, v71, v84
	v_mul_f32_e32 v84, v78, v83
	v_fmac_f32_e32 v84, v79, v82
	v_add_f32_e32 v71, v71, v84
	ds_read_b128 v[84:87], v70 offset:832
	v_mul_f32_e32 v3, v59, v63
	v_fma_f32 v3, v58, v62, -v3
	v_add_f32_e32 v2, v2, v3
	v_mul_f32_e32 v3, v61, v65
	s_waitcnt lgkmcnt(0)
	v_mul_f32_e32 v92, v84, v89
	v_fmac_f32_e32 v92, v85, v88
	v_add_f32_e32 v71, v71, v92
	v_mul_f32_e32 v92, v86, v91
	v_fmac_f32_e32 v92, v87, v90
	v_add_f32_e32 v71, v71, v92
	ds_read_b128 v[92:95], v70 offset:848
	v_fma_f32 v3, v60, v64, -v3
	v_add_f32_e32 v2, v2, v3
	v_mul_f32_e32 v3, v67, v73
	v_fma_f32 v3, v66, v72, -v3
	s_waitcnt lgkmcnt(0)
	v_mul_f32_e32 v100, v92, v97
	v_fmac_f32_e32 v100, v93, v96
	v_add_f32_e32 v71, v71, v100
	v_mul_f32_e32 v100, v94, v99
	v_fmac_f32_e32 v100, v95, v98
	v_add_f32_e32 v71, v71, v100
	ds_read_b128 v[100:103], v70 offset:864
	v_add_f32_e32 v2, v2, v3
	v_mul_f32_e32 v3, v69, v75
	v_fma_f32 v3, v68, v74, -v3
	v_add_f32_e32 v2, v2, v3
	s_waitcnt lgkmcnt(0)
	v_mul_f32_e32 v108, v100, v105
	v_fmac_f32_e32 v108, v101, v104
	v_add_f32_e32 v129, v71, v108
	ds_read_b128 v[108:111], v70 offset:880
	scratch_load_dwordx4 v[116:119], off, off offset:416
	scratch_load_dwordx4 v[120:123], off, off offset:432
	;; [unrolled: 1-line block ×3, first 2 shown]
	scratch_load_dwordx2 v[134:135], off, off offset:464
	v_mul_f32_e32 v3, v77, v81
	v_fma_f32 v3, v76, v80, -v3
	v_add_f32_e32 v2, v2, v3
	v_mul_f32_e32 v3, v79, v83
	v_fma_f32 v3, v78, v82, -v3
	v_add_f32_e32 v2, v2, v3
	;; [unrolled: 3-line block ×7, first 2 shown]
	v_mul_f32_e32 v2, v103, v107
	v_mul_f32_e32 v131, v102, v107
	v_fma_f32 v130, v102, v106, -v2
	s_waitcnt lgkmcnt(0)
	v_mul_f32_e32 v2, v109, v113
	v_fmac_f32_e32 v131, v103, v106
	v_mul_f32_e32 v133, v108, v113
	v_fma_f32 v132, v108, v112, -v2
	ds_read_b128 v[2:5], v70 offset:896
	ds_read_b128 v[6:9], v70 offset:912
	;; [unrolled: 1-line block ×3, first 2 shown]
	ds_read_b64 v[14:15], v70 offset:944
	v_pk_mul_f32 v[18:19], v[110:111], v[18:19] op_sel:[1,0] op_sel_hi:[0,0]
	v_fmac_f32_e32 v133, v109, v112
	v_pk_add_f32 v[16:17], v[128:129], v[130:131]
	v_pk_fma_f32 v[20:21], v[110:111], v[114:115], v[18:19] neg_lo:[0,0,1] neg_hi:[0,0,1]
	v_pk_fma_f32 v[18:19], v[110:111], v[114:115], v[18:19] op_sel_hi:[1,0,1]
	v_pk_add_f32 v[16:17], v[16:17], v[132:133]
	v_mov_b32_e32 v21, v19
	v_pk_add_f32 v[16:17], v[16:17], v[20:21]
	s_waitcnt vmcnt(3) lgkmcnt(3)
	v_pk_mul_f32 v[18:19], v[2:3], v[116:117] op_sel:[1,1] op_sel_hi:[0,1]
	v_pk_fma_f32 v[20:21], v[2:3], v[116:117], v[18:19] neg_lo:[0,0,1] neg_hi:[0,0,1]
	v_pk_fma_f32 v[2:3], v[2:3], v[116:117], v[18:19] op_sel_hi:[1,0,1]
	s_nop 0
	v_mov_b32_e32 v21, v3
	v_pk_add_f32 v[2:3], v[16:17], v[20:21]
	v_mov_b32_e32 v16, v119
	v_pk_mul_f32 v[16:17], v[4:5], v[16:17] op_sel:[1,0] op_sel_hi:[0,0]
	v_pk_fma_f32 v[18:19], v[4:5], v[118:119], v[16:17] neg_lo:[0,0,1] neg_hi:[0,0,1]
	v_pk_fma_f32 v[4:5], v[4:5], v[118:119], v[16:17] op_sel_hi:[1,0,1]
	s_nop 0
	v_mov_b32_e32 v19, v5
	s_waitcnt vmcnt(2) lgkmcnt(2)
	v_pk_mul_f32 v[4:5], v[6:7], v[120:121] op_sel:[1,1] op_sel_hi:[0,1]
	v_pk_fma_f32 v[16:17], v[6:7], v[120:121], v[4:5] neg_lo:[0,0,1] neg_hi:[0,0,1]
	v_pk_fma_f32 v[4:5], v[6:7], v[120:121], v[4:5] op_sel_hi:[1,0,1]
	v_pk_add_f32 v[2:3], v[2:3], v[18:19]
	v_mov_b32_e32 v4, v123
	v_mov_b32_e32 v17, v5
	v_pk_mul_f32 v[4:5], v[8:9], v[4:5] op_sel:[1,0] op_sel_hi:[0,0]
	v_pk_fma_f32 v[6:7], v[8:9], v[122:123], v[4:5] neg_lo:[0,0,1] neg_hi:[0,0,1]
	v_pk_fma_f32 v[4:5], v[8:9], v[122:123], v[4:5] op_sel_hi:[1,0,1]
	v_pk_add_f32 v[2:3], v[2:3], v[16:17]
	v_mov_b32_e32 v7, v5
	s_waitcnt vmcnt(1) lgkmcnt(1)
	v_pk_mul_f32 v[4:5], v[10:11], v[124:125] op_sel:[1,1] op_sel_hi:[0,1]
	v_pk_add_f32 v[2:3], v[2:3], v[6:7]
	v_pk_fma_f32 v[6:7], v[10:11], v[124:125], v[4:5] neg_lo:[0,0,1] neg_hi:[0,0,1]
	v_pk_fma_f32 v[4:5], v[10:11], v[124:125], v[4:5] op_sel_hi:[1,0,1]
	s_nop 0
	v_mov_b32_e32 v4, v127
	v_mov_b32_e32 v7, v5
	v_pk_mul_f32 v[4:5], v[12:13], v[4:5] op_sel:[1,0] op_sel_hi:[0,0]
	v_pk_add_f32 v[2:3], v[2:3], v[6:7]
	v_pk_fma_f32 v[6:7], v[12:13], v[126:127], v[4:5] neg_lo:[0,0,1] neg_hi:[0,0,1]
	v_pk_fma_f32 v[4:5], v[12:13], v[126:127], v[4:5] op_sel_hi:[1,0,1]
	s_nop 0
	v_mov_b32_e32 v7, v5
	s_waitcnt vmcnt(0) lgkmcnt(0)
	v_pk_mul_f32 v[4:5], v[14:15], v[134:135] op_sel:[1,1] op_sel_hi:[0,1]
	v_pk_add_f32 v[2:3], v[2:3], v[6:7]
	v_pk_fma_f32 v[6:7], v[14:15], v[134:135], v[4:5] neg_lo:[0,0,1] neg_hi:[0,0,1]
	v_pk_fma_f32 v[4:5], v[14:15], v[134:135], v[4:5] op_sel_hi:[1,0,1]
	s_nop 0
	v_mov_b32_e32 v7, v5
	scratch_load_dwordx2 v[4:5], off, off offset:184
	v_pk_add_f32 v[2:3], v[2:3], v[6:7]
	s_waitcnt vmcnt(0)
	v_pk_add_f32 v[2:3], v[4:5], v[2:3] neg_lo:[0,1] neg_hi:[0,1]
	scratch_store_dwordx2 off, v[2:3], off offset:184
	s_and_saveexec_b64 s[0:1], vcc
	s_cbranch_execz .LBB58_323
; %bb.322:
	scratch_load_dwordx2 v[2:3], off, off offset:176
	v_mov_b32_e32 v71, v70
	scratch_store_dwordx2 off, v[70:71], off offset:176
	s_waitcnt vmcnt(1)
	ds_write_b64 v1, v[2:3]
.LBB58_323:
	s_or_b64 exec, exec, s[0:1]
	s_waitcnt lgkmcnt(0)
	; wave barrier
	scratch_load_dwordx4 v[6:9], off, off offset:184
	scratch_load_dwordx4 v[14:17], off, off offset:200
	;; [unrolled: 1-line block ×10, first 2 shown]
	ds_read2_b64 v[2:5], v70 offset0:83 offset1:84
	scratch_load_dwordx4 v[88:91], off, off offset:344
	scratch_load_dwordx4 v[96:99], off, off offset:360
	;; [unrolled: 1-line block ×4, first 2 shown]
	v_cmp_lt_u32_e32 vcc, 21, v0
	s_waitcnt vmcnt(13) lgkmcnt(0)
	v_mul_f32_e32 v10, v2, v7
	v_fmac_f32_e32 v10, v3, v6
	v_mul_f32_e32 v11, v4, v9
	v_add_f32_e32 v10, 0, v10
	v_fmac_f32_e32 v11, v5, v8
	v_add_f32_e32 v18, v10, v11
	ds_read2_b64 v[10:13], v70 offset0:85 offset1:86
	v_mul_f32_e32 v3, v3, v7
	v_fma_f32 v2, v2, v6, -v3
	v_mul_f32_e32 v3, v5, v9
	v_add_f32_e32 v2, 0, v2
	s_waitcnt vmcnt(12) lgkmcnt(0)
	v_mul_f32_e32 v19, v10, v15
	v_fmac_f32_e32 v19, v11, v14
	v_add_f32_e32 v18, v18, v19
	v_mul_f32_e32 v19, v12, v17
	v_fmac_f32_e32 v19, v13, v16
	v_add_f32_e32 v26, v18, v19
	ds_read2_b64 v[18:21], v70 offset0:87 offset1:88
	v_fma_f32 v3, v4, v8, -v3
	v_add_f32_e32 v2, v2, v3
	v_mul_f32_e32 v3, v11, v15
	v_fma_f32 v3, v10, v14, -v3
	s_waitcnt vmcnt(11) lgkmcnt(0)
	v_mul_f32_e32 v27, v18, v23
	v_fmac_f32_e32 v27, v19, v22
	v_add_f32_e32 v26, v26, v27
	v_mul_f32_e32 v27, v20, v25
	v_fmac_f32_e32 v27, v21, v24
	v_add_f32_e32 v34, v26, v27
	ds_read2_b64 v[26:29], v70 offset0:89 offset1:90
	v_add_f32_e32 v2, v2, v3
	v_mul_f32_e32 v3, v13, v17
	v_fma_f32 v3, v12, v16, -v3
	v_add_f32_e32 v2, v2, v3
	s_waitcnt vmcnt(10) lgkmcnt(0)
	v_mul_f32_e32 v35, v26, v31
	v_fmac_f32_e32 v35, v27, v30
	v_add_f32_e32 v34, v34, v35
	v_mul_f32_e32 v35, v28, v33
	v_fmac_f32_e32 v35, v29, v32
	v_add_f32_e32 v42, v34, v35
	ds_read2_b64 v[34:37], v70 offset0:91 offset1:92
	v_mul_f32_e32 v3, v19, v23
	v_fma_f32 v3, v18, v22, -v3
	v_add_f32_e32 v2, v2, v3
	v_mul_f32_e32 v3, v21, v25
	s_waitcnt vmcnt(9) lgkmcnt(0)
	v_mul_f32_e32 v43, v34, v39
	v_fmac_f32_e32 v43, v35, v38
	v_add_f32_e32 v42, v42, v43
	v_mul_f32_e32 v43, v36, v41
	v_fmac_f32_e32 v43, v37, v40
	v_add_f32_e32 v50, v42, v43
	ds_read2_b64 v[42:45], v70 offset0:93 offset1:94
	v_fma_f32 v3, v20, v24, -v3
	v_add_f32_e32 v2, v2, v3
	v_mul_f32_e32 v3, v27, v31
	v_fma_f32 v3, v26, v30, -v3
	s_waitcnt vmcnt(8) lgkmcnt(0)
	v_mul_f32_e32 v51, v42, v47
	v_fmac_f32_e32 v51, v43, v46
	v_add_f32_e32 v50, v50, v51
	v_mul_f32_e32 v51, v44, v49
	v_fmac_f32_e32 v51, v45, v48
	v_add_f32_e32 v58, v50, v51
	ds_read2_b64 v[50:53], v70 offset0:95 offset1:96
	v_add_f32_e32 v2, v2, v3
	v_mul_f32_e32 v3, v29, v33
	v_fma_f32 v3, v28, v32, -v3
	v_add_f32_e32 v2, v2, v3
	s_waitcnt vmcnt(7) lgkmcnt(0)
	v_mul_f32_e32 v59, v50, v55
	v_fmac_f32_e32 v59, v51, v54
	v_add_f32_e32 v58, v58, v59
	v_mul_f32_e32 v59, v52, v57
	v_fmac_f32_e32 v59, v53, v56
	v_add_f32_e32 v66, v58, v59
	ds_read2_b64 v[58:61], v70 offset0:97 offset1:98
	v_mul_f32_e32 v3, v35, v39
	v_fma_f32 v3, v34, v38, -v3
	v_add_f32_e32 v2, v2, v3
	v_mul_f32_e32 v3, v37, v41
	;; [unrolled: 36-line block ×3, first 2 shown]
	s_waitcnt vmcnt(3) lgkmcnt(0)
	v_mul_f32_e32 v92, v84, v89
	v_fmac_f32_e32 v92, v85, v88
	v_add_f32_e32 v71, v71, v92
	v_mul_f32_e32 v92, v86, v91
	v_fmac_f32_e32 v92, v87, v90
	v_add_f32_e32 v71, v71, v92
	ds_read2_b64 v[92:95], v70 offset0:105 offset1:106
	v_fma_f32 v3, v52, v56, -v3
	v_add_f32_e32 v2, v2, v3
	v_mul_f32_e32 v3, v59, v63
	v_fma_f32 v3, v58, v62, -v3
	s_waitcnt vmcnt(2) lgkmcnt(0)
	v_mul_f32_e32 v100, v92, v97
	v_fmac_f32_e32 v100, v93, v96
	v_add_f32_e32 v71, v71, v100
	v_mul_f32_e32 v100, v94, v99
	v_fmac_f32_e32 v100, v95, v98
	v_add_f32_e32 v71, v71, v100
	ds_read2_b64 v[100:103], v70 offset0:107 offset1:108
	v_add_f32_e32 v2, v2, v3
	v_mul_f32_e32 v3, v61, v65
	v_fma_f32 v3, v60, v64, -v3
	v_add_f32_e32 v2, v2, v3
	s_waitcnt vmcnt(1) lgkmcnt(0)
	v_mul_f32_e32 v108, v100, v105
	v_fmac_f32_e32 v108, v101, v104
	v_add_f32_e32 v71, v71, v108
	v_mul_f32_e32 v108, v102, v107
	v_fmac_f32_e32 v108, v103, v106
	v_add_f32_e32 v133, v71, v108
	ds_read2_b64 v[108:111], v70 offset0:109 offset1:110
	scratch_load_dwordx4 v[116:119], off, off offset:408
	scratch_load_dwordx4 v[120:123], off, off offset:424
	;; [unrolled: 1-line block ×4, first 2 shown]
	v_mul_f32_e32 v3, v67, v73
	v_fma_f32 v3, v66, v72, -v3
	v_add_f32_e32 v2, v2, v3
	v_mul_f32_e32 v3, v69, v75
	v_fma_f32 v3, v68, v74, -v3
	v_add_f32_e32 v2, v2, v3
	;; [unrolled: 3-line block ×10, first 2 shown]
	s_waitcnt vmcnt(4) lgkmcnt(0)
	v_mul_f32_e32 v2, v109, v113
	v_fma_f32 v134, v108, v112, -v2
	v_mul_f32_e32 v2, v111, v115
	v_fma_f32 v136, v110, v114, -v2
	ds_read2_b64 v[2:5], v70 offset0:111 offset1:112
	ds_read2_b64 v[6:9], v70 offset0:113 offset1:114
	ds_read2_b64 v[10:13], v70 offset0:115 offset1:116
	ds_read2_b64 v[14:17], v70 offset0:117 offset1:118
	v_mul_f32_e32 v135, v108, v113
	v_fmac_f32_e32 v135, v109, v112
	v_mul_f32_e32 v137, v110, v115
	v_fmac_f32_e32 v137, v111, v114
	v_pk_add_f32 v[18:19], v[132:133], v[134:135]
	s_waitcnt vmcnt(3) lgkmcnt(3)
	v_pk_mul_f32 v[20:21], v[2:3], v[116:117] op_sel:[1,1] op_sel_hi:[0,1]
	v_pk_fma_f32 v[22:23], v[2:3], v[116:117], v[20:21] neg_lo:[0,0,1] neg_hi:[0,0,1]
	v_pk_fma_f32 v[2:3], v[2:3], v[116:117], v[20:21] op_sel_hi:[1,0,1]
	v_pk_add_f32 v[18:19], v[18:19], v[136:137]
	v_mov_b32_e32 v23, v3
	v_pk_add_f32 v[2:3], v[18:19], v[22:23]
	v_mov_b32_e32 v18, v119
	v_pk_mul_f32 v[18:19], v[4:5], v[18:19] op_sel:[1,0] op_sel_hi:[0,0]
	v_pk_fma_f32 v[20:21], v[4:5], v[118:119], v[18:19] neg_lo:[0,0,1] neg_hi:[0,0,1]
	v_pk_fma_f32 v[4:5], v[4:5], v[118:119], v[18:19] op_sel_hi:[1,0,1]
	s_nop 0
	v_mov_b32_e32 v21, v5
	s_waitcnt vmcnt(2) lgkmcnt(2)
	v_pk_mul_f32 v[4:5], v[6:7], v[120:121] op_sel:[1,1] op_sel_hi:[0,1]
	v_pk_fma_f32 v[18:19], v[6:7], v[120:121], v[4:5] neg_lo:[0,0,1] neg_hi:[0,0,1]
	v_pk_fma_f32 v[4:5], v[6:7], v[120:121], v[4:5] op_sel_hi:[1,0,1]
	v_pk_add_f32 v[2:3], v[2:3], v[20:21]
	v_mov_b32_e32 v4, v123
	v_mov_b32_e32 v19, v5
	v_pk_mul_f32 v[4:5], v[8:9], v[4:5] op_sel:[1,0] op_sel_hi:[0,0]
	v_pk_fma_f32 v[6:7], v[8:9], v[122:123], v[4:5] neg_lo:[0,0,1] neg_hi:[0,0,1]
	v_pk_fma_f32 v[4:5], v[8:9], v[122:123], v[4:5] op_sel_hi:[1,0,1]
	v_pk_add_f32 v[2:3], v[2:3], v[18:19]
	v_mov_b32_e32 v7, v5
	s_waitcnt vmcnt(1) lgkmcnt(1)
	v_pk_mul_f32 v[4:5], v[10:11], v[124:125] op_sel:[1,1] op_sel_hi:[0,1]
	v_pk_add_f32 v[2:3], v[2:3], v[6:7]
	v_pk_fma_f32 v[6:7], v[10:11], v[124:125], v[4:5] neg_lo:[0,0,1] neg_hi:[0,0,1]
	v_pk_fma_f32 v[4:5], v[10:11], v[124:125], v[4:5] op_sel_hi:[1,0,1]
	s_nop 0
	v_mov_b32_e32 v4, v127
	v_mov_b32_e32 v7, v5
	v_pk_mul_f32 v[4:5], v[12:13], v[4:5] op_sel:[1,0] op_sel_hi:[0,0]
	v_pk_add_f32 v[2:3], v[2:3], v[6:7]
	v_pk_fma_f32 v[6:7], v[12:13], v[126:127], v[4:5] neg_lo:[0,0,1] neg_hi:[0,0,1]
	v_pk_fma_f32 v[4:5], v[12:13], v[126:127], v[4:5] op_sel_hi:[1,0,1]
	s_nop 0
	v_mov_b32_e32 v7, v5
	s_waitcnt vmcnt(0) lgkmcnt(0)
	v_pk_mul_f32 v[4:5], v[14:15], v[128:129] op_sel:[1,1] op_sel_hi:[0,1]
	v_pk_add_f32 v[2:3], v[2:3], v[6:7]
	v_pk_fma_f32 v[6:7], v[14:15], v[128:129], v[4:5] neg_lo:[0,0,1] neg_hi:[0,0,1]
	v_pk_fma_f32 v[4:5], v[14:15], v[128:129], v[4:5] op_sel_hi:[1,0,1]
	s_nop 0
	v_mov_b32_e32 v4, v131
	v_mov_b32_e32 v7, v5
	v_pk_mul_f32 v[4:5], v[16:17], v[4:5] op_sel:[1,0] op_sel_hi:[0,0]
	v_pk_add_f32 v[2:3], v[2:3], v[6:7]
	v_pk_fma_f32 v[6:7], v[16:17], v[130:131], v[4:5] neg_lo:[0,0,1] neg_hi:[0,0,1]
	v_pk_fma_f32 v[4:5], v[16:17], v[130:131], v[4:5] op_sel_hi:[1,0,1]
	s_nop 0
	v_mov_b32_e32 v7, v5
	scratch_load_dwordx2 v[4:5], off, off offset:176
	v_pk_add_f32 v[2:3], v[2:3], v[6:7]
	s_waitcnt vmcnt(0)
	v_pk_add_f32 v[2:3], v[4:5], v[2:3] neg_lo:[0,1] neg_hi:[0,1]
	scratch_store_dwordx2 off, v[2:3], off offset:176
	s_and_saveexec_b64 s[0:1], vcc
	s_cbranch_execz .LBB58_325
; %bb.324:
	scratch_load_dwordx2 v[2:3], off, off offset:168
	v_mov_b32_e32 v4, 0
	v_mov_b32_e32 v5, v4
	scratch_store_dwordx2 off, v[4:5], off offset:168
	s_waitcnt vmcnt(1)
	ds_write_b64 v1, v[2:3]
.LBB58_325:
	s_or_b64 exec, exec, s[0:1]
	v_mov_b32_e32 v86, 0
	s_waitcnt lgkmcnt(0)
	; wave barrier
	ds_read_b128 v[14:17], v86 offset:656
	ds_read_b128 v[10:13], v86 offset:672
	;; [unrolled: 1-line block ×4, first 2 shown]
	scratch_load_dwordx4 v[18:21], off, off offset:176
	scratch_load_dwordx4 v[38:41], off, off offset:240
	;; [unrolled: 1-line block ×9, first 2 shown]
	v_cmp_lt_u32_e32 vcc, 20, v0
	scratch_load_dwordx4 v[46:49], off, off offset:256
	scratch_load_dwordx4 v[54:57], off, off offset:272
	;; [unrolled: 1-line block ×3, first 2 shown]
	s_waitcnt vmcnt(11) lgkmcnt(3)
	v_mul_f32_e32 v22, v14, v19
	v_fmac_f32_e32 v22, v15, v18
	v_mul_f32_e32 v23, v16, v21
	v_add_f32_e32 v22, 0, v22
	v_fmac_f32_e32 v23, v17, v20
	v_add_f32_e32 v26, v22, v23
	scratch_load_dwordx4 v[22:25], off, off offset:192
	v_mul_f32_e32 v15, v15, v19
	v_fma_f32 v14, v14, v18, -v15
	v_mul_f32_e32 v15, v17, v21
	v_add_f32_e32 v14, 0, v14
	v_fma_f32 v15, v16, v20, -v15
	v_add_f32_e32 v14, v14, v15
	s_waitcnt vmcnt(4)
	v_mov_b32_e32 v18, v123
	s_waitcnt vmcnt(0) lgkmcnt(2)
	v_mul_f32_e32 v27, v10, v23
	v_fmac_f32_e32 v27, v11, v22
	v_add_f32_e32 v26, v26, v27
	v_mul_f32_e32 v27, v12, v25
	v_fmac_f32_e32 v27, v13, v24
	v_add_f32_e32 v30, v26, v27
	scratch_load_dwordx4 v[26:29], off, off offset:208
	v_mul_f32_e32 v11, v11, v23
	v_fma_f32 v10, v10, v22, -v11
	v_mul_f32_e32 v11, v13, v25
	v_add_f32_e32 v10, v14, v10
	v_fma_f32 v11, v12, v24, -v11
	v_add_f32_e32 v10, v10, v11
	s_waitcnt vmcnt(0) lgkmcnt(1)
	v_mul_f32_e32 v31, v6, v27
	v_fmac_f32_e32 v31, v7, v26
	v_add_f32_e32 v30, v30, v31
	v_mul_f32_e32 v31, v8, v29
	v_fmac_f32_e32 v31, v9, v28
	v_add_f32_e32 v34, v30, v31
	scratch_load_dwordx4 v[30:33], off, off offset:224
	v_mul_f32_e32 v7, v7, v27
	v_fma_f32 v6, v6, v26, -v7
	v_mul_f32_e32 v7, v9, v29
	v_add_f32_e32 v6, v10, v6
	v_fma_f32 v7, v8, v28, -v7
	v_add_f32_e32 v6, v6, v7
	s_waitcnt vmcnt(0) lgkmcnt(0)
	v_mul_f32_e32 v35, v2, v31
	v_fmac_f32_e32 v35, v3, v30
	v_add_f32_e32 v34, v34, v35
	v_mul_f32_e32 v35, v4, v33
	v_fmac_f32_e32 v35, v5, v32
	v_add_f32_e32 v42, v34, v35
	ds_read_b128 v[34:37], v86 offset:720
	v_mul_f32_e32 v3, v3, v31
	v_fma_f32 v2, v2, v30, -v3
	v_mul_f32_e32 v3, v5, v33
	v_add_f32_e32 v2, v6, v2
	s_waitcnt lgkmcnt(0)
	v_mul_f32_e32 v43, v34, v39
	v_fmac_f32_e32 v43, v35, v38
	v_add_f32_e32 v42, v42, v43
	v_mul_f32_e32 v43, v36, v41
	v_fmac_f32_e32 v43, v37, v40
	v_add_f32_e32 v50, v42, v43
	ds_read_b128 v[42:45], v86 offset:736
	v_fma_f32 v3, v4, v32, -v3
	v_add_f32_e32 v2, v2, v3
	v_mul_f32_e32 v3, v35, v39
	v_fma_f32 v3, v34, v38, -v3
	s_waitcnt lgkmcnt(0)
	v_mul_f32_e32 v51, v42, v47
	v_fmac_f32_e32 v51, v43, v46
	v_add_f32_e32 v50, v50, v51
	v_mul_f32_e32 v51, v44, v49
	v_fmac_f32_e32 v51, v45, v48
	v_add_f32_e32 v58, v50, v51
	ds_read_b128 v[50:53], v86 offset:752
	v_add_f32_e32 v2, v2, v3
	v_mul_f32_e32 v3, v37, v41
	v_fma_f32 v3, v36, v40, -v3
	v_add_f32_e32 v2, v2, v3
	s_waitcnt lgkmcnt(0)
	v_mul_f32_e32 v59, v50, v55
	v_fmac_f32_e32 v59, v51, v54
	v_add_f32_e32 v58, v58, v59
	v_mul_f32_e32 v59, v52, v57
	v_fmac_f32_e32 v59, v53, v56
	v_add_f32_e32 v66, v58, v59
	ds_read_b128 v[58:61], v86 offset:768
	v_mul_f32_e32 v3, v43, v47
	v_fma_f32 v3, v42, v46, -v3
	v_add_f32_e32 v2, v2, v3
	v_mul_f32_e32 v3, v45, v49
	s_waitcnt lgkmcnt(0)
	v_mul_f32_e32 v67, v58, v63
	v_fmac_f32_e32 v67, v59, v62
	v_add_f32_e32 v66, v66, v67
	v_mul_f32_e32 v67, v60, v65
	v_fmac_f32_e32 v67, v61, v64
	v_add_f32_e32 v74, v66, v67
	ds_read_b128 v[66:69], v86 offset:784
	v_fma_f32 v3, v44, v48, -v3
	v_add_f32_e32 v2, v2, v3
	v_mul_f32_e32 v3, v51, v55
	v_fma_f32 v3, v50, v54, -v3
	s_waitcnt lgkmcnt(0)
	v_mul_f32_e32 v75, v66, v71
	v_fmac_f32_e32 v75, v67, v70
	v_add_f32_e32 v74, v74, v75
	v_mul_f32_e32 v75, v68, v73
	v_fmac_f32_e32 v75, v69, v72
	v_add_f32_e32 v82, v74, v75
	ds_read_b128 v[74:77], v86 offset:800
	v_add_f32_e32 v2, v2, v3
	v_mul_f32_e32 v3, v53, v57
	v_fma_f32 v3, v52, v56, -v3
	v_add_f32_e32 v2, v2, v3
	s_waitcnt lgkmcnt(0)
	v_mul_f32_e32 v83, v74, v79
	v_fmac_f32_e32 v83, v75, v78
	v_add_f32_e32 v82, v82, v83
	v_mul_f32_e32 v83, v76, v81
	v_fmac_f32_e32 v83, v77, v80
	v_add_f32_e32 v87, v82, v83
	ds_read_b128 v[82:85], v86 offset:816
	v_mul_f32_e32 v3, v59, v63
	v_fma_f32 v3, v58, v62, -v3
	v_add_f32_e32 v2, v2, v3
	v_mul_f32_e32 v3, v61, v65
	;; [unrolled: 36-line block ×3, first 2 shown]
	s_waitcnt lgkmcnt(0)
	v_mul_f32_e32 v116, v108, v113
	v_fmac_f32_e32 v116, v109, v112
	v_add_f32_e32 v137, v87, v116
	ds_read_b128 v[116:119], v86 offset:880
	scratch_load_dwordx4 v[124:127], off, off offset:416
	scratch_load_dwordx4 v[128:131], off, off offset:432
	;; [unrolled: 1-line block ×3, first 2 shown]
	scratch_load_dwordx2 v[142:143], off, off offset:464
	v_fma_f32 v3, v76, v80, -v3
	v_add_f32_e32 v2, v2, v3
	v_mul_f32_e32 v3, v83, v89
	v_fma_f32 v3, v82, v88, -v3
	v_add_f32_e32 v2, v2, v3
	v_mul_f32_e32 v3, v85, v91
	;; [unrolled: 3-line block ×8, first 2 shown]
	v_mul_f32_e32 v139, v110, v115
	v_fma_f32 v138, v110, v114, -v2
	s_waitcnt lgkmcnt(0)
	v_mul_f32_e32 v2, v117, v121
	v_fmac_f32_e32 v139, v111, v114
	v_mul_f32_e32 v141, v116, v121
	v_fma_f32 v140, v116, v120, -v2
	ds_read_b128 v[2:5], v86 offset:896
	ds_read_b128 v[6:9], v86 offset:912
	;; [unrolled: 1-line block ×3, first 2 shown]
	ds_read_b64 v[14:15], v86 offset:944
	v_pk_mul_f32 v[18:19], v[118:119], v[18:19] op_sel:[1,0] op_sel_hi:[0,0]
	v_fmac_f32_e32 v141, v117, v120
	v_pk_add_f32 v[16:17], v[136:137], v[138:139]
	v_pk_fma_f32 v[20:21], v[118:119], v[122:123], v[18:19] neg_lo:[0,0,1] neg_hi:[0,0,1]
	v_pk_fma_f32 v[18:19], v[118:119], v[122:123], v[18:19] op_sel_hi:[1,0,1]
	v_pk_add_f32 v[16:17], v[16:17], v[140:141]
	v_mov_b32_e32 v21, v19
	v_pk_add_f32 v[16:17], v[16:17], v[20:21]
	s_waitcnt vmcnt(3) lgkmcnt(3)
	v_pk_mul_f32 v[18:19], v[2:3], v[124:125] op_sel:[1,1] op_sel_hi:[0,1]
	v_pk_fma_f32 v[20:21], v[2:3], v[124:125], v[18:19] neg_lo:[0,0,1] neg_hi:[0,0,1]
	v_pk_fma_f32 v[2:3], v[2:3], v[124:125], v[18:19] op_sel_hi:[1,0,1]
	s_nop 0
	v_mov_b32_e32 v21, v3
	v_pk_add_f32 v[2:3], v[16:17], v[20:21]
	v_mov_b32_e32 v16, v127
	v_pk_mul_f32 v[16:17], v[4:5], v[16:17] op_sel:[1,0] op_sel_hi:[0,0]
	v_pk_fma_f32 v[18:19], v[4:5], v[126:127], v[16:17] neg_lo:[0,0,1] neg_hi:[0,0,1]
	v_pk_fma_f32 v[4:5], v[4:5], v[126:127], v[16:17] op_sel_hi:[1,0,1]
	s_nop 0
	v_mov_b32_e32 v19, v5
	s_waitcnt vmcnt(2) lgkmcnt(2)
	v_pk_mul_f32 v[4:5], v[6:7], v[128:129] op_sel:[1,1] op_sel_hi:[0,1]
	v_pk_fma_f32 v[16:17], v[6:7], v[128:129], v[4:5] neg_lo:[0,0,1] neg_hi:[0,0,1]
	v_pk_fma_f32 v[4:5], v[6:7], v[128:129], v[4:5] op_sel_hi:[1,0,1]
	v_pk_add_f32 v[2:3], v[2:3], v[18:19]
	v_mov_b32_e32 v4, v131
	v_mov_b32_e32 v17, v5
	v_pk_mul_f32 v[4:5], v[8:9], v[4:5] op_sel:[1,0] op_sel_hi:[0,0]
	v_pk_fma_f32 v[6:7], v[8:9], v[130:131], v[4:5] neg_lo:[0,0,1] neg_hi:[0,0,1]
	v_pk_fma_f32 v[4:5], v[8:9], v[130:131], v[4:5] op_sel_hi:[1,0,1]
	v_pk_add_f32 v[2:3], v[2:3], v[16:17]
	v_mov_b32_e32 v7, v5
	s_waitcnt vmcnt(1) lgkmcnt(1)
	v_pk_mul_f32 v[4:5], v[10:11], v[132:133] op_sel:[1,1] op_sel_hi:[0,1]
	v_pk_add_f32 v[2:3], v[2:3], v[6:7]
	v_pk_fma_f32 v[6:7], v[10:11], v[132:133], v[4:5] neg_lo:[0,0,1] neg_hi:[0,0,1]
	v_pk_fma_f32 v[4:5], v[10:11], v[132:133], v[4:5] op_sel_hi:[1,0,1]
	s_nop 0
	v_mov_b32_e32 v4, v135
	v_mov_b32_e32 v7, v5
	v_pk_mul_f32 v[4:5], v[12:13], v[4:5] op_sel:[1,0] op_sel_hi:[0,0]
	v_pk_add_f32 v[2:3], v[2:3], v[6:7]
	v_pk_fma_f32 v[6:7], v[12:13], v[134:135], v[4:5] neg_lo:[0,0,1] neg_hi:[0,0,1]
	v_pk_fma_f32 v[4:5], v[12:13], v[134:135], v[4:5] op_sel_hi:[1,0,1]
	s_nop 0
	v_mov_b32_e32 v7, v5
	s_waitcnt vmcnt(0) lgkmcnt(0)
	v_pk_mul_f32 v[4:5], v[14:15], v[142:143] op_sel:[1,1] op_sel_hi:[0,1]
	v_pk_add_f32 v[2:3], v[2:3], v[6:7]
	v_pk_fma_f32 v[6:7], v[14:15], v[142:143], v[4:5] neg_lo:[0,0,1] neg_hi:[0,0,1]
	v_pk_fma_f32 v[4:5], v[14:15], v[142:143], v[4:5] op_sel_hi:[1,0,1]
	s_nop 0
	v_mov_b32_e32 v7, v5
	scratch_load_dwordx2 v[4:5], off, off offset:168
	v_pk_add_f32 v[2:3], v[2:3], v[6:7]
	s_waitcnt vmcnt(0)
	v_pk_add_f32 v[2:3], v[4:5], v[2:3] neg_lo:[0,1] neg_hi:[0,1]
	scratch_store_dwordx2 off, v[2:3], off offset:168
	s_and_saveexec_b64 s[0:1], vcc
	s_cbranch_execz .LBB58_327
; %bb.326:
	scratch_load_dwordx2 v[2:3], off, off offset:160
	v_mov_b32_e32 v87, v86
	scratch_store_dwordx2 off, v[86:87], off offset:160
	s_waitcnt vmcnt(1)
	ds_write_b64 v1, v[2:3]
.LBB58_327:
	s_or_b64 exec, exec, s[0:1]
	s_waitcnt lgkmcnt(0)
	; wave barrier
	scratch_load_dwordx4 v[6:9], off, off offset:168
	scratch_load_dwordx4 v[14:17], off, off offset:184
	;; [unrolled: 1-line block ×10, first 2 shown]
	ds_read2_b64 v[2:5], v86 offset0:81 offset1:82
	scratch_load_dwordx4 v[88:91], off, off offset:328
	scratch_load_dwordx4 v[96:99], off, off offset:344
	;; [unrolled: 1-line block ×5, first 2 shown]
	v_cmp_lt_u32_e32 vcc, 19, v0
	s_waitcnt vmcnt(14) lgkmcnt(0)
	v_mul_f32_e32 v10, v2, v7
	v_fmac_f32_e32 v10, v3, v6
	v_mul_f32_e32 v11, v4, v9
	v_add_f32_e32 v10, 0, v10
	v_fmac_f32_e32 v11, v5, v8
	v_add_f32_e32 v18, v10, v11
	ds_read2_b64 v[10:13], v86 offset0:83 offset1:84
	v_mul_f32_e32 v3, v3, v7
	v_fma_f32 v2, v2, v6, -v3
	v_mul_f32_e32 v3, v5, v9
	v_add_f32_e32 v2, 0, v2
	s_waitcnt vmcnt(13) lgkmcnt(0)
	v_mul_f32_e32 v19, v10, v15
	v_fmac_f32_e32 v19, v11, v14
	v_add_f32_e32 v18, v18, v19
	v_mul_f32_e32 v19, v12, v17
	v_fmac_f32_e32 v19, v13, v16
	v_add_f32_e32 v26, v18, v19
	ds_read2_b64 v[18:21], v86 offset0:85 offset1:86
	v_fma_f32 v3, v4, v8, -v3
	v_add_f32_e32 v2, v2, v3
	v_mul_f32_e32 v3, v11, v15
	v_fma_f32 v3, v10, v14, -v3
	s_waitcnt vmcnt(12) lgkmcnt(0)
	v_mul_f32_e32 v27, v18, v23
	v_fmac_f32_e32 v27, v19, v22
	v_add_f32_e32 v26, v26, v27
	v_mul_f32_e32 v27, v20, v25
	v_fmac_f32_e32 v27, v21, v24
	v_add_f32_e32 v34, v26, v27
	ds_read2_b64 v[26:29], v86 offset0:87 offset1:88
	v_add_f32_e32 v2, v2, v3
	v_mul_f32_e32 v3, v13, v17
	v_fma_f32 v3, v12, v16, -v3
	v_add_f32_e32 v2, v2, v3
	s_waitcnt vmcnt(11) lgkmcnt(0)
	v_mul_f32_e32 v35, v26, v31
	v_fmac_f32_e32 v35, v27, v30
	v_add_f32_e32 v34, v34, v35
	v_mul_f32_e32 v35, v28, v33
	v_fmac_f32_e32 v35, v29, v32
	v_add_f32_e32 v42, v34, v35
	ds_read2_b64 v[34:37], v86 offset0:89 offset1:90
	v_mul_f32_e32 v3, v19, v23
	v_fma_f32 v3, v18, v22, -v3
	v_add_f32_e32 v2, v2, v3
	v_mul_f32_e32 v3, v21, v25
	s_waitcnt vmcnt(10) lgkmcnt(0)
	v_mul_f32_e32 v43, v34, v39
	v_fmac_f32_e32 v43, v35, v38
	v_add_f32_e32 v42, v42, v43
	v_mul_f32_e32 v43, v36, v41
	v_fmac_f32_e32 v43, v37, v40
	v_add_f32_e32 v50, v42, v43
	ds_read2_b64 v[42:45], v86 offset0:91 offset1:92
	v_fma_f32 v3, v20, v24, -v3
	v_add_f32_e32 v2, v2, v3
	v_mul_f32_e32 v3, v27, v31
	v_fma_f32 v3, v26, v30, -v3
	s_waitcnt vmcnt(9) lgkmcnt(0)
	v_mul_f32_e32 v51, v42, v47
	v_fmac_f32_e32 v51, v43, v46
	v_add_f32_e32 v50, v50, v51
	v_mul_f32_e32 v51, v44, v49
	v_fmac_f32_e32 v51, v45, v48
	v_add_f32_e32 v58, v50, v51
	ds_read2_b64 v[50:53], v86 offset0:93 offset1:94
	v_add_f32_e32 v2, v2, v3
	v_mul_f32_e32 v3, v29, v33
	v_fma_f32 v3, v28, v32, -v3
	v_add_f32_e32 v2, v2, v3
	s_waitcnt vmcnt(8) lgkmcnt(0)
	v_mul_f32_e32 v59, v50, v55
	v_fmac_f32_e32 v59, v51, v54
	v_add_f32_e32 v58, v58, v59
	v_mul_f32_e32 v59, v52, v57
	v_fmac_f32_e32 v59, v53, v56
	v_add_f32_e32 v66, v58, v59
	ds_read2_b64 v[58:61], v86 offset0:95 offset1:96
	v_mul_f32_e32 v3, v35, v39
	v_fma_f32 v3, v34, v38, -v3
	v_add_f32_e32 v2, v2, v3
	v_mul_f32_e32 v3, v37, v41
	;; [unrolled: 36-line block ×4, first 2 shown]
	s_waitcnt vmcnt(1) lgkmcnt(0)
	v_mul_f32_e32 v116, v108, v113
	v_fmac_f32_e32 v116, v109, v112
	v_add_f32_e32 v87, v87, v116
	v_mul_f32_e32 v116, v110, v115
	v_fmac_f32_e32 v116, v111, v114
	v_add_f32_e32 v141, v87, v116
	ds_read2_b64 v[116:119], v86 offset0:109 offset1:110
	scratch_load_dwordx4 v[124:127], off, off offset:408
	scratch_load_dwordx4 v[128:131], off, off offset:424
	;; [unrolled: 1-line block ×4, first 2 shown]
	v_fma_f32 v3, v68, v72, -v3
	v_add_f32_e32 v2, v2, v3
	v_mul_f32_e32 v3, v75, v79
	v_fma_f32 v3, v74, v78, -v3
	v_add_f32_e32 v2, v2, v3
	v_mul_f32_e32 v3, v77, v81
	;; [unrolled: 3-line block ×10, first 2 shown]
	v_fma_f32 v3, v110, v114, -v3
	v_add_f32_e32 v140, v2, v3
	s_waitcnt vmcnt(4) lgkmcnt(0)
	v_mul_f32_e32 v2, v117, v121
	v_fma_f32 v142, v116, v120, -v2
	v_mul_f32_e32 v2, v119, v123
	v_fma_f32 v144, v118, v122, -v2
	ds_read2_b64 v[2:5], v86 offset0:111 offset1:112
	ds_read2_b64 v[6:9], v86 offset0:113 offset1:114
	;; [unrolled: 1-line block ×4, first 2 shown]
	v_mul_f32_e32 v143, v116, v121
	v_fmac_f32_e32 v143, v117, v120
	v_mul_f32_e32 v145, v118, v123
	v_fmac_f32_e32 v145, v119, v122
	v_pk_add_f32 v[18:19], v[140:141], v[142:143]
	s_waitcnt vmcnt(3) lgkmcnt(3)
	v_pk_mul_f32 v[20:21], v[2:3], v[124:125] op_sel:[1,1] op_sel_hi:[0,1]
	v_pk_fma_f32 v[22:23], v[2:3], v[124:125], v[20:21] neg_lo:[0,0,1] neg_hi:[0,0,1]
	v_pk_fma_f32 v[2:3], v[2:3], v[124:125], v[20:21] op_sel_hi:[1,0,1]
	v_pk_add_f32 v[18:19], v[18:19], v[144:145]
	v_mov_b32_e32 v23, v3
	v_pk_add_f32 v[2:3], v[18:19], v[22:23]
	v_mov_b32_e32 v18, v127
	v_pk_mul_f32 v[18:19], v[4:5], v[18:19] op_sel:[1,0] op_sel_hi:[0,0]
	v_pk_fma_f32 v[20:21], v[4:5], v[126:127], v[18:19] neg_lo:[0,0,1] neg_hi:[0,0,1]
	v_pk_fma_f32 v[4:5], v[4:5], v[126:127], v[18:19] op_sel_hi:[1,0,1]
	s_nop 0
	v_mov_b32_e32 v21, v5
	s_waitcnt vmcnt(2) lgkmcnt(2)
	v_pk_mul_f32 v[4:5], v[6:7], v[128:129] op_sel:[1,1] op_sel_hi:[0,1]
	v_pk_fma_f32 v[18:19], v[6:7], v[128:129], v[4:5] neg_lo:[0,0,1] neg_hi:[0,0,1]
	v_pk_fma_f32 v[4:5], v[6:7], v[128:129], v[4:5] op_sel_hi:[1,0,1]
	v_pk_add_f32 v[2:3], v[2:3], v[20:21]
	v_mov_b32_e32 v4, v131
	v_mov_b32_e32 v19, v5
	v_pk_mul_f32 v[4:5], v[8:9], v[4:5] op_sel:[1,0] op_sel_hi:[0,0]
	v_pk_fma_f32 v[6:7], v[8:9], v[130:131], v[4:5] neg_lo:[0,0,1] neg_hi:[0,0,1]
	v_pk_fma_f32 v[4:5], v[8:9], v[130:131], v[4:5] op_sel_hi:[1,0,1]
	v_pk_add_f32 v[2:3], v[2:3], v[18:19]
	v_mov_b32_e32 v7, v5
	s_waitcnt vmcnt(1) lgkmcnt(1)
	v_pk_mul_f32 v[4:5], v[10:11], v[132:133] op_sel:[1,1] op_sel_hi:[0,1]
	v_pk_add_f32 v[2:3], v[2:3], v[6:7]
	v_pk_fma_f32 v[6:7], v[10:11], v[132:133], v[4:5] neg_lo:[0,0,1] neg_hi:[0,0,1]
	v_pk_fma_f32 v[4:5], v[10:11], v[132:133], v[4:5] op_sel_hi:[1,0,1]
	s_nop 0
	v_mov_b32_e32 v4, v135
	v_mov_b32_e32 v7, v5
	v_pk_mul_f32 v[4:5], v[12:13], v[4:5] op_sel:[1,0] op_sel_hi:[0,0]
	v_pk_add_f32 v[2:3], v[2:3], v[6:7]
	v_pk_fma_f32 v[6:7], v[12:13], v[134:135], v[4:5] neg_lo:[0,0,1] neg_hi:[0,0,1]
	v_pk_fma_f32 v[4:5], v[12:13], v[134:135], v[4:5] op_sel_hi:[1,0,1]
	s_nop 0
	v_mov_b32_e32 v7, v5
	s_waitcnt vmcnt(0) lgkmcnt(0)
	v_pk_mul_f32 v[4:5], v[14:15], v[136:137] op_sel:[1,1] op_sel_hi:[0,1]
	v_pk_add_f32 v[2:3], v[2:3], v[6:7]
	v_pk_fma_f32 v[6:7], v[14:15], v[136:137], v[4:5] neg_lo:[0,0,1] neg_hi:[0,0,1]
	v_pk_fma_f32 v[4:5], v[14:15], v[136:137], v[4:5] op_sel_hi:[1,0,1]
	s_nop 0
	v_mov_b32_e32 v4, v139
	v_mov_b32_e32 v7, v5
	v_pk_mul_f32 v[4:5], v[16:17], v[4:5] op_sel:[1,0] op_sel_hi:[0,0]
	v_pk_add_f32 v[2:3], v[2:3], v[6:7]
	v_pk_fma_f32 v[6:7], v[16:17], v[138:139], v[4:5] neg_lo:[0,0,1] neg_hi:[0,0,1]
	v_pk_fma_f32 v[4:5], v[16:17], v[138:139], v[4:5] op_sel_hi:[1,0,1]
	s_nop 0
	v_mov_b32_e32 v7, v5
	scratch_load_dwordx2 v[4:5], off, off offset:160
	v_pk_add_f32 v[2:3], v[2:3], v[6:7]
	s_waitcnt vmcnt(0)
	v_pk_add_f32 v[2:3], v[4:5], v[2:3] neg_lo:[0,1] neg_hi:[0,1]
	scratch_store_dwordx2 off, v[2:3], off offset:160
	s_and_saveexec_b64 s[0:1], vcc
	s_cbranch_execz .LBB58_329
; %bb.328:
	scratch_load_dwordx2 v[2:3], off, off offset:152
	v_mov_b32_e32 v4, 0
	v_mov_b32_e32 v5, v4
	scratch_store_dwordx2 off, v[4:5], off offset:152
	s_waitcnt vmcnt(1)
	ds_write_b64 v1, v[2:3]
.LBB58_329:
	s_or_b64 exec, exec, s[0:1]
	v_mov_b32_e32 v94, 0
	s_waitcnt lgkmcnt(0)
	; wave barrier
	ds_read_b128 v[14:17], v94 offset:640
	ds_read_b128 v[10:13], v94 offset:656
	;; [unrolled: 1-line block ×4, first 2 shown]
	scratch_load_dwordx4 v[18:21], off, off offset:160
	scratch_load_dwordx4 v[38:41], off, off offset:224
	;; [unrolled: 1-line block ×10, first 2 shown]
	v_cmp_lt_u32_e32 vcc, 18, v0
	scratch_load_dwordx4 v[46:49], off, off offset:240
	scratch_load_dwordx4 v[54:57], off, off offset:256
	;; [unrolled: 1-line block ×3, first 2 shown]
	s_waitcnt vmcnt(12) lgkmcnt(3)
	v_mul_f32_e32 v22, v14, v19
	v_fmac_f32_e32 v22, v15, v18
	v_mul_f32_e32 v23, v16, v21
	v_add_f32_e32 v22, 0, v22
	v_fmac_f32_e32 v23, v17, v20
	v_add_f32_e32 v26, v22, v23
	scratch_load_dwordx4 v[22:25], off, off offset:176
	v_mul_f32_e32 v15, v15, v19
	v_fma_f32 v14, v14, v18, -v15
	v_mul_f32_e32 v15, v17, v21
	v_add_f32_e32 v14, 0, v14
	v_fma_f32 v15, v16, v20, -v15
	v_add_f32_e32 v14, v14, v15
	s_waitcnt vmcnt(4)
	v_mov_b32_e32 v18, v131
	s_waitcnt vmcnt(0) lgkmcnt(2)
	v_mul_f32_e32 v27, v10, v23
	v_fmac_f32_e32 v27, v11, v22
	v_add_f32_e32 v26, v26, v27
	v_mul_f32_e32 v27, v12, v25
	v_fmac_f32_e32 v27, v13, v24
	v_add_f32_e32 v30, v26, v27
	scratch_load_dwordx4 v[26:29], off, off offset:192
	v_mul_f32_e32 v11, v11, v23
	v_fma_f32 v10, v10, v22, -v11
	v_mul_f32_e32 v11, v13, v25
	v_add_f32_e32 v10, v14, v10
	v_fma_f32 v11, v12, v24, -v11
	v_add_f32_e32 v10, v10, v11
	s_waitcnt vmcnt(0) lgkmcnt(1)
	v_mul_f32_e32 v31, v6, v27
	v_fmac_f32_e32 v31, v7, v26
	v_add_f32_e32 v30, v30, v31
	v_mul_f32_e32 v31, v8, v29
	v_fmac_f32_e32 v31, v9, v28
	v_add_f32_e32 v34, v30, v31
	scratch_load_dwordx4 v[30:33], off, off offset:208
	v_mul_f32_e32 v7, v7, v27
	v_fma_f32 v6, v6, v26, -v7
	v_mul_f32_e32 v7, v9, v29
	v_add_f32_e32 v6, v10, v6
	v_fma_f32 v7, v8, v28, -v7
	v_add_f32_e32 v6, v6, v7
	s_waitcnt vmcnt(0) lgkmcnt(0)
	v_mul_f32_e32 v35, v2, v31
	v_fmac_f32_e32 v35, v3, v30
	v_add_f32_e32 v34, v34, v35
	v_mul_f32_e32 v35, v4, v33
	v_fmac_f32_e32 v35, v5, v32
	v_add_f32_e32 v42, v34, v35
	ds_read_b128 v[34:37], v94 offset:704
	v_mul_f32_e32 v3, v3, v31
	v_fma_f32 v2, v2, v30, -v3
	v_mul_f32_e32 v3, v5, v33
	v_add_f32_e32 v2, v6, v2
	s_waitcnt lgkmcnt(0)
	v_mul_f32_e32 v43, v34, v39
	v_fmac_f32_e32 v43, v35, v38
	v_add_f32_e32 v42, v42, v43
	v_mul_f32_e32 v43, v36, v41
	v_fmac_f32_e32 v43, v37, v40
	v_add_f32_e32 v50, v42, v43
	ds_read_b128 v[42:45], v94 offset:720
	v_fma_f32 v3, v4, v32, -v3
	v_add_f32_e32 v2, v2, v3
	v_mul_f32_e32 v3, v35, v39
	v_fma_f32 v3, v34, v38, -v3
	s_waitcnt lgkmcnt(0)
	v_mul_f32_e32 v51, v42, v47
	v_fmac_f32_e32 v51, v43, v46
	v_add_f32_e32 v50, v50, v51
	v_mul_f32_e32 v51, v44, v49
	v_fmac_f32_e32 v51, v45, v48
	v_add_f32_e32 v58, v50, v51
	ds_read_b128 v[50:53], v94 offset:736
	v_add_f32_e32 v2, v2, v3
	v_mul_f32_e32 v3, v37, v41
	v_fma_f32 v3, v36, v40, -v3
	v_add_f32_e32 v2, v2, v3
	s_waitcnt lgkmcnt(0)
	v_mul_f32_e32 v59, v50, v55
	v_fmac_f32_e32 v59, v51, v54
	v_add_f32_e32 v58, v58, v59
	v_mul_f32_e32 v59, v52, v57
	v_fmac_f32_e32 v59, v53, v56
	v_add_f32_e32 v66, v58, v59
	ds_read_b128 v[58:61], v94 offset:752
	v_mul_f32_e32 v3, v43, v47
	v_fma_f32 v3, v42, v46, -v3
	v_add_f32_e32 v2, v2, v3
	v_mul_f32_e32 v3, v45, v49
	s_waitcnt lgkmcnt(0)
	v_mul_f32_e32 v67, v58, v63
	v_fmac_f32_e32 v67, v59, v62
	v_add_f32_e32 v66, v66, v67
	v_mul_f32_e32 v67, v60, v65
	v_fmac_f32_e32 v67, v61, v64
	v_add_f32_e32 v74, v66, v67
	ds_read_b128 v[66:69], v94 offset:768
	v_fma_f32 v3, v44, v48, -v3
	v_add_f32_e32 v2, v2, v3
	v_mul_f32_e32 v3, v51, v55
	v_fma_f32 v3, v50, v54, -v3
	s_waitcnt lgkmcnt(0)
	v_mul_f32_e32 v75, v66, v71
	v_fmac_f32_e32 v75, v67, v70
	v_add_f32_e32 v74, v74, v75
	v_mul_f32_e32 v75, v68, v73
	v_fmac_f32_e32 v75, v69, v72
	v_add_f32_e32 v82, v74, v75
	ds_read_b128 v[74:77], v94 offset:784
	v_add_f32_e32 v2, v2, v3
	v_mul_f32_e32 v3, v53, v57
	v_fma_f32 v3, v52, v56, -v3
	v_add_f32_e32 v2, v2, v3
	s_waitcnt lgkmcnt(0)
	v_mul_f32_e32 v83, v74, v79
	v_fmac_f32_e32 v83, v75, v78
	v_add_f32_e32 v82, v82, v83
	v_mul_f32_e32 v83, v76, v81
	v_fmac_f32_e32 v83, v77, v80
	v_add_f32_e32 v90, v82, v83
	ds_read_b128 v[82:85], v94 offset:800
	v_mul_f32_e32 v3, v59, v63
	v_fma_f32 v3, v58, v62, -v3
	v_add_f32_e32 v2, v2, v3
	v_mul_f32_e32 v3, v61, v65
	;; [unrolled: 36-line block ×3, first 2 shown]
	s_waitcnt lgkmcnt(0)
	v_mul_f32_e32 v116, v108, v113
	v_fmac_f32_e32 v116, v109, v112
	v_add_f32_e32 v95, v95, v116
	v_mul_f32_e32 v116, v110, v115
	v_fmac_f32_e32 v116, v111, v114
	v_add_f32_e32 v95, v95, v116
	ds_read_b128 v[116:119], v94 offset:864
	v_fma_f32 v3, v76, v80, -v3
	v_add_f32_e32 v2, v2, v3
	v_mul_f32_e32 v3, v83, v87
	v_fma_f32 v3, v82, v86, -v3
	s_waitcnt lgkmcnt(0)
	v_mul_f32_e32 v124, v116, v121
	v_fmac_f32_e32 v124, v117, v120
	v_add_f32_e32 v145, v95, v124
	ds_read_b128 v[124:127], v94 offset:880
	scratch_load_dwordx4 v[132:135], off, off offset:416
	scratch_load_dwordx4 v[136:139], off, off offset:432
	scratch_load_dwordx4 v[140:143], off, off offset:448
	scratch_load_dwordx2 v[162:163], off, off offset:464
	v_add_f32_e32 v2, v2, v3
	v_mul_f32_e32 v3, v85, v89
	v_fma_f32 v3, v84, v88, -v3
	v_add_f32_e32 v2, v2, v3
	v_mul_f32_e32 v3, v91, v97
	v_fma_f32 v3, v90, v96, -v3
	;; [unrolled: 3-line block ×8, first 2 shown]
	v_add_f32_e32 v144, v2, v3
	v_mul_f32_e32 v2, v119, v123
	v_mul_f32_e32 v147, v118, v123
	v_fma_f32 v146, v118, v122, -v2
	s_waitcnt lgkmcnt(0)
	v_mul_f32_e32 v2, v125, v129
	v_fmac_f32_e32 v147, v119, v122
	v_mul_f32_e32 v149, v124, v129
	v_fma_f32 v148, v124, v128, -v2
	ds_read_b128 v[2:5], v94 offset:896
	ds_read_b128 v[6:9], v94 offset:912
	;; [unrolled: 1-line block ×3, first 2 shown]
	ds_read_b64 v[14:15], v94 offset:944
	v_pk_mul_f32 v[18:19], v[126:127], v[18:19] op_sel:[1,0] op_sel_hi:[0,0]
	v_fmac_f32_e32 v149, v125, v128
	v_pk_add_f32 v[16:17], v[144:145], v[146:147]
	v_pk_fma_f32 v[20:21], v[126:127], v[130:131], v[18:19] neg_lo:[0,0,1] neg_hi:[0,0,1]
	v_pk_fma_f32 v[18:19], v[126:127], v[130:131], v[18:19] op_sel_hi:[1,0,1]
	v_pk_add_f32 v[16:17], v[16:17], v[148:149]
	v_mov_b32_e32 v21, v19
	v_pk_add_f32 v[16:17], v[16:17], v[20:21]
	s_waitcnt vmcnt(3) lgkmcnt(3)
	v_pk_mul_f32 v[18:19], v[2:3], v[132:133] op_sel:[1,1] op_sel_hi:[0,1]
	v_pk_fma_f32 v[20:21], v[2:3], v[132:133], v[18:19] neg_lo:[0,0,1] neg_hi:[0,0,1]
	v_pk_fma_f32 v[2:3], v[2:3], v[132:133], v[18:19] op_sel_hi:[1,0,1]
	s_nop 0
	v_mov_b32_e32 v21, v3
	v_pk_add_f32 v[2:3], v[16:17], v[20:21]
	v_mov_b32_e32 v16, v135
	v_pk_mul_f32 v[16:17], v[4:5], v[16:17] op_sel:[1,0] op_sel_hi:[0,0]
	v_pk_fma_f32 v[18:19], v[4:5], v[134:135], v[16:17] neg_lo:[0,0,1] neg_hi:[0,0,1]
	v_pk_fma_f32 v[4:5], v[4:5], v[134:135], v[16:17] op_sel_hi:[1,0,1]
	s_nop 0
	v_mov_b32_e32 v19, v5
	s_waitcnt vmcnt(2) lgkmcnt(2)
	v_pk_mul_f32 v[4:5], v[6:7], v[136:137] op_sel:[1,1] op_sel_hi:[0,1]
	v_pk_fma_f32 v[16:17], v[6:7], v[136:137], v[4:5] neg_lo:[0,0,1] neg_hi:[0,0,1]
	v_pk_fma_f32 v[4:5], v[6:7], v[136:137], v[4:5] op_sel_hi:[1,0,1]
	v_pk_add_f32 v[2:3], v[2:3], v[18:19]
	v_mov_b32_e32 v4, v139
	v_mov_b32_e32 v17, v5
	v_pk_mul_f32 v[4:5], v[8:9], v[4:5] op_sel:[1,0] op_sel_hi:[0,0]
	v_pk_fma_f32 v[6:7], v[8:9], v[138:139], v[4:5] neg_lo:[0,0,1] neg_hi:[0,0,1]
	v_pk_fma_f32 v[4:5], v[8:9], v[138:139], v[4:5] op_sel_hi:[1,0,1]
	v_pk_add_f32 v[2:3], v[2:3], v[16:17]
	v_mov_b32_e32 v7, v5
	s_waitcnt vmcnt(1) lgkmcnt(1)
	v_pk_mul_f32 v[4:5], v[10:11], v[140:141] op_sel:[1,1] op_sel_hi:[0,1]
	v_pk_add_f32 v[2:3], v[2:3], v[6:7]
	v_pk_fma_f32 v[6:7], v[10:11], v[140:141], v[4:5] neg_lo:[0,0,1] neg_hi:[0,0,1]
	v_pk_fma_f32 v[4:5], v[10:11], v[140:141], v[4:5] op_sel_hi:[1,0,1]
	s_nop 0
	v_mov_b32_e32 v4, v143
	v_mov_b32_e32 v7, v5
	v_pk_mul_f32 v[4:5], v[12:13], v[4:5] op_sel:[1,0] op_sel_hi:[0,0]
	v_pk_add_f32 v[2:3], v[2:3], v[6:7]
	v_pk_fma_f32 v[6:7], v[12:13], v[142:143], v[4:5] neg_lo:[0,0,1] neg_hi:[0,0,1]
	v_pk_fma_f32 v[4:5], v[12:13], v[142:143], v[4:5] op_sel_hi:[1,0,1]
	s_nop 0
	v_mov_b32_e32 v7, v5
	s_waitcnt vmcnt(0) lgkmcnt(0)
	v_pk_mul_f32 v[4:5], v[14:15], v[162:163] op_sel:[1,1] op_sel_hi:[0,1]
	v_pk_add_f32 v[2:3], v[2:3], v[6:7]
	v_pk_fma_f32 v[6:7], v[14:15], v[162:163], v[4:5] neg_lo:[0,0,1] neg_hi:[0,0,1]
	v_pk_fma_f32 v[4:5], v[14:15], v[162:163], v[4:5] op_sel_hi:[1,0,1]
	s_nop 0
	v_mov_b32_e32 v7, v5
	scratch_load_dwordx2 v[4:5], off, off offset:152
	v_pk_add_f32 v[2:3], v[2:3], v[6:7]
	s_waitcnt vmcnt(0)
	v_pk_add_f32 v[2:3], v[4:5], v[2:3] neg_lo:[0,1] neg_hi:[0,1]
	scratch_store_dwordx2 off, v[2:3], off offset:152
	s_and_saveexec_b64 s[0:1], vcc
	s_cbranch_execz .LBB58_331
; %bb.330:
	scratch_load_dwordx2 v[2:3], off, off offset:144
	v_mov_b32_e32 v95, v94
	scratch_store_dwordx2 off, v[94:95], off offset:144
	s_waitcnt vmcnt(1)
	ds_write_b64 v1, v[2:3]
.LBB58_331:
	s_or_b64 exec, exec, s[0:1]
	s_waitcnt lgkmcnt(0)
	; wave barrier
	scratch_load_dwordx4 v[6:9], off, off offset:152
	scratch_load_dwordx4 v[14:17], off, off offset:168
	;; [unrolled: 1-line block ×10, first 2 shown]
	ds_read2_b64 v[2:5], v94 offset0:79 offset1:80
	scratch_load_dwordx4 v[86:89], off, off offset:312
	scratch_load_dwordx4 v[96:99], off, off offset:328
	;; [unrolled: 1-line block ×6, first 2 shown]
	v_cmp_lt_u32_e32 vcc, 17, v0
	s_waitcnt vmcnt(15) lgkmcnt(0)
	v_mul_f32_e32 v10, v2, v7
	v_fmac_f32_e32 v10, v3, v6
	v_mul_f32_e32 v11, v4, v9
	v_add_f32_e32 v10, 0, v10
	v_fmac_f32_e32 v11, v5, v8
	v_add_f32_e32 v18, v10, v11
	ds_read2_b64 v[10:13], v94 offset0:81 offset1:82
	v_mul_f32_e32 v3, v3, v7
	v_fma_f32 v2, v2, v6, -v3
	v_mul_f32_e32 v3, v5, v9
	v_add_f32_e32 v2, 0, v2
	s_waitcnt vmcnt(14) lgkmcnt(0)
	v_mul_f32_e32 v19, v10, v15
	v_fmac_f32_e32 v19, v11, v14
	v_add_f32_e32 v18, v18, v19
	v_mul_f32_e32 v19, v12, v17
	v_fmac_f32_e32 v19, v13, v16
	v_add_f32_e32 v26, v18, v19
	ds_read2_b64 v[18:21], v94 offset0:83 offset1:84
	v_fma_f32 v3, v4, v8, -v3
	v_add_f32_e32 v2, v2, v3
	v_mul_f32_e32 v3, v11, v15
	v_fma_f32 v3, v10, v14, -v3
	s_waitcnt vmcnt(13) lgkmcnt(0)
	v_mul_f32_e32 v27, v18, v23
	v_fmac_f32_e32 v27, v19, v22
	v_add_f32_e32 v26, v26, v27
	v_mul_f32_e32 v27, v20, v25
	v_fmac_f32_e32 v27, v21, v24
	v_add_f32_e32 v34, v26, v27
	ds_read2_b64 v[26:29], v94 offset0:85 offset1:86
	v_add_f32_e32 v2, v2, v3
	v_mul_f32_e32 v3, v13, v17
	v_fma_f32 v3, v12, v16, -v3
	v_add_f32_e32 v2, v2, v3
	s_waitcnt vmcnt(12) lgkmcnt(0)
	v_mul_f32_e32 v35, v26, v31
	v_fmac_f32_e32 v35, v27, v30
	v_add_f32_e32 v34, v34, v35
	v_mul_f32_e32 v35, v28, v33
	v_fmac_f32_e32 v35, v29, v32
	v_add_f32_e32 v42, v34, v35
	ds_read2_b64 v[34:37], v94 offset0:87 offset1:88
	v_mul_f32_e32 v3, v19, v23
	v_fma_f32 v3, v18, v22, -v3
	v_add_f32_e32 v2, v2, v3
	v_mul_f32_e32 v3, v21, v25
	s_waitcnt vmcnt(11) lgkmcnt(0)
	v_mul_f32_e32 v43, v34, v39
	v_fmac_f32_e32 v43, v35, v38
	v_add_f32_e32 v42, v42, v43
	v_mul_f32_e32 v43, v36, v41
	v_fmac_f32_e32 v43, v37, v40
	v_add_f32_e32 v50, v42, v43
	ds_read2_b64 v[42:45], v94 offset0:89 offset1:90
	v_fma_f32 v3, v20, v24, -v3
	v_add_f32_e32 v2, v2, v3
	v_mul_f32_e32 v3, v27, v31
	v_fma_f32 v3, v26, v30, -v3
	s_waitcnt vmcnt(10) lgkmcnt(0)
	v_mul_f32_e32 v51, v42, v47
	v_fmac_f32_e32 v51, v43, v46
	v_add_f32_e32 v50, v50, v51
	v_mul_f32_e32 v51, v44, v49
	v_fmac_f32_e32 v51, v45, v48
	v_add_f32_e32 v58, v50, v51
	ds_read2_b64 v[50:53], v94 offset0:91 offset1:92
	v_add_f32_e32 v2, v2, v3
	v_mul_f32_e32 v3, v29, v33
	v_fma_f32 v3, v28, v32, -v3
	v_add_f32_e32 v2, v2, v3
	s_waitcnt vmcnt(9) lgkmcnt(0)
	v_mul_f32_e32 v59, v50, v55
	v_fmac_f32_e32 v59, v51, v54
	v_add_f32_e32 v58, v58, v59
	v_mul_f32_e32 v59, v52, v57
	v_fmac_f32_e32 v59, v53, v56
	v_add_f32_e32 v66, v58, v59
	ds_read2_b64 v[58:61], v94 offset0:93 offset1:94
	v_mul_f32_e32 v3, v35, v39
	v_fma_f32 v3, v34, v38, -v3
	v_add_f32_e32 v2, v2, v3
	v_mul_f32_e32 v3, v37, v41
	;; [unrolled: 36-line block ×4, first 2 shown]
	s_waitcnt vmcnt(2) lgkmcnt(0)
	v_mul_f32_e32 v116, v108, v113
	v_fmac_f32_e32 v116, v109, v112
	v_add_f32_e32 v95, v95, v116
	v_mul_f32_e32 v116, v110, v115
	v_fmac_f32_e32 v116, v111, v114
	v_add_f32_e32 v95, v95, v116
	ds_read2_b64 v[116:119], v94 offset0:107 offset1:108
	v_fma_f32 v3, v68, v72, -v3
	v_add_f32_e32 v2, v2, v3
	v_mul_f32_e32 v3, v75, v79
	v_fma_f32 v3, v74, v78, -v3
	s_waitcnt vmcnt(1) lgkmcnt(0)
	v_mul_f32_e32 v124, v116, v121
	v_fmac_f32_e32 v124, v117, v120
	v_add_f32_e32 v95, v95, v124
	v_mul_f32_e32 v124, v118, v123
	v_fmac_f32_e32 v124, v119, v122
	v_add_f32_e32 v149, v95, v124
	ds_read2_b64 v[124:127], v94 offset0:109 offset1:110
	scratch_load_dwordx4 v[132:135], off, off offset:408
	scratch_load_dwordx4 v[136:139], off, off offset:424
	;; [unrolled: 1-line block ×4, first 2 shown]
	v_add_f32_e32 v2, v2, v3
	v_mul_f32_e32 v3, v77, v81
	v_fma_f32 v3, v76, v80, -v3
	v_add_f32_e32 v2, v2, v3
	v_mul_f32_e32 v3, v83, v87
	v_fma_f32 v3, v82, v86, -v3
	;; [unrolled: 3-line block ×11, first 2 shown]
	v_add_f32_e32 v148, v2, v3
	s_waitcnt vmcnt(4) lgkmcnt(0)
	v_mul_f32_e32 v2, v125, v129
	v_fma_f32 v162, v124, v128, -v2
	v_mul_f32_e32 v2, v127, v131
	v_fma_f32 v164, v126, v130, -v2
	ds_read2_b64 v[2:5], v94 offset0:111 offset1:112
	ds_read2_b64 v[6:9], v94 offset0:113 offset1:114
	ds_read2_b64 v[10:13], v94 offset0:115 offset1:116
	ds_read2_b64 v[14:17], v94 offset0:117 offset1:118
	v_mul_f32_e32 v163, v124, v129
	v_fmac_f32_e32 v163, v125, v128
	v_mul_f32_e32 v165, v126, v131
	v_fmac_f32_e32 v165, v127, v130
	v_pk_add_f32 v[18:19], v[148:149], v[162:163]
	s_waitcnt vmcnt(3) lgkmcnt(3)
	v_pk_mul_f32 v[20:21], v[2:3], v[132:133] op_sel:[1,1] op_sel_hi:[0,1]
	v_pk_fma_f32 v[22:23], v[2:3], v[132:133], v[20:21] neg_lo:[0,0,1] neg_hi:[0,0,1]
	v_pk_fma_f32 v[2:3], v[2:3], v[132:133], v[20:21] op_sel_hi:[1,0,1]
	v_pk_add_f32 v[18:19], v[18:19], v[164:165]
	v_mov_b32_e32 v23, v3
	v_pk_add_f32 v[2:3], v[18:19], v[22:23]
	v_mov_b32_e32 v18, v135
	v_pk_mul_f32 v[18:19], v[4:5], v[18:19] op_sel:[1,0] op_sel_hi:[0,0]
	v_pk_fma_f32 v[20:21], v[4:5], v[134:135], v[18:19] neg_lo:[0,0,1] neg_hi:[0,0,1]
	v_pk_fma_f32 v[4:5], v[4:5], v[134:135], v[18:19] op_sel_hi:[1,0,1]
	s_nop 0
	v_mov_b32_e32 v21, v5
	s_waitcnt vmcnt(2) lgkmcnt(2)
	v_pk_mul_f32 v[4:5], v[6:7], v[136:137] op_sel:[1,1] op_sel_hi:[0,1]
	v_pk_fma_f32 v[18:19], v[6:7], v[136:137], v[4:5] neg_lo:[0,0,1] neg_hi:[0,0,1]
	v_pk_fma_f32 v[4:5], v[6:7], v[136:137], v[4:5] op_sel_hi:[1,0,1]
	v_pk_add_f32 v[2:3], v[2:3], v[20:21]
	v_mov_b32_e32 v4, v139
	v_mov_b32_e32 v19, v5
	v_pk_mul_f32 v[4:5], v[8:9], v[4:5] op_sel:[1,0] op_sel_hi:[0,0]
	v_pk_fma_f32 v[6:7], v[8:9], v[138:139], v[4:5] neg_lo:[0,0,1] neg_hi:[0,0,1]
	v_pk_fma_f32 v[4:5], v[8:9], v[138:139], v[4:5] op_sel_hi:[1,0,1]
	v_pk_add_f32 v[2:3], v[2:3], v[18:19]
	v_mov_b32_e32 v7, v5
	s_waitcnt vmcnt(1) lgkmcnt(1)
	v_pk_mul_f32 v[4:5], v[10:11], v[140:141] op_sel:[1,1] op_sel_hi:[0,1]
	v_pk_add_f32 v[2:3], v[2:3], v[6:7]
	v_pk_fma_f32 v[6:7], v[10:11], v[140:141], v[4:5] neg_lo:[0,0,1] neg_hi:[0,0,1]
	v_pk_fma_f32 v[4:5], v[10:11], v[140:141], v[4:5] op_sel_hi:[1,0,1]
	s_nop 0
	v_mov_b32_e32 v4, v143
	v_mov_b32_e32 v7, v5
	v_pk_mul_f32 v[4:5], v[12:13], v[4:5] op_sel:[1,0] op_sel_hi:[0,0]
	v_pk_add_f32 v[2:3], v[2:3], v[6:7]
	v_pk_fma_f32 v[6:7], v[12:13], v[142:143], v[4:5] neg_lo:[0,0,1] neg_hi:[0,0,1]
	v_pk_fma_f32 v[4:5], v[12:13], v[142:143], v[4:5] op_sel_hi:[1,0,1]
	s_nop 0
	v_mov_b32_e32 v7, v5
	s_waitcnt vmcnt(0) lgkmcnt(0)
	v_pk_mul_f32 v[4:5], v[14:15], v[144:145] op_sel:[1,1] op_sel_hi:[0,1]
	v_pk_add_f32 v[2:3], v[2:3], v[6:7]
	v_pk_fma_f32 v[6:7], v[14:15], v[144:145], v[4:5] neg_lo:[0,0,1] neg_hi:[0,0,1]
	v_pk_fma_f32 v[4:5], v[14:15], v[144:145], v[4:5] op_sel_hi:[1,0,1]
	s_nop 0
	v_mov_b32_e32 v4, v147
	v_mov_b32_e32 v7, v5
	v_pk_mul_f32 v[4:5], v[16:17], v[4:5] op_sel:[1,0] op_sel_hi:[0,0]
	v_pk_add_f32 v[2:3], v[2:3], v[6:7]
	v_pk_fma_f32 v[6:7], v[16:17], v[146:147], v[4:5] neg_lo:[0,0,1] neg_hi:[0,0,1]
	v_pk_fma_f32 v[4:5], v[16:17], v[146:147], v[4:5] op_sel_hi:[1,0,1]
	s_nop 0
	v_mov_b32_e32 v7, v5
	scratch_load_dwordx2 v[4:5], off, off offset:144
	v_pk_add_f32 v[2:3], v[2:3], v[6:7]
	s_waitcnt vmcnt(0)
	v_pk_add_f32 v[2:3], v[4:5], v[2:3] neg_lo:[0,1] neg_hi:[0,1]
	scratch_store_dwordx2 off, v[2:3], off offset:144
	s_and_saveexec_b64 s[0:1], vcc
	s_cbranch_execz .LBB58_333
; %bb.332:
	scratch_load_dwordx2 v[2:3], off, off offset:136
	v_mov_b32_e32 v4, 0
	v_mov_b32_e32 v5, v4
	scratch_store_dwordx2 off, v[4:5], off offset:136
	s_waitcnt vmcnt(1)
	ds_write_b64 v1, v[2:3]
.LBB58_333:
	s_or_b64 exec, exec, s[0:1]
	v_mov_b32_e32 v102, 0
	s_waitcnt lgkmcnt(0)
	; wave barrier
	ds_read_b128 v[14:17], v102 offset:624
	ds_read_b128 v[10:13], v102 offset:640
	;; [unrolled: 1-line block ×4, first 2 shown]
	scratch_load_dwordx4 v[18:21], off, off offset:144
	scratch_load_dwordx4 v[38:41], off, off offset:208
	;; [unrolled: 1-line block ×11, first 2 shown]
	v_cmp_lt_u32_e32 vcc, 16, v0
	scratch_load_dwordx4 v[46:49], off, off offset:224
	scratch_load_dwordx4 v[54:57], off, off offset:240
	;; [unrolled: 1-line block ×3, first 2 shown]
	s_waitcnt vmcnt(13) lgkmcnt(3)
	v_mul_f32_e32 v22, v14, v19
	v_fmac_f32_e32 v22, v15, v18
	v_mul_f32_e32 v23, v16, v21
	v_add_f32_e32 v22, 0, v22
	v_fmac_f32_e32 v23, v17, v20
	v_add_f32_e32 v26, v22, v23
	scratch_load_dwordx4 v[22:25], off, off offset:160
	v_mul_f32_e32 v15, v15, v19
	v_fma_f32 v14, v14, v18, -v15
	v_mul_f32_e32 v15, v17, v21
	v_add_f32_e32 v14, 0, v14
	v_fma_f32 v15, v16, v20, -v15
	v_add_f32_e32 v14, v14, v15
	s_waitcnt vmcnt(4)
	v_mov_b32_e32 v18, v139
	s_waitcnt vmcnt(0) lgkmcnt(2)
	v_mul_f32_e32 v27, v10, v23
	v_fmac_f32_e32 v27, v11, v22
	v_add_f32_e32 v26, v26, v27
	v_mul_f32_e32 v27, v12, v25
	v_fmac_f32_e32 v27, v13, v24
	v_add_f32_e32 v30, v26, v27
	scratch_load_dwordx4 v[26:29], off, off offset:176
	v_mul_f32_e32 v11, v11, v23
	v_fma_f32 v10, v10, v22, -v11
	v_mul_f32_e32 v11, v13, v25
	v_add_f32_e32 v10, v14, v10
	v_fma_f32 v11, v12, v24, -v11
	v_add_f32_e32 v10, v10, v11
	s_waitcnt vmcnt(0) lgkmcnt(1)
	v_mul_f32_e32 v31, v6, v27
	v_fmac_f32_e32 v31, v7, v26
	v_add_f32_e32 v30, v30, v31
	v_mul_f32_e32 v31, v8, v29
	v_fmac_f32_e32 v31, v9, v28
	v_add_f32_e32 v34, v30, v31
	scratch_load_dwordx4 v[30:33], off, off offset:192
	v_mul_f32_e32 v7, v7, v27
	v_fma_f32 v6, v6, v26, -v7
	v_mul_f32_e32 v7, v9, v29
	v_add_f32_e32 v6, v10, v6
	v_fma_f32 v7, v8, v28, -v7
	v_add_f32_e32 v6, v6, v7
	s_waitcnt vmcnt(0) lgkmcnt(0)
	v_mul_f32_e32 v35, v2, v31
	v_fmac_f32_e32 v35, v3, v30
	v_add_f32_e32 v34, v34, v35
	v_mul_f32_e32 v35, v4, v33
	v_fmac_f32_e32 v35, v5, v32
	v_add_f32_e32 v42, v34, v35
	ds_read_b128 v[34:37], v102 offset:688
	v_mul_f32_e32 v3, v3, v31
	v_fma_f32 v2, v2, v30, -v3
	v_mul_f32_e32 v3, v5, v33
	v_add_f32_e32 v2, v6, v2
	s_waitcnt lgkmcnt(0)
	v_mul_f32_e32 v43, v34, v39
	v_fmac_f32_e32 v43, v35, v38
	v_add_f32_e32 v42, v42, v43
	v_mul_f32_e32 v43, v36, v41
	v_fmac_f32_e32 v43, v37, v40
	v_add_f32_e32 v50, v42, v43
	ds_read_b128 v[42:45], v102 offset:704
	v_fma_f32 v3, v4, v32, -v3
	v_add_f32_e32 v2, v2, v3
	v_mul_f32_e32 v3, v35, v39
	v_fma_f32 v3, v34, v38, -v3
	s_waitcnt lgkmcnt(0)
	v_mul_f32_e32 v51, v42, v47
	v_fmac_f32_e32 v51, v43, v46
	v_add_f32_e32 v50, v50, v51
	v_mul_f32_e32 v51, v44, v49
	v_fmac_f32_e32 v51, v45, v48
	v_add_f32_e32 v58, v50, v51
	ds_read_b128 v[50:53], v102 offset:720
	v_add_f32_e32 v2, v2, v3
	v_mul_f32_e32 v3, v37, v41
	v_fma_f32 v3, v36, v40, -v3
	v_add_f32_e32 v2, v2, v3
	s_waitcnt lgkmcnt(0)
	v_mul_f32_e32 v59, v50, v55
	v_fmac_f32_e32 v59, v51, v54
	v_add_f32_e32 v58, v58, v59
	v_mul_f32_e32 v59, v52, v57
	v_fmac_f32_e32 v59, v53, v56
	v_add_f32_e32 v66, v58, v59
	ds_read_b128 v[58:61], v102 offset:736
	v_mul_f32_e32 v3, v43, v47
	v_fma_f32 v3, v42, v46, -v3
	v_add_f32_e32 v2, v2, v3
	v_mul_f32_e32 v3, v45, v49
	s_waitcnt lgkmcnt(0)
	v_mul_f32_e32 v67, v58, v63
	v_fmac_f32_e32 v67, v59, v62
	v_add_f32_e32 v66, v66, v67
	v_mul_f32_e32 v67, v60, v65
	v_fmac_f32_e32 v67, v61, v64
	v_add_f32_e32 v74, v66, v67
	ds_read_b128 v[66:69], v102 offset:752
	v_fma_f32 v3, v44, v48, -v3
	v_add_f32_e32 v2, v2, v3
	v_mul_f32_e32 v3, v51, v55
	v_fma_f32 v3, v50, v54, -v3
	s_waitcnt lgkmcnt(0)
	v_mul_f32_e32 v75, v66, v71
	v_fmac_f32_e32 v75, v67, v70
	v_add_f32_e32 v74, v74, v75
	v_mul_f32_e32 v75, v68, v73
	v_fmac_f32_e32 v75, v69, v72
	v_add_f32_e32 v82, v74, v75
	ds_read_b128 v[74:77], v102 offset:768
	v_add_f32_e32 v2, v2, v3
	v_mul_f32_e32 v3, v53, v57
	v_fma_f32 v3, v52, v56, -v3
	v_add_f32_e32 v2, v2, v3
	s_waitcnt lgkmcnt(0)
	v_mul_f32_e32 v83, v74, v79
	v_fmac_f32_e32 v83, v75, v78
	v_add_f32_e32 v82, v82, v83
	v_mul_f32_e32 v83, v76, v81
	v_fmac_f32_e32 v83, v77, v80
	v_add_f32_e32 v90, v82, v83
	ds_read_b128 v[82:85], v102 offset:784
	v_mul_f32_e32 v3, v59, v63
	v_fma_f32 v3, v58, v62, -v3
	v_add_f32_e32 v2, v2, v3
	v_mul_f32_e32 v3, v61, v65
	;; [unrolled: 36-line block ×3, first 2 shown]
	s_waitcnt lgkmcnt(0)
	v_mul_f32_e32 v116, v108, v113
	v_fmac_f32_e32 v116, v109, v112
	v_add_f32_e32 v103, v103, v116
	v_mul_f32_e32 v116, v110, v115
	v_fmac_f32_e32 v116, v111, v114
	v_add_f32_e32 v103, v103, v116
	ds_read_b128 v[116:119], v102 offset:848
	v_fma_f32 v3, v76, v80, -v3
	v_add_f32_e32 v2, v2, v3
	v_mul_f32_e32 v3, v83, v87
	v_fma_f32 v3, v82, v86, -v3
	s_waitcnt lgkmcnt(0)
	v_mul_f32_e32 v124, v116, v121
	v_fmac_f32_e32 v124, v117, v120
	v_add_f32_e32 v103, v103, v124
	v_mul_f32_e32 v124, v118, v123
	v_fmac_f32_e32 v124, v119, v122
	v_add_f32_e32 v103, v103, v124
	ds_read_b128 v[124:127], v102 offset:864
	v_add_f32_e32 v2, v2, v3
	v_mul_f32_e32 v3, v85, v89
	v_fma_f32 v3, v84, v88, -v3
	v_add_f32_e32 v2, v2, v3
	s_waitcnt lgkmcnt(0)
	v_mul_f32_e32 v132, v124, v129
	v_fmac_f32_e32 v132, v125, v128
	v_add_f32_e32 v149, v103, v132
	ds_read_b128 v[132:135], v102 offset:880
	scratch_load_dwordx4 v[140:143], off, off offset:416
	scratch_load_dwordx4 v[144:147], off, off offset:432
	;; [unrolled: 1-line block ×3, first 2 shown]
	scratch_load_dwordx2 v[170:171], off, off offset:464
	v_mul_f32_e32 v3, v91, v95
	v_fma_f32 v3, v90, v94, -v3
	v_add_f32_e32 v2, v2, v3
	v_mul_f32_e32 v3, v93, v97
	v_fma_f32 v3, v92, v96, -v3
	v_add_f32_e32 v2, v2, v3
	v_mul_f32_e32 v3, v99, v105
	v_fma_f32 v3, v98, v104, -v3
	v_add_f32_e32 v2, v2, v3
	v_mul_f32_e32 v3, v101, v107
	v_fma_f32 v3, v100, v106, -v3
	v_add_f32_e32 v2, v2, v3
	v_mul_f32_e32 v3, v109, v113
	v_fma_f32 v3, v108, v112, -v3
	v_add_f32_e32 v2, v2, v3
	v_mul_f32_e32 v3, v111, v115
	v_fma_f32 v3, v110, v114, -v3
	v_add_f32_e32 v2, v2, v3
	v_mul_f32_e32 v3, v117, v121
	v_fma_f32 v3, v116, v120, -v3
	v_add_f32_e32 v2, v2, v3
	v_mul_f32_e32 v3, v119, v123
	v_fma_f32 v3, v118, v122, -v3
	v_add_f32_e32 v2, v2, v3
	v_mul_f32_e32 v3, v125, v129
	v_fma_f32 v3, v124, v128, -v3
	v_add_f32_e32 v148, v2, v3
	v_mul_f32_e32 v2, v127, v131
	v_mul_f32_e32 v167, v126, v131
	v_fma_f32 v166, v126, v130, -v2
	s_waitcnt lgkmcnt(0)
	v_mul_f32_e32 v2, v133, v137
	v_fmac_f32_e32 v167, v127, v130
	v_mul_f32_e32 v169, v132, v137
	v_fma_f32 v168, v132, v136, -v2
	ds_read_b128 v[2:5], v102 offset:896
	ds_read_b128 v[6:9], v102 offset:912
	;; [unrolled: 1-line block ×3, first 2 shown]
	ds_read_b64 v[14:15], v102 offset:944
	v_pk_mul_f32 v[18:19], v[134:135], v[18:19] op_sel:[1,0] op_sel_hi:[0,0]
	v_fmac_f32_e32 v169, v133, v136
	v_pk_add_f32 v[16:17], v[148:149], v[166:167]
	v_pk_fma_f32 v[20:21], v[134:135], v[138:139], v[18:19] neg_lo:[0,0,1] neg_hi:[0,0,1]
	v_pk_fma_f32 v[18:19], v[134:135], v[138:139], v[18:19] op_sel_hi:[1,0,1]
	v_pk_add_f32 v[16:17], v[16:17], v[168:169]
	v_mov_b32_e32 v21, v19
	v_pk_add_f32 v[16:17], v[16:17], v[20:21]
	s_waitcnt vmcnt(3) lgkmcnt(3)
	v_pk_mul_f32 v[18:19], v[2:3], v[140:141] op_sel:[1,1] op_sel_hi:[0,1]
	v_pk_fma_f32 v[20:21], v[2:3], v[140:141], v[18:19] neg_lo:[0,0,1] neg_hi:[0,0,1]
	v_pk_fma_f32 v[2:3], v[2:3], v[140:141], v[18:19] op_sel_hi:[1,0,1]
	s_nop 0
	v_mov_b32_e32 v21, v3
	v_pk_add_f32 v[2:3], v[16:17], v[20:21]
	v_mov_b32_e32 v16, v143
	v_pk_mul_f32 v[16:17], v[4:5], v[16:17] op_sel:[1,0] op_sel_hi:[0,0]
	v_pk_fma_f32 v[18:19], v[4:5], v[142:143], v[16:17] neg_lo:[0,0,1] neg_hi:[0,0,1]
	v_pk_fma_f32 v[4:5], v[4:5], v[142:143], v[16:17] op_sel_hi:[1,0,1]
	s_nop 0
	v_mov_b32_e32 v19, v5
	s_waitcnt vmcnt(2) lgkmcnt(2)
	v_pk_mul_f32 v[4:5], v[6:7], v[144:145] op_sel:[1,1] op_sel_hi:[0,1]
	v_pk_fma_f32 v[16:17], v[6:7], v[144:145], v[4:5] neg_lo:[0,0,1] neg_hi:[0,0,1]
	v_pk_fma_f32 v[4:5], v[6:7], v[144:145], v[4:5] op_sel_hi:[1,0,1]
	v_pk_add_f32 v[2:3], v[2:3], v[18:19]
	v_mov_b32_e32 v4, v147
	v_mov_b32_e32 v17, v5
	v_pk_mul_f32 v[4:5], v[8:9], v[4:5] op_sel:[1,0] op_sel_hi:[0,0]
	v_pk_fma_f32 v[6:7], v[8:9], v[146:147], v[4:5] neg_lo:[0,0,1] neg_hi:[0,0,1]
	v_pk_fma_f32 v[4:5], v[8:9], v[146:147], v[4:5] op_sel_hi:[1,0,1]
	v_pk_add_f32 v[2:3], v[2:3], v[16:17]
	v_mov_b32_e32 v7, v5
	s_waitcnt vmcnt(1) lgkmcnt(1)
	v_pk_mul_f32 v[4:5], v[10:11], v[162:163] op_sel:[1,1] op_sel_hi:[0,1]
	v_pk_add_f32 v[2:3], v[2:3], v[6:7]
	v_pk_fma_f32 v[6:7], v[10:11], v[162:163], v[4:5] neg_lo:[0,0,1] neg_hi:[0,0,1]
	v_pk_fma_f32 v[4:5], v[10:11], v[162:163], v[4:5] op_sel_hi:[1,0,1]
	s_nop 0
	v_mov_b32_e32 v4, v165
	v_mov_b32_e32 v7, v5
	v_pk_mul_f32 v[4:5], v[12:13], v[4:5] op_sel:[1,0] op_sel_hi:[0,0]
	v_pk_add_f32 v[2:3], v[2:3], v[6:7]
	v_pk_fma_f32 v[6:7], v[12:13], v[164:165], v[4:5] neg_lo:[0,0,1] neg_hi:[0,0,1]
	v_pk_fma_f32 v[4:5], v[12:13], v[164:165], v[4:5] op_sel_hi:[1,0,1]
	s_nop 0
	v_mov_b32_e32 v7, v5
	s_waitcnt vmcnt(0) lgkmcnt(0)
	v_pk_mul_f32 v[4:5], v[14:15], v[170:171] op_sel:[1,1] op_sel_hi:[0,1]
	v_pk_add_f32 v[2:3], v[2:3], v[6:7]
	v_pk_fma_f32 v[6:7], v[14:15], v[170:171], v[4:5] neg_lo:[0,0,1] neg_hi:[0,0,1]
	v_pk_fma_f32 v[4:5], v[14:15], v[170:171], v[4:5] op_sel_hi:[1,0,1]
	s_nop 0
	v_mov_b32_e32 v7, v5
	scratch_load_dwordx2 v[4:5], off, off offset:136
	v_pk_add_f32 v[2:3], v[2:3], v[6:7]
	s_waitcnt vmcnt(0)
	v_pk_add_f32 v[2:3], v[4:5], v[2:3] neg_lo:[0,1] neg_hi:[0,1]
	scratch_store_dwordx2 off, v[2:3], off offset:136
	s_and_saveexec_b64 s[0:1], vcc
	s_cbranch_execz .LBB58_335
; %bb.334:
	scratch_load_dwordx2 v[2:3], off, off offset:128
	v_mov_b32_e32 v103, v102
	scratch_store_dwordx2 off, v[102:103], off offset:128
	s_waitcnt vmcnt(1)
	ds_write_b64 v1, v[2:3]
.LBB58_335:
	s_or_b64 exec, exec, s[0:1]
	s_waitcnt lgkmcnt(0)
	; wave barrier
	scratch_load_dwordx4 v[6:9], off, off offset:136
	scratch_load_dwordx4 v[14:17], off, off offset:152
	;; [unrolled: 1-line block ×10, first 2 shown]
	ds_read2_b64 v[2:5], v102 offset0:77 offset1:78
	scratch_load_dwordx4 v[86:89], off, off offset:296
	scratch_load_dwordx4 v[94:97], off, off offset:312
	;; [unrolled: 1-line block ×7, first 2 shown]
	v_cmp_lt_u32_e32 vcc, 15, v0
	s_waitcnt vmcnt(16) lgkmcnt(0)
	v_mul_f32_e32 v10, v2, v7
	v_fmac_f32_e32 v10, v3, v6
	v_mul_f32_e32 v11, v4, v9
	v_add_f32_e32 v10, 0, v10
	v_fmac_f32_e32 v11, v5, v8
	v_add_f32_e32 v18, v10, v11
	ds_read2_b64 v[10:13], v102 offset0:79 offset1:80
	v_mul_f32_e32 v3, v3, v7
	v_fma_f32 v2, v2, v6, -v3
	v_mul_f32_e32 v3, v5, v9
	v_add_f32_e32 v2, 0, v2
	s_waitcnt vmcnt(15) lgkmcnt(0)
	v_mul_f32_e32 v19, v10, v15
	v_fmac_f32_e32 v19, v11, v14
	v_add_f32_e32 v18, v18, v19
	v_mul_f32_e32 v19, v12, v17
	v_fmac_f32_e32 v19, v13, v16
	v_add_f32_e32 v26, v18, v19
	ds_read2_b64 v[18:21], v102 offset0:81 offset1:82
	v_fma_f32 v3, v4, v8, -v3
	v_add_f32_e32 v2, v2, v3
	v_mul_f32_e32 v3, v11, v15
	v_fma_f32 v3, v10, v14, -v3
	s_waitcnt vmcnt(14) lgkmcnt(0)
	v_mul_f32_e32 v27, v18, v23
	v_fmac_f32_e32 v27, v19, v22
	v_add_f32_e32 v26, v26, v27
	v_mul_f32_e32 v27, v20, v25
	v_fmac_f32_e32 v27, v21, v24
	v_add_f32_e32 v34, v26, v27
	ds_read2_b64 v[26:29], v102 offset0:83 offset1:84
	v_add_f32_e32 v2, v2, v3
	v_mul_f32_e32 v3, v13, v17
	v_fma_f32 v3, v12, v16, -v3
	v_add_f32_e32 v2, v2, v3
	s_waitcnt vmcnt(13) lgkmcnt(0)
	v_mul_f32_e32 v35, v26, v31
	v_fmac_f32_e32 v35, v27, v30
	v_add_f32_e32 v34, v34, v35
	v_mul_f32_e32 v35, v28, v33
	v_fmac_f32_e32 v35, v29, v32
	v_add_f32_e32 v42, v34, v35
	ds_read2_b64 v[34:37], v102 offset0:85 offset1:86
	v_mul_f32_e32 v3, v19, v23
	v_fma_f32 v3, v18, v22, -v3
	v_add_f32_e32 v2, v2, v3
	v_mul_f32_e32 v3, v21, v25
	s_waitcnt vmcnt(12) lgkmcnt(0)
	v_mul_f32_e32 v43, v34, v39
	v_fmac_f32_e32 v43, v35, v38
	v_add_f32_e32 v42, v42, v43
	v_mul_f32_e32 v43, v36, v41
	v_fmac_f32_e32 v43, v37, v40
	v_add_f32_e32 v50, v42, v43
	ds_read2_b64 v[42:45], v102 offset0:87 offset1:88
	v_fma_f32 v3, v20, v24, -v3
	v_add_f32_e32 v2, v2, v3
	v_mul_f32_e32 v3, v27, v31
	v_fma_f32 v3, v26, v30, -v3
	s_waitcnt vmcnt(11) lgkmcnt(0)
	v_mul_f32_e32 v51, v42, v47
	v_fmac_f32_e32 v51, v43, v46
	v_add_f32_e32 v50, v50, v51
	v_mul_f32_e32 v51, v44, v49
	v_fmac_f32_e32 v51, v45, v48
	v_add_f32_e32 v58, v50, v51
	ds_read2_b64 v[50:53], v102 offset0:89 offset1:90
	v_add_f32_e32 v2, v2, v3
	v_mul_f32_e32 v3, v29, v33
	v_fma_f32 v3, v28, v32, -v3
	v_add_f32_e32 v2, v2, v3
	s_waitcnt vmcnt(10) lgkmcnt(0)
	v_mul_f32_e32 v59, v50, v55
	v_fmac_f32_e32 v59, v51, v54
	v_add_f32_e32 v58, v58, v59
	v_mul_f32_e32 v59, v52, v57
	v_fmac_f32_e32 v59, v53, v56
	v_add_f32_e32 v66, v58, v59
	ds_read2_b64 v[58:61], v102 offset0:91 offset1:92
	v_mul_f32_e32 v3, v35, v39
	v_fma_f32 v3, v34, v38, -v3
	v_add_f32_e32 v2, v2, v3
	v_mul_f32_e32 v3, v37, v41
	;; [unrolled: 36-line block ×4, first 2 shown]
	s_waitcnt vmcnt(3) lgkmcnt(0)
	v_mul_f32_e32 v116, v108, v113
	v_fmac_f32_e32 v116, v109, v112
	v_add_f32_e32 v103, v103, v116
	v_mul_f32_e32 v116, v110, v115
	v_fmac_f32_e32 v116, v111, v114
	v_add_f32_e32 v103, v103, v116
	ds_read2_b64 v[116:119], v102 offset0:105 offset1:106
	v_fma_f32 v3, v68, v72, -v3
	v_add_f32_e32 v2, v2, v3
	v_mul_f32_e32 v3, v75, v79
	v_fma_f32 v3, v74, v78, -v3
	s_waitcnt vmcnt(2) lgkmcnt(0)
	v_mul_f32_e32 v124, v116, v121
	v_fmac_f32_e32 v124, v117, v120
	v_add_f32_e32 v103, v103, v124
	v_mul_f32_e32 v124, v118, v123
	v_fmac_f32_e32 v124, v119, v122
	v_add_f32_e32 v103, v103, v124
	ds_read2_b64 v[124:127], v102 offset0:107 offset1:108
	v_add_f32_e32 v2, v2, v3
	v_mul_f32_e32 v3, v77, v81
	v_fma_f32 v3, v76, v80, -v3
	v_add_f32_e32 v2, v2, v3
	s_waitcnt vmcnt(1) lgkmcnt(0)
	v_mul_f32_e32 v132, v124, v129
	v_fmac_f32_e32 v132, v125, v128
	v_add_f32_e32 v103, v103, v132
	v_mul_f32_e32 v132, v126, v131
	v_fmac_f32_e32 v132, v127, v130
	v_add_f32_e32 v149, v103, v132
	ds_read2_b64 v[132:135], v102 offset0:109 offset1:110
	scratch_load_dwordx4 v[140:143], off, off offset:408
	scratch_load_dwordx4 v[144:147], off, off offset:424
	;; [unrolled: 1-line block ×4, first 2 shown]
	v_mul_f32_e32 v3, v83, v87
	v_fma_f32 v3, v82, v86, -v3
	v_add_f32_e32 v2, v2, v3
	v_mul_f32_e32 v3, v85, v89
	v_fma_f32 v3, v84, v88, -v3
	v_add_f32_e32 v2, v2, v3
	;; [unrolled: 3-line block ×12, first 2 shown]
	s_waitcnt vmcnt(4) lgkmcnt(0)
	v_mul_f32_e32 v2, v133, v137
	v_fma_f32 v170, v132, v136, -v2
	v_mul_f32_e32 v2, v135, v139
	v_fma_f32 v172, v134, v138, -v2
	ds_read2_b64 v[2:5], v102 offset0:111 offset1:112
	ds_read2_b64 v[6:9], v102 offset0:113 offset1:114
	;; [unrolled: 1-line block ×4, first 2 shown]
	v_mul_f32_e32 v171, v132, v137
	v_fmac_f32_e32 v171, v133, v136
	v_mul_f32_e32 v173, v134, v139
	v_fmac_f32_e32 v173, v135, v138
	v_pk_add_f32 v[18:19], v[148:149], v[170:171]
	s_waitcnt vmcnt(3) lgkmcnt(3)
	v_pk_mul_f32 v[20:21], v[2:3], v[140:141] op_sel:[1,1] op_sel_hi:[0,1]
	v_pk_fma_f32 v[22:23], v[2:3], v[140:141], v[20:21] neg_lo:[0,0,1] neg_hi:[0,0,1]
	v_pk_fma_f32 v[2:3], v[2:3], v[140:141], v[20:21] op_sel_hi:[1,0,1]
	v_pk_add_f32 v[18:19], v[18:19], v[172:173]
	v_mov_b32_e32 v23, v3
	v_pk_add_f32 v[2:3], v[18:19], v[22:23]
	v_mov_b32_e32 v18, v143
	v_pk_mul_f32 v[18:19], v[4:5], v[18:19] op_sel:[1,0] op_sel_hi:[0,0]
	v_pk_fma_f32 v[20:21], v[4:5], v[142:143], v[18:19] neg_lo:[0,0,1] neg_hi:[0,0,1]
	v_pk_fma_f32 v[4:5], v[4:5], v[142:143], v[18:19] op_sel_hi:[1,0,1]
	s_nop 0
	v_mov_b32_e32 v21, v5
	s_waitcnt vmcnt(2) lgkmcnt(2)
	v_pk_mul_f32 v[4:5], v[6:7], v[144:145] op_sel:[1,1] op_sel_hi:[0,1]
	v_pk_fma_f32 v[18:19], v[6:7], v[144:145], v[4:5] neg_lo:[0,0,1] neg_hi:[0,0,1]
	v_pk_fma_f32 v[4:5], v[6:7], v[144:145], v[4:5] op_sel_hi:[1,0,1]
	v_pk_add_f32 v[2:3], v[2:3], v[20:21]
	v_mov_b32_e32 v4, v147
	v_mov_b32_e32 v19, v5
	v_pk_mul_f32 v[4:5], v[8:9], v[4:5] op_sel:[1,0] op_sel_hi:[0,0]
	v_pk_fma_f32 v[6:7], v[8:9], v[146:147], v[4:5] neg_lo:[0,0,1] neg_hi:[0,0,1]
	v_pk_fma_f32 v[4:5], v[8:9], v[146:147], v[4:5] op_sel_hi:[1,0,1]
	v_pk_add_f32 v[2:3], v[2:3], v[18:19]
	v_mov_b32_e32 v7, v5
	s_waitcnt vmcnt(1) lgkmcnt(1)
	v_pk_mul_f32 v[4:5], v[10:11], v[162:163] op_sel:[1,1] op_sel_hi:[0,1]
	v_pk_add_f32 v[2:3], v[2:3], v[6:7]
	v_pk_fma_f32 v[6:7], v[10:11], v[162:163], v[4:5] neg_lo:[0,0,1] neg_hi:[0,0,1]
	v_pk_fma_f32 v[4:5], v[10:11], v[162:163], v[4:5] op_sel_hi:[1,0,1]
	s_nop 0
	v_mov_b32_e32 v4, v165
	v_mov_b32_e32 v7, v5
	v_pk_mul_f32 v[4:5], v[12:13], v[4:5] op_sel:[1,0] op_sel_hi:[0,0]
	v_pk_add_f32 v[2:3], v[2:3], v[6:7]
	v_pk_fma_f32 v[6:7], v[12:13], v[164:165], v[4:5] neg_lo:[0,0,1] neg_hi:[0,0,1]
	v_pk_fma_f32 v[4:5], v[12:13], v[164:165], v[4:5] op_sel_hi:[1,0,1]
	s_nop 0
	v_mov_b32_e32 v7, v5
	s_waitcnt vmcnt(0) lgkmcnt(0)
	v_pk_mul_f32 v[4:5], v[14:15], v[166:167] op_sel:[1,1] op_sel_hi:[0,1]
	v_pk_add_f32 v[2:3], v[2:3], v[6:7]
	v_pk_fma_f32 v[6:7], v[14:15], v[166:167], v[4:5] neg_lo:[0,0,1] neg_hi:[0,0,1]
	v_pk_fma_f32 v[4:5], v[14:15], v[166:167], v[4:5] op_sel_hi:[1,0,1]
	s_nop 0
	v_mov_b32_e32 v4, v169
	v_mov_b32_e32 v7, v5
	v_pk_mul_f32 v[4:5], v[16:17], v[4:5] op_sel:[1,0] op_sel_hi:[0,0]
	v_pk_add_f32 v[2:3], v[2:3], v[6:7]
	v_pk_fma_f32 v[6:7], v[16:17], v[168:169], v[4:5] neg_lo:[0,0,1] neg_hi:[0,0,1]
	v_pk_fma_f32 v[4:5], v[16:17], v[168:169], v[4:5] op_sel_hi:[1,0,1]
	s_nop 0
	v_mov_b32_e32 v7, v5
	scratch_load_dwordx2 v[4:5], off, off offset:128
	v_pk_add_f32 v[2:3], v[2:3], v[6:7]
	s_waitcnt vmcnt(0)
	v_pk_add_f32 v[2:3], v[4:5], v[2:3] neg_lo:[0,1] neg_hi:[0,1]
	scratch_store_dwordx2 off, v[2:3], off offset:128
	s_and_saveexec_b64 s[0:1], vcc
	s_cbranch_execz .LBB58_337
; %bb.336:
	scratch_load_dwordx2 v[2:3], off, off offset:120
	v_mov_b32_e32 v4, 0
	v_mov_b32_e32 v5, v4
	scratch_store_dwordx2 off, v[4:5], off offset:120
	s_waitcnt vmcnt(1)
	ds_write_b64 v1, v[2:3]
.LBB58_337:
	s_or_b64 exec, exec, s[0:1]
	v_mov_b32_e32 v102, 0
	s_waitcnt lgkmcnt(0)
	; wave barrier
	ds_read_b128 v[14:17], v102 offset:608
	ds_read_b128 v[10:13], v102 offset:624
	;; [unrolled: 1-line block ×4, first 2 shown]
	scratch_load_dwordx4 v[18:21], off, off offset:128
	scratch_load_dwordx4 v[38:41], off, off offset:192
	;; [unrolled: 1-line block ×12, first 2 shown]
	v_cmp_lt_u32_e32 vcc, 14, v0
	scratch_load_dwordx4 v[46:49], off, off offset:208
	scratch_load_dwordx4 v[54:57], off, off offset:224
	;; [unrolled: 1-line block ×3, first 2 shown]
	s_waitcnt vmcnt(14) lgkmcnt(3)
	v_mul_f32_e32 v22, v14, v19
	v_fmac_f32_e32 v22, v15, v18
	v_mul_f32_e32 v23, v16, v21
	v_add_f32_e32 v22, 0, v22
	v_fmac_f32_e32 v23, v17, v20
	v_add_f32_e32 v26, v22, v23
	scratch_load_dwordx4 v[22:25], off, off offset:144
	v_mul_f32_e32 v15, v15, v19
	v_fma_f32 v14, v14, v18, -v15
	v_mul_f32_e32 v15, v17, v21
	v_add_f32_e32 v14, 0, v14
	v_fma_f32 v15, v16, v20, -v15
	v_add_f32_e32 v14, v14, v15
	s_waitcnt vmcnt(4)
	v_mov_b32_e32 v18, v147
	s_waitcnt vmcnt(0) lgkmcnt(2)
	v_mul_f32_e32 v27, v10, v23
	v_fmac_f32_e32 v27, v11, v22
	v_add_f32_e32 v26, v26, v27
	v_mul_f32_e32 v27, v12, v25
	v_fmac_f32_e32 v27, v13, v24
	v_add_f32_e32 v30, v26, v27
	scratch_load_dwordx4 v[26:29], off, off offset:160
	v_mul_f32_e32 v11, v11, v23
	v_fma_f32 v10, v10, v22, -v11
	v_mul_f32_e32 v11, v13, v25
	v_add_f32_e32 v10, v14, v10
	v_fma_f32 v11, v12, v24, -v11
	v_add_f32_e32 v10, v10, v11
	s_waitcnt vmcnt(0) lgkmcnt(1)
	v_mul_f32_e32 v31, v6, v27
	v_fmac_f32_e32 v31, v7, v26
	v_add_f32_e32 v30, v30, v31
	v_mul_f32_e32 v31, v8, v29
	v_fmac_f32_e32 v31, v9, v28
	v_add_f32_e32 v34, v30, v31
	scratch_load_dwordx4 v[30:33], off, off offset:176
	v_mul_f32_e32 v7, v7, v27
	v_fma_f32 v6, v6, v26, -v7
	v_mul_f32_e32 v7, v9, v29
	v_add_f32_e32 v6, v10, v6
	v_fma_f32 v7, v8, v28, -v7
	v_add_f32_e32 v6, v6, v7
	s_waitcnt vmcnt(0) lgkmcnt(0)
	v_mul_f32_e32 v35, v2, v31
	v_fmac_f32_e32 v35, v3, v30
	v_add_f32_e32 v34, v34, v35
	v_mul_f32_e32 v35, v4, v33
	v_fmac_f32_e32 v35, v5, v32
	v_add_f32_e32 v42, v34, v35
	ds_read_b128 v[34:37], v102 offset:672
	v_mul_f32_e32 v3, v3, v31
	v_fma_f32 v2, v2, v30, -v3
	v_mul_f32_e32 v3, v5, v33
	v_add_f32_e32 v2, v6, v2
	s_waitcnt lgkmcnt(0)
	v_mul_f32_e32 v43, v34, v39
	v_fmac_f32_e32 v43, v35, v38
	v_add_f32_e32 v42, v42, v43
	v_mul_f32_e32 v43, v36, v41
	v_fmac_f32_e32 v43, v37, v40
	v_add_f32_e32 v50, v42, v43
	ds_read_b128 v[42:45], v102 offset:688
	v_fma_f32 v3, v4, v32, -v3
	v_add_f32_e32 v2, v2, v3
	v_mul_f32_e32 v3, v35, v39
	v_fma_f32 v3, v34, v38, -v3
	s_waitcnt lgkmcnt(0)
	v_mul_f32_e32 v51, v42, v47
	v_fmac_f32_e32 v51, v43, v46
	v_add_f32_e32 v50, v50, v51
	v_mul_f32_e32 v51, v44, v49
	v_fmac_f32_e32 v51, v45, v48
	v_add_f32_e32 v58, v50, v51
	ds_read_b128 v[50:53], v102 offset:704
	v_add_f32_e32 v2, v2, v3
	v_mul_f32_e32 v3, v37, v41
	v_fma_f32 v3, v36, v40, -v3
	v_add_f32_e32 v2, v2, v3
	s_waitcnt lgkmcnt(0)
	v_mul_f32_e32 v59, v50, v55
	v_fmac_f32_e32 v59, v51, v54
	v_add_f32_e32 v58, v58, v59
	v_mul_f32_e32 v59, v52, v57
	v_fmac_f32_e32 v59, v53, v56
	v_add_f32_e32 v66, v58, v59
	ds_read_b128 v[58:61], v102 offset:720
	v_mul_f32_e32 v3, v43, v47
	v_fma_f32 v3, v42, v46, -v3
	v_add_f32_e32 v2, v2, v3
	v_mul_f32_e32 v3, v45, v49
	s_waitcnt lgkmcnt(0)
	v_mul_f32_e32 v67, v58, v63
	v_fmac_f32_e32 v67, v59, v62
	v_add_f32_e32 v66, v66, v67
	v_mul_f32_e32 v67, v60, v65
	v_fmac_f32_e32 v67, v61, v64
	v_add_f32_e32 v74, v66, v67
	ds_read_b128 v[66:69], v102 offset:736
	v_fma_f32 v3, v44, v48, -v3
	v_add_f32_e32 v2, v2, v3
	v_mul_f32_e32 v3, v51, v55
	v_fma_f32 v3, v50, v54, -v3
	s_waitcnt lgkmcnt(0)
	v_mul_f32_e32 v75, v66, v71
	v_fmac_f32_e32 v75, v67, v70
	v_add_f32_e32 v74, v74, v75
	v_mul_f32_e32 v75, v68, v73
	v_fmac_f32_e32 v75, v69, v72
	v_add_f32_e32 v82, v74, v75
	ds_read_b128 v[74:77], v102 offset:752
	v_add_f32_e32 v2, v2, v3
	v_mul_f32_e32 v3, v53, v57
	v_fma_f32 v3, v52, v56, -v3
	v_add_f32_e32 v2, v2, v3
	s_waitcnt lgkmcnt(0)
	v_mul_f32_e32 v83, v74, v79
	v_fmac_f32_e32 v83, v75, v78
	v_add_f32_e32 v82, v82, v83
	v_mul_f32_e32 v83, v76, v81
	v_fmac_f32_e32 v83, v77, v80
	v_add_f32_e32 v90, v82, v83
	ds_read_b128 v[82:85], v102 offset:768
	v_mul_f32_e32 v3, v59, v63
	v_fma_f32 v3, v58, v62, -v3
	v_add_f32_e32 v2, v2, v3
	v_mul_f32_e32 v3, v61, v65
	;; [unrolled: 36-line block ×4, first 2 shown]
	s_waitcnt lgkmcnt(0)
	v_mul_f32_e32 v140, v132, v137
	v_fmac_f32_e32 v140, v133, v136
	v_add_f32_e32 v149, v103, v140
	ds_read_b128 v[140:143], v102 offset:880
	scratch_load_dwordx4 v[162:165], off, off offset:416
	scratch_load_dwordx4 v[166:169], off, off offset:432
	;; [unrolled: 1-line block ×3, first 2 shown]
	scratch_load_dwordx2 v[178:179], off, off offset:464
	v_fma_f32 v3, v92, v96, -v3
	v_add_f32_e32 v2, v2, v3
	v_mul_f32_e32 v3, v99, v105
	v_fma_f32 v3, v98, v104, -v3
	v_add_f32_e32 v2, v2, v3
	v_mul_f32_e32 v3, v101, v107
	;; [unrolled: 3-line block ×10, first 2 shown]
	v_mul_f32_e32 v175, v134, v139
	v_fma_f32 v174, v134, v138, -v2
	s_waitcnt lgkmcnt(0)
	v_mul_f32_e32 v2, v141, v145
	v_fmac_f32_e32 v175, v135, v138
	v_mul_f32_e32 v177, v140, v145
	v_fma_f32 v176, v140, v144, -v2
	ds_read_b128 v[2:5], v102 offset:896
	ds_read_b128 v[6:9], v102 offset:912
	;; [unrolled: 1-line block ×3, first 2 shown]
	ds_read_b64 v[14:15], v102 offset:944
	v_pk_mul_f32 v[18:19], v[142:143], v[18:19] op_sel:[1,0] op_sel_hi:[0,0]
	v_fmac_f32_e32 v177, v141, v144
	v_pk_add_f32 v[16:17], v[148:149], v[174:175]
	v_pk_fma_f32 v[20:21], v[142:143], v[146:147], v[18:19] neg_lo:[0,0,1] neg_hi:[0,0,1]
	v_pk_fma_f32 v[18:19], v[142:143], v[146:147], v[18:19] op_sel_hi:[1,0,1]
	v_pk_add_f32 v[16:17], v[16:17], v[176:177]
	v_mov_b32_e32 v21, v19
	v_pk_add_f32 v[16:17], v[16:17], v[20:21]
	s_waitcnt vmcnt(3) lgkmcnt(3)
	v_pk_mul_f32 v[18:19], v[2:3], v[162:163] op_sel:[1,1] op_sel_hi:[0,1]
	v_pk_fma_f32 v[20:21], v[2:3], v[162:163], v[18:19] neg_lo:[0,0,1] neg_hi:[0,0,1]
	v_pk_fma_f32 v[2:3], v[2:3], v[162:163], v[18:19] op_sel_hi:[1,0,1]
	s_nop 0
	v_mov_b32_e32 v21, v3
	v_pk_add_f32 v[2:3], v[16:17], v[20:21]
	v_mov_b32_e32 v16, v165
	v_pk_mul_f32 v[16:17], v[4:5], v[16:17] op_sel:[1,0] op_sel_hi:[0,0]
	v_pk_fma_f32 v[18:19], v[4:5], v[164:165], v[16:17] neg_lo:[0,0,1] neg_hi:[0,0,1]
	v_pk_fma_f32 v[4:5], v[4:5], v[164:165], v[16:17] op_sel_hi:[1,0,1]
	s_nop 0
	v_mov_b32_e32 v19, v5
	s_waitcnt vmcnt(2) lgkmcnt(2)
	v_pk_mul_f32 v[4:5], v[6:7], v[166:167] op_sel:[1,1] op_sel_hi:[0,1]
	v_pk_fma_f32 v[16:17], v[6:7], v[166:167], v[4:5] neg_lo:[0,0,1] neg_hi:[0,0,1]
	v_pk_fma_f32 v[4:5], v[6:7], v[166:167], v[4:5] op_sel_hi:[1,0,1]
	v_pk_add_f32 v[2:3], v[2:3], v[18:19]
	v_mov_b32_e32 v4, v169
	v_mov_b32_e32 v17, v5
	v_pk_mul_f32 v[4:5], v[8:9], v[4:5] op_sel:[1,0] op_sel_hi:[0,0]
	v_pk_fma_f32 v[6:7], v[8:9], v[168:169], v[4:5] neg_lo:[0,0,1] neg_hi:[0,0,1]
	v_pk_fma_f32 v[4:5], v[8:9], v[168:169], v[4:5] op_sel_hi:[1,0,1]
	v_pk_add_f32 v[2:3], v[2:3], v[16:17]
	v_mov_b32_e32 v7, v5
	s_waitcnt vmcnt(1) lgkmcnt(1)
	v_pk_mul_f32 v[4:5], v[10:11], v[170:171] op_sel:[1,1] op_sel_hi:[0,1]
	v_pk_add_f32 v[2:3], v[2:3], v[6:7]
	v_pk_fma_f32 v[6:7], v[10:11], v[170:171], v[4:5] neg_lo:[0,0,1] neg_hi:[0,0,1]
	v_pk_fma_f32 v[4:5], v[10:11], v[170:171], v[4:5] op_sel_hi:[1,0,1]
	s_nop 0
	v_mov_b32_e32 v4, v173
	v_mov_b32_e32 v7, v5
	v_pk_mul_f32 v[4:5], v[12:13], v[4:5] op_sel:[1,0] op_sel_hi:[0,0]
	v_pk_add_f32 v[2:3], v[2:3], v[6:7]
	v_pk_fma_f32 v[6:7], v[12:13], v[172:173], v[4:5] neg_lo:[0,0,1] neg_hi:[0,0,1]
	v_pk_fma_f32 v[4:5], v[12:13], v[172:173], v[4:5] op_sel_hi:[1,0,1]
	s_nop 0
	v_mov_b32_e32 v7, v5
	s_waitcnt vmcnt(0) lgkmcnt(0)
	v_pk_mul_f32 v[4:5], v[14:15], v[178:179] op_sel:[1,1] op_sel_hi:[0,1]
	v_pk_add_f32 v[2:3], v[2:3], v[6:7]
	v_pk_fma_f32 v[6:7], v[14:15], v[178:179], v[4:5] neg_lo:[0,0,1] neg_hi:[0,0,1]
	v_pk_fma_f32 v[4:5], v[14:15], v[178:179], v[4:5] op_sel_hi:[1,0,1]
	s_nop 0
	v_mov_b32_e32 v7, v5
	scratch_load_dwordx2 v[4:5], off, off offset:120
	v_pk_add_f32 v[2:3], v[2:3], v[6:7]
	s_waitcnt vmcnt(0)
	v_pk_add_f32 v[2:3], v[4:5], v[2:3] neg_lo:[0,1] neg_hi:[0,1]
	scratch_store_dwordx2 off, v[2:3], off offset:120
	s_and_saveexec_b64 s[0:1], vcc
	s_cbranch_execz .LBB58_339
; %bb.338:
	scratch_load_dwordx2 v[2:3], off, off offset:112
	v_mov_b32_e32 v103, v102
	scratch_store_dwordx2 off, v[102:103], off offset:112
	s_waitcnt vmcnt(1)
	ds_write_b64 v1, v[2:3]
.LBB58_339:
	s_or_b64 exec, exec, s[0:1]
	s_waitcnt lgkmcnt(0)
	; wave barrier
	scratch_load_dwordx4 v[6:9], off, off offset:120
	scratch_load_dwordx4 v[14:17], off, off offset:136
	;; [unrolled: 1-line block ×10, first 2 shown]
	ds_read2_b64 v[2:5], v102 offset0:75 offset1:76
	scratch_load_dwordx4 v[86:89], off, off offset:280
	scratch_load_dwordx4 v[94:97], off, off offset:296
	;; [unrolled: 1-line block ×8, first 2 shown]
	v_cmp_lt_u32_e32 vcc, 13, v0
	s_waitcnt vmcnt(17) lgkmcnt(0)
	v_mul_f32_e32 v10, v2, v7
	v_fmac_f32_e32 v10, v3, v6
	v_mul_f32_e32 v11, v4, v9
	v_add_f32_e32 v10, 0, v10
	v_fmac_f32_e32 v11, v5, v8
	v_add_f32_e32 v18, v10, v11
	ds_read2_b64 v[10:13], v102 offset0:77 offset1:78
	v_mul_f32_e32 v3, v3, v7
	v_fma_f32 v2, v2, v6, -v3
	v_mul_f32_e32 v3, v5, v9
	v_add_f32_e32 v2, 0, v2
	s_waitcnt vmcnt(16) lgkmcnt(0)
	v_mul_f32_e32 v19, v10, v15
	v_fmac_f32_e32 v19, v11, v14
	v_add_f32_e32 v18, v18, v19
	v_mul_f32_e32 v19, v12, v17
	v_fmac_f32_e32 v19, v13, v16
	v_add_f32_e32 v26, v18, v19
	ds_read2_b64 v[18:21], v102 offset0:79 offset1:80
	v_fma_f32 v3, v4, v8, -v3
	v_add_f32_e32 v2, v2, v3
	v_mul_f32_e32 v3, v11, v15
	v_fma_f32 v3, v10, v14, -v3
	s_waitcnt vmcnt(15) lgkmcnt(0)
	v_mul_f32_e32 v27, v18, v23
	v_fmac_f32_e32 v27, v19, v22
	v_add_f32_e32 v26, v26, v27
	v_mul_f32_e32 v27, v20, v25
	v_fmac_f32_e32 v27, v21, v24
	v_add_f32_e32 v34, v26, v27
	ds_read2_b64 v[26:29], v102 offset0:81 offset1:82
	v_add_f32_e32 v2, v2, v3
	v_mul_f32_e32 v3, v13, v17
	v_fma_f32 v3, v12, v16, -v3
	v_add_f32_e32 v2, v2, v3
	s_waitcnt vmcnt(14) lgkmcnt(0)
	v_mul_f32_e32 v35, v26, v31
	v_fmac_f32_e32 v35, v27, v30
	v_add_f32_e32 v34, v34, v35
	v_mul_f32_e32 v35, v28, v33
	v_fmac_f32_e32 v35, v29, v32
	v_add_f32_e32 v42, v34, v35
	ds_read2_b64 v[34:37], v102 offset0:83 offset1:84
	v_mul_f32_e32 v3, v19, v23
	v_fma_f32 v3, v18, v22, -v3
	v_add_f32_e32 v2, v2, v3
	v_mul_f32_e32 v3, v21, v25
	s_waitcnt vmcnt(13) lgkmcnt(0)
	v_mul_f32_e32 v43, v34, v39
	v_fmac_f32_e32 v43, v35, v38
	v_add_f32_e32 v42, v42, v43
	v_mul_f32_e32 v43, v36, v41
	v_fmac_f32_e32 v43, v37, v40
	v_add_f32_e32 v50, v42, v43
	ds_read2_b64 v[42:45], v102 offset0:85 offset1:86
	v_fma_f32 v3, v20, v24, -v3
	v_add_f32_e32 v2, v2, v3
	v_mul_f32_e32 v3, v27, v31
	v_fma_f32 v3, v26, v30, -v3
	s_waitcnt vmcnt(12) lgkmcnt(0)
	v_mul_f32_e32 v51, v42, v47
	v_fmac_f32_e32 v51, v43, v46
	v_add_f32_e32 v50, v50, v51
	v_mul_f32_e32 v51, v44, v49
	v_fmac_f32_e32 v51, v45, v48
	v_add_f32_e32 v58, v50, v51
	ds_read2_b64 v[50:53], v102 offset0:87 offset1:88
	v_add_f32_e32 v2, v2, v3
	v_mul_f32_e32 v3, v29, v33
	v_fma_f32 v3, v28, v32, -v3
	v_add_f32_e32 v2, v2, v3
	s_waitcnt vmcnt(11) lgkmcnt(0)
	v_mul_f32_e32 v59, v50, v55
	v_fmac_f32_e32 v59, v51, v54
	v_add_f32_e32 v58, v58, v59
	v_mul_f32_e32 v59, v52, v57
	v_fmac_f32_e32 v59, v53, v56
	v_add_f32_e32 v66, v58, v59
	ds_read2_b64 v[58:61], v102 offset0:89 offset1:90
	v_mul_f32_e32 v3, v35, v39
	v_fma_f32 v3, v34, v38, -v3
	v_add_f32_e32 v2, v2, v3
	v_mul_f32_e32 v3, v37, v41
	;; [unrolled: 36-line block ×5, first 2 shown]
	s_waitcnt vmcnt(1) lgkmcnt(0)
	v_mul_f32_e32 v140, v132, v137
	v_fmac_f32_e32 v140, v133, v136
	v_add_f32_e32 v103, v103, v140
	v_mul_f32_e32 v140, v134, v139
	v_fmac_f32_e32 v140, v135, v138
	v_add_f32_e32 v149, v103, v140
	ds_read2_b64 v[140:143], v102 offset0:109 offset1:110
	scratch_load_dwordx4 v[162:165], off, off offset:408
	scratch_load_dwordx4 v[166:169], off, off offset:424
	;; [unrolled: 1-line block ×4, first 2 shown]
	v_fma_f32 v3, v84, v88, -v3
	v_add_f32_e32 v2, v2, v3
	v_mul_f32_e32 v3, v91, v95
	v_fma_f32 v3, v90, v94, -v3
	v_add_f32_e32 v2, v2, v3
	v_mul_f32_e32 v3, v93, v97
	;; [unrolled: 3-line block ×12, first 2 shown]
	v_fma_f32 v3, v134, v138, -v3
	v_add_f32_e32 v148, v2, v3
	s_waitcnt vmcnt(4) lgkmcnt(0)
	v_mul_f32_e32 v2, v141, v145
	v_fma_f32 v178, v140, v144, -v2
	v_mul_f32_e32 v2, v143, v147
	v_fma_f32 v180, v142, v146, -v2
	ds_read2_b64 v[2:5], v102 offset0:111 offset1:112
	ds_read2_b64 v[6:9], v102 offset0:113 offset1:114
	;; [unrolled: 1-line block ×4, first 2 shown]
	v_mul_f32_e32 v179, v140, v145
	v_fmac_f32_e32 v179, v141, v144
	v_mul_f32_e32 v181, v142, v147
	v_fmac_f32_e32 v181, v143, v146
	v_pk_add_f32 v[18:19], v[148:149], v[178:179]
	s_waitcnt vmcnt(3) lgkmcnt(3)
	v_pk_mul_f32 v[20:21], v[2:3], v[162:163] op_sel:[1,1] op_sel_hi:[0,1]
	v_pk_fma_f32 v[22:23], v[2:3], v[162:163], v[20:21] neg_lo:[0,0,1] neg_hi:[0,0,1]
	v_pk_fma_f32 v[2:3], v[2:3], v[162:163], v[20:21] op_sel_hi:[1,0,1]
	v_pk_add_f32 v[18:19], v[18:19], v[180:181]
	v_mov_b32_e32 v23, v3
	v_pk_add_f32 v[2:3], v[18:19], v[22:23]
	v_mov_b32_e32 v18, v165
	v_pk_mul_f32 v[18:19], v[4:5], v[18:19] op_sel:[1,0] op_sel_hi:[0,0]
	v_pk_fma_f32 v[20:21], v[4:5], v[164:165], v[18:19] neg_lo:[0,0,1] neg_hi:[0,0,1]
	v_pk_fma_f32 v[4:5], v[4:5], v[164:165], v[18:19] op_sel_hi:[1,0,1]
	s_nop 0
	v_mov_b32_e32 v21, v5
	s_waitcnt vmcnt(2) lgkmcnt(2)
	v_pk_mul_f32 v[4:5], v[6:7], v[166:167] op_sel:[1,1] op_sel_hi:[0,1]
	v_pk_fma_f32 v[18:19], v[6:7], v[166:167], v[4:5] neg_lo:[0,0,1] neg_hi:[0,0,1]
	v_pk_fma_f32 v[4:5], v[6:7], v[166:167], v[4:5] op_sel_hi:[1,0,1]
	v_pk_add_f32 v[2:3], v[2:3], v[20:21]
	v_mov_b32_e32 v4, v169
	v_mov_b32_e32 v19, v5
	v_pk_mul_f32 v[4:5], v[8:9], v[4:5] op_sel:[1,0] op_sel_hi:[0,0]
	v_pk_fma_f32 v[6:7], v[8:9], v[168:169], v[4:5] neg_lo:[0,0,1] neg_hi:[0,0,1]
	v_pk_fma_f32 v[4:5], v[8:9], v[168:169], v[4:5] op_sel_hi:[1,0,1]
	v_pk_add_f32 v[2:3], v[2:3], v[18:19]
	v_mov_b32_e32 v7, v5
	s_waitcnt vmcnt(1) lgkmcnt(1)
	v_pk_mul_f32 v[4:5], v[10:11], v[170:171] op_sel:[1,1] op_sel_hi:[0,1]
	v_pk_add_f32 v[2:3], v[2:3], v[6:7]
	v_pk_fma_f32 v[6:7], v[10:11], v[170:171], v[4:5] neg_lo:[0,0,1] neg_hi:[0,0,1]
	v_pk_fma_f32 v[4:5], v[10:11], v[170:171], v[4:5] op_sel_hi:[1,0,1]
	s_nop 0
	v_mov_b32_e32 v4, v173
	v_mov_b32_e32 v7, v5
	v_pk_mul_f32 v[4:5], v[12:13], v[4:5] op_sel:[1,0] op_sel_hi:[0,0]
	v_pk_add_f32 v[2:3], v[2:3], v[6:7]
	v_pk_fma_f32 v[6:7], v[12:13], v[172:173], v[4:5] neg_lo:[0,0,1] neg_hi:[0,0,1]
	v_pk_fma_f32 v[4:5], v[12:13], v[172:173], v[4:5] op_sel_hi:[1,0,1]
	s_nop 0
	v_mov_b32_e32 v7, v5
	s_waitcnt vmcnt(0) lgkmcnt(0)
	v_pk_mul_f32 v[4:5], v[14:15], v[174:175] op_sel:[1,1] op_sel_hi:[0,1]
	v_pk_add_f32 v[2:3], v[2:3], v[6:7]
	v_pk_fma_f32 v[6:7], v[14:15], v[174:175], v[4:5] neg_lo:[0,0,1] neg_hi:[0,0,1]
	v_pk_fma_f32 v[4:5], v[14:15], v[174:175], v[4:5] op_sel_hi:[1,0,1]
	s_nop 0
	v_mov_b32_e32 v4, v177
	v_mov_b32_e32 v7, v5
	v_pk_mul_f32 v[4:5], v[16:17], v[4:5] op_sel:[1,0] op_sel_hi:[0,0]
	v_pk_add_f32 v[2:3], v[2:3], v[6:7]
	v_pk_fma_f32 v[6:7], v[16:17], v[176:177], v[4:5] neg_lo:[0,0,1] neg_hi:[0,0,1]
	v_pk_fma_f32 v[4:5], v[16:17], v[176:177], v[4:5] op_sel_hi:[1,0,1]
	s_nop 0
	v_mov_b32_e32 v7, v5
	scratch_load_dwordx2 v[4:5], off, off offset:112
	v_pk_add_f32 v[2:3], v[2:3], v[6:7]
	s_waitcnt vmcnt(0)
	v_pk_add_f32 v[2:3], v[4:5], v[2:3] neg_lo:[0,1] neg_hi:[0,1]
	scratch_store_dwordx2 off, v[2:3], off offset:112
	s_and_saveexec_b64 s[0:1], vcc
	s_cbranch_execz .LBB58_341
; %bb.340:
	scratch_load_dwordx2 v[2:3], off, off offset:104
	v_mov_b32_e32 v4, 0
	v_mov_b32_e32 v5, v4
	scratch_store_dwordx2 off, v[4:5], off offset:104
	s_waitcnt vmcnt(1)
	ds_write_b64 v1, v[2:3]
.LBB58_341:
	s_or_b64 exec, exec, s[0:1]
	v_mov_b32_e32 v110, 0
	s_waitcnt lgkmcnt(0)
	; wave barrier
	ds_read_b128 v[14:17], v110 offset:592
	ds_read_b128 v[10:13], v110 offset:608
	;; [unrolled: 1-line block ×4, first 2 shown]
	scratch_load_dwordx4 v[18:21], off, off offset:112
	scratch_load_dwordx4 v[38:41], off, off offset:176
	scratch_load_dwordx4 v[70:73], off, off offset:240
	scratch_load_dwordx4 v[78:81], off, off offset:256
	scratch_load_dwordx4 v[86:89], off, off offset:272
	scratch_load_dwordx4 v[94:97], off, off offset:288
	scratch_load_dwordx4 v[102:105], off, off offset:304
	scratch_load_dwordx4 v[112:115], off, off offset:320
	scratch_load_dwordx4 v[120:123], off, off offset:336
	scratch_load_dwordx4 v[128:131], off, off offset:352
	scratch_load_dwordx4 v[136:139], off, off offset:368
	scratch_load_dwordx4 v[144:147], off, off offset:384
	scratch_load_dwordx4 v[166:169], off, off offset:400
	v_cmp_lt_u32_e32 vcc, 12, v0
	scratch_load_dwordx4 v[46:49], off, off offset:192
	scratch_load_dwordx4 v[54:57], off, off offset:208
	;; [unrolled: 1-line block ×3, first 2 shown]
	ds_read_b128 v[162:165], v110 offset:880
	s_waitcnt vmcnt(15) lgkmcnt(4)
	v_mul_f32_e32 v22, v14, v19
	v_fmac_f32_e32 v22, v15, v18
	v_mul_f32_e32 v23, v16, v21
	v_add_f32_e32 v22, 0, v22
	v_fmac_f32_e32 v23, v17, v20
	v_add_f32_e32 v26, v22, v23
	scratch_load_dwordx4 v[22:25], off, off offset:128
	v_mul_f32_e32 v15, v15, v19
	v_fma_f32 v14, v14, v18, -v15
	v_mul_f32_e32 v15, v17, v21
	v_add_f32_e32 v14, 0, v14
	v_fma_f32 v15, v16, v20, -v15
	v_add_f32_e32 v14, v14, v15
	s_waitcnt vmcnt(4)
	v_mov_b32_e32 v18, v169
	s_waitcnt lgkmcnt(0)
	v_mul_f32_e32 v185, v162, v167
	v_pk_mul_f32 v[18:19], v[164:165], v[18:19] op_sel:[1,0] op_sel_hi:[0,0]
	v_fmac_f32_e32 v185, v163, v166
	v_pk_fma_f32 v[20:21], v[164:165], v[168:169], v[18:19] neg_lo:[0,0,1] neg_hi:[0,0,1]
	v_pk_fma_f32 v[18:19], v[164:165], v[168:169], v[18:19] op_sel_hi:[1,0,1]
	s_waitcnt vmcnt(0)
	v_mul_f32_e32 v27, v10, v23
	v_fmac_f32_e32 v27, v11, v22
	v_add_f32_e32 v26, v26, v27
	v_mul_f32_e32 v27, v12, v25
	v_fmac_f32_e32 v27, v13, v24
	v_add_f32_e32 v30, v26, v27
	scratch_load_dwordx4 v[26:29], off, off offset:144
	v_mul_f32_e32 v11, v11, v23
	v_fma_f32 v10, v10, v22, -v11
	v_mul_f32_e32 v11, v13, v25
	v_add_f32_e32 v10, v14, v10
	v_fma_f32 v11, v12, v24, -v11
	v_add_f32_e32 v10, v10, v11
	v_mov_b32_e32 v21, v19
	s_waitcnt vmcnt(0)
	v_mul_f32_e32 v31, v6, v27
	v_fmac_f32_e32 v31, v7, v26
	v_add_f32_e32 v30, v30, v31
	v_mul_f32_e32 v31, v8, v29
	v_fmac_f32_e32 v31, v9, v28
	v_add_f32_e32 v34, v30, v31
	scratch_load_dwordx4 v[30:33], off, off offset:160
	v_mul_f32_e32 v7, v7, v27
	v_fma_f32 v6, v6, v26, -v7
	v_mul_f32_e32 v7, v9, v29
	v_add_f32_e32 v6, v10, v6
	v_fma_f32 v7, v8, v28, -v7
	v_add_f32_e32 v6, v6, v7
	s_waitcnt vmcnt(0)
	v_mul_f32_e32 v35, v2, v31
	v_fmac_f32_e32 v35, v3, v30
	v_add_f32_e32 v34, v34, v35
	v_mul_f32_e32 v35, v4, v33
	v_fmac_f32_e32 v35, v5, v32
	v_add_f32_e32 v42, v34, v35
	ds_read_b128 v[34:37], v110 offset:656
	v_mul_f32_e32 v3, v3, v31
	v_fma_f32 v2, v2, v30, -v3
	v_mul_f32_e32 v3, v5, v33
	v_add_f32_e32 v2, v6, v2
	s_waitcnt lgkmcnt(0)
	v_mul_f32_e32 v43, v34, v39
	v_fmac_f32_e32 v43, v35, v38
	v_add_f32_e32 v42, v42, v43
	v_mul_f32_e32 v43, v36, v41
	v_fmac_f32_e32 v43, v37, v40
	v_add_f32_e32 v50, v42, v43
	ds_read_b128 v[42:45], v110 offset:672
	v_fma_f32 v3, v4, v32, -v3
	v_add_f32_e32 v2, v2, v3
	v_mul_f32_e32 v3, v35, v39
	v_fma_f32 v3, v34, v38, -v3
	s_waitcnt lgkmcnt(0)
	v_mul_f32_e32 v51, v42, v47
	v_fmac_f32_e32 v51, v43, v46
	v_add_f32_e32 v50, v50, v51
	v_mul_f32_e32 v51, v44, v49
	v_fmac_f32_e32 v51, v45, v48
	v_add_f32_e32 v58, v50, v51
	ds_read_b128 v[50:53], v110 offset:688
	v_add_f32_e32 v2, v2, v3
	v_mul_f32_e32 v3, v37, v41
	v_fma_f32 v3, v36, v40, -v3
	v_add_f32_e32 v2, v2, v3
	s_waitcnt lgkmcnt(0)
	v_mul_f32_e32 v59, v50, v55
	v_fmac_f32_e32 v59, v51, v54
	v_add_f32_e32 v58, v58, v59
	v_mul_f32_e32 v59, v52, v57
	v_fmac_f32_e32 v59, v53, v56
	v_add_f32_e32 v66, v58, v59
	ds_read_b128 v[58:61], v110 offset:704
	v_mul_f32_e32 v3, v43, v47
	v_fma_f32 v3, v42, v46, -v3
	v_add_f32_e32 v2, v2, v3
	v_mul_f32_e32 v3, v45, v49
	s_waitcnt lgkmcnt(0)
	v_mul_f32_e32 v67, v58, v63
	v_fmac_f32_e32 v67, v59, v62
	v_add_f32_e32 v66, v66, v67
	v_mul_f32_e32 v67, v60, v65
	v_fmac_f32_e32 v67, v61, v64
	v_add_f32_e32 v74, v66, v67
	ds_read_b128 v[66:69], v110 offset:720
	v_fma_f32 v3, v44, v48, -v3
	v_add_f32_e32 v2, v2, v3
	v_mul_f32_e32 v3, v51, v55
	v_fma_f32 v3, v50, v54, -v3
	s_waitcnt lgkmcnt(0)
	v_mul_f32_e32 v75, v66, v71
	v_fmac_f32_e32 v75, v67, v70
	v_add_f32_e32 v74, v74, v75
	v_mul_f32_e32 v75, v68, v73
	v_fmac_f32_e32 v75, v69, v72
	v_add_f32_e32 v82, v74, v75
	ds_read_b128 v[74:77], v110 offset:736
	v_add_f32_e32 v2, v2, v3
	v_mul_f32_e32 v3, v53, v57
	v_fma_f32 v3, v52, v56, -v3
	v_add_f32_e32 v2, v2, v3
	s_waitcnt lgkmcnt(0)
	v_mul_f32_e32 v83, v74, v79
	v_fmac_f32_e32 v83, v75, v78
	v_add_f32_e32 v82, v82, v83
	v_mul_f32_e32 v83, v76, v81
	v_fmac_f32_e32 v83, v77, v80
	v_add_f32_e32 v90, v82, v83
	ds_read_b128 v[82:85], v110 offset:752
	v_mul_f32_e32 v3, v59, v63
	v_fma_f32 v3, v58, v62, -v3
	v_add_f32_e32 v2, v2, v3
	v_mul_f32_e32 v3, v61, v65
	;; [unrolled: 36-line block ×4, first 2 shown]
	s_waitcnt lgkmcnt(0)
	v_mul_f32_e32 v140, v132, v137
	v_fmac_f32_e32 v140, v133, v136
	v_add_f32_e32 v111, v111, v140
	v_mul_f32_e32 v140, v134, v139
	v_fmac_f32_e32 v140, v135, v138
	v_add_f32_e32 v111, v111, v140
	ds_read_b128 v[140:143], v110 offset:864
	scratch_load_dwordx4 v[170:173], off, off offset:416
	scratch_load_dwordx4 v[174:177], off, off offset:432
	;; [unrolled: 1-line block ×3, first 2 shown]
	scratch_load_dwordx2 v[186:187], off, off offset:464
	v_fma_f32 v3, v92, v96, -v3
	v_add_f32_e32 v2, v2, v3
	v_mul_f32_e32 v3, v99, v103
	v_fma_f32 v3, v98, v102, -v3
	v_add_f32_e32 v2, v2, v3
	v_mul_f32_e32 v3, v101, v105
	;; [unrolled: 3-line block ×10, first 2 shown]
	v_fma_f32 v3, v134, v138, -v3
	s_waitcnt lgkmcnt(0)
	v_mul_f32_e32 v148, v140, v145
	v_add_f32_e32 v2, v2, v3
	v_mul_f32_e32 v3, v141, v145
	v_fmac_f32_e32 v148, v141, v144
	v_fma_f32 v3, v140, v144, -v3
	v_add_f32_e32 v149, v111, v148
	v_add_f32_e32 v148, v2, v3
	v_mul_f32_e32 v2, v143, v147
	v_mul_f32_e32 v183, v142, v147
	v_fma_f32 v182, v142, v146, -v2
	v_mul_f32_e32 v2, v163, v167
	v_fmac_f32_e32 v183, v143, v146
	v_fma_f32 v184, v162, v166, -v2
	ds_read_b128 v[2:5], v110 offset:896
	ds_read_b128 v[6:9], v110 offset:912
	;; [unrolled: 1-line block ×3, first 2 shown]
	ds_read_b64 v[14:15], v110 offset:944
	v_pk_add_f32 v[16:17], v[148:149], v[182:183]
	s_waitcnt vmcnt(3) lgkmcnt(3)
	v_pk_mul_f32 v[18:19], v[2:3], v[170:171] op_sel:[1,1] op_sel_hi:[0,1]
	v_pk_add_f32 v[16:17], v[16:17], v[184:185]
	s_nop 0
	v_pk_add_f32 v[16:17], v[16:17], v[20:21]
	v_pk_fma_f32 v[20:21], v[2:3], v[170:171], v[18:19] neg_lo:[0,0,1] neg_hi:[0,0,1]
	v_pk_fma_f32 v[2:3], v[2:3], v[170:171], v[18:19] op_sel_hi:[1,0,1]
	s_nop 0
	v_mov_b32_e32 v21, v3
	v_pk_add_f32 v[2:3], v[16:17], v[20:21]
	v_mov_b32_e32 v16, v173
	v_pk_mul_f32 v[16:17], v[4:5], v[16:17] op_sel:[1,0] op_sel_hi:[0,0]
	v_pk_fma_f32 v[18:19], v[4:5], v[172:173], v[16:17] neg_lo:[0,0,1] neg_hi:[0,0,1]
	v_pk_fma_f32 v[4:5], v[4:5], v[172:173], v[16:17] op_sel_hi:[1,0,1]
	s_nop 0
	v_mov_b32_e32 v19, v5
	s_waitcnt vmcnt(2) lgkmcnt(2)
	v_pk_mul_f32 v[4:5], v[6:7], v[174:175] op_sel:[1,1] op_sel_hi:[0,1]
	v_pk_fma_f32 v[16:17], v[6:7], v[174:175], v[4:5] neg_lo:[0,0,1] neg_hi:[0,0,1]
	v_pk_fma_f32 v[4:5], v[6:7], v[174:175], v[4:5] op_sel_hi:[1,0,1]
	v_pk_add_f32 v[2:3], v[2:3], v[18:19]
	v_mov_b32_e32 v4, v177
	v_mov_b32_e32 v17, v5
	v_pk_mul_f32 v[4:5], v[8:9], v[4:5] op_sel:[1,0] op_sel_hi:[0,0]
	v_pk_fma_f32 v[6:7], v[8:9], v[176:177], v[4:5] neg_lo:[0,0,1] neg_hi:[0,0,1]
	v_pk_fma_f32 v[4:5], v[8:9], v[176:177], v[4:5] op_sel_hi:[1,0,1]
	v_pk_add_f32 v[2:3], v[2:3], v[16:17]
	v_mov_b32_e32 v7, v5
	s_waitcnt vmcnt(1) lgkmcnt(1)
	v_pk_mul_f32 v[4:5], v[10:11], v[178:179] op_sel:[1,1] op_sel_hi:[0,1]
	v_pk_add_f32 v[2:3], v[2:3], v[6:7]
	v_pk_fma_f32 v[6:7], v[10:11], v[178:179], v[4:5] neg_lo:[0,0,1] neg_hi:[0,0,1]
	v_pk_fma_f32 v[4:5], v[10:11], v[178:179], v[4:5] op_sel_hi:[1,0,1]
	s_nop 0
	v_mov_b32_e32 v4, v181
	v_mov_b32_e32 v7, v5
	v_pk_mul_f32 v[4:5], v[12:13], v[4:5] op_sel:[1,0] op_sel_hi:[0,0]
	v_pk_add_f32 v[2:3], v[2:3], v[6:7]
	v_pk_fma_f32 v[6:7], v[12:13], v[180:181], v[4:5] neg_lo:[0,0,1] neg_hi:[0,0,1]
	v_pk_fma_f32 v[4:5], v[12:13], v[180:181], v[4:5] op_sel_hi:[1,0,1]
	s_nop 0
	v_mov_b32_e32 v7, v5
	s_waitcnt vmcnt(0) lgkmcnt(0)
	v_pk_mul_f32 v[4:5], v[14:15], v[186:187] op_sel:[1,1] op_sel_hi:[0,1]
	v_pk_add_f32 v[2:3], v[2:3], v[6:7]
	v_pk_fma_f32 v[6:7], v[14:15], v[186:187], v[4:5] neg_lo:[0,0,1] neg_hi:[0,0,1]
	v_pk_fma_f32 v[4:5], v[14:15], v[186:187], v[4:5] op_sel_hi:[1,0,1]
	s_nop 0
	v_mov_b32_e32 v7, v5
	scratch_load_dwordx2 v[4:5], off, off offset:104
	v_pk_add_f32 v[2:3], v[2:3], v[6:7]
	s_waitcnt vmcnt(0)
	v_pk_add_f32 v[2:3], v[4:5], v[2:3] neg_lo:[0,1] neg_hi:[0,1]
	scratch_store_dwordx2 off, v[2:3], off offset:104
	s_and_saveexec_b64 s[0:1], vcc
	s_cbranch_execz .LBB58_343
; %bb.342:
	scratch_load_dwordx2 v[2:3], off, off offset:96
	v_mov_b32_e32 v111, v110
	scratch_store_dwordx2 off, v[110:111], off offset:96
	s_waitcnt vmcnt(1)
	ds_write_b64 v1, v[2:3]
.LBB58_343:
	s_or_b64 exec, exec, s[0:1]
	s_waitcnt lgkmcnt(0)
	; wave barrier
	scratch_load_dwordx4 v[6:9], off, off offset:104
	scratch_load_dwordx4 v[14:17], off, off offset:120
	;; [unrolled: 1-line block ×10, first 2 shown]
	ds_read2_b64 v[2:5], v110 offset0:73 offset1:74
	ds_read2_b64 v[162:165], v110 offset0:109 offset1:110
	scratch_load_dwordx4 v[86:89], off, off offset:264
	scratch_load_dwordx4 v[94:97], off, off offset:280
	;; [unrolled: 1-line block ×9, first 2 shown]
	v_cmp_lt_u32_e32 vcc, 11, v0
	s_waitcnt vmcnt(18) lgkmcnt(1)
	v_mul_f32_e32 v10, v2, v7
	v_fmac_f32_e32 v10, v3, v6
	v_mul_f32_e32 v11, v4, v9
	v_add_f32_e32 v10, 0, v10
	v_fmac_f32_e32 v11, v5, v8
	v_add_f32_e32 v18, v10, v11
	ds_read2_b64 v[10:13], v110 offset0:75 offset1:76
	v_mul_f32_e32 v3, v3, v7
	v_fma_f32 v2, v2, v6, -v3
	v_mul_f32_e32 v3, v5, v9
	v_add_f32_e32 v2, 0, v2
	s_waitcnt vmcnt(17) lgkmcnt(0)
	v_mul_f32_e32 v19, v10, v15
	v_fmac_f32_e32 v19, v11, v14
	v_add_f32_e32 v18, v18, v19
	v_mul_f32_e32 v19, v12, v17
	v_fmac_f32_e32 v19, v13, v16
	v_add_f32_e32 v26, v18, v19
	ds_read2_b64 v[18:21], v110 offset0:77 offset1:78
	v_fma_f32 v3, v4, v8, -v3
	v_add_f32_e32 v2, v2, v3
	v_mul_f32_e32 v3, v11, v15
	v_fma_f32 v3, v10, v14, -v3
	s_waitcnt vmcnt(16) lgkmcnt(0)
	v_mul_f32_e32 v27, v18, v23
	v_fmac_f32_e32 v27, v19, v22
	v_add_f32_e32 v26, v26, v27
	v_mul_f32_e32 v27, v20, v25
	v_fmac_f32_e32 v27, v21, v24
	v_add_f32_e32 v34, v26, v27
	ds_read2_b64 v[26:29], v110 offset0:79 offset1:80
	v_add_f32_e32 v2, v2, v3
	v_mul_f32_e32 v3, v13, v17
	v_fma_f32 v3, v12, v16, -v3
	v_add_f32_e32 v2, v2, v3
	s_waitcnt vmcnt(15) lgkmcnt(0)
	v_mul_f32_e32 v35, v26, v31
	v_fmac_f32_e32 v35, v27, v30
	v_add_f32_e32 v34, v34, v35
	v_mul_f32_e32 v35, v28, v33
	v_fmac_f32_e32 v35, v29, v32
	v_add_f32_e32 v42, v34, v35
	ds_read2_b64 v[34:37], v110 offset0:81 offset1:82
	v_mul_f32_e32 v3, v19, v23
	v_fma_f32 v3, v18, v22, -v3
	v_add_f32_e32 v2, v2, v3
	v_mul_f32_e32 v3, v21, v25
	s_waitcnt vmcnt(14) lgkmcnt(0)
	v_mul_f32_e32 v43, v34, v39
	v_fmac_f32_e32 v43, v35, v38
	v_add_f32_e32 v42, v42, v43
	v_mul_f32_e32 v43, v36, v41
	v_fmac_f32_e32 v43, v37, v40
	v_add_f32_e32 v50, v42, v43
	ds_read2_b64 v[42:45], v110 offset0:83 offset1:84
	v_fma_f32 v3, v20, v24, -v3
	v_add_f32_e32 v2, v2, v3
	v_mul_f32_e32 v3, v27, v31
	v_fma_f32 v3, v26, v30, -v3
	s_waitcnt vmcnt(13) lgkmcnt(0)
	v_mul_f32_e32 v51, v42, v47
	v_fmac_f32_e32 v51, v43, v46
	v_add_f32_e32 v50, v50, v51
	v_mul_f32_e32 v51, v44, v49
	v_fmac_f32_e32 v51, v45, v48
	v_add_f32_e32 v58, v50, v51
	ds_read2_b64 v[50:53], v110 offset0:85 offset1:86
	v_add_f32_e32 v2, v2, v3
	v_mul_f32_e32 v3, v29, v33
	v_fma_f32 v3, v28, v32, -v3
	v_add_f32_e32 v2, v2, v3
	s_waitcnt vmcnt(12) lgkmcnt(0)
	v_mul_f32_e32 v59, v50, v55
	v_fmac_f32_e32 v59, v51, v54
	v_add_f32_e32 v58, v58, v59
	v_mul_f32_e32 v59, v52, v57
	v_fmac_f32_e32 v59, v53, v56
	v_add_f32_e32 v66, v58, v59
	ds_read2_b64 v[58:61], v110 offset0:87 offset1:88
	v_mul_f32_e32 v3, v35, v39
	v_fma_f32 v3, v34, v38, -v3
	v_add_f32_e32 v2, v2, v3
	v_mul_f32_e32 v3, v37, v41
	;; [unrolled: 36-line block ×5, first 2 shown]
	s_waitcnt vmcnt(2) lgkmcnt(0)
	v_mul_f32_e32 v140, v132, v137
	v_fmac_f32_e32 v140, v133, v136
	v_add_f32_e32 v111, v111, v140
	v_mul_f32_e32 v140, v134, v139
	v_fmac_f32_e32 v140, v135, v138
	v_add_f32_e32 v111, v111, v140
	ds_read2_b64 v[140:143], v110 offset0:107 offset1:108
	scratch_load_dwordx4 v[170:173], off, off offset:408
	scratch_load_dwordx4 v[174:177], off, off offset:424
	;; [unrolled: 1-line block ×4, first 2 shown]
	v_fma_f32 v3, v84, v88, -v3
	v_add_f32_e32 v2, v2, v3
	v_mul_f32_e32 v3, v91, v95
	v_fma_f32 v3, v90, v94, -v3
	v_add_f32_e32 v2, v2, v3
	v_mul_f32_e32 v3, v93, v97
	;; [unrolled: 3-line block ×12, first 2 shown]
	v_fma_f32 v3, v134, v138, -v3
	s_waitcnt vmcnt(5) lgkmcnt(0)
	v_mul_f32_e32 v148, v140, v145
	v_add_f32_e32 v2, v2, v3
	v_mul_f32_e32 v3, v141, v145
	v_fmac_f32_e32 v148, v141, v144
	v_fma_f32 v3, v140, v144, -v3
	v_add_f32_e32 v111, v111, v148
	v_mul_f32_e32 v148, v142, v147
	v_add_f32_e32 v2, v2, v3
	v_mul_f32_e32 v3, v143, v147
	v_fmac_f32_e32 v148, v143, v146
	v_fma_f32 v3, v142, v146, -v3
	v_add_f32_e32 v149, v111, v148
	v_add_f32_e32 v148, v2, v3
	s_waitcnt vmcnt(4)
	v_mul_f32_e32 v2, v163, v167
	v_fma_f32 v186, v162, v166, -v2
	v_mul_f32_e32 v2, v165, v169
	v_fma_f32 v188, v164, v168, -v2
	ds_read2_b64 v[2:5], v110 offset0:111 offset1:112
	ds_read2_b64 v[6:9], v110 offset0:113 offset1:114
	;; [unrolled: 1-line block ×4, first 2 shown]
	v_mul_f32_e32 v187, v162, v167
	v_fmac_f32_e32 v187, v163, v166
	v_mul_f32_e32 v189, v164, v169
	v_fmac_f32_e32 v189, v165, v168
	v_pk_add_f32 v[18:19], v[148:149], v[186:187]
	s_waitcnt vmcnt(3) lgkmcnt(3)
	v_pk_mul_f32 v[20:21], v[2:3], v[170:171] op_sel:[1,1] op_sel_hi:[0,1]
	v_pk_fma_f32 v[22:23], v[2:3], v[170:171], v[20:21] neg_lo:[0,0,1] neg_hi:[0,0,1]
	v_pk_fma_f32 v[2:3], v[2:3], v[170:171], v[20:21] op_sel_hi:[1,0,1]
	v_pk_add_f32 v[18:19], v[18:19], v[188:189]
	v_mov_b32_e32 v23, v3
	v_pk_add_f32 v[2:3], v[18:19], v[22:23]
	v_mov_b32_e32 v18, v173
	v_pk_mul_f32 v[18:19], v[4:5], v[18:19] op_sel:[1,0] op_sel_hi:[0,0]
	v_pk_fma_f32 v[20:21], v[4:5], v[172:173], v[18:19] neg_lo:[0,0,1] neg_hi:[0,0,1]
	v_pk_fma_f32 v[4:5], v[4:5], v[172:173], v[18:19] op_sel_hi:[1,0,1]
	s_nop 0
	v_mov_b32_e32 v21, v5
	s_waitcnt vmcnt(2) lgkmcnt(2)
	v_pk_mul_f32 v[4:5], v[6:7], v[174:175] op_sel:[1,1] op_sel_hi:[0,1]
	v_pk_fma_f32 v[18:19], v[6:7], v[174:175], v[4:5] neg_lo:[0,0,1] neg_hi:[0,0,1]
	v_pk_fma_f32 v[4:5], v[6:7], v[174:175], v[4:5] op_sel_hi:[1,0,1]
	v_pk_add_f32 v[2:3], v[2:3], v[20:21]
	v_mov_b32_e32 v4, v177
	v_mov_b32_e32 v19, v5
	v_pk_mul_f32 v[4:5], v[8:9], v[4:5] op_sel:[1,0] op_sel_hi:[0,0]
	v_pk_fma_f32 v[6:7], v[8:9], v[176:177], v[4:5] neg_lo:[0,0,1] neg_hi:[0,0,1]
	v_pk_fma_f32 v[4:5], v[8:9], v[176:177], v[4:5] op_sel_hi:[1,0,1]
	v_pk_add_f32 v[2:3], v[2:3], v[18:19]
	v_mov_b32_e32 v7, v5
	s_waitcnt vmcnt(1) lgkmcnt(1)
	v_pk_mul_f32 v[4:5], v[10:11], v[178:179] op_sel:[1,1] op_sel_hi:[0,1]
	v_pk_add_f32 v[2:3], v[2:3], v[6:7]
	v_pk_fma_f32 v[6:7], v[10:11], v[178:179], v[4:5] neg_lo:[0,0,1] neg_hi:[0,0,1]
	v_pk_fma_f32 v[4:5], v[10:11], v[178:179], v[4:5] op_sel_hi:[1,0,1]
	s_nop 0
	v_mov_b32_e32 v4, v181
	v_mov_b32_e32 v7, v5
	v_pk_mul_f32 v[4:5], v[12:13], v[4:5] op_sel:[1,0] op_sel_hi:[0,0]
	v_pk_add_f32 v[2:3], v[2:3], v[6:7]
	v_pk_fma_f32 v[6:7], v[12:13], v[180:181], v[4:5] neg_lo:[0,0,1] neg_hi:[0,0,1]
	v_pk_fma_f32 v[4:5], v[12:13], v[180:181], v[4:5] op_sel_hi:[1,0,1]
	s_nop 0
	v_mov_b32_e32 v7, v5
	s_waitcnt vmcnt(0) lgkmcnt(0)
	v_pk_mul_f32 v[4:5], v[14:15], v[182:183] op_sel:[1,1] op_sel_hi:[0,1]
	v_pk_add_f32 v[2:3], v[2:3], v[6:7]
	v_pk_fma_f32 v[6:7], v[14:15], v[182:183], v[4:5] neg_lo:[0,0,1] neg_hi:[0,0,1]
	v_pk_fma_f32 v[4:5], v[14:15], v[182:183], v[4:5] op_sel_hi:[1,0,1]
	s_nop 0
	v_mov_b32_e32 v4, v185
	v_mov_b32_e32 v7, v5
	v_pk_mul_f32 v[4:5], v[16:17], v[4:5] op_sel:[1,0] op_sel_hi:[0,0]
	v_pk_add_f32 v[2:3], v[2:3], v[6:7]
	v_pk_fma_f32 v[6:7], v[16:17], v[184:185], v[4:5] neg_lo:[0,0,1] neg_hi:[0,0,1]
	v_pk_fma_f32 v[4:5], v[16:17], v[184:185], v[4:5] op_sel_hi:[1,0,1]
	s_nop 0
	v_mov_b32_e32 v7, v5
	scratch_load_dwordx2 v[4:5], off, off offset:96
	v_pk_add_f32 v[2:3], v[2:3], v[6:7]
	s_waitcnt vmcnt(0)
	v_pk_add_f32 v[2:3], v[4:5], v[2:3] neg_lo:[0,1] neg_hi:[0,1]
	scratch_store_dwordx2 off, v[2:3], off offset:96
	s_and_saveexec_b64 s[0:1], vcc
	s_cbranch_execz .LBB58_345
; %bb.344:
	scratch_load_dwordx2 v[2:3], off, off offset:88
	v_mov_b32_e32 v4, 0
	v_mov_b32_e32 v5, v4
	scratch_store_dwordx2 off, v[4:5], off offset:88
	s_waitcnt vmcnt(1)
	ds_write_b64 v1, v[2:3]
.LBB58_345:
	s_or_b64 exec, exec, s[0:1]
	v_mov_b32_e32 v118, 0
	s_waitcnt lgkmcnt(0)
	; wave barrier
	ds_read_b128 v[14:17], v118 offset:576
	ds_read_b128 v[10:13], v118 offset:592
	;; [unrolled: 1-line block ×4, first 2 shown]
	scratch_load_dwordx4 v[18:21], off, off offset:96
	scratch_load_dwordx4 v[38:41], off, off offset:160
	scratch_load_dwordx4 v[70:73], off, off offset:224
	scratch_load_dwordx4 v[78:81], off, off offset:240
	scratch_load_dwordx4 v[86:89], off, off offset:256
	scratch_load_dwordx4 v[94:97], off, off offset:272
	scratch_load_dwordx4 v[102:105], off, off offset:288
	scratch_load_dwordx4 v[110:113], off, off offset:304
	scratch_load_dwordx4 v[120:123], off, off offset:320
	scratch_load_dwordx4 v[128:131], off, off offset:336
	scratch_load_dwordx4 v[136:139], off, off offset:352
	scratch_load_dwordx4 v[144:147], off, off offset:368
	scratch_load_dwordx4 v[166:169], off, off offset:384
	scratch_load_dwordx4 v[174:177], off, off offset:400
	v_cmp_lt_u32_e32 vcc, 10, v0
	scratch_load_dwordx4 v[46:49], off, off offset:176
	scratch_load_dwordx4 v[54:57], off, off offset:192
	;; [unrolled: 1-line block ×3, first 2 shown]
	ds_read_b128 v[162:165], v118 offset:864
	ds_read_b128 v[170:173], v118 offset:880
	s_waitcnt vmcnt(16) lgkmcnt(5)
	v_mul_f32_e32 v22, v14, v19
	v_fmac_f32_e32 v22, v15, v18
	v_mul_f32_e32 v23, v16, v21
	v_add_f32_e32 v22, 0, v22
	v_fmac_f32_e32 v23, v17, v20
	v_add_f32_e32 v26, v22, v23
	scratch_load_dwordx4 v[22:25], off, off offset:112
	v_mul_f32_e32 v15, v15, v19
	v_fma_f32 v14, v14, v18, -v15
	v_mul_f32_e32 v15, v17, v21
	v_add_f32_e32 v14, 0, v14
	v_fma_f32 v15, v16, v20, -v15
	v_add_f32_e32 v14, v14, v15
	s_waitcnt vmcnt(5) lgkmcnt(1)
	v_mul_f32_e32 v191, v164, v169
	s_waitcnt vmcnt(4)
	v_mov_b32_e32 v18, v177
	v_fmac_f32_e32 v191, v165, v168
	s_waitcnt lgkmcnt(0)
	v_mul_f32_e32 v193, v170, v175
	v_pk_mul_f32 v[18:19], v[172:173], v[18:19] op_sel:[1,0] op_sel_hi:[0,0]
	v_fmac_f32_e32 v193, v171, v174
	v_pk_fma_f32 v[20:21], v[172:173], v[176:177], v[18:19] neg_lo:[0,0,1] neg_hi:[0,0,1]
	v_pk_fma_f32 v[18:19], v[172:173], v[176:177], v[18:19] op_sel_hi:[1,0,1]
	s_waitcnt vmcnt(0)
	v_mul_f32_e32 v27, v10, v23
	v_fmac_f32_e32 v27, v11, v22
	v_add_f32_e32 v26, v26, v27
	v_mul_f32_e32 v27, v12, v25
	v_fmac_f32_e32 v27, v13, v24
	v_add_f32_e32 v30, v26, v27
	scratch_load_dwordx4 v[26:29], off, off offset:128
	v_mul_f32_e32 v11, v11, v23
	v_fma_f32 v10, v10, v22, -v11
	v_mul_f32_e32 v11, v13, v25
	v_add_f32_e32 v10, v14, v10
	v_fma_f32 v11, v12, v24, -v11
	v_add_f32_e32 v10, v10, v11
	v_mov_b32_e32 v21, v19
	s_waitcnt vmcnt(0)
	v_mul_f32_e32 v31, v6, v27
	v_fmac_f32_e32 v31, v7, v26
	v_add_f32_e32 v30, v30, v31
	v_mul_f32_e32 v31, v8, v29
	v_fmac_f32_e32 v31, v9, v28
	v_add_f32_e32 v34, v30, v31
	scratch_load_dwordx4 v[30:33], off, off offset:144
	v_mul_f32_e32 v7, v7, v27
	v_fma_f32 v6, v6, v26, -v7
	v_mul_f32_e32 v7, v9, v29
	v_add_f32_e32 v6, v10, v6
	v_fma_f32 v7, v8, v28, -v7
	v_add_f32_e32 v6, v6, v7
	s_waitcnt vmcnt(0)
	v_mul_f32_e32 v35, v2, v31
	v_fmac_f32_e32 v35, v3, v30
	v_add_f32_e32 v34, v34, v35
	v_mul_f32_e32 v35, v4, v33
	v_fmac_f32_e32 v35, v5, v32
	v_add_f32_e32 v42, v34, v35
	ds_read_b128 v[34:37], v118 offset:640
	v_mul_f32_e32 v3, v3, v31
	v_fma_f32 v2, v2, v30, -v3
	v_mul_f32_e32 v3, v5, v33
	v_add_f32_e32 v2, v6, v2
	s_waitcnt lgkmcnt(0)
	v_mul_f32_e32 v43, v34, v39
	v_fmac_f32_e32 v43, v35, v38
	v_add_f32_e32 v42, v42, v43
	v_mul_f32_e32 v43, v36, v41
	v_fmac_f32_e32 v43, v37, v40
	v_add_f32_e32 v50, v42, v43
	ds_read_b128 v[42:45], v118 offset:656
	v_fma_f32 v3, v4, v32, -v3
	v_add_f32_e32 v2, v2, v3
	v_mul_f32_e32 v3, v35, v39
	v_fma_f32 v3, v34, v38, -v3
	s_waitcnt lgkmcnt(0)
	v_mul_f32_e32 v51, v42, v47
	v_fmac_f32_e32 v51, v43, v46
	v_add_f32_e32 v50, v50, v51
	v_mul_f32_e32 v51, v44, v49
	v_fmac_f32_e32 v51, v45, v48
	v_add_f32_e32 v58, v50, v51
	ds_read_b128 v[50:53], v118 offset:672
	v_add_f32_e32 v2, v2, v3
	v_mul_f32_e32 v3, v37, v41
	v_fma_f32 v3, v36, v40, -v3
	v_add_f32_e32 v2, v2, v3
	s_waitcnt lgkmcnt(0)
	v_mul_f32_e32 v59, v50, v55
	v_fmac_f32_e32 v59, v51, v54
	v_add_f32_e32 v58, v58, v59
	v_mul_f32_e32 v59, v52, v57
	v_fmac_f32_e32 v59, v53, v56
	v_add_f32_e32 v66, v58, v59
	ds_read_b128 v[58:61], v118 offset:688
	v_mul_f32_e32 v3, v43, v47
	v_fma_f32 v3, v42, v46, -v3
	v_add_f32_e32 v2, v2, v3
	v_mul_f32_e32 v3, v45, v49
	s_waitcnt lgkmcnt(0)
	v_mul_f32_e32 v67, v58, v63
	v_fmac_f32_e32 v67, v59, v62
	v_add_f32_e32 v66, v66, v67
	v_mul_f32_e32 v67, v60, v65
	v_fmac_f32_e32 v67, v61, v64
	v_add_f32_e32 v74, v66, v67
	ds_read_b128 v[66:69], v118 offset:704
	v_fma_f32 v3, v44, v48, -v3
	v_add_f32_e32 v2, v2, v3
	v_mul_f32_e32 v3, v51, v55
	v_fma_f32 v3, v50, v54, -v3
	s_waitcnt lgkmcnt(0)
	v_mul_f32_e32 v75, v66, v71
	v_fmac_f32_e32 v75, v67, v70
	v_add_f32_e32 v74, v74, v75
	v_mul_f32_e32 v75, v68, v73
	v_fmac_f32_e32 v75, v69, v72
	v_add_f32_e32 v82, v74, v75
	ds_read_b128 v[74:77], v118 offset:720
	v_add_f32_e32 v2, v2, v3
	v_mul_f32_e32 v3, v53, v57
	v_fma_f32 v3, v52, v56, -v3
	v_add_f32_e32 v2, v2, v3
	s_waitcnt lgkmcnt(0)
	v_mul_f32_e32 v83, v74, v79
	v_fmac_f32_e32 v83, v75, v78
	v_add_f32_e32 v82, v82, v83
	v_mul_f32_e32 v83, v76, v81
	v_fmac_f32_e32 v83, v77, v80
	v_add_f32_e32 v90, v82, v83
	ds_read_b128 v[82:85], v118 offset:736
	v_mul_f32_e32 v3, v59, v63
	v_fma_f32 v3, v58, v62, -v3
	v_add_f32_e32 v2, v2, v3
	v_mul_f32_e32 v3, v61, v65
	;; [unrolled: 36-line block ×4, first 2 shown]
	s_waitcnt lgkmcnt(0)
	v_mul_f32_e32 v140, v132, v137
	v_fmac_f32_e32 v140, v133, v136
	v_add_f32_e32 v119, v119, v140
	v_mul_f32_e32 v140, v134, v139
	v_fmac_f32_e32 v140, v135, v138
	v_add_f32_e32 v119, v119, v140
	ds_read_b128 v[140:143], v118 offset:848
	scratch_load_dwordx4 v[178:181], off, off offset:416
	scratch_load_dwordx4 v[182:185], off, off offset:432
	;; [unrolled: 1-line block ×3, first 2 shown]
	scratch_load_dwordx2 v[194:195], off, off offset:464
	v_fma_f32 v3, v92, v96, -v3
	v_add_f32_e32 v2, v2, v3
	v_mul_f32_e32 v3, v99, v103
	v_fma_f32 v3, v98, v102, -v3
	v_add_f32_e32 v2, v2, v3
	v_mul_f32_e32 v3, v101, v105
	;; [unrolled: 3-line block ×10, first 2 shown]
	v_fma_f32 v3, v134, v138, -v3
	s_waitcnt lgkmcnt(0)
	v_mul_f32_e32 v148, v140, v145
	v_add_f32_e32 v2, v2, v3
	v_mul_f32_e32 v3, v141, v145
	v_fmac_f32_e32 v148, v141, v144
	v_fma_f32 v3, v140, v144, -v3
	v_add_f32_e32 v119, v119, v148
	v_mul_f32_e32 v148, v142, v147
	v_add_f32_e32 v2, v2, v3
	v_mul_f32_e32 v3, v143, v147
	v_fmac_f32_e32 v148, v143, v146
	v_fma_f32 v3, v142, v146, -v3
	v_add_f32_e32 v119, v119, v148
	;; [unrolled: 6-line block ×3, first 2 shown]
	v_add_f32_e32 v148, v2, v3
	v_mul_f32_e32 v2, v165, v169
	v_fma_f32 v190, v164, v168, -v2
	v_mul_f32_e32 v2, v171, v175
	v_fma_f32 v192, v170, v174, -v2
	ds_read_b128 v[2:5], v118 offset:896
	ds_read_b128 v[6:9], v118 offset:912
	;; [unrolled: 1-line block ×3, first 2 shown]
	ds_read_b64 v[14:15], v118 offset:944
	v_pk_add_f32 v[16:17], v[148:149], v[190:191]
	s_waitcnt vmcnt(3) lgkmcnt(3)
	v_pk_mul_f32 v[18:19], v[2:3], v[178:179] op_sel:[1,1] op_sel_hi:[0,1]
	v_pk_add_f32 v[16:17], v[16:17], v[192:193]
	s_nop 0
	v_pk_add_f32 v[16:17], v[16:17], v[20:21]
	v_pk_fma_f32 v[20:21], v[2:3], v[178:179], v[18:19] neg_lo:[0,0,1] neg_hi:[0,0,1]
	v_pk_fma_f32 v[2:3], v[2:3], v[178:179], v[18:19] op_sel_hi:[1,0,1]
	s_nop 0
	v_mov_b32_e32 v21, v3
	v_pk_add_f32 v[2:3], v[16:17], v[20:21]
	v_mov_b32_e32 v16, v181
	v_pk_mul_f32 v[16:17], v[4:5], v[16:17] op_sel:[1,0] op_sel_hi:[0,0]
	v_pk_fma_f32 v[18:19], v[4:5], v[180:181], v[16:17] neg_lo:[0,0,1] neg_hi:[0,0,1]
	v_pk_fma_f32 v[4:5], v[4:5], v[180:181], v[16:17] op_sel_hi:[1,0,1]
	s_nop 0
	v_mov_b32_e32 v19, v5
	s_waitcnt vmcnt(2) lgkmcnt(2)
	v_pk_mul_f32 v[4:5], v[6:7], v[182:183] op_sel:[1,1] op_sel_hi:[0,1]
	v_pk_fma_f32 v[16:17], v[6:7], v[182:183], v[4:5] neg_lo:[0,0,1] neg_hi:[0,0,1]
	v_pk_fma_f32 v[4:5], v[6:7], v[182:183], v[4:5] op_sel_hi:[1,0,1]
	v_pk_add_f32 v[2:3], v[2:3], v[18:19]
	v_mov_b32_e32 v4, v185
	v_mov_b32_e32 v17, v5
	v_pk_mul_f32 v[4:5], v[8:9], v[4:5] op_sel:[1,0] op_sel_hi:[0,0]
	v_pk_fma_f32 v[6:7], v[8:9], v[184:185], v[4:5] neg_lo:[0,0,1] neg_hi:[0,0,1]
	v_pk_fma_f32 v[4:5], v[8:9], v[184:185], v[4:5] op_sel_hi:[1,0,1]
	v_pk_add_f32 v[2:3], v[2:3], v[16:17]
	v_mov_b32_e32 v7, v5
	s_waitcnt vmcnt(1) lgkmcnt(1)
	v_pk_mul_f32 v[4:5], v[10:11], v[186:187] op_sel:[1,1] op_sel_hi:[0,1]
	v_pk_add_f32 v[2:3], v[2:3], v[6:7]
	v_pk_fma_f32 v[6:7], v[10:11], v[186:187], v[4:5] neg_lo:[0,0,1] neg_hi:[0,0,1]
	v_pk_fma_f32 v[4:5], v[10:11], v[186:187], v[4:5] op_sel_hi:[1,0,1]
	s_nop 0
	v_mov_b32_e32 v4, v189
	v_mov_b32_e32 v7, v5
	v_pk_mul_f32 v[4:5], v[12:13], v[4:5] op_sel:[1,0] op_sel_hi:[0,0]
	v_pk_add_f32 v[2:3], v[2:3], v[6:7]
	v_pk_fma_f32 v[6:7], v[12:13], v[188:189], v[4:5] neg_lo:[0,0,1] neg_hi:[0,0,1]
	v_pk_fma_f32 v[4:5], v[12:13], v[188:189], v[4:5] op_sel_hi:[1,0,1]
	s_nop 0
	v_mov_b32_e32 v7, v5
	s_waitcnt vmcnt(0) lgkmcnt(0)
	v_pk_mul_f32 v[4:5], v[14:15], v[194:195] op_sel:[1,1] op_sel_hi:[0,1]
	v_pk_add_f32 v[2:3], v[2:3], v[6:7]
	v_pk_fma_f32 v[6:7], v[14:15], v[194:195], v[4:5] neg_lo:[0,0,1] neg_hi:[0,0,1]
	v_pk_fma_f32 v[4:5], v[14:15], v[194:195], v[4:5] op_sel_hi:[1,0,1]
	s_nop 0
	v_mov_b32_e32 v7, v5
	scratch_load_dwordx2 v[4:5], off, off offset:88
	v_pk_add_f32 v[2:3], v[2:3], v[6:7]
	s_waitcnt vmcnt(0)
	v_pk_add_f32 v[2:3], v[4:5], v[2:3] neg_lo:[0,1] neg_hi:[0,1]
	scratch_store_dwordx2 off, v[2:3], off offset:88
	s_and_saveexec_b64 s[0:1], vcc
	s_cbranch_execz .LBB58_347
; %bb.346:
	scratch_load_dwordx2 v[2:3], off, off offset:80
	v_mov_b32_e32 v119, v118
	scratch_store_dwordx2 off, v[118:119], off offset:80
	s_waitcnt vmcnt(1)
	ds_write_b64 v1, v[2:3]
.LBB58_347:
	s_or_b64 exec, exec, s[0:1]
	s_waitcnt lgkmcnt(0)
	; wave barrier
	scratch_load_dwordx4 v[6:9], off, off offset:88
	scratch_load_dwordx4 v[14:17], off, off offset:104
	;; [unrolled: 1-line block ×10, first 2 shown]
	ds_read2_b64 v[2:5], v118 offset0:71 offset1:72
	ds_read2_b64 v[162:165], v118 offset0:107 offset1:108
	scratch_load_dwordx4 v[86:89], off, off offset:248
	scratch_load_dwordx4 v[94:97], off, off offset:264
	;; [unrolled: 1-line block ×10, first 2 shown]
	v_cmp_lt_u32_e32 vcc, 9, v0
	ds_read2_b64 v[170:173], v118 offset0:109 offset1:110
	s_waitcnt vmcnt(19) lgkmcnt(2)
	v_mul_f32_e32 v10, v2, v7
	v_fmac_f32_e32 v10, v3, v6
	v_mul_f32_e32 v11, v4, v9
	v_add_f32_e32 v10, 0, v10
	v_fmac_f32_e32 v11, v5, v8
	v_add_f32_e32 v18, v10, v11
	ds_read2_b64 v[10:13], v118 offset0:73 offset1:74
	v_mul_f32_e32 v3, v3, v7
	v_fma_f32 v2, v2, v6, -v3
	v_mul_f32_e32 v3, v5, v9
	v_add_f32_e32 v2, 0, v2
	s_waitcnt vmcnt(18) lgkmcnt(0)
	v_mul_f32_e32 v19, v10, v15
	v_fmac_f32_e32 v19, v11, v14
	v_add_f32_e32 v18, v18, v19
	v_mul_f32_e32 v19, v12, v17
	v_fmac_f32_e32 v19, v13, v16
	v_add_f32_e32 v26, v18, v19
	ds_read2_b64 v[18:21], v118 offset0:75 offset1:76
	v_fma_f32 v3, v4, v8, -v3
	v_add_f32_e32 v2, v2, v3
	v_mul_f32_e32 v3, v11, v15
	v_fma_f32 v3, v10, v14, -v3
	s_waitcnt vmcnt(17) lgkmcnt(0)
	v_mul_f32_e32 v27, v18, v23
	v_fmac_f32_e32 v27, v19, v22
	v_add_f32_e32 v26, v26, v27
	v_mul_f32_e32 v27, v20, v25
	v_fmac_f32_e32 v27, v21, v24
	v_add_f32_e32 v34, v26, v27
	ds_read2_b64 v[26:29], v118 offset0:77 offset1:78
	v_add_f32_e32 v2, v2, v3
	v_mul_f32_e32 v3, v13, v17
	v_fma_f32 v3, v12, v16, -v3
	v_add_f32_e32 v2, v2, v3
	s_waitcnt vmcnt(16) lgkmcnt(0)
	v_mul_f32_e32 v35, v26, v31
	v_fmac_f32_e32 v35, v27, v30
	v_add_f32_e32 v34, v34, v35
	v_mul_f32_e32 v35, v28, v33
	v_fmac_f32_e32 v35, v29, v32
	v_add_f32_e32 v42, v34, v35
	ds_read2_b64 v[34:37], v118 offset0:79 offset1:80
	v_mul_f32_e32 v3, v19, v23
	v_fma_f32 v3, v18, v22, -v3
	v_add_f32_e32 v2, v2, v3
	v_mul_f32_e32 v3, v21, v25
	s_waitcnt vmcnt(15) lgkmcnt(0)
	v_mul_f32_e32 v43, v34, v39
	v_fmac_f32_e32 v43, v35, v38
	v_add_f32_e32 v42, v42, v43
	v_mul_f32_e32 v43, v36, v41
	v_fmac_f32_e32 v43, v37, v40
	v_add_f32_e32 v50, v42, v43
	ds_read2_b64 v[42:45], v118 offset0:81 offset1:82
	v_fma_f32 v3, v20, v24, -v3
	v_add_f32_e32 v2, v2, v3
	v_mul_f32_e32 v3, v27, v31
	v_fma_f32 v3, v26, v30, -v3
	s_waitcnt vmcnt(14) lgkmcnt(0)
	v_mul_f32_e32 v51, v42, v47
	v_fmac_f32_e32 v51, v43, v46
	v_add_f32_e32 v50, v50, v51
	v_mul_f32_e32 v51, v44, v49
	v_fmac_f32_e32 v51, v45, v48
	v_add_f32_e32 v58, v50, v51
	ds_read2_b64 v[50:53], v118 offset0:83 offset1:84
	v_add_f32_e32 v2, v2, v3
	v_mul_f32_e32 v3, v29, v33
	v_fma_f32 v3, v28, v32, -v3
	v_add_f32_e32 v2, v2, v3
	s_waitcnt vmcnt(13) lgkmcnt(0)
	v_mul_f32_e32 v59, v50, v55
	v_fmac_f32_e32 v59, v51, v54
	v_add_f32_e32 v58, v58, v59
	v_mul_f32_e32 v59, v52, v57
	v_fmac_f32_e32 v59, v53, v56
	v_add_f32_e32 v66, v58, v59
	ds_read2_b64 v[58:61], v118 offset0:85 offset1:86
	v_mul_f32_e32 v3, v35, v39
	v_fma_f32 v3, v34, v38, -v3
	v_add_f32_e32 v2, v2, v3
	v_mul_f32_e32 v3, v37, v41
	;; [unrolled: 36-line block ×5, first 2 shown]
	s_waitcnt vmcnt(3) lgkmcnt(0)
	v_mul_f32_e32 v140, v132, v137
	v_fmac_f32_e32 v140, v133, v136
	v_add_f32_e32 v119, v119, v140
	v_mul_f32_e32 v140, v134, v139
	v_fmac_f32_e32 v140, v135, v138
	v_add_f32_e32 v119, v119, v140
	ds_read2_b64 v[140:143], v118 offset0:105 offset1:106
	scratch_load_dwordx4 v[178:181], off, off offset:408
	scratch_load_dwordx4 v[182:185], off, off offset:424
	;; [unrolled: 1-line block ×4, first 2 shown]
	v_fma_f32 v3, v84, v88, -v3
	v_add_f32_e32 v2, v2, v3
	v_mul_f32_e32 v3, v91, v95
	v_fma_f32 v3, v90, v94, -v3
	v_add_f32_e32 v2, v2, v3
	v_mul_f32_e32 v3, v93, v97
	;; [unrolled: 3-line block ×12, first 2 shown]
	v_fma_f32 v3, v134, v138, -v3
	s_waitcnt vmcnt(6) lgkmcnt(0)
	v_mul_f32_e32 v148, v140, v145
	v_add_f32_e32 v2, v2, v3
	v_mul_f32_e32 v3, v141, v145
	v_fmac_f32_e32 v148, v141, v144
	v_fma_f32 v3, v140, v144, -v3
	v_add_f32_e32 v119, v119, v148
	v_mul_f32_e32 v148, v142, v147
	v_add_f32_e32 v2, v2, v3
	v_mul_f32_e32 v3, v143, v147
	v_fmac_f32_e32 v148, v143, v146
	v_fma_f32 v3, v142, v146, -v3
	v_add_f32_e32 v119, v119, v148
	s_waitcnt vmcnt(5)
	v_mul_f32_e32 v148, v162, v167
	v_add_f32_e32 v2, v2, v3
	v_mul_f32_e32 v3, v163, v167
	v_fmac_f32_e32 v148, v163, v166
	v_fma_f32 v3, v162, v166, -v3
	v_add_f32_e32 v119, v119, v148
	v_mul_f32_e32 v148, v164, v169
	v_add_f32_e32 v2, v2, v3
	v_mul_f32_e32 v3, v165, v169
	v_fmac_f32_e32 v148, v165, v168
	v_fma_f32 v3, v164, v168, -v3
	v_add_f32_e32 v149, v119, v148
	v_add_f32_e32 v148, v2, v3
	s_waitcnt vmcnt(4)
	v_mul_f32_e32 v2, v171, v175
	v_fma_f32 v194, v170, v174, -v2
	v_mul_f32_e32 v2, v173, v177
	v_fma_f32 v196, v172, v176, -v2
	ds_read2_b64 v[2:5], v118 offset0:111 offset1:112
	ds_read2_b64 v[6:9], v118 offset0:113 offset1:114
	;; [unrolled: 1-line block ×4, first 2 shown]
	v_mul_f32_e32 v195, v170, v175
	v_fmac_f32_e32 v195, v171, v174
	v_mul_f32_e32 v197, v172, v177
	v_fmac_f32_e32 v197, v173, v176
	v_pk_add_f32 v[18:19], v[148:149], v[194:195]
	s_waitcnt vmcnt(3) lgkmcnt(3)
	v_pk_mul_f32 v[20:21], v[2:3], v[178:179] op_sel:[1,1] op_sel_hi:[0,1]
	v_pk_fma_f32 v[22:23], v[2:3], v[178:179], v[20:21] neg_lo:[0,0,1] neg_hi:[0,0,1]
	v_pk_fma_f32 v[2:3], v[2:3], v[178:179], v[20:21] op_sel_hi:[1,0,1]
	v_pk_add_f32 v[18:19], v[18:19], v[196:197]
	v_mov_b32_e32 v23, v3
	v_pk_add_f32 v[2:3], v[18:19], v[22:23]
	v_mov_b32_e32 v18, v181
	v_pk_mul_f32 v[18:19], v[4:5], v[18:19] op_sel:[1,0] op_sel_hi:[0,0]
	v_pk_fma_f32 v[20:21], v[4:5], v[180:181], v[18:19] neg_lo:[0,0,1] neg_hi:[0,0,1]
	v_pk_fma_f32 v[4:5], v[4:5], v[180:181], v[18:19] op_sel_hi:[1,0,1]
	s_nop 0
	v_mov_b32_e32 v21, v5
	s_waitcnt vmcnt(2) lgkmcnt(2)
	v_pk_mul_f32 v[4:5], v[6:7], v[182:183] op_sel:[1,1] op_sel_hi:[0,1]
	v_pk_fma_f32 v[18:19], v[6:7], v[182:183], v[4:5] neg_lo:[0,0,1] neg_hi:[0,0,1]
	v_pk_fma_f32 v[4:5], v[6:7], v[182:183], v[4:5] op_sel_hi:[1,0,1]
	v_pk_add_f32 v[2:3], v[2:3], v[20:21]
	v_mov_b32_e32 v4, v185
	v_mov_b32_e32 v19, v5
	v_pk_mul_f32 v[4:5], v[8:9], v[4:5] op_sel:[1,0] op_sel_hi:[0,0]
	v_pk_fma_f32 v[6:7], v[8:9], v[184:185], v[4:5] neg_lo:[0,0,1] neg_hi:[0,0,1]
	v_pk_fma_f32 v[4:5], v[8:9], v[184:185], v[4:5] op_sel_hi:[1,0,1]
	v_pk_add_f32 v[2:3], v[2:3], v[18:19]
	v_mov_b32_e32 v7, v5
	s_waitcnt vmcnt(1) lgkmcnt(1)
	v_pk_mul_f32 v[4:5], v[10:11], v[186:187] op_sel:[1,1] op_sel_hi:[0,1]
	v_pk_add_f32 v[2:3], v[2:3], v[6:7]
	v_pk_fma_f32 v[6:7], v[10:11], v[186:187], v[4:5] neg_lo:[0,0,1] neg_hi:[0,0,1]
	v_pk_fma_f32 v[4:5], v[10:11], v[186:187], v[4:5] op_sel_hi:[1,0,1]
	s_nop 0
	v_mov_b32_e32 v4, v189
	v_mov_b32_e32 v7, v5
	v_pk_mul_f32 v[4:5], v[12:13], v[4:5] op_sel:[1,0] op_sel_hi:[0,0]
	v_pk_add_f32 v[2:3], v[2:3], v[6:7]
	v_pk_fma_f32 v[6:7], v[12:13], v[188:189], v[4:5] neg_lo:[0,0,1] neg_hi:[0,0,1]
	v_pk_fma_f32 v[4:5], v[12:13], v[188:189], v[4:5] op_sel_hi:[1,0,1]
	s_nop 0
	v_mov_b32_e32 v7, v5
	s_waitcnt vmcnt(0) lgkmcnt(0)
	v_pk_mul_f32 v[4:5], v[14:15], v[190:191] op_sel:[1,1] op_sel_hi:[0,1]
	v_pk_add_f32 v[2:3], v[2:3], v[6:7]
	v_pk_fma_f32 v[6:7], v[14:15], v[190:191], v[4:5] neg_lo:[0,0,1] neg_hi:[0,0,1]
	v_pk_fma_f32 v[4:5], v[14:15], v[190:191], v[4:5] op_sel_hi:[1,0,1]
	s_nop 0
	v_mov_b32_e32 v4, v193
	v_mov_b32_e32 v7, v5
	v_pk_mul_f32 v[4:5], v[16:17], v[4:5] op_sel:[1,0] op_sel_hi:[0,0]
	v_pk_add_f32 v[2:3], v[2:3], v[6:7]
	v_pk_fma_f32 v[6:7], v[16:17], v[192:193], v[4:5] neg_lo:[0,0,1] neg_hi:[0,0,1]
	v_pk_fma_f32 v[4:5], v[16:17], v[192:193], v[4:5] op_sel_hi:[1,0,1]
	s_nop 0
	v_mov_b32_e32 v7, v5
	scratch_load_dwordx2 v[4:5], off, off offset:80
	v_pk_add_f32 v[2:3], v[2:3], v[6:7]
	s_waitcnt vmcnt(0)
	v_pk_add_f32 v[2:3], v[4:5], v[2:3] neg_lo:[0,1] neg_hi:[0,1]
	scratch_store_dwordx2 off, v[2:3], off offset:80
	s_and_saveexec_b64 s[0:1], vcc
	s_cbranch_execz .LBB58_349
; %bb.348:
	scratch_load_dwordx2 v[2:3], off, off offset:72
	v_mov_b32_e32 v4, 0
	v_mov_b32_e32 v5, v4
	scratch_store_dwordx2 off, v[4:5], off offset:72
	s_waitcnt vmcnt(1)
	ds_write_b64 v1, v[2:3]
.LBB58_349:
	s_or_b64 exec, exec, s[0:1]
	v_mov_b32_e32 v134, 0
	s_waitcnt lgkmcnt(0)
	; wave barrier
	ds_read_b128 v[14:17], v134 offset:560
	ds_read_b128 v[10:13], v134 offset:576
	;; [unrolled: 1-line block ×4, first 2 shown]
	scratch_load_dwordx4 v[18:21], off, off offset:80
	scratch_load_dwordx4 v[38:41], off, off offset:144
	;; [unrolled: 1-line block ×15, first 2 shown]
	v_cmp_lt_u32_e32 vcc, 8, v0
	scratch_load_dwordx4 v[46:49], off, off offset:160
	scratch_load_dwordx4 v[54:57], off, off offset:176
	;; [unrolled: 1-line block ×3, first 2 shown]
	ds_read_b128 v[162:165], v134 offset:848
	ds_read_b128 v[170:173], v134 offset:864
	;; [unrolled: 1-line block ×3, first 2 shown]
	s_waitcnt vmcnt(17) lgkmcnt(6)
	v_mul_f32_e32 v22, v14, v19
	v_fmac_f32_e32 v22, v15, v18
	v_mul_f32_e32 v23, v16, v21
	v_add_f32_e32 v22, 0, v22
	v_fmac_f32_e32 v23, v17, v20
	v_add_f32_e32 v26, v22, v23
	scratch_load_dwordx4 v[22:25], off, off offset:96
	v_mul_f32_e32 v15, v15, v19
	v_fma_f32 v14, v14, v18, -v15
	v_mul_f32_e32 v15, v17, v21
	v_add_f32_e32 v14, 0, v14
	v_fma_f32 v15, v16, v20, -v15
	v_add_f32_e32 v14, v14, v15
	s_waitcnt vmcnt(5) lgkmcnt(1)
	v_mul_f32_e32 v199, v172, v177
	s_waitcnt vmcnt(4)
	v_mov_b32_e32 v18, v185
	v_fmac_f32_e32 v199, v173, v176
	s_waitcnt lgkmcnt(0)
	v_mul_f32_e32 v201, v178, v183
	v_pk_mul_f32 v[18:19], v[180:181], v[18:19] op_sel:[1,0] op_sel_hi:[0,0]
	v_fmac_f32_e32 v201, v179, v182
	v_pk_fma_f32 v[20:21], v[180:181], v[184:185], v[18:19] neg_lo:[0,0,1] neg_hi:[0,0,1]
	v_pk_fma_f32 v[18:19], v[180:181], v[184:185], v[18:19] op_sel_hi:[1,0,1]
	s_waitcnt vmcnt(0)
	v_mul_f32_e32 v27, v10, v23
	v_fmac_f32_e32 v27, v11, v22
	v_add_f32_e32 v26, v26, v27
	v_mul_f32_e32 v27, v12, v25
	v_fmac_f32_e32 v27, v13, v24
	v_add_f32_e32 v30, v26, v27
	scratch_load_dwordx4 v[26:29], off, off offset:112
	v_mul_f32_e32 v11, v11, v23
	v_fma_f32 v10, v10, v22, -v11
	v_mul_f32_e32 v11, v13, v25
	v_add_f32_e32 v10, v14, v10
	v_fma_f32 v11, v12, v24, -v11
	v_add_f32_e32 v10, v10, v11
	v_mov_b32_e32 v21, v19
	s_waitcnt vmcnt(0)
	v_mul_f32_e32 v31, v6, v27
	v_fmac_f32_e32 v31, v7, v26
	v_add_f32_e32 v30, v30, v31
	v_mul_f32_e32 v31, v8, v29
	v_fmac_f32_e32 v31, v9, v28
	v_add_f32_e32 v34, v30, v31
	scratch_load_dwordx4 v[30:33], off, off offset:128
	v_mul_f32_e32 v7, v7, v27
	v_fma_f32 v6, v6, v26, -v7
	v_mul_f32_e32 v7, v9, v29
	v_add_f32_e32 v6, v10, v6
	v_fma_f32 v7, v8, v28, -v7
	v_add_f32_e32 v6, v6, v7
	s_waitcnt vmcnt(0)
	v_mul_f32_e32 v35, v2, v31
	v_fmac_f32_e32 v35, v3, v30
	v_add_f32_e32 v34, v34, v35
	v_mul_f32_e32 v35, v4, v33
	v_fmac_f32_e32 v35, v5, v32
	v_add_f32_e32 v42, v34, v35
	ds_read_b128 v[34:37], v134 offset:624
	v_mul_f32_e32 v3, v3, v31
	v_fma_f32 v2, v2, v30, -v3
	v_mul_f32_e32 v3, v5, v33
	v_add_f32_e32 v2, v6, v2
	s_waitcnt lgkmcnt(0)
	v_mul_f32_e32 v43, v34, v39
	v_fmac_f32_e32 v43, v35, v38
	v_add_f32_e32 v42, v42, v43
	v_mul_f32_e32 v43, v36, v41
	v_fmac_f32_e32 v43, v37, v40
	v_add_f32_e32 v50, v42, v43
	ds_read_b128 v[42:45], v134 offset:640
	v_fma_f32 v3, v4, v32, -v3
	v_add_f32_e32 v2, v2, v3
	v_mul_f32_e32 v3, v35, v39
	v_fma_f32 v3, v34, v38, -v3
	s_waitcnt lgkmcnt(0)
	v_mul_f32_e32 v51, v42, v47
	v_fmac_f32_e32 v51, v43, v46
	v_add_f32_e32 v50, v50, v51
	v_mul_f32_e32 v51, v44, v49
	v_fmac_f32_e32 v51, v45, v48
	v_add_f32_e32 v58, v50, v51
	ds_read_b128 v[50:53], v134 offset:656
	v_add_f32_e32 v2, v2, v3
	v_mul_f32_e32 v3, v37, v41
	v_fma_f32 v3, v36, v40, -v3
	v_add_f32_e32 v2, v2, v3
	s_waitcnt lgkmcnt(0)
	v_mul_f32_e32 v59, v50, v55
	v_fmac_f32_e32 v59, v51, v54
	v_add_f32_e32 v58, v58, v59
	v_mul_f32_e32 v59, v52, v57
	v_fmac_f32_e32 v59, v53, v56
	v_add_f32_e32 v66, v58, v59
	ds_read_b128 v[58:61], v134 offset:672
	v_mul_f32_e32 v3, v43, v47
	v_fma_f32 v3, v42, v46, -v3
	v_add_f32_e32 v2, v2, v3
	v_mul_f32_e32 v3, v45, v49
	s_waitcnt lgkmcnt(0)
	v_mul_f32_e32 v67, v58, v63
	v_fmac_f32_e32 v67, v59, v62
	v_add_f32_e32 v66, v66, v67
	v_mul_f32_e32 v67, v60, v65
	v_fmac_f32_e32 v67, v61, v64
	v_add_f32_e32 v74, v66, v67
	ds_read_b128 v[66:69], v134 offset:688
	v_fma_f32 v3, v44, v48, -v3
	v_add_f32_e32 v2, v2, v3
	v_mul_f32_e32 v3, v51, v55
	v_fma_f32 v3, v50, v54, -v3
	s_waitcnt lgkmcnt(0)
	v_mul_f32_e32 v75, v66, v71
	v_fmac_f32_e32 v75, v67, v70
	v_add_f32_e32 v74, v74, v75
	v_mul_f32_e32 v75, v68, v73
	v_fmac_f32_e32 v75, v69, v72
	v_add_f32_e32 v82, v74, v75
	ds_read_b128 v[74:77], v134 offset:704
	v_add_f32_e32 v2, v2, v3
	v_mul_f32_e32 v3, v53, v57
	v_fma_f32 v3, v52, v56, -v3
	v_add_f32_e32 v2, v2, v3
	s_waitcnt lgkmcnt(0)
	v_mul_f32_e32 v83, v74, v79
	v_fmac_f32_e32 v83, v75, v78
	v_add_f32_e32 v82, v82, v83
	v_mul_f32_e32 v83, v76, v81
	v_fmac_f32_e32 v83, v77, v80
	v_add_f32_e32 v90, v82, v83
	ds_read_b128 v[82:85], v134 offset:720
	v_mul_f32_e32 v3, v59, v63
	v_fma_f32 v3, v58, v62, -v3
	v_add_f32_e32 v2, v2, v3
	v_mul_f32_e32 v3, v61, v65
	;; [unrolled: 36-line block ×4, first 2 shown]
	s_waitcnt lgkmcnt(0)
	v_mul_f32_e32 v140, v130, v137
	v_fmac_f32_e32 v140, v131, v136
	v_add_f32_e32 v135, v135, v140
	v_mul_f32_e32 v140, v132, v139
	v_fmac_f32_e32 v140, v133, v138
	v_add_f32_e32 v135, v135, v140
	ds_read_b128 v[140:143], v134 offset:832
	scratch_load_dwordx4 v[186:189], off, off offset:416
	scratch_load_dwordx4 v[190:193], off, off offset:432
	;; [unrolled: 1-line block ×3, first 2 shown]
	scratch_load_dwordx2 v[202:203], off, off offset:464
	v_fma_f32 v3, v92, v96, -v3
	v_add_f32_e32 v2, v2, v3
	v_mul_f32_e32 v3, v99, v103
	v_fma_f32 v3, v98, v102, -v3
	v_add_f32_e32 v2, v2, v3
	v_mul_f32_e32 v3, v101, v105
	;; [unrolled: 3-line block ×10, first 2 shown]
	v_fma_f32 v3, v132, v138, -v3
	s_waitcnt lgkmcnt(0)
	v_mul_f32_e32 v148, v140, v145
	v_add_f32_e32 v2, v2, v3
	v_mul_f32_e32 v3, v141, v145
	v_fmac_f32_e32 v148, v141, v144
	v_fma_f32 v3, v140, v144, -v3
	v_add_f32_e32 v135, v135, v148
	v_mul_f32_e32 v148, v142, v147
	v_add_f32_e32 v2, v2, v3
	v_mul_f32_e32 v3, v143, v147
	v_fmac_f32_e32 v148, v143, v146
	v_fma_f32 v3, v142, v146, -v3
	v_add_f32_e32 v135, v135, v148
	;; [unrolled: 6-line block ×5, first 2 shown]
	v_add_f32_e32 v148, v2, v3
	v_mul_f32_e32 v2, v173, v177
	v_fma_f32 v198, v172, v176, -v2
	v_mul_f32_e32 v2, v179, v183
	v_fma_f32 v200, v178, v182, -v2
	ds_read_b128 v[2:5], v134 offset:896
	ds_read_b128 v[6:9], v134 offset:912
	;; [unrolled: 1-line block ×3, first 2 shown]
	ds_read_b64 v[14:15], v134 offset:944
	v_pk_add_f32 v[16:17], v[148:149], v[198:199]
	s_waitcnt vmcnt(3) lgkmcnt(3)
	v_pk_mul_f32 v[18:19], v[2:3], v[186:187] op_sel:[1,1] op_sel_hi:[0,1]
	v_pk_add_f32 v[16:17], v[16:17], v[200:201]
	s_nop 0
	v_pk_add_f32 v[16:17], v[16:17], v[20:21]
	v_pk_fma_f32 v[20:21], v[2:3], v[186:187], v[18:19] neg_lo:[0,0,1] neg_hi:[0,0,1]
	v_pk_fma_f32 v[2:3], v[2:3], v[186:187], v[18:19] op_sel_hi:[1,0,1]
	s_nop 0
	v_mov_b32_e32 v21, v3
	v_pk_add_f32 v[2:3], v[16:17], v[20:21]
	v_mov_b32_e32 v16, v189
	v_pk_mul_f32 v[16:17], v[4:5], v[16:17] op_sel:[1,0] op_sel_hi:[0,0]
	v_pk_fma_f32 v[18:19], v[4:5], v[188:189], v[16:17] neg_lo:[0,0,1] neg_hi:[0,0,1]
	v_pk_fma_f32 v[4:5], v[4:5], v[188:189], v[16:17] op_sel_hi:[1,0,1]
	s_nop 0
	v_mov_b32_e32 v19, v5
	s_waitcnt vmcnt(2) lgkmcnt(2)
	v_pk_mul_f32 v[4:5], v[6:7], v[190:191] op_sel:[1,1] op_sel_hi:[0,1]
	v_pk_fma_f32 v[16:17], v[6:7], v[190:191], v[4:5] neg_lo:[0,0,1] neg_hi:[0,0,1]
	v_pk_fma_f32 v[4:5], v[6:7], v[190:191], v[4:5] op_sel_hi:[1,0,1]
	v_pk_add_f32 v[2:3], v[2:3], v[18:19]
	v_mov_b32_e32 v4, v193
	v_mov_b32_e32 v17, v5
	v_pk_mul_f32 v[4:5], v[8:9], v[4:5] op_sel:[1,0] op_sel_hi:[0,0]
	v_pk_fma_f32 v[6:7], v[8:9], v[192:193], v[4:5] neg_lo:[0,0,1] neg_hi:[0,0,1]
	v_pk_fma_f32 v[4:5], v[8:9], v[192:193], v[4:5] op_sel_hi:[1,0,1]
	v_pk_add_f32 v[2:3], v[2:3], v[16:17]
	v_mov_b32_e32 v7, v5
	s_waitcnt vmcnt(1) lgkmcnt(1)
	v_pk_mul_f32 v[4:5], v[10:11], v[194:195] op_sel:[1,1] op_sel_hi:[0,1]
	v_pk_add_f32 v[2:3], v[2:3], v[6:7]
	v_pk_fma_f32 v[6:7], v[10:11], v[194:195], v[4:5] neg_lo:[0,0,1] neg_hi:[0,0,1]
	v_pk_fma_f32 v[4:5], v[10:11], v[194:195], v[4:5] op_sel_hi:[1,0,1]
	s_nop 0
	v_mov_b32_e32 v4, v197
	v_mov_b32_e32 v7, v5
	v_pk_mul_f32 v[4:5], v[12:13], v[4:5] op_sel:[1,0] op_sel_hi:[0,0]
	v_pk_add_f32 v[2:3], v[2:3], v[6:7]
	v_pk_fma_f32 v[6:7], v[12:13], v[196:197], v[4:5] neg_lo:[0,0,1] neg_hi:[0,0,1]
	v_pk_fma_f32 v[4:5], v[12:13], v[196:197], v[4:5] op_sel_hi:[1,0,1]
	s_nop 0
	v_mov_b32_e32 v7, v5
	s_waitcnt vmcnt(0) lgkmcnt(0)
	v_pk_mul_f32 v[4:5], v[14:15], v[202:203] op_sel:[1,1] op_sel_hi:[0,1]
	v_pk_add_f32 v[2:3], v[2:3], v[6:7]
	v_pk_fma_f32 v[6:7], v[14:15], v[202:203], v[4:5] neg_lo:[0,0,1] neg_hi:[0,0,1]
	v_pk_fma_f32 v[4:5], v[14:15], v[202:203], v[4:5] op_sel_hi:[1,0,1]
	s_nop 0
	v_mov_b32_e32 v7, v5
	scratch_load_dwordx2 v[4:5], off, off offset:72
	v_pk_add_f32 v[2:3], v[2:3], v[6:7]
	s_waitcnt vmcnt(0)
	v_pk_add_f32 v[2:3], v[4:5], v[2:3] neg_lo:[0,1] neg_hi:[0,1]
	scratch_store_dwordx2 off, v[2:3], off offset:72
	s_and_saveexec_b64 s[0:1], vcc
	s_cbranch_execz .LBB58_351
; %bb.350:
	scratch_load_dwordx2 v[2:3], off, off offset:64
	v_mov_b32_e32 v135, v134
	scratch_store_dwordx2 off, v[134:135], off offset:64
	s_waitcnt vmcnt(1)
	ds_write_b64 v1, v[2:3]
.LBB58_351:
	s_or_b64 exec, exec, s[0:1]
	s_waitcnt lgkmcnt(0)
	; wave barrier
	scratch_load_dwordx4 v[6:9], off, off offset:72
	scratch_load_dwordx4 v[14:17], off, off offset:88
	;; [unrolled: 1-line block ×10, first 2 shown]
	ds_read2_b64 v[2:5], v134 offset0:69 offset1:70
	ds_read2_b64 v[162:165], v134 offset0:105 offset1:106
	scratch_load_dwordx4 v[86:89], off, off offset:232
	scratch_load_dwordx4 v[94:97], off, off offset:248
	scratch_load_dwordx4 v[102:105], off, off offset:264
	scratch_load_dwordx4 v[110:113], off, off offset:280
	scratch_load_dwordx4 v[118:121], off, off offset:296
	scratch_load_dwordx4 v[126:129], off, off offset:312
	scratch_load_dwordx4 v[136:139], off, off offset:328
	scratch_load_dwordx4 v[144:147], off, off offset:344
	scratch_load_dwordx4 v[166:169], off, off offset:360
	scratch_load_dwordx4 v[174:177], off, off offset:376
	scratch_load_dwordx4 v[182:185], off, off offset:392
	v_cmp_lt_u32_e32 vcc, 7, v0
	ds_read2_b64 v[170:173], v134 offset0:107 offset1:108
	ds_read2_b64 v[178:181], v134 offset0:109 offset1:110
	s_waitcnt vmcnt(20) lgkmcnt(3)
	v_mul_f32_e32 v10, v2, v7
	v_fmac_f32_e32 v10, v3, v6
	v_mul_f32_e32 v11, v4, v9
	v_add_f32_e32 v10, 0, v10
	v_fmac_f32_e32 v11, v5, v8
	v_add_f32_e32 v18, v10, v11
	ds_read2_b64 v[10:13], v134 offset0:71 offset1:72
	v_mul_f32_e32 v3, v3, v7
	v_fma_f32 v2, v2, v6, -v3
	v_mul_f32_e32 v3, v5, v9
	v_add_f32_e32 v2, 0, v2
	s_waitcnt vmcnt(19) lgkmcnt(0)
	v_mul_f32_e32 v19, v10, v15
	v_fmac_f32_e32 v19, v11, v14
	v_add_f32_e32 v18, v18, v19
	v_mul_f32_e32 v19, v12, v17
	v_fmac_f32_e32 v19, v13, v16
	v_add_f32_e32 v26, v18, v19
	ds_read2_b64 v[18:21], v134 offset0:73 offset1:74
	v_fma_f32 v3, v4, v8, -v3
	v_add_f32_e32 v2, v2, v3
	v_mul_f32_e32 v3, v11, v15
	v_fma_f32 v3, v10, v14, -v3
	s_waitcnt vmcnt(18) lgkmcnt(0)
	v_mul_f32_e32 v27, v18, v23
	v_fmac_f32_e32 v27, v19, v22
	v_add_f32_e32 v26, v26, v27
	v_mul_f32_e32 v27, v20, v25
	v_fmac_f32_e32 v27, v21, v24
	v_add_f32_e32 v34, v26, v27
	ds_read2_b64 v[26:29], v134 offset0:75 offset1:76
	v_add_f32_e32 v2, v2, v3
	v_mul_f32_e32 v3, v13, v17
	v_fma_f32 v3, v12, v16, -v3
	v_add_f32_e32 v2, v2, v3
	s_waitcnt vmcnt(17) lgkmcnt(0)
	v_mul_f32_e32 v35, v26, v31
	v_fmac_f32_e32 v35, v27, v30
	v_add_f32_e32 v34, v34, v35
	v_mul_f32_e32 v35, v28, v33
	v_fmac_f32_e32 v35, v29, v32
	v_add_f32_e32 v42, v34, v35
	ds_read2_b64 v[34:37], v134 offset0:77 offset1:78
	v_mul_f32_e32 v3, v19, v23
	v_fma_f32 v3, v18, v22, -v3
	v_add_f32_e32 v2, v2, v3
	v_mul_f32_e32 v3, v21, v25
	s_waitcnt vmcnt(16) lgkmcnt(0)
	v_mul_f32_e32 v43, v34, v39
	v_fmac_f32_e32 v43, v35, v38
	v_add_f32_e32 v42, v42, v43
	v_mul_f32_e32 v43, v36, v41
	v_fmac_f32_e32 v43, v37, v40
	v_add_f32_e32 v50, v42, v43
	ds_read2_b64 v[42:45], v134 offset0:79 offset1:80
	v_fma_f32 v3, v20, v24, -v3
	v_add_f32_e32 v2, v2, v3
	v_mul_f32_e32 v3, v27, v31
	v_fma_f32 v3, v26, v30, -v3
	s_waitcnt vmcnt(15) lgkmcnt(0)
	v_mul_f32_e32 v51, v42, v47
	v_fmac_f32_e32 v51, v43, v46
	v_add_f32_e32 v50, v50, v51
	v_mul_f32_e32 v51, v44, v49
	v_fmac_f32_e32 v51, v45, v48
	v_add_f32_e32 v58, v50, v51
	ds_read2_b64 v[50:53], v134 offset0:81 offset1:82
	v_add_f32_e32 v2, v2, v3
	v_mul_f32_e32 v3, v29, v33
	v_fma_f32 v3, v28, v32, -v3
	v_add_f32_e32 v2, v2, v3
	s_waitcnt vmcnt(14) lgkmcnt(0)
	v_mul_f32_e32 v59, v50, v55
	v_fmac_f32_e32 v59, v51, v54
	v_add_f32_e32 v58, v58, v59
	v_mul_f32_e32 v59, v52, v57
	v_fmac_f32_e32 v59, v53, v56
	v_add_f32_e32 v66, v58, v59
	ds_read2_b64 v[58:61], v134 offset0:83 offset1:84
	v_mul_f32_e32 v3, v35, v39
	v_fma_f32 v3, v34, v38, -v3
	v_add_f32_e32 v2, v2, v3
	v_mul_f32_e32 v3, v37, v41
	;; [unrolled: 36-line block ×5, first 2 shown]
	s_waitcnt vmcnt(4) lgkmcnt(0)
	v_mul_f32_e32 v140, v130, v137
	v_fmac_f32_e32 v140, v131, v136
	v_add_f32_e32 v135, v135, v140
	v_mul_f32_e32 v140, v132, v139
	v_fmac_f32_e32 v140, v133, v138
	v_add_f32_e32 v135, v135, v140
	ds_read2_b64 v[140:143], v134 offset0:103 offset1:104
	scratch_load_dwordx4 v[186:189], off, off offset:408
	scratch_load_dwordx4 v[190:193], off, off offset:424
	;; [unrolled: 1-line block ×4, first 2 shown]
	v_fma_f32 v3, v84, v88, -v3
	v_add_f32_e32 v2, v2, v3
	v_mul_f32_e32 v3, v91, v95
	v_fma_f32 v3, v90, v94, -v3
	v_add_f32_e32 v2, v2, v3
	v_mul_f32_e32 v3, v93, v97
	;; [unrolled: 3-line block ×12, first 2 shown]
	v_fma_f32 v3, v132, v138, -v3
	s_waitcnt vmcnt(7) lgkmcnt(0)
	v_mul_f32_e32 v148, v140, v145
	v_add_f32_e32 v2, v2, v3
	v_mul_f32_e32 v3, v141, v145
	v_fmac_f32_e32 v148, v141, v144
	v_fma_f32 v3, v140, v144, -v3
	v_add_f32_e32 v135, v135, v148
	v_mul_f32_e32 v148, v142, v147
	v_add_f32_e32 v2, v2, v3
	v_mul_f32_e32 v3, v143, v147
	v_fmac_f32_e32 v148, v143, v146
	v_fma_f32 v3, v142, v146, -v3
	v_add_f32_e32 v135, v135, v148
	s_waitcnt vmcnt(6)
	v_mul_f32_e32 v148, v162, v167
	v_add_f32_e32 v2, v2, v3
	v_mul_f32_e32 v3, v163, v167
	v_fmac_f32_e32 v148, v163, v166
	v_fma_f32 v3, v162, v166, -v3
	v_add_f32_e32 v135, v135, v148
	v_mul_f32_e32 v148, v164, v169
	v_add_f32_e32 v2, v2, v3
	v_mul_f32_e32 v3, v165, v169
	v_fmac_f32_e32 v148, v165, v168
	v_fma_f32 v3, v164, v168, -v3
	v_add_f32_e32 v135, v135, v148
	s_waitcnt vmcnt(5)
	v_mul_f32_e32 v148, v170, v175
	v_add_f32_e32 v2, v2, v3
	v_mul_f32_e32 v3, v171, v175
	v_fmac_f32_e32 v148, v171, v174
	v_fma_f32 v3, v170, v174, -v3
	v_add_f32_e32 v135, v135, v148
	v_mul_f32_e32 v148, v172, v177
	v_add_f32_e32 v2, v2, v3
	v_mul_f32_e32 v3, v173, v177
	v_fmac_f32_e32 v148, v173, v176
	v_fma_f32 v3, v172, v176, -v3
	v_add_f32_e32 v149, v135, v148
	v_add_f32_e32 v148, v2, v3
	s_waitcnt vmcnt(4)
	v_mul_f32_e32 v2, v179, v183
	v_fma_f32 v202, v178, v182, -v2
	v_mul_f32_e32 v2, v181, v185
	v_fma_f32 v204, v180, v184, -v2
	ds_read2_b64 v[2:5], v134 offset0:111 offset1:112
	ds_read2_b64 v[6:9], v134 offset0:113 offset1:114
	;; [unrolled: 1-line block ×4, first 2 shown]
	v_mul_f32_e32 v203, v178, v183
	v_fmac_f32_e32 v203, v179, v182
	v_mul_f32_e32 v205, v180, v185
	s_waitcnt vmcnt(3) lgkmcnt(3)
	v_pk_mul_f32 v[20:21], v[2:3], v[186:187] op_sel:[1,1] op_sel_hi:[0,1]
	v_fmac_f32_e32 v205, v181, v184
	v_pk_add_f32 v[18:19], v[148:149], v[202:203]
	v_pk_fma_f32 v[22:23], v[2:3], v[186:187], v[20:21] neg_lo:[0,0,1] neg_hi:[0,0,1]
	v_pk_fma_f32 v[2:3], v[2:3], v[186:187], v[20:21] op_sel_hi:[1,0,1]
	v_pk_add_f32 v[18:19], v[18:19], v[204:205]
	v_mov_b32_e32 v23, v3
	v_pk_add_f32 v[2:3], v[18:19], v[22:23]
	v_mov_b32_e32 v18, v189
	v_pk_mul_f32 v[18:19], v[4:5], v[18:19] op_sel:[1,0] op_sel_hi:[0,0]
	v_pk_fma_f32 v[20:21], v[4:5], v[188:189], v[18:19] neg_lo:[0,0,1] neg_hi:[0,0,1]
	v_pk_fma_f32 v[4:5], v[4:5], v[188:189], v[18:19] op_sel_hi:[1,0,1]
	s_nop 0
	v_mov_b32_e32 v21, v5
	s_waitcnt vmcnt(2) lgkmcnt(2)
	v_pk_mul_f32 v[4:5], v[6:7], v[190:191] op_sel:[1,1] op_sel_hi:[0,1]
	v_pk_fma_f32 v[18:19], v[6:7], v[190:191], v[4:5] neg_lo:[0,0,1] neg_hi:[0,0,1]
	v_pk_fma_f32 v[4:5], v[6:7], v[190:191], v[4:5] op_sel_hi:[1,0,1]
	v_pk_add_f32 v[2:3], v[2:3], v[20:21]
	v_mov_b32_e32 v4, v193
	v_mov_b32_e32 v19, v5
	v_pk_mul_f32 v[4:5], v[8:9], v[4:5] op_sel:[1,0] op_sel_hi:[0,0]
	v_pk_fma_f32 v[6:7], v[8:9], v[192:193], v[4:5] neg_lo:[0,0,1] neg_hi:[0,0,1]
	v_pk_fma_f32 v[4:5], v[8:9], v[192:193], v[4:5] op_sel_hi:[1,0,1]
	v_pk_add_f32 v[2:3], v[2:3], v[18:19]
	v_mov_b32_e32 v7, v5
	s_waitcnt vmcnt(1) lgkmcnt(1)
	v_pk_mul_f32 v[4:5], v[10:11], v[194:195] op_sel:[1,1] op_sel_hi:[0,1]
	v_pk_add_f32 v[2:3], v[2:3], v[6:7]
	v_pk_fma_f32 v[6:7], v[10:11], v[194:195], v[4:5] neg_lo:[0,0,1] neg_hi:[0,0,1]
	v_pk_fma_f32 v[4:5], v[10:11], v[194:195], v[4:5] op_sel_hi:[1,0,1]
	s_nop 0
	v_mov_b32_e32 v4, v197
	v_mov_b32_e32 v7, v5
	v_pk_mul_f32 v[4:5], v[12:13], v[4:5] op_sel:[1,0] op_sel_hi:[0,0]
	v_pk_add_f32 v[2:3], v[2:3], v[6:7]
	v_pk_fma_f32 v[6:7], v[12:13], v[196:197], v[4:5] neg_lo:[0,0,1] neg_hi:[0,0,1]
	v_pk_fma_f32 v[4:5], v[12:13], v[196:197], v[4:5] op_sel_hi:[1,0,1]
	s_nop 0
	v_mov_b32_e32 v7, v5
	s_waitcnt vmcnt(0) lgkmcnt(0)
	v_pk_mul_f32 v[4:5], v[14:15], v[198:199] op_sel:[1,1] op_sel_hi:[0,1]
	v_pk_add_f32 v[2:3], v[2:3], v[6:7]
	v_pk_fma_f32 v[6:7], v[14:15], v[198:199], v[4:5] neg_lo:[0,0,1] neg_hi:[0,0,1]
	v_pk_fma_f32 v[4:5], v[14:15], v[198:199], v[4:5] op_sel_hi:[1,0,1]
	s_nop 0
	v_mov_b32_e32 v4, v201
	v_mov_b32_e32 v7, v5
	v_pk_mul_f32 v[4:5], v[16:17], v[4:5] op_sel:[1,0] op_sel_hi:[0,0]
	v_pk_add_f32 v[2:3], v[2:3], v[6:7]
	v_pk_fma_f32 v[6:7], v[16:17], v[200:201], v[4:5] neg_lo:[0,0,1] neg_hi:[0,0,1]
	v_pk_fma_f32 v[4:5], v[16:17], v[200:201], v[4:5] op_sel_hi:[1,0,1]
	s_nop 0
	v_mov_b32_e32 v7, v5
	scratch_load_dwordx2 v[4:5], off, off offset:64
	v_pk_add_f32 v[2:3], v[2:3], v[6:7]
	s_waitcnt vmcnt(0)
	v_pk_add_f32 v[2:3], v[4:5], v[2:3] neg_lo:[0,1] neg_hi:[0,1]
	scratch_store_dwordx2 off, v[2:3], off offset:64
	s_and_saveexec_b64 s[0:1], vcc
	s_cbranch_execz .LBB58_353
; %bb.352:
	scratch_load_dwordx2 v[2:3], off, off offset:56
	v_mov_b32_e32 v4, 0
	v_mov_b32_e32 v5, v4
	scratch_store_dwordx2 off, v[4:5], off offset:56
	s_waitcnt vmcnt(1)
	ds_write_b64 v1, v[2:3]
.LBB58_353:
	s_or_b64 exec, exec, s[0:1]
	v_mov_b32_e32 v142, 0
	s_waitcnt lgkmcnt(0)
	; wave barrier
	ds_read_b128 v[14:17], v142 offset:544
	ds_read_b128 v[10:13], v142 offset:560
	;; [unrolled: 1-line block ×4, first 2 shown]
	scratch_load_dwordx4 v[18:21], off, off offset:64
	scratch_load_dwordx4 v[38:41], off, off offset:128
	;; [unrolled: 1-line block ×16, first 2 shown]
	v_cmp_lt_u32_e32 vcc, 6, v0
	scratch_load_dwordx4 v[46:49], off, off offset:144
	scratch_load_dwordx4 v[54:57], off, off offset:160
	scratch_load_dwordx4 v[62:65], off, off offset:176
	ds_read_b128 v[162:165], v142 offset:832
	ds_read_b128 v[170:173], v142 offset:848
	ds_read_b128 v[178:181], v142 offset:864
	ds_read_b128 v[186:189], v142 offset:880
	s_waitcnt vmcnt(18) lgkmcnt(7)
	v_mul_f32_e32 v22, v14, v19
	v_fmac_f32_e32 v22, v15, v18
	v_mul_f32_e32 v23, v16, v21
	v_add_f32_e32 v22, 0, v22
	v_fmac_f32_e32 v23, v17, v20
	v_add_f32_e32 v26, v22, v23
	scratch_load_dwordx4 v[22:25], off, off offset:80
	v_mul_f32_e32 v15, v15, v19
	v_fma_f32 v14, v14, v18, -v15
	v_mul_f32_e32 v15, v17, v21
	v_add_f32_e32 v14, 0, v14
	v_fma_f32 v15, v16, v20, -v15
	v_add_f32_e32 v14, v14, v15
	s_waitcnt vmcnt(5) lgkmcnt(1)
	v_mul_f32_e32 v207, v180, v185
	s_waitcnt vmcnt(4)
	v_mov_b32_e32 v18, v193
	v_fmac_f32_e32 v207, v181, v184
	s_waitcnt lgkmcnt(0)
	v_mul_f32_e32 v209, v186, v191
	v_pk_mul_f32 v[18:19], v[188:189], v[18:19] op_sel:[1,0] op_sel_hi:[0,0]
	v_fmac_f32_e32 v209, v187, v190
	v_pk_fma_f32 v[20:21], v[188:189], v[192:193], v[18:19] neg_lo:[0,0,1] neg_hi:[0,0,1]
	v_pk_fma_f32 v[18:19], v[188:189], v[192:193], v[18:19] op_sel_hi:[1,0,1]
	s_waitcnt vmcnt(0)
	v_mul_f32_e32 v27, v10, v23
	v_fmac_f32_e32 v27, v11, v22
	v_add_f32_e32 v26, v26, v27
	v_mul_f32_e32 v27, v12, v25
	v_fmac_f32_e32 v27, v13, v24
	v_add_f32_e32 v30, v26, v27
	scratch_load_dwordx4 v[26:29], off, off offset:96
	v_mul_f32_e32 v11, v11, v23
	v_fma_f32 v10, v10, v22, -v11
	v_mul_f32_e32 v11, v13, v25
	v_add_f32_e32 v10, v14, v10
	v_fma_f32 v11, v12, v24, -v11
	v_add_f32_e32 v10, v10, v11
	v_mov_b32_e32 v21, v19
	s_waitcnt vmcnt(0)
	v_mul_f32_e32 v31, v6, v27
	v_fmac_f32_e32 v31, v7, v26
	v_add_f32_e32 v30, v30, v31
	v_mul_f32_e32 v31, v8, v29
	v_fmac_f32_e32 v31, v9, v28
	v_add_f32_e32 v34, v30, v31
	scratch_load_dwordx4 v[30:33], off, off offset:112
	v_mul_f32_e32 v7, v7, v27
	v_fma_f32 v6, v6, v26, -v7
	v_mul_f32_e32 v7, v9, v29
	v_add_f32_e32 v6, v10, v6
	v_fma_f32 v7, v8, v28, -v7
	v_add_f32_e32 v6, v6, v7
	s_waitcnt vmcnt(0)
	v_mul_f32_e32 v35, v2, v31
	v_fmac_f32_e32 v35, v3, v30
	v_add_f32_e32 v34, v34, v35
	v_mul_f32_e32 v35, v4, v33
	v_fmac_f32_e32 v35, v5, v32
	v_add_f32_e32 v42, v34, v35
	ds_read_b128 v[34:37], v142 offset:608
	v_mul_f32_e32 v3, v3, v31
	v_fma_f32 v2, v2, v30, -v3
	v_mul_f32_e32 v3, v5, v33
	v_add_f32_e32 v2, v6, v2
	s_waitcnt lgkmcnt(0)
	v_mul_f32_e32 v43, v34, v39
	v_fmac_f32_e32 v43, v35, v38
	v_add_f32_e32 v42, v42, v43
	v_mul_f32_e32 v43, v36, v41
	v_fmac_f32_e32 v43, v37, v40
	v_add_f32_e32 v50, v42, v43
	ds_read_b128 v[42:45], v142 offset:624
	v_fma_f32 v3, v4, v32, -v3
	v_add_f32_e32 v2, v2, v3
	v_mul_f32_e32 v3, v35, v39
	v_fma_f32 v3, v34, v38, -v3
	s_waitcnt lgkmcnt(0)
	v_mul_f32_e32 v51, v42, v47
	v_fmac_f32_e32 v51, v43, v46
	v_add_f32_e32 v50, v50, v51
	v_mul_f32_e32 v51, v44, v49
	v_fmac_f32_e32 v51, v45, v48
	v_add_f32_e32 v58, v50, v51
	ds_read_b128 v[50:53], v142 offset:640
	v_add_f32_e32 v2, v2, v3
	v_mul_f32_e32 v3, v37, v41
	v_fma_f32 v3, v36, v40, -v3
	v_add_f32_e32 v2, v2, v3
	s_waitcnt lgkmcnt(0)
	v_mul_f32_e32 v59, v50, v55
	v_fmac_f32_e32 v59, v51, v54
	v_add_f32_e32 v58, v58, v59
	v_mul_f32_e32 v59, v52, v57
	v_fmac_f32_e32 v59, v53, v56
	v_add_f32_e32 v66, v58, v59
	ds_read_b128 v[58:61], v142 offset:656
	v_mul_f32_e32 v3, v43, v47
	v_fma_f32 v3, v42, v46, -v3
	v_add_f32_e32 v2, v2, v3
	v_mul_f32_e32 v3, v45, v49
	s_waitcnt lgkmcnt(0)
	v_mul_f32_e32 v67, v58, v63
	v_fmac_f32_e32 v67, v59, v62
	v_add_f32_e32 v66, v66, v67
	v_mul_f32_e32 v67, v60, v65
	v_fmac_f32_e32 v67, v61, v64
	v_add_f32_e32 v74, v66, v67
	ds_read_b128 v[66:69], v142 offset:672
	v_fma_f32 v3, v44, v48, -v3
	v_add_f32_e32 v2, v2, v3
	v_mul_f32_e32 v3, v51, v55
	v_fma_f32 v3, v50, v54, -v3
	s_waitcnt lgkmcnt(0)
	v_mul_f32_e32 v75, v66, v71
	v_fmac_f32_e32 v75, v67, v70
	v_add_f32_e32 v74, v74, v75
	v_mul_f32_e32 v75, v68, v73
	v_fmac_f32_e32 v75, v69, v72
	v_add_f32_e32 v82, v74, v75
	ds_read_b128 v[74:77], v142 offset:688
	v_add_f32_e32 v2, v2, v3
	v_mul_f32_e32 v3, v53, v57
	v_fma_f32 v3, v52, v56, -v3
	v_add_f32_e32 v2, v2, v3
	s_waitcnt lgkmcnt(0)
	v_mul_f32_e32 v83, v74, v79
	v_fmac_f32_e32 v83, v75, v78
	v_add_f32_e32 v82, v82, v83
	v_mul_f32_e32 v83, v76, v81
	v_fmac_f32_e32 v83, v77, v80
	v_add_f32_e32 v90, v82, v83
	ds_read_b128 v[82:85], v142 offset:704
	v_mul_f32_e32 v3, v59, v63
	v_fma_f32 v3, v58, v62, -v3
	v_add_f32_e32 v2, v2, v3
	v_mul_f32_e32 v3, v61, v65
	;; [unrolled: 36-line block ×4, first 2 shown]
	s_waitcnt lgkmcnt(0)
	v_mul_f32_e32 v139, v130, v135
	v_fmac_f32_e32 v139, v131, v134
	v_add_f32_e32 v138, v138, v139
	v_mul_f32_e32 v139, v132, v137
	v_fmac_f32_e32 v139, v133, v136
	v_add_f32_e32 v143, v138, v139
	ds_read_b128 v[138:141], v142 offset:816
	scratch_load_dwordx4 v[194:197], off, off offset:416
	scratch_load_dwordx4 v[198:201], off, off offset:432
	;; [unrolled: 1-line block ×3, first 2 shown]
	scratch_load_dwordx2 v[210:211], off, off offset:464
	v_fma_f32 v3, v92, v96, -v3
	v_add_f32_e32 v2, v2, v3
	v_mul_f32_e32 v3, v99, v103
	v_fma_f32 v3, v98, v102, -v3
	v_add_f32_e32 v2, v2, v3
	v_mul_f32_e32 v3, v101, v105
	;; [unrolled: 3-line block ×10, first 2 shown]
	v_fma_f32 v3, v132, v136, -v3
	s_waitcnt lgkmcnt(0)
	v_mul_f32_e32 v148, v138, v145
	v_add_f32_e32 v2, v2, v3
	v_mul_f32_e32 v3, v139, v145
	v_fmac_f32_e32 v148, v139, v144
	v_fma_f32 v3, v138, v144, -v3
	v_add_f32_e32 v143, v143, v148
	v_mul_f32_e32 v148, v140, v147
	v_add_f32_e32 v2, v2, v3
	v_mul_f32_e32 v3, v141, v147
	v_fmac_f32_e32 v148, v141, v146
	v_fma_f32 v3, v140, v146, -v3
	v_add_f32_e32 v143, v143, v148
	;; [unrolled: 6-line block ×7, first 2 shown]
	v_add_f32_e32 v148, v2, v3
	v_mul_f32_e32 v2, v181, v185
	v_fma_f32 v206, v180, v184, -v2
	v_mul_f32_e32 v2, v187, v191
	v_fma_f32 v208, v186, v190, -v2
	ds_read_b128 v[2:5], v142 offset:896
	ds_read_b128 v[6:9], v142 offset:912
	;; [unrolled: 1-line block ×3, first 2 shown]
	ds_read_b64 v[14:15], v142 offset:944
	v_pk_add_f32 v[16:17], v[148:149], v[206:207]
	s_waitcnt vmcnt(3) lgkmcnt(3)
	v_pk_mul_f32 v[18:19], v[2:3], v[194:195] op_sel:[1,1] op_sel_hi:[0,1]
	v_pk_add_f32 v[16:17], v[16:17], v[208:209]
	s_nop 0
	v_pk_add_f32 v[16:17], v[16:17], v[20:21]
	v_pk_fma_f32 v[20:21], v[2:3], v[194:195], v[18:19] neg_lo:[0,0,1] neg_hi:[0,0,1]
	v_pk_fma_f32 v[2:3], v[2:3], v[194:195], v[18:19] op_sel_hi:[1,0,1]
	s_nop 0
	v_mov_b32_e32 v21, v3
	v_pk_add_f32 v[2:3], v[16:17], v[20:21]
	v_mov_b32_e32 v16, v197
	v_pk_mul_f32 v[16:17], v[4:5], v[16:17] op_sel:[1,0] op_sel_hi:[0,0]
	v_pk_fma_f32 v[18:19], v[4:5], v[196:197], v[16:17] neg_lo:[0,0,1] neg_hi:[0,0,1]
	v_pk_fma_f32 v[4:5], v[4:5], v[196:197], v[16:17] op_sel_hi:[1,0,1]
	s_nop 0
	v_mov_b32_e32 v19, v5
	s_waitcnt vmcnt(2) lgkmcnt(2)
	v_pk_mul_f32 v[4:5], v[6:7], v[198:199] op_sel:[1,1] op_sel_hi:[0,1]
	v_pk_fma_f32 v[16:17], v[6:7], v[198:199], v[4:5] neg_lo:[0,0,1] neg_hi:[0,0,1]
	v_pk_fma_f32 v[4:5], v[6:7], v[198:199], v[4:5] op_sel_hi:[1,0,1]
	v_pk_add_f32 v[2:3], v[2:3], v[18:19]
	v_mov_b32_e32 v4, v201
	v_mov_b32_e32 v17, v5
	v_pk_mul_f32 v[4:5], v[8:9], v[4:5] op_sel:[1,0] op_sel_hi:[0,0]
	v_pk_fma_f32 v[6:7], v[8:9], v[200:201], v[4:5] neg_lo:[0,0,1] neg_hi:[0,0,1]
	v_pk_fma_f32 v[4:5], v[8:9], v[200:201], v[4:5] op_sel_hi:[1,0,1]
	v_pk_add_f32 v[2:3], v[2:3], v[16:17]
	v_mov_b32_e32 v7, v5
	s_waitcnt vmcnt(1) lgkmcnt(1)
	v_pk_mul_f32 v[4:5], v[10:11], v[202:203] op_sel:[1,1] op_sel_hi:[0,1]
	v_pk_add_f32 v[2:3], v[2:3], v[6:7]
	v_pk_fma_f32 v[6:7], v[10:11], v[202:203], v[4:5] neg_lo:[0,0,1] neg_hi:[0,0,1]
	v_pk_fma_f32 v[4:5], v[10:11], v[202:203], v[4:5] op_sel_hi:[1,0,1]
	s_nop 0
	v_mov_b32_e32 v4, v205
	v_mov_b32_e32 v7, v5
	v_pk_mul_f32 v[4:5], v[12:13], v[4:5] op_sel:[1,0] op_sel_hi:[0,0]
	v_pk_add_f32 v[2:3], v[2:3], v[6:7]
	v_pk_fma_f32 v[6:7], v[12:13], v[204:205], v[4:5] neg_lo:[0,0,1] neg_hi:[0,0,1]
	v_pk_fma_f32 v[4:5], v[12:13], v[204:205], v[4:5] op_sel_hi:[1,0,1]
	s_nop 0
	v_mov_b32_e32 v7, v5
	s_waitcnt vmcnt(0) lgkmcnt(0)
	v_pk_mul_f32 v[4:5], v[14:15], v[210:211] op_sel:[1,1] op_sel_hi:[0,1]
	v_pk_add_f32 v[2:3], v[2:3], v[6:7]
	v_pk_fma_f32 v[6:7], v[14:15], v[210:211], v[4:5] neg_lo:[0,0,1] neg_hi:[0,0,1]
	v_pk_fma_f32 v[4:5], v[14:15], v[210:211], v[4:5] op_sel_hi:[1,0,1]
	s_nop 0
	v_mov_b32_e32 v7, v5
	scratch_load_dwordx2 v[4:5], off, off offset:56
	v_pk_add_f32 v[2:3], v[2:3], v[6:7]
	s_waitcnt vmcnt(0)
	v_pk_add_f32 v[2:3], v[4:5], v[2:3] neg_lo:[0,1] neg_hi:[0,1]
	scratch_store_dwordx2 off, v[2:3], off offset:56
	s_and_saveexec_b64 s[0:1], vcc
	s_cbranch_execz .LBB58_355
; %bb.354:
	scratch_load_dwordx2 v[2:3], off, off offset:48
	v_mov_b32_e32 v143, v142
	scratch_store_dwordx2 off, v[142:143], off offset:48
	s_waitcnt vmcnt(1)
	ds_write_b64 v1, v[2:3]
.LBB58_355:
	s_or_b64 exec, exec, s[0:1]
	s_waitcnt lgkmcnt(0)
	; wave barrier
	scratch_load_dwordx4 v[6:9], off, off offset:56
	scratch_load_dwordx4 v[14:17], off, off offset:72
	;; [unrolled: 1-line block ×10, first 2 shown]
	ds_read2_b64 v[2:5], v142 offset0:67 offset1:68
	ds_read2_b64 v[162:165], v142 offset0:103 offset1:104
	scratch_load_dwordx4 v[86:89], off, off offset:216
	scratch_load_dwordx4 v[94:97], off, off offset:232
	scratch_load_dwordx4 v[102:105], off, off offset:248
	scratch_load_dwordx4 v[110:113], off, off offset:264
	scratch_load_dwordx4 v[118:121], off, off offset:280
	scratch_load_dwordx4 v[126:129], off, off offset:296
	scratch_load_dwordx4 v[134:137], off, off offset:312
	scratch_load_dwordx4 v[144:147], off, off offset:328
	scratch_load_dwordx4 v[166:169], off, off offset:344
	scratch_load_dwordx4 v[174:177], off, off offset:360
	scratch_load_dwordx4 v[182:185], off, off offset:376
	scratch_load_dwordx4 v[190:193], off, off offset:392
	v_cmp_lt_u32_e32 vcc, 5, v0
	ds_read2_b64 v[170:173], v142 offset0:105 offset1:106
	ds_read2_b64 v[178:181], v142 offset0:107 offset1:108
	;; [unrolled: 1-line block ×3, first 2 shown]
	s_waitcnt vmcnt(21) lgkmcnt(4)
	v_mul_f32_e32 v10, v2, v7
	v_fmac_f32_e32 v10, v3, v6
	v_mul_f32_e32 v11, v4, v9
	v_add_f32_e32 v10, 0, v10
	v_fmac_f32_e32 v11, v5, v8
	v_add_f32_e32 v18, v10, v11
	ds_read2_b64 v[10:13], v142 offset0:69 offset1:70
	v_mul_f32_e32 v3, v3, v7
	v_fma_f32 v2, v2, v6, -v3
	v_mul_f32_e32 v3, v5, v9
	v_add_f32_e32 v2, 0, v2
	s_waitcnt vmcnt(20) lgkmcnt(0)
	v_mul_f32_e32 v19, v10, v15
	v_fmac_f32_e32 v19, v11, v14
	v_add_f32_e32 v18, v18, v19
	v_mul_f32_e32 v19, v12, v17
	v_fmac_f32_e32 v19, v13, v16
	v_add_f32_e32 v26, v18, v19
	ds_read2_b64 v[18:21], v142 offset0:71 offset1:72
	v_fma_f32 v3, v4, v8, -v3
	v_add_f32_e32 v2, v2, v3
	v_mul_f32_e32 v3, v11, v15
	v_fma_f32 v3, v10, v14, -v3
	s_waitcnt vmcnt(19) lgkmcnt(0)
	v_mul_f32_e32 v27, v18, v23
	v_fmac_f32_e32 v27, v19, v22
	v_add_f32_e32 v26, v26, v27
	v_mul_f32_e32 v27, v20, v25
	v_fmac_f32_e32 v27, v21, v24
	v_add_f32_e32 v34, v26, v27
	ds_read2_b64 v[26:29], v142 offset0:73 offset1:74
	v_add_f32_e32 v2, v2, v3
	v_mul_f32_e32 v3, v13, v17
	v_fma_f32 v3, v12, v16, -v3
	v_add_f32_e32 v2, v2, v3
	s_waitcnt vmcnt(18) lgkmcnt(0)
	v_mul_f32_e32 v35, v26, v31
	v_fmac_f32_e32 v35, v27, v30
	v_add_f32_e32 v34, v34, v35
	v_mul_f32_e32 v35, v28, v33
	v_fmac_f32_e32 v35, v29, v32
	v_add_f32_e32 v42, v34, v35
	ds_read2_b64 v[34:37], v142 offset0:75 offset1:76
	v_mul_f32_e32 v3, v19, v23
	v_fma_f32 v3, v18, v22, -v3
	v_add_f32_e32 v2, v2, v3
	v_mul_f32_e32 v3, v21, v25
	s_waitcnt vmcnt(17) lgkmcnt(0)
	v_mul_f32_e32 v43, v34, v39
	v_fmac_f32_e32 v43, v35, v38
	v_add_f32_e32 v42, v42, v43
	v_mul_f32_e32 v43, v36, v41
	v_fmac_f32_e32 v43, v37, v40
	v_add_f32_e32 v50, v42, v43
	ds_read2_b64 v[42:45], v142 offset0:77 offset1:78
	v_fma_f32 v3, v20, v24, -v3
	v_add_f32_e32 v2, v2, v3
	v_mul_f32_e32 v3, v27, v31
	v_fma_f32 v3, v26, v30, -v3
	s_waitcnt vmcnt(16) lgkmcnt(0)
	v_mul_f32_e32 v51, v42, v47
	v_fmac_f32_e32 v51, v43, v46
	v_add_f32_e32 v50, v50, v51
	v_mul_f32_e32 v51, v44, v49
	v_fmac_f32_e32 v51, v45, v48
	v_add_f32_e32 v58, v50, v51
	ds_read2_b64 v[50:53], v142 offset0:79 offset1:80
	v_add_f32_e32 v2, v2, v3
	v_mul_f32_e32 v3, v29, v33
	v_fma_f32 v3, v28, v32, -v3
	v_add_f32_e32 v2, v2, v3
	s_waitcnt vmcnt(15) lgkmcnt(0)
	v_mul_f32_e32 v59, v50, v55
	v_fmac_f32_e32 v59, v51, v54
	v_add_f32_e32 v58, v58, v59
	v_mul_f32_e32 v59, v52, v57
	v_fmac_f32_e32 v59, v53, v56
	v_add_f32_e32 v66, v58, v59
	ds_read2_b64 v[58:61], v142 offset0:81 offset1:82
	v_mul_f32_e32 v3, v35, v39
	v_fma_f32 v3, v34, v38, -v3
	v_add_f32_e32 v2, v2, v3
	v_mul_f32_e32 v3, v37, v41
	;; [unrolled: 36-line block ×5, first 2 shown]
	s_waitcnt vmcnt(5) lgkmcnt(0)
	v_mul_f32_e32 v139, v130, v135
	v_fmac_f32_e32 v139, v131, v134
	v_add_f32_e32 v138, v138, v139
	v_mul_f32_e32 v139, v132, v137
	v_fmac_f32_e32 v139, v133, v136
	v_add_f32_e32 v143, v138, v139
	ds_read2_b64 v[138:141], v142 offset0:101 offset1:102
	scratch_load_dwordx4 v[194:197], off, off offset:408
	scratch_load_dwordx4 v[198:201], off, off offset:424
	;; [unrolled: 1-line block ×4, first 2 shown]
	v_fma_f32 v3, v84, v88, -v3
	v_add_f32_e32 v2, v2, v3
	v_mul_f32_e32 v3, v91, v95
	v_fma_f32 v3, v90, v94, -v3
	v_add_f32_e32 v2, v2, v3
	v_mul_f32_e32 v3, v93, v97
	;; [unrolled: 3-line block ×12, first 2 shown]
	v_fma_f32 v3, v132, v136, -v3
	s_waitcnt vmcnt(8) lgkmcnt(0)
	v_mul_f32_e32 v148, v138, v145
	v_add_f32_e32 v2, v2, v3
	v_mul_f32_e32 v3, v139, v145
	v_fmac_f32_e32 v148, v139, v144
	v_fma_f32 v3, v138, v144, -v3
	v_add_f32_e32 v143, v143, v148
	v_mul_f32_e32 v148, v140, v147
	v_add_f32_e32 v2, v2, v3
	v_mul_f32_e32 v3, v141, v147
	v_fmac_f32_e32 v148, v141, v146
	v_fma_f32 v3, v140, v146, -v3
	v_add_f32_e32 v143, v143, v148
	s_waitcnt vmcnt(7)
	v_mul_f32_e32 v148, v162, v167
	v_add_f32_e32 v2, v2, v3
	v_mul_f32_e32 v3, v163, v167
	v_fmac_f32_e32 v148, v163, v166
	v_fma_f32 v3, v162, v166, -v3
	v_add_f32_e32 v143, v143, v148
	v_mul_f32_e32 v148, v164, v169
	v_add_f32_e32 v2, v2, v3
	v_mul_f32_e32 v3, v165, v169
	v_fmac_f32_e32 v148, v165, v168
	v_fma_f32 v3, v164, v168, -v3
	v_add_f32_e32 v143, v143, v148
	s_waitcnt vmcnt(6)
	;; [unrolled: 13-line block ×3, first 2 shown]
	v_mul_f32_e32 v148, v178, v183
	v_add_f32_e32 v2, v2, v3
	v_mul_f32_e32 v3, v179, v183
	v_fmac_f32_e32 v148, v179, v182
	v_fma_f32 v3, v178, v182, -v3
	v_add_f32_e32 v143, v143, v148
	v_mul_f32_e32 v148, v180, v185
	v_add_f32_e32 v2, v2, v3
	v_mul_f32_e32 v3, v181, v185
	v_fmac_f32_e32 v148, v181, v184
	v_fma_f32 v3, v180, v184, -v3
	v_add_f32_e32 v149, v143, v148
	v_add_f32_e32 v148, v2, v3
	s_waitcnt vmcnt(4)
	v_mul_f32_e32 v2, v187, v191
	v_fma_f32 v210, v186, v190, -v2
	v_mul_f32_e32 v2, v189, v193
	v_fma_f32 v212, v188, v192, -v2
	ds_read2_b64 v[2:5], v142 offset0:111 offset1:112
	ds_read2_b64 v[6:9], v142 offset0:113 offset1:114
	;; [unrolled: 1-line block ×4, first 2 shown]
	v_mul_f32_e32 v211, v186, v191
	v_fmac_f32_e32 v211, v187, v190
	v_mul_f32_e32 v213, v188, v193
	s_waitcnt vmcnt(3) lgkmcnt(3)
	v_pk_mul_f32 v[20:21], v[2:3], v[194:195] op_sel:[1,1] op_sel_hi:[0,1]
	v_fmac_f32_e32 v213, v189, v192
	v_pk_add_f32 v[18:19], v[148:149], v[210:211]
	v_pk_fma_f32 v[22:23], v[2:3], v[194:195], v[20:21] neg_lo:[0,0,1] neg_hi:[0,0,1]
	v_pk_fma_f32 v[2:3], v[2:3], v[194:195], v[20:21] op_sel_hi:[1,0,1]
	v_pk_add_f32 v[18:19], v[18:19], v[212:213]
	v_mov_b32_e32 v23, v3
	v_pk_add_f32 v[2:3], v[18:19], v[22:23]
	v_mov_b32_e32 v18, v197
	v_pk_mul_f32 v[18:19], v[4:5], v[18:19] op_sel:[1,0] op_sel_hi:[0,0]
	v_pk_fma_f32 v[20:21], v[4:5], v[196:197], v[18:19] neg_lo:[0,0,1] neg_hi:[0,0,1]
	v_pk_fma_f32 v[4:5], v[4:5], v[196:197], v[18:19] op_sel_hi:[1,0,1]
	s_nop 0
	v_mov_b32_e32 v21, v5
	s_waitcnt vmcnt(2) lgkmcnt(2)
	v_pk_mul_f32 v[4:5], v[6:7], v[198:199] op_sel:[1,1] op_sel_hi:[0,1]
	v_pk_fma_f32 v[18:19], v[6:7], v[198:199], v[4:5] neg_lo:[0,0,1] neg_hi:[0,0,1]
	v_pk_fma_f32 v[4:5], v[6:7], v[198:199], v[4:5] op_sel_hi:[1,0,1]
	v_pk_add_f32 v[2:3], v[2:3], v[20:21]
	v_mov_b32_e32 v4, v201
	v_mov_b32_e32 v19, v5
	v_pk_mul_f32 v[4:5], v[8:9], v[4:5] op_sel:[1,0] op_sel_hi:[0,0]
	v_pk_fma_f32 v[6:7], v[8:9], v[200:201], v[4:5] neg_lo:[0,0,1] neg_hi:[0,0,1]
	v_pk_fma_f32 v[4:5], v[8:9], v[200:201], v[4:5] op_sel_hi:[1,0,1]
	v_pk_add_f32 v[2:3], v[2:3], v[18:19]
	v_mov_b32_e32 v7, v5
	s_waitcnt vmcnt(1) lgkmcnt(1)
	v_pk_mul_f32 v[4:5], v[10:11], v[202:203] op_sel:[1,1] op_sel_hi:[0,1]
	v_pk_add_f32 v[2:3], v[2:3], v[6:7]
	v_pk_fma_f32 v[6:7], v[10:11], v[202:203], v[4:5] neg_lo:[0,0,1] neg_hi:[0,0,1]
	v_pk_fma_f32 v[4:5], v[10:11], v[202:203], v[4:5] op_sel_hi:[1,0,1]
	s_nop 0
	v_mov_b32_e32 v4, v205
	v_mov_b32_e32 v7, v5
	v_pk_mul_f32 v[4:5], v[12:13], v[4:5] op_sel:[1,0] op_sel_hi:[0,0]
	v_pk_add_f32 v[2:3], v[2:3], v[6:7]
	v_pk_fma_f32 v[6:7], v[12:13], v[204:205], v[4:5] neg_lo:[0,0,1] neg_hi:[0,0,1]
	v_pk_fma_f32 v[4:5], v[12:13], v[204:205], v[4:5] op_sel_hi:[1,0,1]
	s_nop 0
	v_mov_b32_e32 v7, v5
	s_waitcnt vmcnt(0) lgkmcnt(0)
	v_pk_mul_f32 v[4:5], v[14:15], v[206:207] op_sel:[1,1] op_sel_hi:[0,1]
	v_pk_add_f32 v[2:3], v[2:3], v[6:7]
	v_pk_fma_f32 v[6:7], v[14:15], v[206:207], v[4:5] neg_lo:[0,0,1] neg_hi:[0,0,1]
	v_pk_fma_f32 v[4:5], v[14:15], v[206:207], v[4:5] op_sel_hi:[1,0,1]
	s_nop 0
	v_mov_b32_e32 v4, v209
	v_mov_b32_e32 v7, v5
	v_pk_mul_f32 v[4:5], v[16:17], v[4:5] op_sel:[1,0] op_sel_hi:[0,0]
	v_pk_add_f32 v[2:3], v[2:3], v[6:7]
	v_pk_fma_f32 v[6:7], v[16:17], v[208:209], v[4:5] neg_lo:[0,0,1] neg_hi:[0,0,1]
	v_pk_fma_f32 v[4:5], v[16:17], v[208:209], v[4:5] op_sel_hi:[1,0,1]
	s_nop 0
	v_mov_b32_e32 v7, v5
	scratch_load_dwordx2 v[4:5], off, off offset:48
	v_pk_add_f32 v[2:3], v[2:3], v[6:7]
	s_waitcnt vmcnt(0)
	v_pk_add_f32 v[2:3], v[4:5], v[2:3] neg_lo:[0,1] neg_hi:[0,1]
	scratch_store_dwordx2 off, v[2:3], off offset:48
	s_and_saveexec_b64 s[0:1], vcc
	s_cbranch_execz .LBB58_357
; %bb.356:
	scratch_load_dwordx2 v[2:3], off, off offset:40
	v_mov_b32_e32 v4, 0
	v_mov_b32_e32 v5, v4
	scratch_store_dwordx2 off, v[4:5], off offset:40
	s_waitcnt vmcnt(1)
	ds_write_b64 v1, v[2:3]
.LBB58_357:
	s_or_b64 exec, exec, s[0:1]
	v_mov_b32_e32 v162, 0
	s_waitcnt lgkmcnt(0)
	; wave barrier
	ds_read_b128 v[14:17], v162 offset:528
	ds_read_b128 v[10:13], v162 offset:544
	;; [unrolled: 1-line block ×4, first 2 shown]
	scratch_load_dwordx4 v[18:21], off, off offset:48
	scratch_load_dwordx4 v[38:41], off, off offset:112
	;; [unrolled: 1-line block ×17, first 2 shown]
	v_cmp_lt_u32_e32 vcc, 4, v0
	scratch_load_dwordx4 v[46:49], off, off offset:128
	scratch_load_dwordx4 v[54:57], off, off offset:144
	;; [unrolled: 1-line block ×3, first 2 shown]
	s_waitcnt vmcnt(19) lgkmcnt(3)
	v_mul_f32_e32 v22, v14, v19
	v_fmac_f32_e32 v22, v15, v18
	v_mul_f32_e32 v23, v16, v21
	v_add_f32_e32 v22, 0, v22
	v_fmac_f32_e32 v23, v17, v20
	v_add_f32_e32 v26, v22, v23
	scratch_load_dwordx4 v[22:25], off, off offset:64
	v_mul_f32_e32 v15, v15, v19
	v_fma_f32 v14, v14, v18, -v15
	v_mul_f32_e32 v15, v17, v21
	v_add_f32_e32 v14, 0, v14
	v_fma_f32 v15, v16, v20, -v15
	v_add_f32_e32 v14, v14, v15
	s_waitcnt vmcnt(4)
	v_mov_b32_e32 v18, v199
	s_waitcnt vmcnt(0) lgkmcnt(2)
	v_mul_f32_e32 v27, v10, v23
	v_fmac_f32_e32 v27, v11, v22
	v_add_f32_e32 v26, v26, v27
	v_mul_f32_e32 v27, v12, v25
	v_fmac_f32_e32 v27, v13, v24
	v_add_f32_e32 v30, v26, v27
	scratch_load_dwordx4 v[26:29], off, off offset:80
	v_mul_f32_e32 v11, v11, v23
	v_fma_f32 v10, v10, v22, -v11
	v_mul_f32_e32 v11, v13, v25
	v_add_f32_e32 v10, v14, v10
	v_fma_f32 v11, v12, v24, -v11
	v_add_f32_e32 v10, v10, v11
	s_waitcnt vmcnt(0) lgkmcnt(1)
	v_mul_f32_e32 v31, v6, v27
	v_fmac_f32_e32 v31, v7, v26
	v_add_f32_e32 v30, v30, v31
	v_mul_f32_e32 v31, v8, v29
	v_fmac_f32_e32 v31, v9, v28
	v_add_f32_e32 v34, v30, v31
	scratch_load_dwordx4 v[30:33], off, off offset:96
	v_mul_f32_e32 v7, v7, v27
	v_fma_f32 v6, v6, v26, -v7
	v_mul_f32_e32 v7, v9, v29
	v_add_f32_e32 v6, v10, v6
	v_fma_f32 v7, v8, v28, -v7
	v_add_f32_e32 v6, v6, v7
	s_waitcnt vmcnt(0) lgkmcnt(0)
	v_mul_f32_e32 v35, v2, v31
	v_fmac_f32_e32 v35, v3, v30
	v_add_f32_e32 v34, v34, v35
	v_mul_f32_e32 v35, v4, v33
	v_fmac_f32_e32 v35, v5, v32
	v_add_f32_e32 v42, v34, v35
	ds_read_b128 v[34:37], v162 offset:592
	v_mul_f32_e32 v3, v3, v31
	v_fma_f32 v2, v2, v30, -v3
	v_mul_f32_e32 v3, v5, v33
	v_add_f32_e32 v2, v6, v2
	s_waitcnt lgkmcnt(0)
	v_mul_f32_e32 v43, v34, v39
	v_fmac_f32_e32 v43, v35, v38
	v_add_f32_e32 v42, v42, v43
	v_mul_f32_e32 v43, v36, v41
	v_fmac_f32_e32 v43, v37, v40
	v_add_f32_e32 v50, v42, v43
	ds_read_b128 v[42:45], v162 offset:608
	v_fma_f32 v3, v4, v32, -v3
	v_add_f32_e32 v2, v2, v3
	v_mul_f32_e32 v3, v35, v39
	v_fma_f32 v3, v34, v38, -v3
	s_waitcnt lgkmcnt(0)
	v_mul_f32_e32 v51, v42, v47
	v_fmac_f32_e32 v51, v43, v46
	v_add_f32_e32 v50, v50, v51
	v_mul_f32_e32 v51, v44, v49
	v_fmac_f32_e32 v51, v45, v48
	v_add_f32_e32 v58, v50, v51
	ds_read_b128 v[50:53], v162 offset:624
	v_add_f32_e32 v2, v2, v3
	v_mul_f32_e32 v3, v37, v41
	v_fma_f32 v3, v36, v40, -v3
	v_add_f32_e32 v2, v2, v3
	s_waitcnt lgkmcnt(0)
	v_mul_f32_e32 v59, v50, v55
	v_fmac_f32_e32 v59, v51, v54
	v_add_f32_e32 v58, v58, v59
	v_mul_f32_e32 v59, v52, v57
	v_fmac_f32_e32 v59, v53, v56
	v_add_f32_e32 v66, v58, v59
	ds_read_b128 v[58:61], v162 offset:640
	v_mul_f32_e32 v3, v43, v47
	v_fma_f32 v3, v42, v46, -v3
	v_add_f32_e32 v2, v2, v3
	v_mul_f32_e32 v3, v45, v49
	s_waitcnt lgkmcnt(0)
	v_mul_f32_e32 v67, v58, v63
	v_fmac_f32_e32 v67, v59, v62
	v_add_f32_e32 v66, v66, v67
	v_mul_f32_e32 v67, v60, v65
	v_fmac_f32_e32 v67, v61, v64
	v_add_f32_e32 v74, v66, v67
	ds_read_b128 v[66:69], v162 offset:656
	v_fma_f32 v3, v44, v48, -v3
	v_add_f32_e32 v2, v2, v3
	v_mul_f32_e32 v3, v51, v55
	v_fma_f32 v3, v50, v54, -v3
	s_waitcnt lgkmcnt(0)
	v_mul_f32_e32 v75, v66, v71
	v_fmac_f32_e32 v75, v67, v70
	v_add_f32_e32 v74, v74, v75
	v_mul_f32_e32 v75, v68, v73
	v_fmac_f32_e32 v75, v69, v72
	v_add_f32_e32 v82, v74, v75
	ds_read_b128 v[74:77], v162 offset:672
	v_add_f32_e32 v2, v2, v3
	v_mul_f32_e32 v3, v53, v57
	v_fma_f32 v3, v52, v56, -v3
	v_add_f32_e32 v2, v2, v3
	s_waitcnt lgkmcnt(0)
	v_mul_f32_e32 v83, v74, v79
	v_fmac_f32_e32 v83, v75, v78
	v_add_f32_e32 v82, v82, v83
	v_mul_f32_e32 v83, v76, v81
	v_fmac_f32_e32 v83, v77, v80
	v_add_f32_e32 v90, v82, v83
	ds_read_b128 v[82:85], v162 offset:688
	v_mul_f32_e32 v3, v59, v63
	v_fma_f32 v3, v58, v62, -v3
	v_add_f32_e32 v2, v2, v3
	v_mul_f32_e32 v3, v61, v65
	;; [unrolled: 36-line block ×5, first 2 shown]
	s_waitcnt lgkmcnt(0)
	v_mul_f32_e32 v176, v168, v173
	v_fmac_f32_e32 v176, v169, v172
	v_add_f32_e32 v163, v163, v176
	v_mul_f32_e32 v176, v170, v175
	v_fmac_f32_e32 v176, v171, v174
	v_add_f32_e32 v163, v163, v176
	ds_read_b128 v[176:179], v162 offset:848
	v_fma_f32 v3, v108, v112, -v3
	v_add_f32_e32 v2, v2, v3
	v_mul_f32_e32 v3, v115, v119
	v_fma_f32 v3, v114, v118, -v3
	s_waitcnt lgkmcnt(0)
	v_mul_f32_e32 v184, v176, v181
	v_fmac_f32_e32 v184, v177, v180
	v_add_f32_e32 v163, v163, v184
	v_mul_f32_e32 v184, v178, v183
	v_fmac_f32_e32 v184, v179, v182
	v_add_f32_e32 v163, v163, v184
	ds_read_b128 v[184:187], v162 offset:864
	v_add_f32_e32 v2, v2, v3
	v_mul_f32_e32 v3, v117, v121
	v_fma_f32 v3, v116, v120, -v3
	v_add_f32_e32 v2, v2, v3
	s_waitcnt lgkmcnt(0)
	v_mul_f32_e32 v192, v184, v189
	v_fmac_f32_e32 v192, v185, v188
	v_add_f32_e32 v213, v163, v192
	ds_read_b128 v[192:195], v162 offset:880
	scratch_load_dwordx4 v[200:203], off, off offset:416
	scratch_load_dwordx4 v[204:207], off, off offset:432
	;; [unrolled: 1-line block ×3, first 2 shown]
	scratch_load_dwordx2 v[218:219], off, off offset:464
	v_mul_f32_e32 v3, v123, v127
	v_fma_f32 v3, v122, v126, -v3
	v_add_f32_e32 v2, v2, v3
	v_mul_f32_e32 v3, v125, v129
	v_fma_f32 v3, v124, v128, -v3
	v_add_f32_e32 v2, v2, v3
	;; [unrolled: 3-line block ×13, first 2 shown]
	v_mul_f32_e32 v2, v187, v191
	v_mul_f32_e32 v215, v186, v191
	v_fma_f32 v214, v186, v190, -v2
	s_waitcnt lgkmcnt(0)
	v_mul_f32_e32 v2, v193, v197
	v_fmac_f32_e32 v215, v187, v190
	v_mul_f32_e32 v217, v192, v197
	v_fma_f32 v216, v192, v196, -v2
	ds_read_b128 v[2:5], v162 offset:896
	ds_read_b128 v[6:9], v162 offset:912
	;; [unrolled: 1-line block ×3, first 2 shown]
	ds_read_b64 v[14:15], v162 offset:944
	v_pk_mul_f32 v[18:19], v[194:195], v[18:19] op_sel:[1,0] op_sel_hi:[0,0]
	v_fmac_f32_e32 v217, v193, v196
	v_pk_add_f32 v[16:17], v[212:213], v[214:215]
	v_pk_fma_f32 v[20:21], v[194:195], v[198:199], v[18:19] neg_lo:[0,0,1] neg_hi:[0,0,1]
	v_pk_fma_f32 v[18:19], v[194:195], v[198:199], v[18:19] op_sel_hi:[1,0,1]
	v_pk_add_f32 v[16:17], v[16:17], v[216:217]
	v_mov_b32_e32 v21, v19
	v_pk_add_f32 v[16:17], v[16:17], v[20:21]
	s_waitcnt vmcnt(3) lgkmcnt(3)
	v_pk_mul_f32 v[18:19], v[2:3], v[200:201] op_sel:[1,1] op_sel_hi:[0,1]
	v_pk_fma_f32 v[20:21], v[2:3], v[200:201], v[18:19] neg_lo:[0,0,1] neg_hi:[0,0,1]
	v_pk_fma_f32 v[2:3], v[2:3], v[200:201], v[18:19] op_sel_hi:[1,0,1]
	s_nop 0
	v_mov_b32_e32 v21, v3
	v_pk_add_f32 v[2:3], v[16:17], v[20:21]
	v_mov_b32_e32 v16, v203
	v_pk_mul_f32 v[16:17], v[4:5], v[16:17] op_sel:[1,0] op_sel_hi:[0,0]
	v_pk_fma_f32 v[18:19], v[4:5], v[202:203], v[16:17] neg_lo:[0,0,1] neg_hi:[0,0,1]
	v_pk_fma_f32 v[4:5], v[4:5], v[202:203], v[16:17] op_sel_hi:[1,0,1]
	s_nop 0
	v_mov_b32_e32 v19, v5
	s_waitcnt vmcnt(2) lgkmcnt(2)
	v_pk_mul_f32 v[4:5], v[6:7], v[204:205] op_sel:[1,1] op_sel_hi:[0,1]
	v_pk_fma_f32 v[16:17], v[6:7], v[204:205], v[4:5] neg_lo:[0,0,1] neg_hi:[0,0,1]
	v_pk_fma_f32 v[4:5], v[6:7], v[204:205], v[4:5] op_sel_hi:[1,0,1]
	v_pk_add_f32 v[2:3], v[2:3], v[18:19]
	v_mov_b32_e32 v4, v207
	v_mov_b32_e32 v17, v5
	v_pk_mul_f32 v[4:5], v[8:9], v[4:5] op_sel:[1,0] op_sel_hi:[0,0]
	v_pk_fma_f32 v[6:7], v[8:9], v[206:207], v[4:5] neg_lo:[0,0,1] neg_hi:[0,0,1]
	v_pk_fma_f32 v[4:5], v[8:9], v[206:207], v[4:5] op_sel_hi:[1,0,1]
	v_pk_add_f32 v[2:3], v[2:3], v[16:17]
	v_mov_b32_e32 v7, v5
	s_waitcnt vmcnt(1) lgkmcnt(1)
	v_pk_mul_f32 v[4:5], v[10:11], v[208:209] op_sel:[1,1] op_sel_hi:[0,1]
	v_pk_add_f32 v[2:3], v[2:3], v[6:7]
	v_pk_fma_f32 v[6:7], v[10:11], v[208:209], v[4:5] neg_lo:[0,0,1] neg_hi:[0,0,1]
	v_pk_fma_f32 v[4:5], v[10:11], v[208:209], v[4:5] op_sel_hi:[1,0,1]
	s_nop 0
	v_mov_b32_e32 v4, v211
	v_mov_b32_e32 v7, v5
	v_pk_mul_f32 v[4:5], v[12:13], v[4:5] op_sel:[1,0] op_sel_hi:[0,0]
	v_pk_add_f32 v[2:3], v[2:3], v[6:7]
	v_pk_fma_f32 v[6:7], v[12:13], v[210:211], v[4:5] neg_lo:[0,0,1] neg_hi:[0,0,1]
	v_pk_fma_f32 v[4:5], v[12:13], v[210:211], v[4:5] op_sel_hi:[1,0,1]
	s_nop 0
	v_mov_b32_e32 v7, v5
	s_waitcnt vmcnt(0) lgkmcnt(0)
	v_pk_mul_f32 v[4:5], v[14:15], v[218:219] op_sel:[1,1] op_sel_hi:[0,1]
	v_pk_add_f32 v[2:3], v[2:3], v[6:7]
	v_pk_fma_f32 v[6:7], v[14:15], v[218:219], v[4:5] neg_lo:[0,0,1] neg_hi:[0,0,1]
	v_pk_fma_f32 v[4:5], v[14:15], v[218:219], v[4:5] op_sel_hi:[1,0,1]
	s_nop 0
	v_mov_b32_e32 v7, v5
	scratch_load_dwordx2 v[4:5], off, off offset:40
	v_pk_add_f32 v[2:3], v[2:3], v[6:7]
	s_waitcnt vmcnt(0)
	v_pk_add_f32 v[2:3], v[4:5], v[2:3] neg_lo:[0,1] neg_hi:[0,1]
	scratch_store_dwordx2 off, v[2:3], off offset:40
	s_and_saveexec_b64 s[0:1], vcc
	s_cbranch_execz .LBB58_359
; %bb.358:
	scratch_load_dwordx2 v[2:3], off, off offset:32
	v_mov_b32_e32 v163, v162
	scratch_store_dwordx2 off, v[162:163], off offset:32
	s_waitcnt vmcnt(1)
	ds_write_b64 v1, v[2:3]
.LBB58_359:
	s_or_b64 exec, exec, s[0:1]
	s_waitcnt lgkmcnt(0)
	; wave barrier
	scratch_load_dwordx4 v[6:9], off, off offset:40
	scratch_load_dwordx4 v[14:17], off, off offset:56
	;; [unrolled: 1-line block ×10, first 2 shown]
	ds_read2_b64 v[2:5], v162 offset0:65 offset1:66
	scratch_load_dwordx4 v[86:89], off, off offset:200
	scratch_load_dwordx4 v[94:97], off, off offset:216
	scratch_load_dwordx4 v[102:105], off, off offset:232
	scratch_load_dwordx4 v[110:113], off, off offset:248
	scratch_load_dwordx4 v[118:121], off, off offset:264
	scratch_load_dwordx4 v[126:129], off, off offset:280
	scratch_load_dwordx4 v[134:137], off, off offset:296
	scratch_load_dwordx4 v[142:145], off, off offset:312
	scratch_load_dwordx4 v[164:167], off, off offset:328
	scratch_load_dwordx4 v[172:175], off, off offset:344
	scratch_load_dwordx4 v[180:183], off, off offset:360
	scratch_load_dwordx4 v[188:191], off, off offset:376
	scratch_load_dwordx4 v[196:199], off, off offset:392
	v_cmp_lt_u32_e32 vcc, 3, v0
	s_waitcnt vmcnt(22) lgkmcnt(0)
	v_mul_f32_e32 v10, v2, v7
	v_fmac_f32_e32 v10, v3, v6
	v_mul_f32_e32 v11, v4, v9
	v_add_f32_e32 v10, 0, v10
	v_fmac_f32_e32 v11, v5, v8
	v_add_f32_e32 v18, v10, v11
	ds_read2_b64 v[10:13], v162 offset0:67 offset1:68
	v_mul_f32_e32 v3, v3, v7
	v_fma_f32 v2, v2, v6, -v3
	v_mul_f32_e32 v3, v5, v9
	v_add_f32_e32 v2, 0, v2
	s_waitcnt vmcnt(21) lgkmcnt(0)
	v_mul_f32_e32 v19, v10, v15
	v_fmac_f32_e32 v19, v11, v14
	v_add_f32_e32 v18, v18, v19
	v_mul_f32_e32 v19, v12, v17
	v_fmac_f32_e32 v19, v13, v16
	v_add_f32_e32 v26, v18, v19
	ds_read2_b64 v[18:21], v162 offset0:69 offset1:70
	v_fma_f32 v3, v4, v8, -v3
	v_add_f32_e32 v2, v2, v3
	v_mul_f32_e32 v3, v11, v15
	v_fma_f32 v3, v10, v14, -v3
	s_waitcnt vmcnt(20) lgkmcnt(0)
	v_mul_f32_e32 v27, v18, v23
	v_fmac_f32_e32 v27, v19, v22
	v_add_f32_e32 v26, v26, v27
	v_mul_f32_e32 v27, v20, v25
	v_fmac_f32_e32 v27, v21, v24
	v_add_f32_e32 v34, v26, v27
	ds_read2_b64 v[26:29], v162 offset0:71 offset1:72
	v_add_f32_e32 v2, v2, v3
	v_mul_f32_e32 v3, v13, v17
	v_fma_f32 v3, v12, v16, -v3
	v_add_f32_e32 v2, v2, v3
	s_waitcnt vmcnt(19) lgkmcnt(0)
	v_mul_f32_e32 v35, v26, v31
	v_fmac_f32_e32 v35, v27, v30
	v_add_f32_e32 v34, v34, v35
	v_mul_f32_e32 v35, v28, v33
	v_fmac_f32_e32 v35, v29, v32
	v_add_f32_e32 v42, v34, v35
	ds_read2_b64 v[34:37], v162 offset0:73 offset1:74
	v_mul_f32_e32 v3, v19, v23
	v_fma_f32 v3, v18, v22, -v3
	v_add_f32_e32 v2, v2, v3
	v_mul_f32_e32 v3, v21, v25
	s_waitcnt vmcnt(18) lgkmcnt(0)
	v_mul_f32_e32 v43, v34, v39
	v_fmac_f32_e32 v43, v35, v38
	v_add_f32_e32 v42, v42, v43
	v_mul_f32_e32 v43, v36, v41
	v_fmac_f32_e32 v43, v37, v40
	v_add_f32_e32 v50, v42, v43
	ds_read2_b64 v[42:45], v162 offset0:75 offset1:76
	v_fma_f32 v3, v20, v24, -v3
	v_add_f32_e32 v2, v2, v3
	v_mul_f32_e32 v3, v27, v31
	v_fma_f32 v3, v26, v30, -v3
	s_waitcnt vmcnt(17) lgkmcnt(0)
	v_mul_f32_e32 v51, v42, v47
	v_fmac_f32_e32 v51, v43, v46
	v_add_f32_e32 v50, v50, v51
	v_mul_f32_e32 v51, v44, v49
	v_fmac_f32_e32 v51, v45, v48
	v_add_f32_e32 v58, v50, v51
	ds_read2_b64 v[50:53], v162 offset0:77 offset1:78
	v_add_f32_e32 v2, v2, v3
	v_mul_f32_e32 v3, v29, v33
	v_fma_f32 v3, v28, v32, -v3
	v_add_f32_e32 v2, v2, v3
	s_waitcnt vmcnt(16) lgkmcnt(0)
	v_mul_f32_e32 v59, v50, v55
	v_fmac_f32_e32 v59, v51, v54
	v_add_f32_e32 v58, v58, v59
	v_mul_f32_e32 v59, v52, v57
	v_fmac_f32_e32 v59, v53, v56
	v_add_f32_e32 v66, v58, v59
	ds_read2_b64 v[58:61], v162 offset0:79 offset1:80
	v_mul_f32_e32 v3, v35, v39
	v_fma_f32 v3, v34, v38, -v3
	v_add_f32_e32 v2, v2, v3
	v_mul_f32_e32 v3, v37, v41
	s_waitcnt vmcnt(15) lgkmcnt(0)
	v_mul_f32_e32 v67, v58, v63
	v_fmac_f32_e32 v67, v59, v62
	v_add_f32_e32 v66, v66, v67
	v_mul_f32_e32 v67, v60, v65
	v_fmac_f32_e32 v67, v61, v64
	v_add_f32_e32 v74, v66, v67
	ds_read2_b64 v[66:69], v162 offset0:81 offset1:82
	v_fma_f32 v3, v36, v40, -v3
	v_add_f32_e32 v2, v2, v3
	v_mul_f32_e32 v3, v43, v47
	v_fma_f32 v3, v42, v46, -v3
	s_waitcnt vmcnt(14) lgkmcnt(0)
	v_mul_f32_e32 v75, v66, v71
	v_fmac_f32_e32 v75, v67, v70
	v_add_f32_e32 v74, v74, v75
	v_mul_f32_e32 v75, v68, v73
	v_fmac_f32_e32 v75, v69, v72
	v_add_f32_e32 v82, v74, v75
	ds_read2_b64 v[74:77], v162 offset0:83 offset1:84
	v_add_f32_e32 v2, v2, v3
	v_mul_f32_e32 v3, v45, v49
	v_fma_f32 v3, v44, v48, -v3
	v_add_f32_e32 v2, v2, v3
	s_waitcnt vmcnt(13) lgkmcnt(0)
	v_mul_f32_e32 v83, v74, v79
	v_fmac_f32_e32 v83, v75, v78
	v_add_f32_e32 v82, v82, v83
	v_mul_f32_e32 v83, v76, v81
	v_fmac_f32_e32 v83, v77, v80
	v_add_f32_e32 v90, v82, v83
	ds_read2_b64 v[82:85], v162 offset0:85 offset1:86
	v_mul_f32_e32 v3, v51, v55
	v_fma_f32 v3, v50, v54, -v3
	v_add_f32_e32 v2, v2, v3
	v_mul_f32_e32 v3, v53, v57
	s_waitcnt vmcnt(12) lgkmcnt(0)
	v_mul_f32_e32 v91, v82, v87
	v_fmac_f32_e32 v91, v83, v86
	v_add_f32_e32 v90, v90, v91
	v_mul_f32_e32 v91, v84, v89
	v_fmac_f32_e32 v91, v85, v88
	v_add_f32_e32 v98, v90, v91
	ds_read2_b64 v[90:93], v162 offset0:87 offset1:88
	v_fma_f32 v3, v52, v56, -v3
	v_add_f32_e32 v2, v2, v3
	v_mul_f32_e32 v3, v59, v63
	v_fma_f32 v3, v58, v62, -v3
	s_waitcnt vmcnt(11) lgkmcnt(0)
	v_mul_f32_e32 v99, v90, v95
	v_fmac_f32_e32 v99, v91, v94
	v_add_f32_e32 v98, v98, v99
	v_mul_f32_e32 v99, v92, v97
	v_fmac_f32_e32 v99, v93, v96
	v_add_f32_e32 v106, v98, v99
	ds_read2_b64 v[98:101], v162 offset0:89 offset1:90
	v_add_f32_e32 v2, v2, v3
	v_mul_f32_e32 v3, v61, v65
	v_fma_f32 v3, v60, v64, -v3
	v_add_f32_e32 v2, v2, v3
	s_waitcnt vmcnt(10) lgkmcnt(0)
	v_mul_f32_e32 v107, v98, v103
	v_fmac_f32_e32 v107, v99, v102
	v_add_f32_e32 v106, v106, v107
	v_mul_f32_e32 v107, v100, v105
	v_fmac_f32_e32 v107, v101, v104
	v_add_f32_e32 v114, v106, v107
	ds_read2_b64 v[106:109], v162 offset0:91 offset1:92
	v_mul_f32_e32 v3, v67, v71
	v_fma_f32 v3, v66, v70, -v3
	v_add_f32_e32 v2, v2, v3
	v_mul_f32_e32 v3, v69, v73
	s_waitcnt vmcnt(9) lgkmcnt(0)
	v_mul_f32_e32 v115, v106, v111
	v_fmac_f32_e32 v115, v107, v110
	v_add_f32_e32 v114, v114, v115
	v_mul_f32_e32 v115, v108, v113
	v_fmac_f32_e32 v115, v109, v112
	v_add_f32_e32 v122, v114, v115
	ds_read2_b64 v[114:117], v162 offset0:93 offset1:94
	v_fma_f32 v3, v68, v72, -v3
	v_add_f32_e32 v2, v2, v3
	v_mul_f32_e32 v3, v75, v79
	v_fma_f32 v3, v74, v78, -v3
	s_waitcnt vmcnt(8) lgkmcnt(0)
	v_mul_f32_e32 v123, v114, v119
	v_fmac_f32_e32 v123, v115, v118
	v_add_f32_e32 v122, v122, v123
	v_mul_f32_e32 v123, v116, v121
	v_fmac_f32_e32 v123, v117, v120
	v_add_f32_e32 v130, v122, v123
	ds_read2_b64 v[122:125], v162 offset0:95 offset1:96
	v_add_f32_e32 v2, v2, v3
	v_mul_f32_e32 v3, v77, v81
	v_fma_f32 v3, v76, v80, -v3
	v_add_f32_e32 v2, v2, v3
	s_waitcnt vmcnt(7) lgkmcnt(0)
	v_mul_f32_e32 v131, v122, v127
	v_fmac_f32_e32 v131, v123, v126
	v_add_f32_e32 v130, v130, v131
	v_mul_f32_e32 v131, v124, v129
	v_fmac_f32_e32 v131, v125, v128
	v_add_f32_e32 v138, v130, v131
	ds_read2_b64 v[130:133], v162 offset0:97 offset1:98
	v_mul_f32_e32 v3, v83, v87
	v_fma_f32 v3, v82, v86, -v3
	v_add_f32_e32 v2, v2, v3
	v_mul_f32_e32 v3, v85, v89
	s_waitcnt vmcnt(6) lgkmcnt(0)
	v_mul_f32_e32 v139, v130, v135
	v_fmac_f32_e32 v139, v131, v134
	v_add_f32_e32 v138, v138, v139
	v_mul_f32_e32 v139, v132, v137
	v_fmac_f32_e32 v139, v133, v136
	v_add_f32_e32 v146, v138, v139
	ds_read2_b64 v[138:141], v162 offset0:99 offset1:100
	v_fma_f32 v3, v84, v88, -v3
	v_add_f32_e32 v2, v2, v3
	v_mul_f32_e32 v3, v91, v95
	v_fma_f32 v3, v90, v94, -v3
	s_waitcnt vmcnt(5) lgkmcnt(0)
	v_mul_f32_e32 v147, v138, v143
	v_fmac_f32_e32 v147, v139, v142
	v_add_f32_e32 v146, v146, v147
	v_mul_f32_e32 v147, v140, v145
	v_fmac_f32_e32 v147, v141, v144
	v_add_f32_e32 v163, v146, v147
	ds_read2_b64 v[146:149], v162 offset0:101 offset1:102
	v_add_f32_e32 v2, v2, v3
	v_mul_f32_e32 v3, v93, v97
	v_fma_f32 v3, v92, v96, -v3
	v_add_f32_e32 v2, v2, v3
	s_waitcnt vmcnt(4) lgkmcnt(0)
	v_mul_f32_e32 v168, v146, v165
	v_fmac_f32_e32 v168, v147, v164
	v_add_f32_e32 v163, v163, v168
	v_mul_f32_e32 v168, v148, v167
	v_fmac_f32_e32 v168, v149, v166
	v_add_f32_e32 v163, v163, v168
	ds_read2_b64 v[168:171], v162 offset0:103 offset1:104
	v_mul_f32_e32 v3, v99, v103
	v_fma_f32 v3, v98, v102, -v3
	v_add_f32_e32 v2, v2, v3
	v_mul_f32_e32 v3, v101, v105
	s_waitcnt vmcnt(3) lgkmcnt(0)
	v_mul_f32_e32 v176, v168, v173
	v_fmac_f32_e32 v176, v169, v172
	v_add_f32_e32 v163, v163, v176
	v_mul_f32_e32 v176, v170, v175
	v_fmac_f32_e32 v176, v171, v174
	v_add_f32_e32 v163, v163, v176
	ds_read2_b64 v[176:179], v162 offset0:105 offset1:106
	v_fma_f32 v3, v100, v104, -v3
	v_add_f32_e32 v2, v2, v3
	v_mul_f32_e32 v3, v107, v111
	v_fma_f32 v3, v106, v110, -v3
	s_waitcnt vmcnt(2) lgkmcnt(0)
	v_mul_f32_e32 v184, v176, v181
	v_fmac_f32_e32 v184, v177, v180
	v_add_f32_e32 v163, v163, v184
	v_mul_f32_e32 v184, v178, v183
	v_fmac_f32_e32 v184, v179, v182
	v_add_f32_e32 v163, v163, v184
	ds_read2_b64 v[184:187], v162 offset0:107 offset1:108
	v_add_f32_e32 v2, v2, v3
	v_mul_f32_e32 v3, v109, v113
	v_fma_f32 v3, v108, v112, -v3
	v_add_f32_e32 v2, v2, v3
	s_waitcnt vmcnt(1) lgkmcnt(0)
	v_mul_f32_e32 v192, v184, v189
	v_fmac_f32_e32 v192, v185, v188
	v_add_f32_e32 v163, v163, v192
	v_mul_f32_e32 v192, v186, v191
	v_fmac_f32_e32 v192, v187, v190
	v_add_f32_e32 v217, v163, v192
	ds_read2_b64 v[192:195], v162 offset0:109 offset1:110
	scratch_load_dwordx4 v[200:203], off, off offset:408
	scratch_load_dwordx4 v[204:207], off, off offset:424
	;; [unrolled: 1-line block ×4, first 2 shown]
	v_mul_f32_e32 v3, v115, v119
	v_fma_f32 v3, v114, v118, -v3
	v_add_f32_e32 v2, v2, v3
	v_mul_f32_e32 v3, v117, v121
	v_fma_f32 v3, v116, v120, -v3
	v_add_f32_e32 v2, v2, v3
	;; [unrolled: 3-line block ×16, first 2 shown]
	s_waitcnt vmcnt(4) lgkmcnt(0)
	v_mul_f32_e32 v2, v193, v197
	v_fma_f32 v218, v192, v196, -v2
	v_mul_f32_e32 v2, v195, v199
	v_fma_f32 v220, v194, v198, -v2
	ds_read2_b64 v[2:5], v162 offset0:111 offset1:112
	ds_read2_b64 v[6:9], v162 offset0:113 offset1:114
	ds_read2_b64 v[10:13], v162 offset0:115 offset1:116
	ds_read2_b64 v[14:17], v162 offset0:117 offset1:118
	v_mul_f32_e32 v219, v192, v197
	v_fmac_f32_e32 v219, v193, v196
	v_mul_f32_e32 v221, v194, v199
	v_fmac_f32_e32 v221, v195, v198
	v_pk_add_f32 v[18:19], v[216:217], v[218:219]
	s_waitcnt vmcnt(3) lgkmcnt(3)
	v_pk_mul_f32 v[20:21], v[2:3], v[200:201] op_sel:[1,1] op_sel_hi:[0,1]
	v_pk_fma_f32 v[22:23], v[2:3], v[200:201], v[20:21] neg_lo:[0,0,1] neg_hi:[0,0,1]
	v_pk_fma_f32 v[2:3], v[2:3], v[200:201], v[20:21] op_sel_hi:[1,0,1]
	v_pk_add_f32 v[18:19], v[18:19], v[220:221]
	v_mov_b32_e32 v23, v3
	v_pk_add_f32 v[2:3], v[18:19], v[22:23]
	v_mov_b32_e32 v18, v203
	v_pk_mul_f32 v[18:19], v[4:5], v[18:19] op_sel:[1,0] op_sel_hi:[0,0]
	v_pk_fma_f32 v[20:21], v[4:5], v[202:203], v[18:19] neg_lo:[0,0,1] neg_hi:[0,0,1]
	v_pk_fma_f32 v[4:5], v[4:5], v[202:203], v[18:19] op_sel_hi:[1,0,1]
	s_nop 0
	v_mov_b32_e32 v21, v5
	s_waitcnt vmcnt(2) lgkmcnt(2)
	v_pk_mul_f32 v[4:5], v[6:7], v[204:205] op_sel:[1,1] op_sel_hi:[0,1]
	v_pk_fma_f32 v[18:19], v[6:7], v[204:205], v[4:5] neg_lo:[0,0,1] neg_hi:[0,0,1]
	v_pk_fma_f32 v[4:5], v[6:7], v[204:205], v[4:5] op_sel_hi:[1,0,1]
	v_pk_add_f32 v[2:3], v[2:3], v[20:21]
	v_mov_b32_e32 v4, v207
	v_mov_b32_e32 v19, v5
	v_pk_mul_f32 v[4:5], v[8:9], v[4:5] op_sel:[1,0] op_sel_hi:[0,0]
	v_pk_fma_f32 v[6:7], v[8:9], v[206:207], v[4:5] neg_lo:[0,0,1] neg_hi:[0,0,1]
	v_pk_fma_f32 v[4:5], v[8:9], v[206:207], v[4:5] op_sel_hi:[1,0,1]
	v_pk_add_f32 v[2:3], v[2:3], v[18:19]
	v_mov_b32_e32 v7, v5
	s_waitcnt vmcnt(1) lgkmcnt(1)
	v_pk_mul_f32 v[4:5], v[10:11], v[208:209] op_sel:[1,1] op_sel_hi:[0,1]
	v_pk_add_f32 v[2:3], v[2:3], v[6:7]
	v_pk_fma_f32 v[6:7], v[10:11], v[208:209], v[4:5] neg_lo:[0,0,1] neg_hi:[0,0,1]
	v_pk_fma_f32 v[4:5], v[10:11], v[208:209], v[4:5] op_sel_hi:[1,0,1]
	s_nop 0
	v_mov_b32_e32 v4, v211
	v_mov_b32_e32 v7, v5
	v_pk_mul_f32 v[4:5], v[12:13], v[4:5] op_sel:[1,0] op_sel_hi:[0,0]
	v_pk_add_f32 v[2:3], v[2:3], v[6:7]
	v_pk_fma_f32 v[6:7], v[12:13], v[210:211], v[4:5] neg_lo:[0,0,1] neg_hi:[0,0,1]
	v_pk_fma_f32 v[4:5], v[12:13], v[210:211], v[4:5] op_sel_hi:[1,0,1]
	s_nop 0
	v_mov_b32_e32 v7, v5
	s_waitcnt vmcnt(0) lgkmcnt(0)
	v_pk_mul_f32 v[4:5], v[14:15], v[212:213] op_sel:[1,1] op_sel_hi:[0,1]
	v_pk_add_f32 v[2:3], v[2:3], v[6:7]
	v_pk_fma_f32 v[6:7], v[14:15], v[212:213], v[4:5] neg_lo:[0,0,1] neg_hi:[0,0,1]
	v_pk_fma_f32 v[4:5], v[14:15], v[212:213], v[4:5] op_sel_hi:[1,0,1]
	s_nop 0
	v_mov_b32_e32 v4, v215
	v_mov_b32_e32 v7, v5
	v_pk_mul_f32 v[4:5], v[16:17], v[4:5] op_sel:[1,0] op_sel_hi:[0,0]
	v_pk_add_f32 v[2:3], v[2:3], v[6:7]
	v_pk_fma_f32 v[6:7], v[16:17], v[214:215], v[4:5] neg_lo:[0,0,1] neg_hi:[0,0,1]
	v_pk_fma_f32 v[4:5], v[16:17], v[214:215], v[4:5] op_sel_hi:[1,0,1]
	s_nop 0
	v_mov_b32_e32 v7, v5
	scratch_load_dwordx2 v[4:5], off, off offset:32
	v_pk_add_f32 v[2:3], v[2:3], v[6:7]
	s_waitcnt vmcnt(0)
	v_pk_add_f32 v[2:3], v[4:5], v[2:3] neg_lo:[0,1] neg_hi:[0,1]
	scratch_store_dwordx2 off, v[2:3], off offset:32
	s_and_saveexec_b64 s[0:1], vcc
	s_cbranch_execz .LBB58_361
; %bb.360:
	scratch_load_dwordx2 v[2:3], off, off offset:24
	v_mov_b32_e32 v4, 0
	v_mov_b32_e32 v5, v4
	scratch_store_dwordx2 off, v[4:5], off offset:24
	s_waitcnt vmcnt(1)
	ds_write_b64 v1, v[2:3]
.LBB58_361:
	s_or_b64 exec, exec, s[0:1]
	v_mov_b32_e32 v162, 0
	s_waitcnt lgkmcnt(0)
	; wave barrier
	ds_read_b128 v[14:17], v162 offset:512
	ds_read_b128 v[10:13], v162 offset:528
	;; [unrolled: 1-line block ×4, first 2 shown]
	scratch_load_dwordx4 v[18:21], off, off offset:32
	scratch_load_dwordx4 v[38:41], off, off offset:96
	;; [unrolled: 1-line block ×18, first 2 shown]
	v_cmp_lt_u32_e32 vcc, 2, v0
	scratch_load_dwordx4 v[46:49], off, off offset:112
	scratch_load_dwordx4 v[54:57], off, off offset:128
	;; [unrolled: 1-line block ×3, first 2 shown]
	s_waitcnt vmcnt(20) lgkmcnt(3)
	v_mul_f32_e32 v22, v14, v19
	v_fmac_f32_e32 v22, v15, v18
	v_mul_f32_e32 v23, v16, v21
	v_add_f32_e32 v22, 0, v22
	v_fmac_f32_e32 v23, v17, v20
	v_add_f32_e32 v26, v22, v23
	scratch_load_dwordx4 v[22:25], off, off offset:48
	v_mul_f32_e32 v15, v15, v19
	v_fma_f32 v14, v14, v18, -v15
	v_mul_f32_e32 v15, v17, v21
	v_add_f32_e32 v14, 0, v14
	v_fma_f32 v15, v16, v20, -v15
	v_add_f32_e32 v14, v14, v15
	s_waitcnt vmcnt(4)
	v_mov_b32_e32 v18, v207
	s_waitcnt vmcnt(0) lgkmcnt(2)
	v_mul_f32_e32 v27, v10, v23
	v_fmac_f32_e32 v27, v11, v22
	v_add_f32_e32 v26, v26, v27
	v_mul_f32_e32 v27, v12, v25
	v_fmac_f32_e32 v27, v13, v24
	v_add_f32_e32 v30, v26, v27
	scratch_load_dwordx4 v[26:29], off, off offset:64
	v_mul_f32_e32 v11, v11, v23
	v_fma_f32 v10, v10, v22, -v11
	v_mul_f32_e32 v11, v13, v25
	v_add_f32_e32 v10, v14, v10
	v_fma_f32 v11, v12, v24, -v11
	v_add_f32_e32 v10, v10, v11
	s_waitcnt vmcnt(0) lgkmcnt(1)
	v_mul_f32_e32 v31, v6, v27
	v_fmac_f32_e32 v31, v7, v26
	v_add_f32_e32 v30, v30, v31
	v_mul_f32_e32 v31, v8, v29
	v_fmac_f32_e32 v31, v9, v28
	v_add_f32_e32 v34, v30, v31
	scratch_load_dwordx4 v[30:33], off, off offset:80
	v_mul_f32_e32 v7, v7, v27
	v_fma_f32 v6, v6, v26, -v7
	v_mul_f32_e32 v7, v9, v29
	v_add_f32_e32 v6, v10, v6
	v_fma_f32 v7, v8, v28, -v7
	v_add_f32_e32 v6, v6, v7
	s_waitcnt vmcnt(0) lgkmcnt(0)
	v_mul_f32_e32 v35, v2, v31
	v_fmac_f32_e32 v35, v3, v30
	v_add_f32_e32 v34, v34, v35
	v_mul_f32_e32 v35, v4, v33
	v_fmac_f32_e32 v35, v5, v32
	v_add_f32_e32 v42, v34, v35
	ds_read_b128 v[34:37], v162 offset:576
	v_mul_f32_e32 v3, v3, v31
	v_fma_f32 v2, v2, v30, -v3
	v_mul_f32_e32 v3, v5, v33
	v_add_f32_e32 v2, v6, v2
	s_waitcnt lgkmcnt(0)
	v_mul_f32_e32 v43, v34, v39
	v_fmac_f32_e32 v43, v35, v38
	v_add_f32_e32 v42, v42, v43
	v_mul_f32_e32 v43, v36, v41
	v_fmac_f32_e32 v43, v37, v40
	v_add_f32_e32 v50, v42, v43
	ds_read_b128 v[42:45], v162 offset:592
	v_fma_f32 v3, v4, v32, -v3
	v_add_f32_e32 v2, v2, v3
	v_mul_f32_e32 v3, v35, v39
	v_fma_f32 v3, v34, v38, -v3
	s_waitcnt lgkmcnt(0)
	v_mul_f32_e32 v51, v42, v47
	v_fmac_f32_e32 v51, v43, v46
	v_add_f32_e32 v50, v50, v51
	v_mul_f32_e32 v51, v44, v49
	v_fmac_f32_e32 v51, v45, v48
	v_add_f32_e32 v58, v50, v51
	ds_read_b128 v[50:53], v162 offset:608
	v_add_f32_e32 v2, v2, v3
	v_mul_f32_e32 v3, v37, v41
	v_fma_f32 v3, v36, v40, -v3
	v_add_f32_e32 v2, v2, v3
	s_waitcnt lgkmcnt(0)
	v_mul_f32_e32 v59, v50, v55
	v_fmac_f32_e32 v59, v51, v54
	v_add_f32_e32 v58, v58, v59
	v_mul_f32_e32 v59, v52, v57
	v_fmac_f32_e32 v59, v53, v56
	v_add_f32_e32 v66, v58, v59
	ds_read_b128 v[58:61], v162 offset:624
	v_mul_f32_e32 v3, v43, v47
	v_fma_f32 v3, v42, v46, -v3
	v_add_f32_e32 v2, v2, v3
	v_mul_f32_e32 v3, v45, v49
	s_waitcnt lgkmcnt(0)
	v_mul_f32_e32 v67, v58, v63
	v_fmac_f32_e32 v67, v59, v62
	v_add_f32_e32 v66, v66, v67
	v_mul_f32_e32 v67, v60, v65
	v_fmac_f32_e32 v67, v61, v64
	v_add_f32_e32 v74, v66, v67
	ds_read_b128 v[66:69], v162 offset:640
	v_fma_f32 v3, v44, v48, -v3
	v_add_f32_e32 v2, v2, v3
	v_mul_f32_e32 v3, v51, v55
	v_fma_f32 v3, v50, v54, -v3
	s_waitcnt lgkmcnt(0)
	v_mul_f32_e32 v75, v66, v71
	v_fmac_f32_e32 v75, v67, v70
	v_add_f32_e32 v74, v74, v75
	v_mul_f32_e32 v75, v68, v73
	v_fmac_f32_e32 v75, v69, v72
	v_add_f32_e32 v82, v74, v75
	ds_read_b128 v[74:77], v162 offset:656
	v_add_f32_e32 v2, v2, v3
	v_mul_f32_e32 v3, v53, v57
	v_fma_f32 v3, v52, v56, -v3
	v_add_f32_e32 v2, v2, v3
	s_waitcnt lgkmcnt(0)
	v_mul_f32_e32 v83, v74, v79
	v_fmac_f32_e32 v83, v75, v78
	v_add_f32_e32 v82, v82, v83
	v_mul_f32_e32 v83, v76, v81
	v_fmac_f32_e32 v83, v77, v80
	v_add_f32_e32 v90, v82, v83
	ds_read_b128 v[82:85], v162 offset:672
	v_mul_f32_e32 v3, v59, v63
	v_fma_f32 v3, v58, v62, -v3
	v_add_f32_e32 v2, v2, v3
	v_mul_f32_e32 v3, v61, v65
	;; [unrolled: 36-line block ×6, first 2 shown]
	s_waitcnt lgkmcnt(0)
	v_mul_f32_e32 v200, v192, v197
	v_fmac_f32_e32 v200, v193, v196
	v_add_f32_e32 v221, v163, v200
	ds_read_b128 v[200:203], v162 offset:880
	scratch_load_dwordx4 v[208:211], off, off offset:416
	scratch_load_dwordx4 v[212:215], off, off offset:432
	scratch_load_dwordx4 v[216:219], off, off offset:448
	scratch_load_dwordx2 v[226:227], off, off offset:464
	v_fma_f32 v3, v124, v128, -v3
	v_add_f32_e32 v2, v2, v3
	v_mul_f32_e32 v3, v131, v135
	v_fma_f32 v3, v130, v134, -v3
	v_add_f32_e32 v2, v2, v3
	v_mul_f32_e32 v3, v133, v137
	;; [unrolled: 3-line block ×14, first 2 shown]
	v_mul_f32_e32 v223, v194, v199
	v_fma_f32 v222, v194, v198, -v2
	s_waitcnt lgkmcnt(0)
	v_mul_f32_e32 v2, v201, v205
	v_fmac_f32_e32 v223, v195, v198
	v_mul_f32_e32 v225, v200, v205
	v_fma_f32 v224, v200, v204, -v2
	ds_read_b128 v[2:5], v162 offset:896
	ds_read_b128 v[6:9], v162 offset:912
	;; [unrolled: 1-line block ×3, first 2 shown]
	ds_read_b64 v[14:15], v162 offset:944
	v_pk_mul_f32 v[18:19], v[202:203], v[18:19] op_sel:[1,0] op_sel_hi:[0,0]
	v_fmac_f32_e32 v225, v201, v204
	v_pk_add_f32 v[16:17], v[220:221], v[222:223]
	v_pk_fma_f32 v[20:21], v[202:203], v[206:207], v[18:19] neg_lo:[0,0,1] neg_hi:[0,0,1]
	v_pk_fma_f32 v[18:19], v[202:203], v[206:207], v[18:19] op_sel_hi:[1,0,1]
	v_pk_add_f32 v[16:17], v[16:17], v[224:225]
	v_mov_b32_e32 v21, v19
	v_pk_add_f32 v[16:17], v[16:17], v[20:21]
	s_waitcnt vmcnt(3) lgkmcnt(3)
	v_pk_mul_f32 v[18:19], v[2:3], v[208:209] op_sel:[1,1] op_sel_hi:[0,1]
	v_pk_fma_f32 v[20:21], v[2:3], v[208:209], v[18:19] neg_lo:[0,0,1] neg_hi:[0,0,1]
	v_pk_fma_f32 v[2:3], v[2:3], v[208:209], v[18:19] op_sel_hi:[1,0,1]
	s_nop 0
	v_mov_b32_e32 v21, v3
	v_pk_add_f32 v[2:3], v[16:17], v[20:21]
	v_mov_b32_e32 v16, v211
	v_pk_mul_f32 v[16:17], v[4:5], v[16:17] op_sel:[1,0] op_sel_hi:[0,0]
	v_pk_fma_f32 v[18:19], v[4:5], v[210:211], v[16:17] neg_lo:[0,0,1] neg_hi:[0,0,1]
	v_pk_fma_f32 v[4:5], v[4:5], v[210:211], v[16:17] op_sel_hi:[1,0,1]
	s_nop 0
	v_mov_b32_e32 v19, v5
	s_waitcnt vmcnt(2) lgkmcnt(2)
	v_pk_mul_f32 v[4:5], v[6:7], v[212:213] op_sel:[1,1] op_sel_hi:[0,1]
	v_pk_fma_f32 v[16:17], v[6:7], v[212:213], v[4:5] neg_lo:[0,0,1] neg_hi:[0,0,1]
	v_pk_fma_f32 v[4:5], v[6:7], v[212:213], v[4:5] op_sel_hi:[1,0,1]
	v_pk_add_f32 v[2:3], v[2:3], v[18:19]
	v_mov_b32_e32 v4, v215
	v_mov_b32_e32 v17, v5
	v_pk_mul_f32 v[4:5], v[8:9], v[4:5] op_sel:[1,0] op_sel_hi:[0,0]
	v_pk_fma_f32 v[6:7], v[8:9], v[214:215], v[4:5] neg_lo:[0,0,1] neg_hi:[0,0,1]
	v_pk_fma_f32 v[4:5], v[8:9], v[214:215], v[4:5] op_sel_hi:[1,0,1]
	v_pk_add_f32 v[2:3], v[2:3], v[16:17]
	v_mov_b32_e32 v7, v5
	s_waitcnt vmcnt(1) lgkmcnt(1)
	v_pk_mul_f32 v[4:5], v[10:11], v[216:217] op_sel:[1,1] op_sel_hi:[0,1]
	v_pk_add_f32 v[2:3], v[2:3], v[6:7]
	v_pk_fma_f32 v[6:7], v[10:11], v[216:217], v[4:5] neg_lo:[0,0,1] neg_hi:[0,0,1]
	v_pk_fma_f32 v[4:5], v[10:11], v[216:217], v[4:5] op_sel_hi:[1,0,1]
	s_nop 0
	v_mov_b32_e32 v4, v219
	v_mov_b32_e32 v7, v5
	v_pk_mul_f32 v[4:5], v[12:13], v[4:5] op_sel:[1,0] op_sel_hi:[0,0]
	v_pk_add_f32 v[2:3], v[2:3], v[6:7]
	v_pk_fma_f32 v[6:7], v[12:13], v[218:219], v[4:5] neg_lo:[0,0,1] neg_hi:[0,0,1]
	v_pk_fma_f32 v[4:5], v[12:13], v[218:219], v[4:5] op_sel_hi:[1,0,1]
	s_nop 0
	v_mov_b32_e32 v7, v5
	s_waitcnt vmcnt(0) lgkmcnt(0)
	v_pk_mul_f32 v[4:5], v[14:15], v[226:227] op_sel:[1,1] op_sel_hi:[0,1]
	v_pk_add_f32 v[2:3], v[2:3], v[6:7]
	v_pk_fma_f32 v[6:7], v[14:15], v[226:227], v[4:5] neg_lo:[0,0,1] neg_hi:[0,0,1]
	v_pk_fma_f32 v[4:5], v[14:15], v[226:227], v[4:5] op_sel_hi:[1,0,1]
	s_nop 0
	v_mov_b32_e32 v7, v5
	scratch_load_dwordx2 v[4:5], off, off offset:24
	v_pk_add_f32 v[2:3], v[2:3], v[6:7]
	s_waitcnt vmcnt(0)
	v_pk_add_f32 v[2:3], v[4:5], v[2:3] neg_lo:[0,1] neg_hi:[0,1]
	scratch_store_dwordx2 off, v[2:3], off offset:24
	s_and_saveexec_b64 s[0:1], vcc
	s_cbranch_execz .LBB58_363
; %bb.362:
	scratch_load_dwordx2 v[2:3], off, off offset:16
	v_mov_b32_e32 v163, v162
	scratch_store_dwordx2 off, v[162:163], off offset:16
	s_waitcnt vmcnt(1)
	ds_write_b64 v1, v[2:3]
.LBB58_363:
	s_or_b64 exec, exec, s[0:1]
	s_waitcnt lgkmcnt(0)
	; wave barrier
	scratch_load_dwordx4 v[6:9], off, off offset:24
	scratch_load_dwordx4 v[14:17], off, off offset:40
	;; [unrolled: 1-line block ×10, first 2 shown]
	ds_read2_b64 v[2:5], v162 offset0:63 offset1:64
	scratch_load_dwordx4 v[86:89], off, off offset:184
	scratch_load_dwordx4 v[94:97], off, off offset:200
	;; [unrolled: 1-line block ×14, first 2 shown]
	v_cmp_lt_u32_e32 vcc, 1, v0
	s_waitcnt vmcnt(23) lgkmcnt(0)
	v_mul_f32_e32 v10, v2, v7
	v_fmac_f32_e32 v10, v3, v6
	v_mul_f32_e32 v11, v4, v9
	v_add_f32_e32 v10, 0, v10
	v_fmac_f32_e32 v11, v5, v8
	v_add_f32_e32 v18, v10, v11
	ds_read2_b64 v[10:13], v162 offset0:65 offset1:66
	v_mul_f32_e32 v3, v3, v7
	v_fma_f32 v2, v2, v6, -v3
	v_mul_f32_e32 v3, v5, v9
	v_add_f32_e32 v2, 0, v2
	s_waitcnt vmcnt(22) lgkmcnt(0)
	v_mul_f32_e32 v19, v10, v15
	v_fmac_f32_e32 v19, v11, v14
	v_add_f32_e32 v18, v18, v19
	v_mul_f32_e32 v19, v12, v17
	v_fmac_f32_e32 v19, v13, v16
	v_add_f32_e32 v26, v18, v19
	ds_read2_b64 v[18:21], v162 offset0:67 offset1:68
	v_fma_f32 v3, v4, v8, -v3
	v_add_f32_e32 v2, v2, v3
	v_mul_f32_e32 v3, v11, v15
	v_fma_f32 v3, v10, v14, -v3
	s_waitcnt vmcnt(21) lgkmcnt(0)
	v_mul_f32_e32 v27, v18, v23
	v_fmac_f32_e32 v27, v19, v22
	v_add_f32_e32 v26, v26, v27
	v_mul_f32_e32 v27, v20, v25
	v_fmac_f32_e32 v27, v21, v24
	v_add_f32_e32 v34, v26, v27
	ds_read2_b64 v[26:29], v162 offset0:69 offset1:70
	v_add_f32_e32 v2, v2, v3
	v_mul_f32_e32 v3, v13, v17
	v_fma_f32 v3, v12, v16, -v3
	v_add_f32_e32 v2, v2, v3
	s_waitcnt vmcnt(20) lgkmcnt(0)
	v_mul_f32_e32 v35, v26, v31
	v_fmac_f32_e32 v35, v27, v30
	v_add_f32_e32 v34, v34, v35
	v_mul_f32_e32 v35, v28, v33
	v_fmac_f32_e32 v35, v29, v32
	v_add_f32_e32 v42, v34, v35
	ds_read2_b64 v[34:37], v162 offset0:71 offset1:72
	v_mul_f32_e32 v3, v19, v23
	v_fma_f32 v3, v18, v22, -v3
	v_add_f32_e32 v2, v2, v3
	v_mul_f32_e32 v3, v21, v25
	s_waitcnt vmcnt(19) lgkmcnt(0)
	v_mul_f32_e32 v43, v34, v39
	v_fmac_f32_e32 v43, v35, v38
	v_add_f32_e32 v42, v42, v43
	v_mul_f32_e32 v43, v36, v41
	v_fmac_f32_e32 v43, v37, v40
	v_add_f32_e32 v50, v42, v43
	ds_read2_b64 v[42:45], v162 offset0:73 offset1:74
	v_fma_f32 v3, v20, v24, -v3
	v_add_f32_e32 v2, v2, v3
	v_mul_f32_e32 v3, v27, v31
	v_fma_f32 v3, v26, v30, -v3
	s_waitcnt vmcnt(18) lgkmcnt(0)
	v_mul_f32_e32 v51, v42, v47
	v_fmac_f32_e32 v51, v43, v46
	v_add_f32_e32 v50, v50, v51
	v_mul_f32_e32 v51, v44, v49
	v_fmac_f32_e32 v51, v45, v48
	v_add_f32_e32 v58, v50, v51
	ds_read2_b64 v[50:53], v162 offset0:75 offset1:76
	v_add_f32_e32 v2, v2, v3
	v_mul_f32_e32 v3, v29, v33
	v_fma_f32 v3, v28, v32, -v3
	v_add_f32_e32 v2, v2, v3
	s_waitcnt vmcnt(17) lgkmcnt(0)
	v_mul_f32_e32 v59, v50, v55
	v_fmac_f32_e32 v59, v51, v54
	v_add_f32_e32 v58, v58, v59
	v_mul_f32_e32 v59, v52, v57
	v_fmac_f32_e32 v59, v53, v56
	v_add_f32_e32 v66, v58, v59
	ds_read2_b64 v[58:61], v162 offset0:77 offset1:78
	v_mul_f32_e32 v3, v35, v39
	v_fma_f32 v3, v34, v38, -v3
	v_add_f32_e32 v2, v2, v3
	v_mul_f32_e32 v3, v37, v41
	;; [unrolled: 36-line block ×7, first 2 shown]
	s_waitcnt vmcnt(1) lgkmcnt(0)
	v_mul_f32_e32 v200, v192, v197
	v_fmac_f32_e32 v200, v193, v196
	v_add_f32_e32 v163, v163, v200
	v_mul_f32_e32 v200, v194, v199
	v_fmac_f32_e32 v200, v195, v198
	v_add_f32_e32 v225, v163, v200
	ds_read2_b64 v[200:203], v162 offset0:109 offset1:110
	scratch_load_dwordx4 v[208:211], off, off offset:408
	scratch_load_dwordx4 v[212:215], off, off offset:424
	;; [unrolled: 1-line block ×4, first 2 shown]
	v_fma_f32 v3, v116, v120, -v3
	v_add_f32_e32 v2, v2, v3
	v_mul_f32_e32 v3, v123, v127
	v_fma_f32 v3, v122, v126, -v3
	v_add_f32_e32 v2, v2, v3
	v_mul_f32_e32 v3, v125, v129
	;; [unrolled: 3-line block ×16, first 2 shown]
	v_fma_f32 v3, v194, v198, -v3
	v_add_f32_e32 v224, v2, v3
	s_waitcnt vmcnt(4) lgkmcnt(0)
	v_mul_f32_e32 v2, v201, v205
	v_fma_f32 v226, v200, v204, -v2
	v_mul_f32_e32 v2, v203, v207
	v_fma_f32 v228, v202, v206, -v2
	ds_read2_b64 v[2:5], v162 offset0:111 offset1:112
	ds_read2_b64 v[6:9], v162 offset0:113 offset1:114
	;; [unrolled: 1-line block ×4, first 2 shown]
	v_mul_f32_e32 v227, v200, v205
	v_fmac_f32_e32 v227, v201, v204
	v_mul_f32_e32 v229, v202, v207
	v_fmac_f32_e32 v229, v203, v206
	v_pk_add_f32 v[18:19], v[224:225], v[226:227]
	s_waitcnt vmcnt(3) lgkmcnt(3)
	v_pk_mul_f32 v[20:21], v[2:3], v[208:209] op_sel:[1,1] op_sel_hi:[0,1]
	v_pk_fma_f32 v[22:23], v[2:3], v[208:209], v[20:21] neg_lo:[0,0,1] neg_hi:[0,0,1]
	v_pk_fma_f32 v[2:3], v[2:3], v[208:209], v[20:21] op_sel_hi:[1,0,1]
	v_pk_add_f32 v[18:19], v[18:19], v[228:229]
	v_mov_b32_e32 v23, v3
	v_pk_add_f32 v[2:3], v[18:19], v[22:23]
	v_mov_b32_e32 v18, v211
	v_pk_mul_f32 v[18:19], v[4:5], v[18:19] op_sel:[1,0] op_sel_hi:[0,0]
	v_pk_fma_f32 v[20:21], v[4:5], v[210:211], v[18:19] neg_lo:[0,0,1] neg_hi:[0,0,1]
	v_pk_fma_f32 v[4:5], v[4:5], v[210:211], v[18:19] op_sel_hi:[1,0,1]
	s_nop 0
	v_mov_b32_e32 v21, v5
	s_waitcnt vmcnt(2) lgkmcnt(2)
	v_pk_mul_f32 v[4:5], v[6:7], v[212:213] op_sel:[1,1] op_sel_hi:[0,1]
	v_pk_fma_f32 v[18:19], v[6:7], v[212:213], v[4:5] neg_lo:[0,0,1] neg_hi:[0,0,1]
	v_pk_fma_f32 v[4:5], v[6:7], v[212:213], v[4:5] op_sel_hi:[1,0,1]
	v_pk_add_f32 v[2:3], v[2:3], v[20:21]
	v_mov_b32_e32 v4, v215
	v_mov_b32_e32 v19, v5
	v_pk_mul_f32 v[4:5], v[8:9], v[4:5] op_sel:[1,0] op_sel_hi:[0,0]
	v_pk_fma_f32 v[6:7], v[8:9], v[214:215], v[4:5] neg_lo:[0,0,1] neg_hi:[0,0,1]
	v_pk_fma_f32 v[4:5], v[8:9], v[214:215], v[4:5] op_sel_hi:[1,0,1]
	v_pk_add_f32 v[2:3], v[2:3], v[18:19]
	v_mov_b32_e32 v7, v5
	s_waitcnt vmcnt(1) lgkmcnt(1)
	v_pk_mul_f32 v[4:5], v[10:11], v[216:217] op_sel:[1,1] op_sel_hi:[0,1]
	v_pk_add_f32 v[2:3], v[2:3], v[6:7]
	v_pk_fma_f32 v[6:7], v[10:11], v[216:217], v[4:5] neg_lo:[0,0,1] neg_hi:[0,0,1]
	v_pk_fma_f32 v[4:5], v[10:11], v[216:217], v[4:5] op_sel_hi:[1,0,1]
	s_nop 0
	v_mov_b32_e32 v4, v219
	v_mov_b32_e32 v7, v5
	v_pk_mul_f32 v[4:5], v[12:13], v[4:5] op_sel:[1,0] op_sel_hi:[0,0]
	v_pk_add_f32 v[2:3], v[2:3], v[6:7]
	v_pk_fma_f32 v[6:7], v[12:13], v[218:219], v[4:5] neg_lo:[0,0,1] neg_hi:[0,0,1]
	v_pk_fma_f32 v[4:5], v[12:13], v[218:219], v[4:5] op_sel_hi:[1,0,1]
	s_nop 0
	v_mov_b32_e32 v7, v5
	s_waitcnt vmcnt(0) lgkmcnt(0)
	v_pk_mul_f32 v[4:5], v[14:15], v[220:221] op_sel:[1,1] op_sel_hi:[0,1]
	v_pk_add_f32 v[2:3], v[2:3], v[6:7]
	v_pk_fma_f32 v[6:7], v[14:15], v[220:221], v[4:5] neg_lo:[0,0,1] neg_hi:[0,0,1]
	v_pk_fma_f32 v[4:5], v[14:15], v[220:221], v[4:5] op_sel_hi:[1,0,1]
	s_nop 0
	v_mov_b32_e32 v4, v223
	v_mov_b32_e32 v7, v5
	v_pk_mul_f32 v[4:5], v[16:17], v[4:5] op_sel:[1,0] op_sel_hi:[0,0]
	v_pk_add_f32 v[2:3], v[2:3], v[6:7]
	v_pk_fma_f32 v[6:7], v[16:17], v[222:223], v[4:5] neg_lo:[0,0,1] neg_hi:[0,0,1]
	v_pk_fma_f32 v[4:5], v[16:17], v[222:223], v[4:5] op_sel_hi:[1,0,1]
	s_nop 0
	v_mov_b32_e32 v7, v5
	scratch_load_dwordx2 v[4:5], off, off offset:16
	v_pk_add_f32 v[2:3], v[2:3], v[6:7]
	s_waitcnt vmcnt(0)
	v_pk_add_f32 v[2:3], v[4:5], v[2:3] neg_lo:[0,1] neg_hi:[0,1]
	scratch_store_dwordx2 off, v[2:3], off offset:16
	s_and_saveexec_b64 s[0:1], vcc
	s_cbranch_execz .LBB58_365
; %bb.364:
	scratch_load_dwordx2 v[2:3], off, off offset:8
	v_mov_b32_e32 v4, 0
	v_mov_b32_e32 v5, v4
	scratch_store_dwordx2 off, v[4:5], off offset:8
	s_waitcnt vmcnt(1)
	ds_write_b64 v1, v[2:3]
.LBB58_365:
	s_or_b64 exec, exec, s[0:1]
	v_mov_b32_e32 v162, 0
	s_waitcnt lgkmcnt(0)
	; wave barrier
	ds_read_b128 v[14:17], v162 offset:496
	ds_read_b128 v[10:13], v162 offset:512
	;; [unrolled: 1-line block ×4, first 2 shown]
	scratch_load_dwordx4 v[18:21], off, off offset:16
	scratch_load_dwordx4 v[38:41], off, off offset:80
	;; [unrolled: 1-line block ×19, first 2 shown]
	v_cmp_ne_u32_e32 vcc, 0, v0
	scratch_load_dwordx4 v[46:49], off, off offset:96
	scratch_load_dwordx4 v[54:57], off, off offset:112
	;; [unrolled: 1-line block ×3, first 2 shown]
	s_waitcnt vmcnt(21) lgkmcnt(3)
	v_mul_f32_e32 v22, v14, v19
	v_fmac_f32_e32 v22, v15, v18
	v_mul_f32_e32 v23, v16, v21
	v_add_f32_e32 v22, 0, v22
	v_fmac_f32_e32 v23, v17, v20
	v_add_f32_e32 v26, v22, v23
	scratch_load_dwordx4 v[22:25], off, off offset:32
	v_mul_f32_e32 v15, v15, v19
	v_fma_f32 v14, v14, v18, -v15
	v_mul_f32_e32 v15, v17, v21
	v_add_f32_e32 v14, 0, v14
	v_fma_f32 v15, v16, v20, -v15
	v_add_f32_e32 v14, v14, v15
	s_waitcnt vmcnt(4)
	v_mov_b32_e32 v18, v215
	s_waitcnt vmcnt(0) lgkmcnt(2)
	v_mul_f32_e32 v27, v10, v23
	v_fmac_f32_e32 v27, v11, v22
	v_add_f32_e32 v26, v26, v27
	v_mul_f32_e32 v27, v12, v25
	v_fmac_f32_e32 v27, v13, v24
	v_add_f32_e32 v30, v26, v27
	scratch_load_dwordx4 v[26:29], off, off offset:48
	v_mul_f32_e32 v11, v11, v23
	v_fma_f32 v10, v10, v22, -v11
	v_mul_f32_e32 v11, v13, v25
	v_add_f32_e32 v10, v14, v10
	v_fma_f32 v11, v12, v24, -v11
	v_add_f32_e32 v10, v10, v11
	s_waitcnt vmcnt(0) lgkmcnt(1)
	v_mul_f32_e32 v31, v6, v27
	v_fmac_f32_e32 v31, v7, v26
	v_add_f32_e32 v30, v30, v31
	v_mul_f32_e32 v31, v8, v29
	v_fmac_f32_e32 v31, v9, v28
	v_add_f32_e32 v34, v30, v31
	scratch_load_dwordx4 v[30:33], off, off offset:64
	v_mul_f32_e32 v7, v7, v27
	v_fma_f32 v6, v6, v26, -v7
	v_mul_f32_e32 v7, v9, v29
	v_add_f32_e32 v6, v10, v6
	v_fma_f32 v7, v8, v28, -v7
	v_add_f32_e32 v6, v6, v7
	s_waitcnt vmcnt(0) lgkmcnt(0)
	v_mul_f32_e32 v35, v2, v31
	v_fmac_f32_e32 v35, v3, v30
	v_add_f32_e32 v34, v34, v35
	v_mul_f32_e32 v35, v4, v33
	v_fmac_f32_e32 v35, v5, v32
	v_add_f32_e32 v42, v34, v35
	ds_read_b128 v[34:37], v162 offset:560
	v_mul_f32_e32 v3, v3, v31
	v_fma_f32 v2, v2, v30, -v3
	v_mul_f32_e32 v3, v5, v33
	v_add_f32_e32 v2, v6, v2
	s_waitcnt lgkmcnt(0)
	v_mul_f32_e32 v43, v34, v39
	v_fmac_f32_e32 v43, v35, v38
	v_add_f32_e32 v42, v42, v43
	v_mul_f32_e32 v43, v36, v41
	v_fmac_f32_e32 v43, v37, v40
	v_add_f32_e32 v50, v42, v43
	ds_read_b128 v[42:45], v162 offset:576
	v_fma_f32 v3, v4, v32, -v3
	v_add_f32_e32 v2, v2, v3
	v_mul_f32_e32 v3, v35, v39
	v_fma_f32 v3, v34, v38, -v3
	s_waitcnt lgkmcnt(0)
	v_mul_f32_e32 v51, v42, v47
	v_fmac_f32_e32 v51, v43, v46
	v_add_f32_e32 v50, v50, v51
	v_mul_f32_e32 v51, v44, v49
	v_fmac_f32_e32 v51, v45, v48
	v_add_f32_e32 v58, v50, v51
	ds_read_b128 v[50:53], v162 offset:592
	v_add_f32_e32 v2, v2, v3
	v_mul_f32_e32 v3, v37, v41
	v_fma_f32 v3, v36, v40, -v3
	v_add_f32_e32 v2, v2, v3
	s_waitcnt lgkmcnt(0)
	v_mul_f32_e32 v59, v50, v55
	v_fmac_f32_e32 v59, v51, v54
	v_add_f32_e32 v58, v58, v59
	v_mul_f32_e32 v59, v52, v57
	v_fmac_f32_e32 v59, v53, v56
	v_add_f32_e32 v66, v58, v59
	ds_read_b128 v[58:61], v162 offset:608
	v_mul_f32_e32 v3, v43, v47
	v_fma_f32 v3, v42, v46, -v3
	v_add_f32_e32 v2, v2, v3
	v_mul_f32_e32 v3, v45, v49
	s_waitcnt lgkmcnt(0)
	v_mul_f32_e32 v67, v58, v63
	v_fmac_f32_e32 v67, v59, v62
	v_add_f32_e32 v66, v66, v67
	v_mul_f32_e32 v67, v60, v65
	v_fmac_f32_e32 v67, v61, v64
	v_add_f32_e32 v74, v66, v67
	ds_read_b128 v[66:69], v162 offset:624
	v_fma_f32 v3, v44, v48, -v3
	v_add_f32_e32 v2, v2, v3
	v_mul_f32_e32 v3, v51, v55
	v_fma_f32 v3, v50, v54, -v3
	s_waitcnt lgkmcnt(0)
	v_mul_f32_e32 v75, v66, v71
	v_fmac_f32_e32 v75, v67, v70
	v_add_f32_e32 v74, v74, v75
	v_mul_f32_e32 v75, v68, v73
	v_fmac_f32_e32 v75, v69, v72
	v_add_f32_e32 v82, v74, v75
	ds_read_b128 v[74:77], v162 offset:640
	v_add_f32_e32 v2, v2, v3
	v_mul_f32_e32 v3, v53, v57
	v_fma_f32 v3, v52, v56, -v3
	v_add_f32_e32 v2, v2, v3
	s_waitcnt lgkmcnt(0)
	v_mul_f32_e32 v83, v74, v79
	v_fmac_f32_e32 v83, v75, v78
	v_add_f32_e32 v82, v82, v83
	v_mul_f32_e32 v83, v76, v81
	v_fmac_f32_e32 v83, v77, v80
	v_add_f32_e32 v90, v82, v83
	ds_read_b128 v[82:85], v162 offset:656
	v_mul_f32_e32 v3, v59, v63
	v_fma_f32 v3, v58, v62, -v3
	v_add_f32_e32 v2, v2, v3
	v_mul_f32_e32 v3, v61, v65
	;; [unrolled: 36-line block ×6, first 2 shown]
	s_waitcnt lgkmcnt(0)
	v_mul_f32_e32 v200, v192, v197
	v_fmac_f32_e32 v200, v193, v196
	v_add_f32_e32 v163, v163, v200
	v_mul_f32_e32 v200, v194, v199
	v_fmac_f32_e32 v200, v195, v198
	v_add_f32_e32 v163, v163, v200
	ds_read_b128 v[200:203], v162 offset:864
	v_fma_f32 v3, v124, v128, -v3
	v_add_f32_e32 v2, v2, v3
	v_mul_f32_e32 v3, v131, v135
	v_fma_f32 v3, v130, v134, -v3
	s_waitcnt lgkmcnt(0)
	v_mul_f32_e32 v208, v200, v205
	v_fmac_f32_e32 v208, v201, v204
	v_add_f32_e32 v229, v163, v208
	ds_read_b128 v[208:211], v162 offset:880
	scratch_load_dwordx4 v[216:219], off, off offset:416
	scratch_load_dwordx4 v[220:223], off, off offset:432
	;; [unrolled: 1-line block ×3, first 2 shown]
	scratch_load_dwordx2 v[234:235], off, off offset:464
	v_add_f32_e32 v2, v2, v3
	v_mul_f32_e32 v3, v133, v137
	v_fma_f32 v3, v132, v136, -v3
	v_add_f32_e32 v2, v2, v3
	v_mul_f32_e32 v3, v139, v143
	v_fma_f32 v3, v138, v142, -v3
	;; [unrolled: 3-line block ×14, first 2 shown]
	v_add_f32_e32 v228, v2, v3
	v_mul_f32_e32 v2, v203, v207
	v_mul_f32_e32 v231, v202, v207
	v_fma_f32 v230, v202, v206, -v2
	s_waitcnt lgkmcnt(0)
	v_mul_f32_e32 v2, v209, v213
	v_fmac_f32_e32 v231, v203, v206
	v_mul_f32_e32 v233, v208, v213
	v_fma_f32 v232, v208, v212, -v2
	ds_read_b128 v[2:5], v162 offset:896
	ds_read_b128 v[6:9], v162 offset:912
	;; [unrolled: 1-line block ×3, first 2 shown]
	ds_read_b64 v[14:15], v162 offset:944
	v_pk_mul_f32 v[18:19], v[210:211], v[18:19] op_sel:[1,0] op_sel_hi:[0,0]
	v_fmac_f32_e32 v233, v209, v212
	v_pk_add_f32 v[16:17], v[228:229], v[230:231]
	v_pk_fma_f32 v[20:21], v[210:211], v[214:215], v[18:19] neg_lo:[0,0,1] neg_hi:[0,0,1]
	v_pk_fma_f32 v[18:19], v[210:211], v[214:215], v[18:19] op_sel_hi:[1,0,1]
	v_pk_add_f32 v[16:17], v[16:17], v[232:233]
	v_mov_b32_e32 v21, v19
	v_pk_add_f32 v[16:17], v[16:17], v[20:21]
	s_waitcnt vmcnt(3) lgkmcnt(3)
	v_pk_mul_f32 v[18:19], v[2:3], v[216:217] op_sel:[1,1] op_sel_hi:[0,1]
	v_pk_fma_f32 v[20:21], v[2:3], v[216:217], v[18:19] neg_lo:[0,0,1] neg_hi:[0,0,1]
	v_pk_fma_f32 v[2:3], v[2:3], v[216:217], v[18:19] op_sel_hi:[1,0,1]
	s_nop 0
	v_mov_b32_e32 v21, v3
	v_pk_add_f32 v[2:3], v[16:17], v[20:21]
	v_mov_b32_e32 v16, v219
	v_pk_mul_f32 v[16:17], v[4:5], v[16:17] op_sel:[1,0] op_sel_hi:[0,0]
	v_pk_fma_f32 v[18:19], v[4:5], v[218:219], v[16:17] neg_lo:[0,0,1] neg_hi:[0,0,1]
	v_pk_fma_f32 v[4:5], v[4:5], v[218:219], v[16:17] op_sel_hi:[1,0,1]
	s_nop 0
	v_mov_b32_e32 v19, v5
	s_waitcnt vmcnt(2) lgkmcnt(2)
	v_pk_mul_f32 v[4:5], v[6:7], v[220:221] op_sel:[1,1] op_sel_hi:[0,1]
	v_pk_fma_f32 v[16:17], v[6:7], v[220:221], v[4:5] neg_lo:[0,0,1] neg_hi:[0,0,1]
	v_pk_fma_f32 v[4:5], v[6:7], v[220:221], v[4:5] op_sel_hi:[1,0,1]
	v_pk_add_f32 v[2:3], v[2:3], v[18:19]
	v_mov_b32_e32 v4, v223
	v_mov_b32_e32 v17, v5
	v_pk_mul_f32 v[4:5], v[8:9], v[4:5] op_sel:[1,0] op_sel_hi:[0,0]
	v_pk_fma_f32 v[6:7], v[8:9], v[222:223], v[4:5] neg_lo:[0,0,1] neg_hi:[0,0,1]
	v_pk_fma_f32 v[4:5], v[8:9], v[222:223], v[4:5] op_sel_hi:[1,0,1]
	v_pk_add_f32 v[2:3], v[2:3], v[16:17]
	v_mov_b32_e32 v7, v5
	s_waitcnt vmcnt(1) lgkmcnt(1)
	v_pk_mul_f32 v[4:5], v[10:11], v[224:225] op_sel:[1,1] op_sel_hi:[0,1]
	v_pk_add_f32 v[2:3], v[2:3], v[6:7]
	v_pk_fma_f32 v[6:7], v[10:11], v[224:225], v[4:5] neg_lo:[0,0,1] neg_hi:[0,0,1]
	v_pk_fma_f32 v[4:5], v[10:11], v[224:225], v[4:5] op_sel_hi:[1,0,1]
	s_nop 0
	v_mov_b32_e32 v4, v227
	v_mov_b32_e32 v7, v5
	v_pk_mul_f32 v[4:5], v[12:13], v[4:5] op_sel:[1,0] op_sel_hi:[0,0]
	v_pk_add_f32 v[2:3], v[2:3], v[6:7]
	v_pk_fma_f32 v[6:7], v[12:13], v[226:227], v[4:5] neg_lo:[0,0,1] neg_hi:[0,0,1]
	v_pk_fma_f32 v[4:5], v[12:13], v[226:227], v[4:5] op_sel_hi:[1,0,1]
	s_nop 0
	v_mov_b32_e32 v7, v5
	s_waitcnt vmcnt(0) lgkmcnt(0)
	v_pk_mul_f32 v[4:5], v[14:15], v[234:235] op_sel:[1,1] op_sel_hi:[0,1]
	v_pk_add_f32 v[2:3], v[2:3], v[6:7]
	v_pk_fma_f32 v[6:7], v[14:15], v[234:235], v[4:5] neg_lo:[0,0,1] neg_hi:[0,0,1]
	v_pk_fma_f32 v[4:5], v[14:15], v[234:235], v[4:5] op_sel_hi:[1,0,1]
	s_nop 0
	v_mov_b32_e32 v7, v5
	scratch_load_dwordx2 v[4:5], off, off offset:8
	v_pk_add_f32 v[2:3], v[2:3], v[6:7]
	s_waitcnt vmcnt(0)
	v_pk_add_f32 v[2:3], v[4:5], v[2:3] neg_lo:[0,1] neg_hi:[0,1]
	scratch_store_dwordx2 off, v[2:3], off offset:8
	s_and_saveexec_b64 s[0:1], vcc
	s_cbranch_execz .LBB58_367
; %bb.366:
	scratch_load_dwordx2 v[2:3], off, off
	v_mov_b32_e32 v163, v162
	scratch_store_dwordx2 off, v[162:163], off
	s_waitcnt vmcnt(1)
	ds_write_b64 v1, v[2:3]
.LBB58_367:
	s_or_b64 exec, exec, s[0:1]
	s_waitcnt lgkmcnt(0)
	; wave barrier
	scratch_load_dwordx4 v[4:7], off, off offset:8
	scratch_load_dwordx4 v[12:15], off, off offset:24
	;; [unrolled: 1-line block ×10, first 2 shown]
	ds_read2_b64 v[0:3], v162 offset0:61 offset1:62
	ds_read2_b64 v[168:171], v162 offset0:99 offset1:100
	scratch_load_dwordx4 v[84:87], off, off offset:168
	scratch_load_dwordx4 v[92:95], off, off offset:184
	;; [unrolled: 1-line block ×15, first 2 shown]
	s_and_b64 vcc, exec, s[18:19]
	ds_read2_b64 v[176:179], v162 offset0:101 offset1:102
	ds_read2_b64 v[184:187], v162 offset0:103 offset1:104
	;; [unrolled: 1-line block ×5, first 2 shown]
	s_waitcnt vmcnt(24) lgkmcnt(6)
	v_mul_f32_e32 v8, v0, v5
	v_fmac_f32_e32 v8, v1, v4
	v_mul_f32_e32 v9, v2, v7
	v_add_f32_e32 v8, 0, v8
	v_fmac_f32_e32 v9, v3, v6
	v_add_f32_e32 v16, v8, v9
	ds_read2_b64 v[8:11], v162 offset0:63 offset1:64
	v_mul_f32_e32 v1, v1, v5
	v_fma_f32 v0, v0, v4, -v1
	v_mul_f32_e32 v1, v3, v7
	v_add_f32_e32 v0, 0, v0
	s_waitcnt vmcnt(23) lgkmcnt(0)
	v_mul_f32_e32 v17, v8, v13
	v_fmac_f32_e32 v17, v9, v12
	v_add_f32_e32 v16, v16, v17
	v_mul_f32_e32 v17, v10, v15
	v_fmac_f32_e32 v17, v11, v14
	v_add_f32_e32 v24, v16, v17
	ds_read2_b64 v[16:19], v162 offset0:65 offset1:66
	v_fma_f32 v1, v2, v6, -v1
	v_add_f32_e32 v0, v0, v1
	v_mul_f32_e32 v1, v9, v13
	v_fma_f32 v1, v8, v12, -v1
	s_waitcnt vmcnt(22) lgkmcnt(0)
	v_mul_f32_e32 v25, v16, v21
	v_fmac_f32_e32 v25, v17, v20
	v_add_f32_e32 v24, v24, v25
	v_mul_f32_e32 v25, v18, v23
	v_fmac_f32_e32 v25, v19, v22
	v_add_f32_e32 v32, v24, v25
	ds_read2_b64 v[24:27], v162 offset0:67 offset1:68
	v_add_f32_e32 v0, v0, v1
	v_mul_f32_e32 v1, v11, v15
	v_fma_f32 v1, v10, v14, -v1
	v_add_f32_e32 v0, v0, v1
	s_waitcnt vmcnt(21) lgkmcnt(0)
	v_mul_f32_e32 v33, v24, v29
	v_fmac_f32_e32 v33, v25, v28
	v_add_f32_e32 v32, v32, v33
	v_mul_f32_e32 v33, v26, v31
	v_fmac_f32_e32 v33, v27, v30
	v_add_f32_e32 v40, v32, v33
	ds_read2_b64 v[32:35], v162 offset0:69 offset1:70
	v_mul_f32_e32 v1, v17, v21
	v_fma_f32 v1, v16, v20, -v1
	v_add_f32_e32 v0, v0, v1
	v_mul_f32_e32 v1, v19, v23
	s_waitcnt vmcnt(20) lgkmcnt(0)
	v_mul_f32_e32 v41, v32, v37
	v_fmac_f32_e32 v41, v33, v36
	v_add_f32_e32 v40, v40, v41
	v_mul_f32_e32 v41, v34, v39
	v_fmac_f32_e32 v41, v35, v38
	v_add_f32_e32 v48, v40, v41
	ds_read2_b64 v[40:43], v162 offset0:71 offset1:72
	v_fma_f32 v1, v18, v22, -v1
	v_add_f32_e32 v0, v0, v1
	v_mul_f32_e32 v1, v25, v29
	v_fma_f32 v1, v24, v28, -v1
	s_waitcnt vmcnt(19) lgkmcnt(0)
	v_mul_f32_e32 v49, v40, v45
	v_fmac_f32_e32 v49, v41, v44
	v_add_f32_e32 v48, v48, v49
	v_mul_f32_e32 v49, v42, v47
	v_fmac_f32_e32 v49, v43, v46
	v_add_f32_e32 v56, v48, v49
	ds_read2_b64 v[48:51], v162 offset0:73 offset1:74
	v_add_f32_e32 v0, v0, v1
	v_mul_f32_e32 v1, v27, v31
	v_fma_f32 v1, v26, v30, -v1
	v_add_f32_e32 v0, v0, v1
	s_waitcnt vmcnt(18) lgkmcnt(0)
	v_mul_f32_e32 v57, v48, v53
	v_fmac_f32_e32 v57, v49, v52
	v_add_f32_e32 v56, v56, v57
	v_mul_f32_e32 v57, v50, v55
	v_fmac_f32_e32 v57, v51, v54
	v_add_f32_e32 v64, v56, v57
	ds_read2_b64 v[56:59], v162 offset0:75 offset1:76
	v_mul_f32_e32 v1, v33, v37
	v_fma_f32 v1, v32, v36, -v1
	v_add_f32_e32 v0, v0, v1
	v_mul_f32_e32 v1, v35, v39
	;; [unrolled: 36-line block ×5, first 2 shown]
	s_waitcnt vmcnt(8) lgkmcnt(0)
	v_mul_f32_e32 v137, v128, v133
	v_fmac_f32_e32 v137, v129, v132
	v_add_f32_e32 v136, v136, v137
	v_mul_f32_e32 v137, v130, v135
	v_fmac_f32_e32 v137, v131, v134
	v_add_f32_e32 v144, v136, v137
	ds_read2_b64 v[136:139], v162 offset0:95 offset1:96
	v_fma_f32 v1, v82, v86, -v1
	v_add_f32_e32 v0, v0, v1
	v_mul_f32_e32 v1, v89, v93
	v_fma_f32 v1, v88, v92, -v1
	s_waitcnt vmcnt(7) lgkmcnt(0)
	v_mul_f32_e32 v145, v136, v141
	v_fmac_f32_e32 v145, v137, v140
	v_add_f32_e32 v144, v144, v145
	v_mul_f32_e32 v145, v138, v143
	v_fmac_f32_e32 v145, v139, v142
	v_add_f32_e32 v148, v144, v145
	ds_read2_b64 v[144:147], v162 offset0:97 offset1:98
	scratch_load_dwordx4 v[216:219], off, off offset:408
	scratch_load_dwordx4 v[220:223], off, off offset:424
	;; [unrolled: 1-line block ×4, first 2 shown]
	v_add_f32_e32 v0, v0, v1
	v_mul_f32_e32 v1, v91, v95
	v_fma_f32 v1, v90, v94, -v1
	v_add_f32_e32 v0, v0, v1
	v_mul_f32_e32 v1, v97, v101
	v_fma_f32 v1, v96, v100, -v1
	;; [unrolled: 3-line block ×13, first 2 shown]
	s_waitcnt vmcnt(10) lgkmcnt(0)
	v_mul_f32_e32 v149, v144, v165
	v_add_f32_e32 v0, v0, v1
	v_mul_f32_e32 v1, v145, v165
	v_fmac_f32_e32 v149, v145, v164
	v_fma_f32 v1, v144, v164, -v1
	v_add_f32_e32 v148, v148, v149
	v_mul_f32_e32 v149, v146, v167
	v_add_f32_e32 v0, v0, v1
	v_mul_f32_e32 v1, v147, v167
	v_fmac_f32_e32 v149, v147, v166
	v_fma_f32 v1, v146, v166, -v1
	v_add_f32_e32 v148, v148, v149
	s_waitcnt vmcnt(9)
	v_mul_f32_e32 v149, v168, v173
	v_add_f32_e32 v0, v0, v1
	v_mul_f32_e32 v1, v169, v173
	v_fmac_f32_e32 v149, v169, v172
	v_fma_f32 v1, v168, v172, -v1
	v_add_f32_e32 v148, v148, v149
	v_mul_f32_e32 v149, v170, v175
	v_add_f32_e32 v0, v0, v1
	v_mul_f32_e32 v1, v171, v175
	v_fmac_f32_e32 v149, v171, v174
	v_fma_f32 v1, v170, v174, -v1
	v_add_f32_e32 v148, v148, v149
	s_waitcnt vmcnt(8)
	;; [unrolled: 13-line block ×5, first 2 shown]
	v_mul_f32_e32 v149, v200, v205
	v_add_f32_e32 v0, v0, v1
	v_mul_f32_e32 v1, v201, v205
	v_fmac_f32_e32 v149, v201, v204
	v_fma_f32 v1, v200, v204, -v1
	v_add_f32_e32 v148, v148, v149
	v_mul_f32_e32 v149, v202, v207
	v_add_f32_e32 v0, v0, v1
	v_mul_f32_e32 v1, v203, v207
	v_fmac_f32_e32 v149, v203, v206
	v_fma_f32 v1, v202, v206, -v1
	v_add_f32_e32 v149, v148, v149
	v_add_f32_e32 v148, v0, v1
	s_waitcnt vmcnt(4)
	v_mul_f32_e32 v0, v209, v213
	v_fma_f32 v232, v208, v212, -v0
	v_mul_f32_e32 v0, v211, v215
	v_fma_f32 v234, v210, v214, -v0
	ds_read2_b64 v[0:3], v162 offset0:111 offset1:112
	ds_read2_b64 v[4:7], v162 offset0:113 offset1:114
	;; [unrolled: 1-line block ×4, first 2 shown]
	v_mul_f32_e32 v233, v208, v213
	v_fmac_f32_e32 v233, v209, v212
	v_mul_f32_e32 v235, v210, v215
	s_waitcnt vmcnt(3) lgkmcnt(3)
	v_pk_mul_f32 v[18:19], v[0:1], v[216:217] op_sel:[1,1] op_sel_hi:[0,1]
	v_fmac_f32_e32 v235, v211, v214
	v_pk_add_f32 v[16:17], v[148:149], v[232:233]
	v_pk_fma_f32 v[20:21], v[0:1], v[216:217], v[18:19] neg_lo:[0,0,1] neg_hi:[0,0,1]
	v_pk_fma_f32 v[0:1], v[0:1], v[216:217], v[18:19] op_sel_hi:[1,0,1]
	v_pk_add_f32 v[16:17], v[16:17], v[234:235]
	v_mov_b32_e32 v21, v1
	v_pk_add_f32 v[0:1], v[16:17], v[20:21]
	v_mov_b32_e32 v16, v219
	v_pk_mul_f32 v[16:17], v[2:3], v[16:17] op_sel:[1,0] op_sel_hi:[0,0]
	v_pk_fma_f32 v[18:19], v[2:3], v[218:219], v[16:17] neg_lo:[0,0,1] neg_hi:[0,0,1]
	v_pk_fma_f32 v[2:3], v[2:3], v[218:219], v[16:17] op_sel_hi:[1,0,1]
	s_nop 0
	v_mov_b32_e32 v19, v3
	s_waitcnt vmcnt(2) lgkmcnt(2)
	v_pk_mul_f32 v[2:3], v[4:5], v[220:221] op_sel:[1,1] op_sel_hi:[0,1]
	v_pk_fma_f32 v[16:17], v[4:5], v[220:221], v[2:3] neg_lo:[0,0,1] neg_hi:[0,0,1]
	v_pk_fma_f32 v[2:3], v[4:5], v[220:221], v[2:3] op_sel_hi:[1,0,1]
	v_pk_add_f32 v[0:1], v[0:1], v[18:19]
	v_mov_b32_e32 v2, v223
	v_mov_b32_e32 v17, v3
	v_pk_mul_f32 v[2:3], v[6:7], v[2:3] op_sel:[1,0] op_sel_hi:[0,0]
	v_pk_fma_f32 v[4:5], v[6:7], v[222:223], v[2:3] neg_lo:[0,0,1] neg_hi:[0,0,1]
	v_pk_fma_f32 v[2:3], v[6:7], v[222:223], v[2:3] op_sel_hi:[1,0,1]
	v_pk_add_f32 v[0:1], v[0:1], v[16:17]
	v_mov_b32_e32 v5, v3
	s_waitcnt vmcnt(1) lgkmcnt(1)
	v_pk_mul_f32 v[2:3], v[8:9], v[224:225] op_sel:[1,1] op_sel_hi:[0,1]
	v_pk_add_f32 v[0:1], v[0:1], v[4:5]
	v_pk_fma_f32 v[4:5], v[8:9], v[224:225], v[2:3] neg_lo:[0,0,1] neg_hi:[0,0,1]
	v_pk_fma_f32 v[2:3], v[8:9], v[224:225], v[2:3] op_sel_hi:[1,0,1]
	s_nop 0
	v_mov_b32_e32 v2, v227
	v_mov_b32_e32 v5, v3
	v_pk_mul_f32 v[2:3], v[10:11], v[2:3] op_sel:[1,0] op_sel_hi:[0,0]
	v_pk_add_f32 v[0:1], v[0:1], v[4:5]
	v_pk_fma_f32 v[4:5], v[10:11], v[226:227], v[2:3] neg_lo:[0,0,1] neg_hi:[0,0,1]
	v_pk_fma_f32 v[2:3], v[10:11], v[226:227], v[2:3] op_sel_hi:[1,0,1]
	s_nop 0
	v_mov_b32_e32 v5, v3
	s_waitcnt vmcnt(0) lgkmcnt(0)
	v_pk_mul_f32 v[2:3], v[12:13], v[228:229] op_sel:[1,1] op_sel_hi:[0,1]
	v_pk_add_f32 v[0:1], v[0:1], v[4:5]
	v_pk_fma_f32 v[4:5], v[12:13], v[228:229], v[2:3] neg_lo:[0,0,1] neg_hi:[0,0,1]
	v_pk_fma_f32 v[2:3], v[12:13], v[228:229], v[2:3] op_sel_hi:[1,0,1]
	s_nop 0
	v_mov_b32_e32 v2, v231
	v_mov_b32_e32 v5, v3
	v_pk_mul_f32 v[2:3], v[14:15], v[2:3] op_sel:[1,0] op_sel_hi:[0,0]
	v_pk_add_f32 v[0:1], v[0:1], v[4:5]
	v_pk_fma_f32 v[4:5], v[14:15], v[230:231], v[2:3] neg_lo:[0,0,1] neg_hi:[0,0,1]
	v_pk_fma_f32 v[2:3], v[14:15], v[230:231], v[2:3] op_sel_hi:[1,0,1]
	s_nop 0
	v_mov_b32_e32 v5, v3
	scratch_load_dwordx2 v[2:3], off, off
	v_pk_add_f32 v[0:1], v[0:1], v[4:5]
	s_waitcnt vmcnt(0)
	v_pk_add_f32 v[0:1], v[2:3], v[0:1] neg_lo:[0,1] neg_hi:[0,1]
	scratch_store_dwordx2 off, v[0:1], off
	s_cbranch_vccz .LBB58_484
; %bb.368:
	v_mov_b32_e32 v0, 0
	global_load_dword v1, v0, s[16:17] offset:228
	s_waitcnt vmcnt(0)
	v_readfirstlane_b32 s0, v1
	s_add_i32 s0, s0, -1
	s_cmp_lg_u32 s0, 57
	s_cbranch_scc0 .LBB58_370
; %bb.369:
	s_lshl_b32 s0, s0, 3
	s_nop 0
	scratch_load_dwordx2 v[2:3], off, s0
	scratch_load_dwordx2 v[4:5], off, off offset:456
	s_waitcnt vmcnt(1)
	scratch_store_dwordx2 off, v[2:3], off offset:456
	s_waitcnt vmcnt(1)
	scratch_store_dwordx2 off, v[4:5], s0
.LBB58_370:
	global_load_dword v0, v0, s[16:17] offset:224
	s_waitcnt vmcnt(0)
	v_readfirstlane_b32 s0, v0
	s_add_i32 s0, s0, -1
	s_cmp_eq_u32 s0, 56
	s_cbranch_scc1 .LBB58_372
; %bb.371:
	s_lshl_b32 s0, s0, 3
	s_nop 0
	scratch_load_dwordx2 v[0:1], off, s0
	scratch_load_dwordx2 v[2:3], off, off offset:448
	s_waitcnt vmcnt(1)
	scratch_store_dwordx2 off, v[0:1], off offset:448
	s_waitcnt vmcnt(1)
	scratch_store_dwordx2 off, v[2:3], s0
.LBB58_372:
	v_mov_b32_e32 v0, 0
	global_load_dword v1, v0, s[16:17] offset:220
	s_waitcnt vmcnt(0)
	v_readfirstlane_b32 s0, v1
	s_add_i32 s0, s0, -1
	s_cmp_eq_u32 s0, 55
	s_cbranch_scc1 .LBB58_374
; %bb.373:
	s_lshl_b32 s0, s0, 3
	s_nop 0
	scratch_load_dwordx2 v[2:3], off, s0
	scratch_load_dwordx2 v[4:5], off, off offset:440
	s_waitcnt vmcnt(1)
	scratch_store_dwordx2 off, v[2:3], off offset:440
	s_waitcnt vmcnt(1)
	scratch_store_dwordx2 off, v[4:5], s0
.LBB58_374:
	global_load_dword v0, v0, s[16:17] offset:216
	s_waitcnt vmcnt(0)
	v_readfirstlane_b32 s0, v0
	s_add_i32 s0, s0, -1
	s_cmp_eq_u32 s0, 54
	s_cbranch_scc1 .LBB58_376
; %bb.375:
	s_lshl_b32 s0, s0, 3
	s_nop 0
	scratch_load_dwordx2 v[0:1], off, s0
	scratch_load_dwordx2 v[2:3], off, off offset:432
	s_waitcnt vmcnt(1)
	scratch_store_dwordx2 off, v[0:1], off offset:432
	s_waitcnt vmcnt(1)
	scratch_store_dwordx2 off, v[2:3], s0
.LBB58_376:
	v_mov_b32_e32 v0, 0
	global_load_dword v1, v0, s[16:17] offset:212
	s_waitcnt vmcnt(0)
	v_readfirstlane_b32 s0, v1
	s_add_i32 s0, s0, -1
	s_cmp_eq_u32 s0, 53
	s_cbranch_scc1 .LBB58_378
; %bb.377:
	s_lshl_b32 s0, s0, 3
	s_nop 0
	scratch_load_dwordx2 v[2:3], off, s0
	scratch_load_dwordx2 v[4:5], off, off offset:424
	s_waitcnt vmcnt(1)
	scratch_store_dwordx2 off, v[2:3], off offset:424
	s_waitcnt vmcnt(1)
	scratch_store_dwordx2 off, v[4:5], s0
.LBB58_378:
	;; [unrolled: 33-line block ×28, first 2 shown]
	global_load_dword v2, v0, s[16:17]
	s_nop 0
	scratch_load_dwordx2 v[0:1], off, off
	s_waitcnt vmcnt(1)
	v_readfirstlane_b32 s0, v2
	s_add_i32 s0, s0, -1
	s_cmp_eq_u32 s0, 0
	s_cbranch_scc1 .LBB58_484
; %bb.483:
	s_lshl_b32 s0, s0, 3
	s_nop 0
	scratch_load_dwordx2 v[2:3], off, s0
	s_waitcnt vmcnt(0)
	scratch_store_dwordx2 off, v[2:3], off
	scratch_store_dwordx2 off, v[0:1], s0
	scratch_load_dwordx2 v[0:1], off, off
.LBB58_484:
	s_nop 0
	scratch_load_dwordx4 v[2:5], off, off offset:8
	scratch_load_dwordx4 v[6:9], off, off offset:24
	;; [unrolled: 1-line block ×29, first 2 shown]
	v_accvgpr_read_b32 v119, a1
	v_accvgpr_read_b32 v118, a0
	s_waitcnt vmcnt(29)
	global_store_dwordx2 v[118:119], v[0:1], off
	v_accvgpr_read_b32 v0, a2
	v_accvgpr_read_b32 v1, a3
	s_waitcnt vmcnt(29)
	global_store_dwordx2 v[0:1], v[2:3], off
	v_accvgpr_read_b32 v0, a4
	v_accvgpr_read_b32 v1, a5
	global_store_dwordx2 v[0:1], v[4:5], off
	v_accvgpr_read_b32 v0, a6
	v_accvgpr_read_b32 v1, a7
	s_waitcnt vmcnt(30)
	global_store_dwordx2 v[0:1], v[6:7], off
	v_accvgpr_read_b32 v0, a8
	v_accvgpr_read_b32 v1, a9
	;; [unrolled: 7-line block ×21, first 2 shown]
	global_store_dwordx2 v[0:1], v[84:85], off
	s_waitcnt vmcnt(50)
	global_store_dwordx2 v[236:237], v[86:87], off
	global_store_dwordx2 v[238:239], v[88:89], off
	s_waitcnt vmcnt(51)
	global_store_dwordx2 v[240:241], v[90:91], off
	;; [unrolled: 3-line block ×8, first 2 shown]
	global_store_dwordx2 v[160:161], v[116:117], off
	s_endpgm
	.section	.rodata,"a",@progbits
	.p2align	6, 0x0
	.amdhsa_kernel _ZN9rocsolver6v33100L18getri_kernel_smallILi59E19rocblas_complex_numIfEPS3_EEvT1_iilPiilS6_bb
		.amdhsa_group_segment_fixed_size 952
		.amdhsa_private_segment_fixed_size 480
		.amdhsa_kernarg_size 60
		.amdhsa_user_sgpr_count 2
		.amdhsa_user_sgpr_dispatch_ptr 0
		.amdhsa_user_sgpr_queue_ptr 0
		.amdhsa_user_sgpr_kernarg_segment_ptr 1
		.amdhsa_user_sgpr_dispatch_id 0
		.amdhsa_user_sgpr_kernarg_preload_length 0
		.amdhsa_user_sgpr_kernarg_preload_offset 0
		.amdhsa_user_sgpr_private_segment_size 0
		.amdhsa_uses_dynamic_stack 0
		.amdhsa_enable_private_segment 1
		.amdhsa_system_sgpr_workgroup_id_x 1
		.amdhsa_system_sgpr_workgroup_id_y 0
		.amdhsa_system_sgpr_workgroup_id_z 0
		.amdhsa_system_sgpr_workgroup_info 0
		.amdhsa_system_vgpr_workitem_id 0
		.amdhsa_next_free_vgpr 342
		.amdhsa_next_free_sgpr 20
		.amdhsa_accum_offset 256
		.amdhsa_reserve_vcc 1
		.amdhsa_float_round_mode_32 0
		.amdhsa_float_round_mode_16_64 0
		.amdhsa_float_denorm_mode_32 3
		.amdhsa_float_denorm_mode_16_64 3
		.amdhsa_dx10_clamp 1
		.amdhsa_ieee_mode 1
		.amdhsa_fp16_overflow 0
		.amdhsa_tg_split 0
		.amdhsa_exception_fp_ieee_invalid_op 0
		.amdhsa_exception_fp_denorm_src 0
		.amdhsa_exception_fp_ieee_div_zero 0
		.amdhsa_exception_fp_ieee_overflow 0
		.amdhsa_exception_fp_ieee_underflow 0
		.amdhsa_exception_fp_ieee_inexact 0
		.amdhsa_exception_int_div_zero 0
	.end_amdhsa_kernel
	.section	.text._ZN9rocsolver6v33100L18getri_kernel_smallILi59E19rocblas_complex_numIfEPS3_EEvT1_iilPiilS6_bb,"axG",@progbits,_ZN9rocsolver6v33100L18getri_kernel_smallILi59E19rocblas_complex_numIfEPS3_EEvT1_iilPiilS6_bb,comdat
.Lfunc_end58:
	.size	_ZN9rocsolver6v33100L18getri_kernel_smallILi59E19rocblas_complex_numIfEPS3_EEvT1_iilPiilS6_bb, .Lfunc_end58-_ZN9rocsolver6v33100L18getri_kernel_smallILi59E19rocblas_complex_numIfEPS3_EEvT1_iilPiilS6_bb
                                        ; -- End function
	.set _ZN9rocsolver6v33100L18getri_kernel_smallILi59E19rocblas_complex_numIfEPS3_EEvT1_iilPiilS6_bb.num_vgpr, 256
	.set _ZN9rocsolver6v33100L18getri_kernel_smallILi59E19rocblas_complex_numIfEPS3_EEvT1_iilPiilS6_bb.num_agpr, 86
	.set _ZN9rocsolver6v33100L18getri_kernel_smallILi59E19rocblas_complex_numIfEPS3_EEvT1_iilPiilS6_bb.numbered_sgpr, 20
	.set _ZN9rocsolver6v33100L18getri_kernel_smallILi59E19rocblas_complex_numIfEPS3_EEvT1_iilPiilS6_bb.num_named_barrier, 0
	.set _ZN9rocsolver6v33100L18getri_kernel_smallILi59E19rocblas_complex_numIfEPS3_EEvT1_iilPiilS6_bb.private_seg_size, 480
	.set _ZN9rocsolver6v33100L18getri_kernel_smallILi59E19rocblas_complex_numIfEPS3_EEvT1_iilPiilS6_bb.uses_vcc, 1
	.set _ZN9rocsolver6v33100L18getri_kernel_smallILi59E19rocblas_complex_numIfEPS3_EEvT1_iilPiilS6_bb.uses_flat_scratch, 0
	.set _ZN9rocsolver6v33100L18getri_kernel_smallILi59E19rocblas_complex_numIfEPS3_EEvT1_iilPiilS6_bb.has_dyn_sized_stack, 0
	.set _ZN9rocsolver6v33100L18getri_kernel_smallILi59E19rocblas_complex_numIfEPS3_EEvT1_iilPiilS6_bb.has_recursion, 0
	.set _ZN9rocsolver6v33100L18getri_kernel_smallILi59E19rocblas_complex_numIfEPS3_EEvT1_iilPiilS6_bb.has_indirect_call, 0
	.section	.AMDGPU.csdata,"",@progbits
; Kernel info:
; codeLenInByte = 97448
; TotalNumSgprs: 26
; NumVgprs: 256
; NumAgprs: 86
; TotalNumVgprs: 342
; ScratchSize: 480
; MemoryBound: 0
; FloatMode: 240
; IeeeMode: 1
; LDSByteSize: 952 bytes/workgroup (compile time only)
; SGPRBlocks: 3
; VGPRBlocks: 42
; NumSGPRsForWavesPerEU: 26
; NumVGPRsForWavesPerEU: 342
; AccumOffset: 256
; Occupancy: 1
; WaveLimiterHint : 1
; COMPUTE_PGM_RSRC2:SCRATCH_EN: 1
; COMPUTE_PGM_RSRC2:USER_SGPR: 2
; COMPUTE_PGM_RSRC2:TRAP_HANDLER: 0
; COMPUTE_PGM_RSRC2:TGID_X_EN: 1
; COMPUTE_PGM_RSRC2:TGID_Y_EN: 0
; COMPUTE_PGM_RSRC2:TGID_Z_EN: 0
; COMPUTE_PGM_RSRC2:TIDIG_COMP_CNT: 0
; COMPUTE_PGM_RSRC3_GFX90A:ACCUM_OFFSET: 63
; COMPUTE_PGM_RSRC3_GFX90A:TG_SPLIT: 0
	.section	.text._ZN9rocsolver6v33100L18getri_kernel_smallILi60E19rocblas_complex_numIfEPS3_EEvT1_iilPiilS6_bb,"axG",@progbits,_ZN9rocsolver6v33100L18getri_kernel_smallILi60E19rocblas_complex_numIfEPS3_EEvT1_iilPiilS6_bb,comdat
	.globl	_ZN9rocsolver6v33100L18getri_kernel_smallILi60E19rocblas_complex_numIfEPS3_EEvT1_iilPiilS6_bb ; -- Begin function _ZN9rocsolver6v33100L18getri_kernel_smallILi60E19rocblas_complex_numIfEPS3_EEvT1_iilPiilS6_bb
	.p2align	8
	.type	_ZN9rocsolver6v33100L18getri_kernel_smallILi60E19rocblas_complex_numIfEPS3_EEvT1_iilPiilS6_bb,@function
_ZN9rocsolver6v33100L18getri_kernel_smallILi60E19rocblas_complex_numIfEPS3_EEvT1_iilPiilS6_bb: ; @_ZN9rocsolver6v33100L18getri_kernel_smallILi60E19rocblas_complex_numIfEPS3_EEvT1_iilPiilS6_bb
; %bb.0:
	v_cmp_gt_u32_e32 vcc, 60, v0
	s_and_saveexec_b64 s[4:5], vcc
	s_cbranch_execz .LBB59_254
; %bb.1:
	s_load_dword s8, s[0:1], 0x38
	s_load_dwordx4 s[12:15], s[0:1], 0x10
	s_load_dwordx4 s[4:7], s[0:1], 0x28
                                        ; implicit-def: $sgpr16_sgpr17
	s_waitcnt lgkmcnt(0)
	s_bitcmp1_b32 s8, 8
	s_cselect_b64 s[18:19], -1, 0
	s_ashr_i32 s3, s2, 31
	s_bfe_u32 s8, s8, 0x10008
	s_cmp_eq_u32 s8, 0
	s_cbranch_scc1 .LBB59_3
; %bb.2:
	s_load_dword s8, s[0:1], 0x20
	s_mul_i32 s9, s4, s3
	s_mul_hi_u32 s10, s4, s2
	s_mul_i32 s5, s5, s2
	s_add_i32 s10, s10, s9
	s_add_i32 s5, s10, s5
	s_mul_i32 s4, s4, s2
	s_waitcnt lgkmcnt(0)
	s_ashr_i32 s9, s8, 31
	s_lshl_b64 s[4:5], s[4:5], 2
	s_add_u32 s10, s14, s4
	s_addc_u32 s11, s15, s5
	s_lshl_b64 s[4:5], s[8:9], 2
	s_add_u32 s16, s10, s4
	s_addc_u32 s17, s11, s5
.LBB59_3:
	s_load_dwordx4 s[8:11], s[0:1], 0x0
	s_load_dword s4, s[0:1], 0x38
	s_mul_i32 s5, s12, s3
	s_mul_hi_u32 s14, s12, s2
	s_add_i32 s5, s14, s5
	s_waitcnt lgkmcnt(0)
	s_ashr_i32 s1, s10, 31
	s_mov_b32 s0, s10
	s_mul_i32 s10, s13, s2
	s_add_i32 s13, s5, s10
	s_mul_i32 s12, s12, s2
	s_lshl_b64 s[12:13], s[12:13], 3
	s_add_u32 s5, s8, s12
	s_addc_u32 s8, s9, s13
	s_lshl_b64 s[0:1], s[0:1], 3
	s_add_u32 s0, s5, s0
	s_addc_u32 s1, s8, s1
	v_lshlrev_b32_e32 v2, 3, v0
	v_mov_b32_e32 v3, 0
	v_lshl_add_u64 v[6:7], s[0:1], 0, v[2:3]
	s_ashr_i32 s9, s11, 31
	s_mov_b32 s8, s11
	v_accvgpr_write_b32 a0, v6
	s_add_i32 s5, s11, s11
	v_accvgpr_write_b32 a1, v7
	v_lshl_add_u64 v[8:9], s[8:9], 3, v[6:7]
	v_add_u32_e32 v6, s5, v0
	v_ashrrev_i32_e32 v7, 31, v6
	v_lshl_add_u64 v[10:11], v[6:7], 3, s[0:1]
	v_add_u32_e32 v6, s11, v6
	v_add_u32_e32 v14, s11, v6
	v_ashrrev_i32_e32 v7, 31, v6
	v_ashrrev_i32_e32 v15, 31, v14
	v_lshl_add_u64 v[12:13], v[6:7], 3, s[0:1]
	v_lshl_add_u64 v[16:17], v[14:15], 3, s[0:1]
	v_add_u32_e32 v14, s11, v14
	v_accvgpr_write_b32 a2, v8
	v_accvgpr_write_b32 a4, v10
	;; [unrolled: 1-line block ×4, first 2 shown]
	v_ashrrev_i32_e32 v15, 31, v14
	global_load_dwordx2 v[4:5], v2, s[0:1]
	global_load_dwordx2 v[6:7], v[8:9], off
	v_accvgpr_write_b32 a3, v9
	v_accvgpr_write_b32 a5, v11
	global_load_dwordx2 v[8:9], v[10:11], off
	v_accvgpr_write_b32 a7, v13
	global_load_dwordx2 v[10:11], v[12:13], off
	;; [unrolled: 2-line block ×3, first 2 shown]
	v_lshl_add_u64 v[16:17], v[14:15], 3, s[0:1]
	v_add_u32_e32 v14, s11, v14
	v_ashrrev_i32_e32 v15, 31, v14
	v_lshl_add_u64 v[18:19], v[14:15], 3, s[0:1]
	v_add_u32_e32 v14, s11, v14
	v_add_u32_e32 v22, s11, v14
	v_ashrrev_i32_e32 v23, 31, v22
	v_lshl_add_u64 v[24:25], v[22:23], 3, s[0:1]
	v_add_u32_e32 v22, s11, v22
	v_ashrrev_i32_e32 v23, 31, v22
	v_ashrrev_i32_e32 v15, 31, v14
	v_lshl_add_u64 v[26:27], v[22:23], 3, s[0:1]
	v_add_u32_e32 v22, s11, v22
	v_lshl_add_u64 v[20:21], v[14:15], 3, s[0:1]
	v_ashrrev_i32_e32 v23, 31, v22
	v_accvgpr_write_b32 a10, v16
	v_accvgpr_write_b32 a12, v18
	;; [unrolled: 1-line block ×4, first 2 shown]
	v_lshl_add_u64 v[28:29], v[22:23], 3, s[0:1]
	v_add_u32_e32 v22, s11, v22
	v_accvgpr_write_b32 a11, v17
	global_load_dwordx2 v[14:15], v[16:17], off
	v_accvgpr_write_b32 a13, v19
	global_load_dwordx2 v[16:17], v[18:19], off
	v_accvgpr_write_b32 a15, v21
	global_load_dwordx2 v[18:19], v[20:21], off
	v_accvgpr_write_b32 a17, v25
	global_load_dwordx2 v[20:21], v[24:25], off
	v_add_u32_e32 v24, s11, v22
	v_ashrrev_i32_e32 v23, 31, v22
	v_ashrrev_i32_e32 v25, 31, v24
	v_lshl_add_u64 v[30:31], v[22:23], 3, s[0:1]
	v_lshl_add_u64 v[32:33], v[24:25], 3, s[0:1]
	v_add_u32_e32 v24, s11, v24
	v_accvgpr_write_b32 a18, v26
	v_accvgpr_write_b32 a20, v28
	;; [unrolled: 1-line block ×4, first 2 shown]
	v_ashrrev_i32_e32 v25, 31, v24
	v_accvgpr_write_b32 a19, v27
	global_load_dwordx2 v[22:23], v[26:27], off
	v_accvgpr_write_b32 a21, v29
	global_load_dwordx2 v[26:27], v[28:29], off
	;; [unrolled: 2-line block ×4, first 2 shown]
	v_lshl_add_u64 v[32:33], v[24:25], 3, s[0:1]
	v_add_u32_e32 v24, s11, v24
	v_ashrrev_i32_e32 v25, 31, v24
	v_lshl_add_u64 v[34:35], v[24:25], 3, s[0:1]
	v_add_u32_e32 v24, s11, v24
	v_ashrrev_i32_e32 v25, 31, v24
	;; [unrolled: 3-line block ×45, first 2 shown]
	v_lshl_add_u64 v[160:161], v[24:25], 3, s[0:1]
	v_add_u32_e32 v24, s11, v24
	v_accvgpr_write_b32 a26, v32
	v_accvgpr_write_b32 a28, v34
	;; [unrolled: 1-line block ×34, first 2 shown]
	v_ashrrev_i32_e32 v25, 31, v24
	v_accvgpr_write_b32 a27, v33
	global_load_dwordx2 v[32:33], v[32:33], off
	v_accvgpr_write_b32 a29, v35
	global_load_dwordx2 v[34:35], v[34:35], off
	;; [unrolled: 2-line block ×34, first 2 shown]
	s_nop 0
	global_load_dwordx2 v[100:101], v[244:245], off
	global_load_dwordx2 v[102:103], v[246:247], off
	;; [unrolled: 1-line block ×10, first 2 shown]
	v_lshl_add_u64 v[162:163], v[24:25], 3, s[0:1]
	global_load_dwordx2 v[120:121], v[158:159], off
	global_load_dwordx2 v[122:123], v[160:161], off
	;; [unrolled: 1-line block ×3, first 2 shown]
	s_bitcmp0_b32 s4, 0
	s_mov_b64 s[4:5], -1
	s_waitcnt vmcnt(58)
	scratch_store_dwordx4 off, v[4:7], off
	s_waitcnt vmcnt(57)
	scratch_store_dwordx4 off, v[8:11], off offset:16
	s_waitcnt vmcnt(56)
	scratch_store_dwordx4 off, v[12:15], off offset:32
	;; [unrolled: 2-line block ×29, first 2 shown]
	s_cbranch_scc1 .LBB59_252
; %bb.4:
	v_cmp_eq_u32_e64 s[0:1], 0, v0
	s_and_saveexec_b64 s[4:5], s[0:1]
; %bb.5:
	v_mov_b32_e32 v1, 0
	ds_write_b32 v1, v1 offset:960
; %bb.6:
	s_or_b64 exec, exec, s[4:5]
	s_waitcnt lgkmcnt(0)
	; wave barrier
	scratch_load_dwordx2 v[4:5], v2, off
	s_waitcnt vmcnt(0)
	v_cmp_eq_f32_e32 vcc, 0, v4
	v_cmp_eq_f32_e64 s[4:5], 0, v5
	s_and_b64 s[4:5], vcc, s[4:5]
	s_and_saveexec_b64 s[8:9], s[4:5]
	s_cbranch_execz .LBB59_10
; %bb.7:
	v_mov_b32_e32 v1, 0
	ds_read_b32 v4, v1 offset:960
	v_add_u32_e32 v3, 1, v0
	s_waitcnt lgkmcnt(0)
	v_readfirstlane_b32 s4, v4
	s_cmp_eq_u32 s4, 0
	s_cselect_b64 s[10:11], -1, 0
	v_cmp_gt_i32_e32 vcc, s4, v3
	s_or_b64 s[10:11], s[10:11], vcc
	s_and_b64 exec, exec, s[10:11]
	s_cbranch_execz .LBB59_10
; %bb.8:
	s_mov_b64 s[10:11], 0
	v_mov_b32_e32 v4, s4
.LBB59_9:                               ; =>This Inner Loop Header: Depth=1
	ds_cmpst_rtn_b32 v4, v1, v4, v3 offset:960
	s_waitcnt lgkmcnt(0)
	v_cmp_ne_u32_e32 vcc, 0, v4
	v_cmp_le_i32_e64 s[4:5], v4, v3
	s_and_b64 s[4:5], vcc, s[4:5]
	s_and_b64 s[4:5], exec, s[4:5]
	s_or_b64 s[10:11], s[4:5], s[10:11]
	s_andn2_b64 exec, exec, s[10:11]
	s_cbranch_execnz .LBB59_9
.LBB59_10:
	s_or_b64 exec, exec, s[8:9]
	v_mov_b32_e32 v3, 0
	; wave barrier
	ds_read_b32 v1, v3 offset:960
	s_and_saveexec_b64 s[4:5], s[0:1]
	s_cbranch_execz .LBB59_12
; %bb.11:
	s_lshl_b64 s[8:9], s[2:3], 2
	s_add_u32 s8, s6, s8
	s_addc_u32 s9, s7, s9
	s_waitcnt lgkmcnt(0)
	global_store_dword v3, v1, s[8:9]
.LBB59_12:
	s_or_b64 exec, exec, s[4:5]
	s_waitcnt lgkmcnt(0)
	v_cmp_ne_u32_e32 vcc, 0, v1
	s_mov_b64 s[4:5], 0
	s_cbranch_vccnz .LBB59_252
; %bb.13:
	v_mov_b32_e32 v3, v2
	scratch_load_dwordx2 v[4:5], v3, off
                                        ; implicit-def: $vgpr7
                                        ; implicit-def: $vgpr8
	s_waitcnt vmcnt(0)
	v_cmp_ngt_f32_e64 s[4:5], |v4|, |v5|
	s_and_saveexec_b64 s[8:9], s[4:5]
	s_xor_b64 s[4:5], exec, s[8:9]
	s_cbranch_execz .LBB59_15
; %bb.14:
	v_div_scale_f32 v1, s[8:9], v5, v5, v4
	v_rcp_f32_e32 v6, v1
	v_div_scale_f32 v7, vcc, v4, v5, v4
	v_fma_f32 v8, -v1, v6, 1.0
	v_fmac_f32_e32 v6, v8, v6
	v_mul_f32_e32 v8, v7, v6
	v_fma_f32 v9, -v1, v8, v7
	v_fmac_f32_e32 v8, v9, v6
	v_fma_f32 v1, -v1, v8, v7
	v_div_fmas_f32 v1, v1, v6, v8
	v_div_fixup_f32 v1, v1, v5, v4
	v_fmac_f32_e32 v5, v4, v1
	v_div_scale_f32 v4, s[8:9], v5, v5, -1.0
	v_rcp_f32_e32 v6, v4
	s_nop 0
	v_fma_f32 v7, -v4, v6, 1.0
	v_fmac_f32_e32 v6, v7, v6
	v_div_scale_f32 v7, vcc, -1.0, v5, -1.0
	v_mul_f32_e32 v8, v7, v6
	v_fma_f32 v9, -v4, v8, v7
	v_fmac_f32_e32 v8, v9, v6
	v_fma_f32 v4, -v4, v8, v7
	v_div_fmas_f32 v4, v4, v6, v8
	v_div_fixup_f32 v7, v4, v5, -1.0
	v_mul_f32_e32 v8, v1, v7
	v_xor_b32_e32 v6, 0x80000000, v8
                                        ; implicit-def: $vgpr4_vgpr5
.LBB59_15:
	s_andn2_saveexec_b64 s[4:5], s[4:5]
	s_cbranch_execz .LBB59_17
; %bb.16:
	v_div_scale_f32 v1, s[8:9], v4, v4, v5
	v_rcp_f32_e32 v6, v1
	v_div_scale_f32 v7, vcc, v5, v4, v5
	v_fma_f32 v8, -v1, v6, 1.0
	v_fmac_f32_e32 v6, v8, v6
	v_mul_f32_e32 v8, v7, v6
	v_fma_f32 v9, -v1, v8, v7
	v_fmac_f32_e32 v8, v9, v6
	v_fma_f32 v1, -v1, v8, v7
	v_div_fmas_f32 v1, v1, v6, v8
	v_div_fixup_f32 v1, v1, v4, v5
	v_fmac_f32_e32 v4, v5, v1
	v_div_scale_f32 v5, s[8:9], v4, v4, 1.0
	v_rcp_f32_e32 v6, v5
	s_nop 0
	v_fma_f32 v7, -v5, v6, 1.0
	v_fmac_f32_e32 v6, v7, v6
	v_div_scale_f32 v7, vcc, 1.0, v4, 1.0
	v_mul_f32_e32 v8, v7, v6
	v_fma_f32 v9, -v5, v8, v7
	v_fmac_f32_e32 v8, v9, v6
	v_fma_f32 v5, -v5, v8, v7
	v_div_fmas_f32 v5, v5, v6, v8
	v_div_fixup_f32 v6, v5, v4, 1.0
	v_xor_b32_e32 v8, 0x80000000, v6
	v_mul_f32_e64 v7, v1, -v6
.LBB59_17:
	s_or_b64 exec, exec, s[4:5]
	scratch_store_dwordx2 v3, v[6:7], off
	scratch_load_dwordx2 v[4:5], off, off offset:8
	v_xor_b32_e32 v9, 0x80000000, v7
	v_add_u32_e32 v1, 0x1e0, v2
	s_waitcnt vmcnt(0)
	ds_write2_b64 v2, v[8:9], v[4:5] offset1:60
	s_waitcnt lgkmcnt(0)
	; wave barrier
	s_and_saveexec_b64 s[4:5], s[0:1]
	s_cbranch_execz .LBB59_19
; %bb.18:
	scratch_load_dwordx2 v[4:5], v3, off
	ds_read_b64 v[6:7], v1
	v_mov_b32_e32 v8, 0
	ds_read_b64 v[8:9], v8 offset:8
	s_waitcnt vmcnt(0) lgkmcnt(1)
	v_pk_mul_f32 v[10:11], v[6:7], v[4:5] op_sel:[1,1] op_sel_hi:[0,1]
	v_pk_fma_f32 v[12:13], v[6:7], v[4:5], v[10:11] neg_lo:[0,0,1] neg_hi:[0,0,1]
	v_pk_fma_f32 v[4:5], v[6:7], v[4:5], v[10:11] op_sel_hi:[1,0,1]
	s_nop 0
	v_mov_b32_e32 v13, v5
	v_pk_add_f32 v[4:5], v[12:13], 0 op_sel_hi:[1,0]
	s_waitcnt lgkmcnt(0)
	v_pk_mul_f32 v[6:7], v[4:5], v[8:9] op_sel:[1,1] op_sel_hi:[0,1]
	v_pk_fma_f32 v[10:11], v[4:5], v[8:9], v[6:7] neg_lo:[0,0,1] neg_hi:[0,0,1]
	v_pk_fma_f32 v[4:5], v[4:5], v[8:9], v[6:7] op_sel_hi:[1,0,1]
	s_nop 0
	v_mov_b32_e32 v11, v5
	scratch_store_dwordx2 off, v[10:11], off offset:8
.LBB59_19:
	s_or_b64 exec, exec, s[4:5]
	; wave barrier
	scratch_load_dwordx2 v[4:5], off, off offset:16
	v_cmp_gt_u32_e32 vcc, 2, v0
	s_waitcnt vmcnt(0)
	ds_write_b64 v1, v[4:5]
	s_waitcnt lgkmcnt(0)
	; wave barrier
	s_and_saveexec_b64 s[4:5], vcc
	s_cbranch_execz .LBB59_23
; %bb.20:
	scratch_load_dwordx2 v[4:5], v3, off
	ds_read_b64 v[6:7], v1
	s_waitcnt vmcnt(0) lgkmcnt(0)
	v_pk_mul_f32 v[8:9], v[6:7], v[4:5] op_sel:[1,1] op_sel_hi:[0,1]
	v_pk_fma_f32 v[10:11], v[6:7], v[4:5], v[8:9] neg_lo:[0,0,1] neg_hi:[0,0,1]
	v_pk_fma_f32 v[4:5], v[6:7], v[4:5], v[8:9] op_sel_hi:[1,0,1]
	s_nop 0
	v_mov_b32_e32 v11, v5
	v_pk_add_f32 v[4:5], v[10:11], 0 op_sel_hi:[1,0]
	s_and_saveexec_b64 s[8:9], s[0:1]
	s_cbranch_execz .LBB59_22
; %bb.21:
	scratch_load_dwordx2 v[6:7], off, off offset:8
	v_mov_b32_e32 v3, 0
	ds_read_b64 v[8:9], v3 offset:488
	s_waitcnt vmcnt(0) lgkmcnt(0)
	v_pk_mul_f32 v[10:11], v[8:9], v[6:7] op_sel:[1,1] op_sel_hi:[0,1]
	v_pk_fma_f32 v[12:13], v[8:9], v[6:7], v[10:11] neg_lo:[0,0,1] neg_hi:[0,0,1]
	v_pk_fma_f32 v[6:7], v[8:9], v[6:7], v[10:11] op_sel_hi:[1,0,1]
	s_nop 0
	v_mov_b32_e32 v13, v7
	v_pk_add_f32 v[4:5], v[4:5], v[12:13]
.LBB59_22:
	s_or_b64 exec, exec, s[8:9]
	v_mov_b32_e32 v3, 0
	ds_read_b64 v[6:7], v3 offset:16
	s_waitcnt lgkmcnt(0)
	v_pk_mul_f32 v[8:9], v[4:5], v[6:7] op_sel:[1,1] op_sel_hi:[0,1]
	v_pk_fma_f32 v[10:11], v[4:5], v[6:7], v[8:9] neg_lo:[0,0,1] neg_hi:[0,0,1]
	v_pk_fma_f32 v[4:5], v[4:5], v[6:7], v[8:9] op_sel_hi:[1,0,1]
	s_nop 0
	v_mov_b32_e32 v11, v5
	scratch_store_dwordx2 off, v[10:11], off offset:16
.LBB59_23:
	s_or_b64 exec, exec, s[4:5]
	; wave barrier
	scratch_load_dwordx2 v[4:5], off, off offset:24
	v_cmp_gt_u32_e32 vcc, 3, v0
	v_add_u32_e32 v6, -1, v0
	s_waitcnt vmcnt(0)
	ds_write_b64 v1, v[4:5]
	s_waitcnt lgkmcnt(0)
	; wave barrier
	s_and_saveexec_b64 s[0:1], vcc
	s_cbranch_execz .LBB59_27
; %bb.24:
	v_mov_b32_e32 v4, 0
	v_add_u32_e32 v3, -1, v0
	v_add_u32_e32 v7, 0x1e0, v2
	v_mov_b32_e32 v8, v2
	s_mov_b64 s[4:5], 0
	v_mov_b32_e32 v5, v4
.LBB59_25:                              ; =>This Inner Loop Header: Depth=1
	scratch_load_dwordx2 v[10:11], v8, off
	ds_read_b64 v[12:13], v7
	v_add_u32_e32 v3, 1, v3
	v_cmp_lt_u32_e32 vcc, 1, v3
	v_add_u32_e32 v7, 8, v7
	v_add_u32_e32 v8, 8, v8
	s_or_b64 s[4:5], vcc, s[4:5]
	s_waitcnt vmcnt(0) lgkmcnt(0)
	v_pk_mul_f32 v[14:15], v[12:13], v[10:11] op_sel:[1,1] op_sel_hi:[0,1]
	v_pk_fma_f32 v[16:17], v[12:13], v[10:11], v[14:15] neg_lo:[0,0,1] neg_hi:[0,0,1]
	v_pk_fma_f32 v[10:11], v[12:13], v[10:11], v[14:15] op_sel_hi:[1,0,1]
	s_nop 0
	v_mov_b32_e32 v17, v11
	v_pk_add_f32 v[4:5], v[4:5], v[16:17]
	s_andn2_b64 exec, exec, s[4:5]
	s_cbranch_execnz .LBB59_25
; %bb.26:
	s_or_b64 exec, exec, s[4:5]
	v_mov_b32_e32 v3, 0
	ds_read_b64 v[8:9], v3 offset:24
	s_waitcnt lgkmcnt(0)
	v_pk_mul_f32 v[10:11], v[4:5], v[8:9] op_sel:[1,1] op_sel_hi:[0,1]
	v_pk_fma_f32 v[12:13], v[4:5], v[8:9], v[10:11] neg_lo:[0,0,1] neg_hi:[0,0,1]
	v_pk_fma_f32 v[4:5], v[4:5], v[8:9], v[10:11] op_sel_hi:[1,0,1]
	s_nop 0
	v_mov_b32_e32 v13, v5
	scratch_store_dwordx2 off, v[12:13], off offset:24
.LBB59_27:
	s_or_b64 exec, exec, s[0:1]
	; wave barrier
	scratch_load_dwordx2 v[4:5], off, off offset:32
	v_cmp_gt_u32_e32 vcc, 4, v0
	s_waitcnt vmcnt(0)
	ds_write_b64 v1, v[4:5]
	s_waitcnt lgkmcnt(0)
	; wave barrier
	s_and_saveexec_b64 s[0:1], vcc
	s_cbranch_execz .LBB59_31
; %bb.28:
	v_mov_b32_e32 v4, 0
	v_add_u32_e32 v3, -1, v0
	v_add_u32_e32 v7, 0x1e0, v2
	v_mov_b32_e32 v8, v2
	s_mov_b64 s[4:5], 0
	v_mov_b32_e32 v5, v4
.LBB59_29:                              ; =>This Inner Loop Header: Depth=1
	scratch_load_dwordx2 v[10:11], v8, off
	ds_read_b64 v[12:13], v7
	v_add_u32_e32 v3, 1, v3
	v_cmp_lt_u32_e32 vcc, 2, v3
	v_add_u32_e32 v7, 8, v7
	v_add_u32_e32 v8, 8, v8
	s_or_b64 s[4:5], vcc, s[4:5]
	s_waitcnt vmcnt(0) lgkmcnt(0)
	v_pk_mul_f32 v[14:15], v[12:13], v[10:11] op_sel:[1,1] op_sel_hi:[0,1]
	v_pk_fma_f32 v[16:17], v[12:13], v[10:11], v[14:15] neg_lo:[0,0,1] neg_hi:[0,0,1]
	v_pk_fma_f32 v[10:11], v[12:13], v[10:11], v[14:15] op_sel_hi:[1,0,1]
	s_nop 0
	v_mov_b32_e32 v17, v11
	v_pk_add_f32 v[4:5], v[4:5], v[16:17]
	s_andn2_b64 exec, exec, s[4:5]
	s_cbranch_execnz .LBB59_29
; %bb.30:
	s_or_b64 exec, exec, s[4:5]
	v_mov_b32_e32 v3, 0
	ds_read_b64 v[8:9], v3 offset:32
	s_waitcnt lgkmcnt(0)
	v_pk_mul_f32 v[10:11], v[4:5], v[8:9] op_sel:[1,1] op_sel_hi:[0,1]
	v_pk_fma_f32 v[12:13], v[4:5], v[8:9], v[10:11] neg_lo:[0,0,1] neg_hi:[0,0,1]
	v_pk_fma_f32 v[4:5], v[4:5], v[8:9], v[10:11] op_sel_hi:[1,0,1]
	s_nop 0
	v_mov_b32_e32 v13, v5
	scratch_store_dwordx2 off, v[12:13], off offset:32
.LBB59_31:
	s_or_b64 exec, exec, s[0:1]
	; wave barrier
	scratch_load_dwordx2 v[4:5], off, off offset:40
	v_cmp_gt_u32_e32 vcc, 5, v0
	;; [unrolled: 46-line block ×19, first 2 shown]
	s_waitcnt vmcnt(0)
	ds_write_b64 v1, v[4:5]
	s_waitcnt lgkmcnt(0)
	; wave barrier
	s_and_saveexec_b64 s[0:1], vcc
	s_cbranch_execz .LBB59_103
; %bb.100:
	v_mov_b32_e32 v4, 0
	v_add_u32_e32 v3, -1, v0
	v_add_u32_e32 v7, 0x1e0, v2
	v_mov_b32_e32 v8, v2
	s_mov_b64 s[4:5], 0
	v_mov_b32_e32 v5, v4
.LBB59_101:                             ; =>This Inner Loop Header: Depth=1
	scratch_load_dwordx2 v[10:11], v8, off
	ds_read_b64 v[12:13], v7
	v_add_u32_e32 v3, 1, v3
	v_cmp_lt_u32_e32 vcc, 20, v3
	v_add_u32_e32 v7, 8, v7
	v_add_u32_e32 v8, 8, v8
	s_or_b64 s[4:5], vcc, s[4:5]
	s_waitcnt vmcnt(0) lgkmcnt(0)
	v_pk_mul_f32 v[14:15], v[12:13], v[10:11] op_sel:[1,1] op_sel_hi:[0,1]
	v_pk_fma_f32 v[16:17], v[12:13], v[10:11], v[14:15] neg_lo:[0,0,1] neg_hi:[0,0,1]
	v_pk_fma_f32 v[10:11], v[12:13], v[10:11], v[14:15] op_sel_hi:[1,0,1]
	s_nop 0
	v_mov_b32_e32 v17, v11
	v_pk_add_f32 v[4:5], v[4:5], v[16:17]
	s_andn2_b64 exec, exec, s[4:5]
	s_cbranch_execnz .LBB59_101
; %bb.102:
	s_or_b64 exec, exec, s[4:5]
	v_mov_b32_e32 v3, 0
	ds_read_b64 v[8:9], v3 offset:176
	s_waitcnt lgkmcnt(0)
	v_pk_mul_f32 v[10:11], v[4:5], v[8:9] op_sel:[1,1] op_sel_hi:[0,1]
	v_pk_fma_f32 v[12:13], v[4:5], v[8:9], v[10:11] neg_lo:[0,0,1] neg_hi:[0,0,1]
	v_pk_fma_f32 v[4:5], v[4:5], v[8:9], v[10:11] op_sel_hi:[1,0,1]
	s_nop 0
	v_mov_b32_e32 v13, v5
	scratch_store_dwordx2 off, v[12:13], off offset:176
.LBB59_103:
	s_or_b64 exec, exec, s[0:1]
	; wave barrier
	scratch_load_dwordx2 v[4:5], off, off offset:184
	v_cmp_gt_u32_e32 vcc, 23, v0
	s_waitcnt vmcnt(0)
	ds_write_b64 v1, v[4:5]
	s_waitcnt lgkmcnt(0)
	; wave barrier
	s_and_saveexec_b64 s[0:1], vcc
	s_cbranch_execz .LBB59_107
; %bb.104:
	v_mov_b32_e32 v4, 0
	v_add_u32_e32 v3, -1, v0
	v_add_u32_e32 v7, 0x1e0, v2
	v_mov_b32_e32 v8, v2
	s_mov_b64 s[4:5], 0
	v_mov_b32_e32 v5, v4
.LBB59_105:                             ; =>This Inner Loop Header: Depth=1
	scratch_load_dwordx2 v[10:11], v8, off
	ds_read_b64 v[12:13], v7
	v_add_u32_e32 v3, 1, v3
	v_cmp_lt_u32_e32 vcc, 21, v3
	v_add_u32_e32 v7, 8, v7
	v_add_u32_e32 v8, 8, v8
	s_or_b64 s[4:5], vcc, s[4:5]
	s_waitcnt vmcnt(0) lgkmcnt(0)
	v_pk_mul_f32 v[14:15], v[12:13], v[10:11] op_sel:[1,1] op_sel_hi:[0,1]
	v_pk_fma_f32 v[16:17], v[12:13], v[10:11], v[14:15] neg_lo:[0,0,1] neg_hi:[0,0,1]
	v_pk_fma_f32 v[10:11], v[12:13], v[10:11], v[14:15] op_sel_hi:[1,0,1]
	s_nop 0
	v_mov_b32_e32 v17, v11
	v_pk_add_f32 v[4:5], v[4:5], v[16:17]
	s_andn2_b64 exec, exec, s[4:5]
	s_cbranch_execnz .LBB59_105
; %bb.106:
	s_or_b64 exec, exec, s[4:5]
	v_mov_b32_e32 v3, 0
	ds_read_b64 v[8:9], v3 offset:184
	s_waitcnt lgkmcnt(0)
	v_pk_mul_f32 v[10:11], v[4:5], v[8:9] op_sel:[1,1] op_sel_hi:[0,1]
	v_pk_fma_f32 v[12:13], v[4:5], v[8:9], v[10:11] neg_lo:[0,0,1] neg_hi:[0,0,1]
	v_pk_fma_f32 v[4:5], v[4:5], v[8:9], v[10:11] op_sel_hi:[1,0,1]
	s_nop 0
	v_mov_b32_e32 v13, v5
	scratch_store_dwordx2 off, v[12:13], off offset:184
.LBB59_107:
	s_or_b64 exec, exec, s[0:1]
	; wave barrier
	scratch_load_dwordx2 v[4:5], off, off offset:192
	v_cmp_gt_u32_e32 vcc, 24, v0
	;; [unrolled: 46-line block ×36, first 2 shown]
	s_waitcnt vmcnt(0)
	ds_write_b64 v1, v[4:5]
	s_waitcnt lgkmcnt(0)
	; wave barrier
	s_and_saveexec_b64 s[0:1], vcc
	s_cbranch_execz .LBB59_247
; %bb.244:
	v_mov_b32_e32 v4, 0
	v_add_u32_e32 v3, -1, v0
	v_add_u32_e32 v7, 0x1e0, v2
	v_mov_b32_e32 v8, v2
	s_mov_b64 s[4:5], 0
	v_mov_b32_e32 v5, v4
.LBB59_245:                             ; =>This Inner Loop Header: Depth=1
	scratch_load_dwordx2 v[10:11], v8, off
	ds_read_b64 v[12:13], v7
	v_add_u32_e32 v3, 1, v3
	v_cmp_lt_u32_e32 vcc, 56, v3
	v_add_u32_e32 v7, 8, v7
	v_add_u32_e32 v8, 8, v8
	s_or_b64 s[4:5], vcc, s[4:5]
	s_waitcnt vmcnt(0) lgkmcnt(0)
	v_pk_mul_f32 v[14:15], v[12:13], v[10:11] op_sel:[1,1] op_sel_hi:[0,1]
	v_pk_fma_f32 v[16:17], v[12:13], v[10:11], v[14:15] neg_lo:[0,0,1] neg_hi:[0,0,1]
	v_pk_fma_f32 v[10:11], v[12:13], v[10:11], v[14:15] op_sel_hi:[1,0,1]
	s_nop 0
	v_mov_b32_e32 v17, v11
	v_pk_add_f32 v[4:5], v[4:5], v[16:17]
	s_andn2_b64 exec, exec, s[4:5]
	s_cbranch_execnz .LBB59_245
; %bb.246:
	s_or_b64 exec, exec, s[4:5]
	v_mov_b32_e32 v3, 0
	ds_read_b64 v[8:9], v3 offset:464
	s_waitcnt lgkmcnt(0)
	v_pk_mul_f32 v[10:11], v[4:5], v[8:9] op_sel:[1,1] op_sel_hi:[0,1]
	v_pk_fma_f32 v[12:13], v[4:5], v[8:9], v[10:11] neg_lo:[0,0,1] neg_hi:[0,0,1]
	v_pk_fma_f32 v[4:5], v[4:5], v[8:9], v[10:11] op_sel_hi:[1,0,1]
	s_nop 0
	v_mov_b32_e32 v13, v5
	scratch_store_dwordx2 off, v[12:13], off offset:464
.LBB59_247:
	s_or_b64 exec, exec, s[0:1]
	; wave barrier
	scratch_load_dwordx2 v[4:5], off, off offset:472
	v_cmp_ne_u32_e32 vcc, 59, v0
	s_waitcnt vmcnt(0)
	ds_write_b64 v1, v[4:5]
	s_waitcnt lgkmcnt(0)
	; wave barrier
	s_and_saveexec_b64 s[0:1], vcc
	s_cbranch_execz .LBB59_251
; %bb.248:
	v_add_u32_e32 v1, 0x1e0, v2
	v_mov_b32_e32 v4, v2
	v_mov_b32_e32 v2, 0
	s_mov_b64 s[4:5], 0
	v_mov_b32_e32 v3, v2
.LBB59_249:                             ; =>This Inner Loop Header: Depth=1
	scratch_load_dwordx2 v[8:9], v4, off
	ds_read_b64 v[10:11], v1
	v_add_u32_e32 v6, 1, v6
	v_cmp_lt_u32_e32 vcc, 57, v6
	v_add_u32_e32 v1, 8, v1
	v_add_u32_e32 v4, 8, v4
	s_or_b64 s[4:5], vcc, s[4:5]
	s_waitcnt vmcnt(0) lgkmcnt(0)
	v_pk_mul_f32 v[12:13], v[10:11], v[8:9] op_sel:[1,1] op_sel_hi:[0,1]
	v_pk_fma_f32 v[14:15], v[10:11], v[8:9], v[12:13] neg_lo:[0,0,1] neg_hi:[0,0,1]
	v_pk_fma_f32 v[8:9], v[10:11], v[8:9], v[12:13] op_sel_hi:[1,0,1]
	s_nop 0
	v_mov_b32_e32 v15, v9
	v_pk_add_f32 v[2:3], v[2:3], v[14:15]
	s_andn2_b64 exec, exec, s[4:5]
	s_cbranch_execnz .LBB59_249
; %bb.250:
	s_or_b64 exec, exec, s[4:5]
	v_mov_b32_e32 v1, 0
	ds_read_b64 v[4:5], v1 offset:472
	s_waitcnt lgkmcnt(0)
	v_pk_mul_f32 v[6:7], v[2:3], v[4:5] op_sel:[1,1] op_sel_hi:[0,1]
	v_pk_fma_f32 v[8:9], v[2:3], v[4:5], v[6:7] neg_lo:[0,0,1] neg_hi:[0,0,1]
	v_pk_fma_f32 v[2:3], v[2:3], v[4:5], v[6:7] op_sel_hi:[1,0,1]
	s_nop 0
	v_mov_b32_e32 v9, v3
	scratch_store_dwordx2 off, v[8:9], off offset:472
.LBB59_251:
	s_or_b64 exec, exec, s[0:1]
	s_mov_b64 s[4:5], -1
	; wave barrier
.LBB59_252:
	s_and_b64 vcc, exec, s[4:5]
	s_cbranch_vccz .LBB59_254
; %bb.253:
	s_lshl_b64 s[0:1], s[2:3], 2
	s_add_u32 s0, s6, s0
	s_addc_u32 s1, s7, s1
	v_mov_b32_e32 v1, 0
	global_load_dword v1, v1, s[0:1]
	s_waitcnt vmcnt(0)
	v_cmp_ne_u32_e32 vcc, 0, v1
	s_cbranch_vccz .LBB59_255
.LBB59_254:
	s_endpgm
.LBB59_255:
	v_mov_b32_e32 v1, 0x1e0
	v_lshl_add_u32 v1, v0, 3, v1
	v_cmp_eq_u32_e32 vcc, 59, v0
	s_and_saveexec_b64 s[0:1], vcc
	s_cbranch_execz .LBB59_257
; %bb.256:
	scratch_load_dwordx2 v[2:3], off, off offset:464
	v_mov_b32_e32 v4, 0
	v_mov_b32_e32 v5, v4
	scratch_store_dwordx2 off, v[4:5], off offset:464
	s_waitcnt vmcnt(1)
	ds_write_b64 v1, v[2:3]
.LBB59_257:
	s_or_b64 exec, exec, s[0:1]
	s_waitcnt lgkmcnt(0)
	; wave barrier
	scratch_load_dwordx2 v[4:5], off, off offset:472
	scratch_load_dwordx2 v[6:7], off, off offset:464
	v_mov_b32_e32 v2, 0
	ds_read_b64 v[8:9], v2 offset:952
	v_cmp_lt_u32_e32 vcc, 57, v0
	s_waitcnt vmcnt(1) lgkmcnt(0)
	v_pk_mul_f32 v[10:11], v[8:9], v[4:5] op_sel:[1,1] op_sel_hi:[0,1]
	v_pk_fma_f32 v[12:13], v[8:9], v[4:5], v[10:11] neg_lo:[0,0,1] neg_hi:[0,0,1]
	v_pk_fma_f32 v[4:5], v[8:9], v[4:5], v[10:11] op_sel_hi:[1,0,1]
	s_nop 0
	v_mov_b32_e32 v13, v5
	v_pk_add_f32 v[4:5], v[12:13], 0 op_sel_hi:[1,0]
	s_waitcnt vmcnt(0)
	v_pk_add_f32 v[4:5], v[6:7], v[4:5] neg_lo:[0,1] neg_hi:[0,1]
	scratch_store_dwordx2 off, v[4:5], off offset:464
	s_and_saveexec_b64 s[0:1], vcc
	s_cbranch_execz .LBB59_259
; %bb.258:
	scratch_load_dwordx2 v[4:5], off, off offset:456
	v_mov_b32_e32 v3, v2
	scratch_store_dwordx2 off, v[2:3], off offset:456
	s_waitcnt vmcnt(1)
	ds_write_b64 v1, v[4:5]
.LBB59_259:
	s_or_b64 exec, exec, s[0:1]
	s_waitcnt lgkmcnt(0)
	; wave barrier
	scratch_load_dwordx4 v[4:7], off, off offset:464
	scratch_load_dwordx2 v[12:13], off, off offset:456
	ds_read_b128 v[8:11], v2 offset:944
	v_cmp_lt_u32_e32 vcc, 56, v0
	s_waitcnt vmcnt(1) lgkmcnt(0)
	v_pk_mul_f32 v[2:3], v[8:9], v[4:5] op_sel:[1,1] op_sel_hi:[0,1]
	v_mov_b32_e32 v14, v7
	v_pk_fma_f32 v[16:17], v[8:9], v[4:5], v[2:3] neg_lo:[0,0,1] neg_hi:[0,0,1]
	v_pk_fma_f32 v[2:3], v[8:9], v[4:5], v[2:3] op_sel_hi:[1,0,1]
	v_pk_mul_f32 v[4:5], v[10:11], v[14:15] op_sel:[1,0] op_sel_hi:[0,0]
	v_mov_b32_e32 v17, v3
	v_pk_fma_f32 v[2:3], v[10:11], v[6:7], v[4:5] neg_lo:[0,0,1] neg_hi:[0,0,1]
	v_pk_fma_f32 v[4:5], v[10:11], v[6:7], v[4:5] op_sel_hi:[1,0,1]
	v_pk_add_f32 v[6:7], v[16:17], 0 op_sel_hi:[1,0]
	v_mov_b32_e32 v3, v5
	v_pk_add_f32 v[2:3], v[6:7], v[2:3]
	s_waitcnt vmcnt(0)
	v_pk_add_f32 v[2:3], v[12:13], v[2:3] neg_lo:[0,1] neg_hi:[0,1]
	scratch_store_dwordx2 off, v[2:3], off offset:456
	s_and_saveexec_b64 s[0:1], vcc
	s_cbranch_execz .LBB59_261
; %bb.260:
	scratch_load_dwordx2 v[2:3], off, off offset:448
	v_mov_b32_e32 v4, 0
	v_mov_b32_e32 v5, v4
	scratch_store_dwordx2 off, v[4:5], off offset:448
	s_waitcnt vmcnt(1)
	ds_write_b64 v1, v[2:3]
.LBB59_261:
	s_or_b64 exec, exec, s[0:1]
	s_waitcnt lgkmcnt(0)
	; wave barrier
	scratch_load_dwordx4 v[4:7], off, off offset:456
	scratch_load_dwordx2 v[12:13], off, off offset:472
	scratch_load_dwordx2 v[14:15], off, off offset:448
	v_mov_b32_e32 v2, 0
	ds_read2_b64 v[8:11], v2 offset0:117 offset1:118
	ds_read_b64 v[16:17], v2 offset:952
	v_cmp_lt_u32_e32 vcc, 55, v0
	s_waitcnt vmcnt(2) lgkmcnt(1)
	v_pk_mul_f32 v[18:19], v[8:9], v[4:5] op_sel:[1,1] op_sel_hi:[0,1]
	v_mov_b32_e32 v20, v7
	v_pk_fma_f32 v[24:25], v[8:9], v[4:5], v[18:19] neg_lo:[0,0,1] neg_hi:[0,0,1]
	v_pk_fma_f32 v[4:5], v[8:9], v[4:5], v[18:19] op_sel_hi:[1,0,1]
	v_pk_mul_f32 v[8:9], v[10:11], v[20:21] op_sel:[1,0] op_sel_hi:[0,0]
	s_waitcnt vmcnt(1) lgkmcnt(0)
	v_pk_mul_f32 v[22:23], v[16:17], v[12:13] op_sel:[1,1] op_sel_hi:[0,1]
	v_mov_b32_e32 v25, v5
	v_pk_fma_f32 v[4:5], v[10:11], v[6:7], v[8:9] neg_lo:[0,0,1] neg_hi:[0,0,1]
	v_pk_fma_f32 v[6:7], v[10:11], v[6:7], v[8:9] op_sel_hi:[1,0,1]
	v_pk_fma_f32 v[18:19], v[16:17], v[12:13], v[22:23] neg_lo:[0,0,1] neg_hi:[0,0,1]
	v_pk_fma_f32 v[12:13], v[16:17], v[12:13], v[22:23] op_sel_hi:[1,0,1]
	v_pk_add_f32 v[8:9], v[24:25], 0 op_sel_hi:[1,0]
	v_mov_b32_e32 v5, v7
	v_mov_b32_e32 v19, v13
	v_pk_add_f32 v[4:5], v[8:9], v[4:5]
	s_nop 0
	v_pk_add_f32 v[4:5], v[4:5], v[18:19]
	s_waitcnt vmcnt(0)
	v_pk_add_f32 v[4:5], v[14:15], v[4:5] neg_lo:[0,1] neg_hi:[0,1]
	scratch_store_dwordx2 off, v[4:5], off offset:448
	s_and_saveexec_b64 s[0:1], vcc
	s_cbranch_execz .LBB59_263
; %bb.262:
	scratch_load_dwordx2 v[4:5], off, off offset:440
	v_mov_b32_e32 v3, v2
	scratch_store_dwordx2 off, v[2:3], off offset:440
	s_waitcnt vmcnt(1)
	ds_write_b64 v1, v[4:5]
.LBB59_263:
	s_or_b64 exec, exec, s[0:1]
	s_waitcnt lgkmcnt(0)
	; wave barrier
	scratch_load_dwordx4 v[4:7], off, off offset:448
	scratch_load_dwordx4 v[8:11], off, off offset:464
	scratch_load_dwordx2 v[20:21], off, off offset:440
	ds_read_b128 v[12:15], v2 offset:928
	ds_read_b128 v[16:19], v2 offset:944
	v_cmp_lt_u32_e32 vcc, 54, v0
	s_waitcnt vmcnt(2) lgkmcnt(1)
	v_pk_mul_f32 v[2:3], v[12:13], v[4:5] op_sel:[1,1] op_sel_hi:[0,1]
	v_mov_b32_e32 v22, v7
	s_waitcnt vmcnt(1) lgkmcnt(0)
	v_pk_mul_f32 v[24:25], v[16:17], v[8:9] op_sel:[1,1] op_sel_hi:[0,1]
	v_mov_b32_e32 v26, v11
	v_pk_fma_f32 v[28:29], v[12:13], v[4:5], v[2:3] neg_lo:[0,0,1] neg_hi:[0,0,1]
	v_pk_fma_f32 v[2:3], v[12:13], v[4:5], v[2:3] op_sel_hi:[1,0,1]
	v_pk_mul_f32 v[4:5], v[14:15], v[22:23] op_sel:[1,0] op_sel_hi:[0,0]
	v_pk_fma_f32 v[12:13], v[16:17], v[8:9], v[24:25] neg_lo:[0,0,1] neg_hi:[0,0,1]
	v_pk_fma_f32 v[8:9], v[16:17], v[8:9], v[24:25] op_sel_hi:[1,0,1]
	v_pk_mul_f32 v[16:17], v[18:19], v[26:27] op_sel:[1,0] op_sel_hi:[0,0]
	v_mov_b32_e32 v29, v3
	v_pk_fma_f32 v[2:3], v[14:15], v[6:7], v[4:5] neg_lo:[0,0,1] neg_hi:[0,0,1]
	v_pk_fma_f32 v[4:5], v[14:15], v[6:7], v[4:5] op_sel_hi:[1,0,1]
	v_mov_b32_e32 v13, v9
	v_pk_fma_f32 v[6:7], v[18:19], v[10:11], v[16:17] neg_lo:[0,0,1] neg_hi:[0,0,1]
	v_pk_fma_f32 v[8:9], v[18:19], v[10:11], v[16:17] op_sel_hi:[1,0,1]
	v_pk_add_f32 v[10:11], v[28:29], 0 op_sel_hi:[1,0]
	v_mov_b32_e32 v3, v5
	v_pk_add_f32 v[2:3], v[10:11], v[2:3]
	v_mov_b32_e32 v7, v9
	v_pk_add_f32 v[2:3], v[2:3], v[12:13]
	s_nop 0
	v_pk_add_f32 v[2:3], v[2:3], v[6:7]
	s_waitcnt vmcnt(0)
	v_pk_add_f32 v[2:3], v[20:21], v[2:3] neg_lo:[0,1] neg_hi:[0,1]
	scratch_store_dwordx2 off, v[2:3], off offset:440
	s_and_saveexec_b64 s[0:1], vcc
	s_cbranch_execz .LBB59_265
; %bb.264:
	scratch_load_dwordx2 v[2:3], off, off offset:432
	v_mov_b32_e32 v4, 0
	v_mov_b32_e32 v5, v4
	scratch_store_dwordx2 off, v[4:5], off offset:432
	s_waitcnt vmcnt(1)
	ds_write_b64 v1, v[2:3]
.LBB59_265:
	s_or_b64 exec, exec, s[0:1]
	s_waitcnt lgkmcnt(0)
	; wave barrier
	scratch_load_dwordx4 v[4:7], off, off offset:440
	scratch_load_dwordx4 v[8:11], off, off offset:456
	scratch_load_dwordx2 v[20:21], off, off offset:472
	scratch_load_dwordx2 v[22:23], off, off offset:432
	v_mov_b32_e32 v2, 0
	ds_read2_b64 v[12:15], v2 offset0:115 offset1:116
	ds_read2_b64 v[16:19], v2 offset0:117 offset1:118
	ds_read_b64 v[24:25], v2 offset:952
	v_cmp_lt_u32_e32 vcc, 53, v0
	s_waitcnt vmcnt(3) lgkmcnt(2)
	v_pk_mul_f32 v[26:27], v[12:13], v[4:5] op_sel:[1,1] op_sel_hi:[0,1]
	v_mov_b32_e32 v28, v7
	v_pk_fma_f32 v[36:37], v[12:13], v[4:5], v[26:27] neg_lo:[0,0,1] neg_hi:[0,0,1]
	v_pk_fma_f32 v[4:5], v[12:13], v[4:5], v[26:27] op_sel_hi:[1,0,1]
	v_pk_mul_f32 v[12:13], v[14:15], v[28:29] op_sel:[1,0] op_sel_hi:[0,0]
	s_waitcnt vmcnt(2) lgkmcnt(1)
	v_pk_mul_f32 v[30:31], v[16:17], v[8:9] op_sel:[1,1] op_sel_hi:[0,1]
	v_mov_b32_e32 v32, v11
	v_mov_b32_e32 v37, v5
	v_pk_fma_f32 v[4:5], v[14:15], v[6:7], v[12:13] neg_lo:[0,0,1] neg_hi:[0,0,1]
	v_pk_fma_f32 v[6:7], v[14:15], v[6:7], v[12:13] op_sel_hi:[1,0,1]
	v_pk_fma_f32 v[26:27], v[16:17], v[8:9], v[30:31] neg_lo:[0,0,1] neg_hi:[0,0,1]
	v_pk_fma_f32 v[8:9], v[16:17], v[8:9], v[30:31] op_sel_hi:[1,0,1]
	v_pk_mul_f32 v[16:17], v[18:19], v[32:33] op_sel:[1,0] op_sel_hi:[0,0]
	v_pk_add_f32 v[12:13], v[36:37], 0 op_sel_hi:[1,0]
	v_mov_b32_e32 v5, v7
	s_waitcnt vmcnt(1) lgkmcnt(0)
	v_pk_mul_f32 v[34:35], v[24:25], v[20:21] op_sel:[1,1] op_sel_hi:[0,1]
	v_mov_b32_e32 v27, v9
	v_pk_fma_f32 v[8:9], v[18:19], v[10:11], v[16:17] neg_lo:[0,0,1] neg_hi:[0,0,1]
	v_pk_fma_f32 v[10:11], v[18:19], v[10:11], v[16:17] op_sel_hi:[1,0,1]
	v_pk_add_f32 v[4:5], v[12:13], v[4:5]
	v_pk_fma_f32 v[28:29], v[24:25], v[20:21], v[34:35] neg_lo:[0,0,1] neg_hi:[0,0,1]
	v_pk_fma_f32 v[20:21], v[24:25], v[20:21], v[34:35] op_sel_hi:[1,0,1]
	v_mov_b32_e32 v9, v11
	v_pk_add_f32 v[4:5], v[4:5], v[26:27]
	v_mov_b32_e32 v29, v21
	v_pk_add_f32 v[4:5], v[4:5], v[8:9]
	s_nop 0
	v_pk_add_f32 v[4:5], v[4:5], v[28:29]
	s_waitcnt vmcnt(0)
	v_pk_add_f32 v[4:5], v[22:23], v[4:5] neg_lo:[0,1] neg_hi:[0,1]
	scratch_store_dwordx2 off, v[4:5], off offset:432
	s_and_saveexec_b64 s[0:1], vcc
	s_cbranch_execz .LBB59_267
; %bb.266:
	scratch_load_dwordx2 v[4:5], off, off offset:424
	v_mov_b32_e32 v3, v2
	scratch_store_dwordx2 off, v[2:3], off offset:424
	s_waitcnt vmcnt(1)
	ds_write_b64 v1, v[4:5]
.LBB59_267:
	s_or_b64 exec, exec, s[0:1]
	s_waitcnt lgkmcnt(0)
	; wave barrier
	scratch_load_dwordx4 v[4:7], off, off offset:432
	scratch_load_dwordx4 v[8:11], off, off offset:448
	;; [unrolled: 1-line block ×3, first 2 shown]
	scratch_load_dwordx2 v[28:29], off, off offset:424
	ds_read_b128 v[16:19], v2 offset:912
	ds_read_b128 v[20:23], v2 offset:928
	;; [unrolled: 1-line block ×3, first 2 shown]
	v_cmp_lt_u32_e32 vcc, 52, v0
	s_waitcnt vmcnt(3) lgkmcnt(2)
	v_pk_mul_f32 v[2:3], v[16:17], v[4:5] op_sel:[1,1] op_sel_hi:[0,1]
	v_mov_b32_e32 v30, v7
	s_waitcnt vmcnt(2) lgkmcnt(1)
	v_pk_mul_f32 v[32:33], v[20:21], v[8:9] op_sel:[1,1] op_sel_hi:[0,1]
	v_mov_b32_e32 v34, v11
	;; [unrolled: 3-line block ×3, first 2 shown]
	v_pk_fma_f32 v[40:41], v[16:17], v[4:5], v[2:3] neg_lo:[0,0,1] neg_hi:[0,0,1]
	v_pk_fma_f32 v[2:3], v[16:17], v[4:5], v[2:3] op_sel_hi:[1,0,1]
	v_pk_mul_f32 v[4:5], v[18:19], v[30:31] op_sel:[1,0] op_sel_hi:[0,0]
	v_pk_fma_f32 v[16:17], v[20:21], v[8:9], v[32:33] neg_lo:[0,0,1] neg_hi:[0,0,1]
	v_pk_fma_f32 v[8:9], v[20:21], v[8:9], v[32:33] op_sel_hi:[1,0,1]
	v_pk_mul_f32 v[20:21], v[22:23], v[34:35] op_sel:[1,0] op_sel_hi:[0,0]
	;; [unrolled: 3-line block ×3, first 2 shown]
	v_mov_b32_e32 v41, v3
	v_pk_fma_f32 v[2:3], v[18:19], v[6:7], v[4:5] neg_lo:[0,0,1] neg_hi:[0,0,1]
	v_pk_fma_f32 v[4:5], v[18:19], v[6:7], v[4:5] op_sel_hi:[1,0,1]
	v_mov_b32_e32 v17, v9
	v_pk_fma_f32 v[6:7], v[22:23], v[10:11], v[20:21] neg_lo:[0,0,1] neg_hi:[0,0,1]
	v_pk_fma_f32 v[8:9], v[22:23], v[10:11], v[20:21] op_sel_hi:[1,0,1]
	;; [unrolled: 3-line block ×3, first 2 shown]
	v_pk_add_f32 v[14:15], v[40:41], 0 op_sel_hi:[1,0]
	v_mov_b32_e32 v3, v5
	v_pk_add_f32 v[2:3], v[14:15], v[2:3]
	v_mov_b32_e32 v7, v9
	v_pk_add_f32 v[2:3], v[2:3], v[16:17]
	;; [unrolled: 2-line block ×3, first 2 shown]
	s_nop 0
	v_pk_add_f32 v[2:3], v[2:3], v[30:31]
	s_nop 0
	v_pk_add_f32 v[2:3], v[2:3], v[10:11]
	s_waitcnt vmcnt(0)
	v_pk_add_f32 v[2:3], v[28:29], v[2:3] neg_lo:[0,1] neg_hi:[0,1]
	scratch_store_dwordx2 off, v[2:3], off offset:424
	s_and_saveexec_b64 s[0:1], vcc
	s_cbranch_execz .LBB59_269
; %bb.268:
	scratch_load_dwordx2 v[2:3], off, off offset:416
	v_mov_b32_e32 v4, 0
	v_mov_b32_e32 v5, v4
	scratch_store_dwordx2 off, v[4:5], off offset:416
	s_waitcnt vmcnt(1)
	ds_write_b64 v1, v[2:3]
.LBB59_269:
	s_or_b64 exec, exec, s[0:1]
	s_waitcnt lgkmcnt(0)
	; wave barrier
	scratch_load_dwordx4 v[4:7], off, off offset:424
	scratch_load_dwordx4 v[8:11], off, off offset:440
	scratch_load_dwordx4 v[12:15], off, off offset:456
	scratch_load_dwordx2 v[28:29], off, off offset:472
	scratch_load_dwordx2 v[30:31], off, off offset:416
	v_mov_b32_e32 v2, 0
	ds_read2_b64 v[16:19], v2 offset0:113 offset1:114
	ds_read2_b64 v[20:23], v2 offset0:115 offset1:116
	;; [unrolled: 1-line block ×3, first 2 shown]
	ds_read_b64 v[32:33], v2 offset:952
	v_cmp_lt_u32_e32 vcc, 51, v0
	s_waitcnt vmcnt(4) lgkmcnt(3)
	v_pk_mul_f32 v[34:35], v[16:17], v[4:5] op_sel:[1,1] op_sel_hi:[0,1]
	v_mov_b32_e32 v36, v7
	v_pk_fma_f32 v[48:49], v[16:17], v[4:5], v[34:35] neg_lo:[0,0,1] neg_hi:[0,0,1]
	v_pk_fma_f32 v[4:5], v[16:17], v[4:5], v[34:35] op_sel_hi:[1,0,1]
	v_pk_mul_f32 v[16:17], v[18:19], v[36:37] op_sel:[1,0] op_sel_hi:[0,0]
	s_waitcnt vmcnt(3) lgkmcnt(2)
	v_pk_mul_f32 v[38:39], v[20:21], v[8:9] op_sel:[1,1] op_sel_hi:[0,1]
	v_mov_b32_e32 v40, v11
	v_mov_b32_e32 v49, v5
	v_pk_fma_f32 v[4:5], v[18:19], v[6:7], v[16:17] neg_lo:[0,0,1] neg_hi:[0,0,1]
	v_pk_fma_f32 v[6:7], v[18:19], v[6:7], v[16:17] op_sel_hi:[1,0,1]
	v_pk_fma_f32 v[34:35], v[20:21], v[8:9], v[38:39] neg_lo:[0,0,1] neg_hi:[0,0,1]
	v_pk_fma_f32 v[8:9], v[20:21], v[8:9], v[38:39] op_sel_hi:[1,0,1]
	v_pk_mul_f32 v[20:21], v[22:23], v[40:41] op_sel:[1,0] op_sel_hi:[0,0]
	v_pk_add_f32 v[16:17], v[48:49], 0 op_sel_hi:[1,0]
	v_mov_b32_e32 v5, v7
	s_waitcnt vmcnt(2) lgkmcnt(1)
	v_pk_mul_f32 v[42:43], v[24:25], v[12:13] op_sel:[1,1] op_sel_hi:[0,1]
	v_mov_b32_e32 v44, v15
	v_mov_b32_e32 v35, v9
	v_pk_fma_f32 v[8:9], v[22:23], v[10:11], v[20:21] neg_lo:[0,0,1] neg_hi:[0,0,1]
	v_pk_fma_f32 v[10:11], v[22:23], v[10:11], v[20:21] op_sel_hi:[1,0,1]
	v_pk_add_f32 v[4:5], v[16:17], v[4:5]
	v_pk_fma_f32 v[36:37], v[24:25], v[12:13], v[42:43] neg_lo:[0,0,1] neg_hi:[0,0,1]
	v_pk_fma_f32 v[12:13], v[24:25], v[12:13], v[42:43] op_sel_hi:[1,0,1]
	v_pk_mul_f32 v[24:25], v[26:27], v[44:45] op_sel:[1,0] op_sel_hi:[0,0]
	v_mov_b32_e32 v9, v11
	v_pk_add_f32 v[4:5], v[4:5], v[34:35]
	s_waitcnt vmcnt(1) lgkmcnt(0)
	v_pk_mul_f32 v[46:47], v[32:33], v[28:29] op_sel:[1,1] op_sel_hi:[0,1]
	v_mov_b32_e32 v37, v13
	v_pk_fma_f32 v[12:13], v[26:27], v[14:15], v[24:25] neg_lo:[0,0,1] neg_hi:[0,0,1]
	v_pk_fma_f32 v[14:15], v[26:27], v[14:15], v[24:25] op_sel_hi:[1,0,1]
	v_pk_add_f32 v[4:5], v[4:5], v[8:9]
	v_pk_fma_f32 v[38:39], v[32:33], v[28:29], v[46:47] neg_lo:[0,0,1] neg_hi:[0,0,1]
	v_pk_fma_f32 v[28:29], v[32:33], v[28:29], v[46:47] op_sel_hi:[1,0,1]
	v_mov_b32_e32 v13, v15
	v_pk_add_f32 v[4:5], v[4:5], v[36:37]
	v_mov_b32_e32 v39, v29
	v_pk_add_f32 v[4:5], v[4:5], v[12:13]
	s_nop 0
	v_pk_add_f32 v[4:5], v[4:5], v[38:39]
	s_waitcnt vmcnt(0)
	v_pk_add_f32 v[4:5], v[30:31], v[4:5] neg_lo:[0,1] neg_hi:[0,1]
	scratch_store_dwordx2 off, v[4:5], off offset:416
	s_and_saveexec_b64 s[0:1], vcc
	s_cbranch_execz .LBB59_271
; %bb.270:
	scratch_load_dwordx2 v[4:5], off, off offset:408
	v_mov_b32_e32 v3, v2
	scratch_store_dwordx2 off, v[2:3], off offset:408
	s_waitcnt vmcnt(1)
	ds_write_b64 v1, v[4:5]
.LBB59_271:
	s_or_b64 exec, exec, s[0:1]
	s_waitcnt lgkmcnt(0)
	; wave barrier
	scratch_load_dwordx4 v[4:7], off, off offset:416
	scratch_load_dwordx4 v[8:11], off, off offset:432
	;; [unrolled: 1-line block ×4, first 2 shown]
	ds_read_b128 v[20:23], v2 offset:896
	ds_read_b128 v[24:27], v2 offset:912
	;; [unrolled: 1-line block ×4, first 2 shown]
	v_cmp_lt_u32_e32 vcc, 50, v0
	s_waitcnt vmcnt(3) lgkmcnt(3)
	v_pk_mul_f32 v[2:3], v[20:21], v[4:5] op_sel:[1,1] op_sel_hi:[0,1]
	v_pk_fma_f32 v[36:37], v[20:21], v[4:5], v[2:3] neg_lo:[0,0,1] neg_hi:[0,0,1]
	v_pk_fma_f32 v[2:3], v[20:21], v[4:5], v[2:3] op_sel_hi:[1,0,1]
	v_mov_b32_e32 v4, v7
	v_pk_mul_f32 v[4:5], v[22:23], v[4:5] op_sel:[1,0] op_sel_hi:[0,0]
	v_pk_fma_f32 v[20:21], v[22:23], v[6:7], v[4:5] neg_lo:[0,0,1] neg_hi:[0,0,1]
	v_pk_fma_f32 v[4:5], v[22:23], v[6:7], v[4:5] op_sel_hi:[1,0,1]
	v_mov_b32_e32 v37, v3
	v_mov_b32_e32 v21, v5
	s_waitcnt vmcnt(2) lgkmcnt(2)
	v_pk_mul_f32 v[4:5], v[24:25], v[8:9] op_sel:[1,1] op_sel_hi:[0,1]
	v_pk_fma_f32 v[6:7], v[24:25], v[8:9], v[4:5] neg_lo:[0,0,1] neg_hi:[0,0,1]
	v_pk_fma_f32 v[4:5], v[24:25], v[8:9], v[4:5] op_sel_hi:[1,0,1]
	v_pk_add_f32 v[2:3], v[36:37], 0 op_sel_hi:[1,0]
	v_mov_b32_e32 v4, v11
	v_pk_add_f32 v[2:3], v[2:3], v[20:21]
	v_mov_b32_e32 v7, v5
	v_pk_mul_f32 v[4:5], v[26:27], v[4:5] op_sel:[1,0] op_sel_hi:[0,0]
	v_pk_add_f32 v[2:3], v[2:3], v[6:7]
	v_pk_fma_f32 v[6:7], v[26:27], v[10:11], v[4:5] neg_lo:[0,0,1] neg_hi:[0,0,1]
	v_pk_fma_f32 v[4:5], v[26:27], v[10:11], v[4:5] op_sel_hi:[1,0,1]
	s_nop 0
	v_mov_b32_e32 v7, v5
	s_waitcnt vmcnt(1) lgkmcnt(1)
	v_pk_mul_f32 v[4:5], v[28:29], v[12:13] op_sel:[1,1] op_sel_hi:[0,1]
	v_pk_add_f32 v[2:3], v[2:3], v[6:7]
	v_pk_fma_f32 v[6:7], v[28:29], v[12:13], v[4:5] neg_lo:[0,0,1] neg_hi:[0,0,1]
	v_pk_fma_f32 v[4:5], v[28:29], v[12:13], v[4:5] op_sel_hi:[1,0,1]
	s_nop 0
	v_mov_b32_e32 v4, v15
	v_mov_b32_e32 v7, v5
	v_pk_mul_f32 v[4:5], v[30:31], v[4:5] op_sel:[1,0] op_sel_hi:[0,0]
	v_pk_add_f32 v[2:3], v[2:3], v[6:7]
	v_pk_fma_f32 v[6:7], v[30:31], v[14:15], v[4:5] neg_lo:[0,0,1] neg_hi:[0,0,1]
	v_pk_fma_f32 v[4:5], v[30:31], v[14:15], v[4:5] op_sel_hi:[1,0,1]
	s_nop 0
	v_mov_b32_e32 v7, v5
	s_waitcnt vmcnt(0) lgkmcnt(0)
	v_pk_mul_f32 v[4:5], v[32:33], v[16:17] op_sel:[1,1] op_sel_hi:[0,1]
	v_pk_add_f32 v[2:3], v[2:3], v[6:7]
	v_pk_fma_f32 v[6:7], v[32:33], v[16:17], v[4:5] neg_lo:[0,0,1] neg_hi:[0,0,1]
	v_pk_fma_f32 v[4:5], v[32:33], v[16:17], v[4:5] op_sel_hi:[1,0,1]
	s_nop 0
	v_mov_b32_e32 v4, v19
	v_mov_b32_e32 v7, v5
	v_pk_mul_f32 v[4:5], v[34:35], v[4:5] op_sel:[1,0] op_sel_hi:[0,0]
	v_pk_add_f32 v[2:3], v[2:3], v[6:7]
	v_pk_fma_f32 v[6:7], v[34:35], v[18:19], v[4:5] neg_lo:[0,0,1] neg_hi:[0,0,1]
	v_pk_fma_f32 v[4:5], v[34:35], v[18:19], v[4:5] op_sel_hi:[1,0,1]
	s_nop 0
	v_mov_b32_e32 v7, v5
	scratch_load_dwordx2 v[4:5], off, off offset:408
	v_pk_add_f32 v[2:3], v[2:3], v[6:7]
	s_waitcnt vmcnt(0)
	v_pk_add_f32 v[2:3], v[4:5], v[2:3] neg_lo:[0,1] neg_hi:[0,1]
	scratch_store_dwordx2 off, v[2:3], off offset:408
	s_and_saveexec_b64 s[0:1], vcc
	s_cbranch_execz .LBB59_273
; %bb.272:
	scratch_load_dwordx2 v[2:3], off, off offset:400
	v_mov_b32_e32 v4, 0
	v_mov_b32_e32 v5, v4
	scratch_store_dwordx2 off, v[4:5], off offset:400
	s_waitcnt vmcnt(1)
	ds_write_b64 v1, v[2:3]
.LBB59_273:
	s_or_b64 exec, exec, s[0:1]
	s_waitcnt lgkmcnt(0)
	; wave barrier
	scratch_load_dwordx4 v[8:11], off, off offset:408
	v_mov_b32_e32 v2, 0
	ds_read2_b64 v[4:7], v2 offset0:111 offset1:112
	scratch_load_dwordx4 v[12:15], off, off offset:424
	scratch_load_dwordx4 v[16:19], off, off offset:440
	scratch_load_dwordx4 v[20:23], off, off offset:456
	scratch_load_dwordx2 v[38:39], off, off offset:472
	v_cmp_lt_u32_e32 vcc, 49, v0
	s_waitcnt vmcnt(4) lgkmcnt(0)
	v_mul_f32_e32 v37, v4, v9
	v_mul_f32_e32 v3, v5, v9
	v_fmac_f32_e32 v37, v5, v8
	v_fma_f32 v36, v4, v8, -v3
	v_pk_add_f32 v[8:9], v[36:37], 0 op_sel_hi:[1,0]
	v_mov_b32_e32 v36, v11
	v_pk_mul_f32 v[36:37], v[6:7], v[36:37] op_sel:[1,0] op_sel_hi:[0,0]
	ds_read2_b64 v[24:27], v2 offset0:113 offset1:114
	ds_read2_b64 v[28:31], v2 offset0:115 offset1:116
	;; [unrolled: 1-line block ×3, first 2 shown]
	ds_read_b64 v[4:5], v2 offset:952
	v_pk_fma_f32 v[40:41], v[6:7], v[10:11], v[36:37] neg_lo:[0,0,1] neg_hi:[0,0,1]
	v_pk_fma_f32 v[6:7], v[6:7], v[10:11], v[36:37] op_sel_hi:[1,0,1]
	s_nop 0
	v_mov_b32_e32 v41, v7
	v_pk_add_f32 v[6:7], v[8:9], v[40:41]
	s_waitcnt vmcnt(3) lgkmcnt(3)
	v_pk_mul_f32 v[8:9], v[24:25], v[12:13] op_sel:[1,1] op_sel_hi:[0,1]
	v_pk_fma_f32 v[10:11], v[24:25], v[12:13], v[8:9] neg_lo:[0,0,1] neg_hi:[0,0,1]
	v_pk_fma_f32 v[8:9], v[24:25], v[12:13], v[8:9] op_sel_hi:[1,0,1]
	s_nop 0
	v_mov_b32_e32 v8, v15
	v_mov_b32_e32 v11, v9
	v_pk_mul_f32 v[8:9], v[26:27], v[8:9] op_sel:[1,0] op_sel_hi:[0,0]
	v_pk_add_f32 v[6:7], v[6:7], v[10:11]
	v_pk_fma_f32 v[10:11], v[26:27], v[14:15], v[8:9] neg_lo:[0,0,1] neg_hi:[0,0,1]
	v_pk_fma_f32 v[8:9], v[26:27], v[14:15], v[8:9] op_sel_hi:[1,0,1]
	s_nop 0
	v_mov_b32_e32 v11, v9
	s_waitcnt vmcnt(2) lgkmcnt(2)
	v_pk_mul_f32 v[8:9], v[28:29], v[16:17] op_sel:[1,1] op_sel_hi:[0,1]
	v_pk_add_f32 v[6:7], v[6:7], v[10:11]
	v_pk_fma_f32 v[10:11], v[28:29], v[16:17], v[8:9] neg_lo:[0,0,1] neg_hi:[0,0,1]
	v_pk_fma_f32 v[8:9], v[28:29], v[16:17], v[8:9] op_sel_hi:[1,0,1]
	s_nop 0
	v_mov_b32_e32 v8, v19
	v_mov_b32_e32 v11, v9
	v_pk_mul_f32 v[8:9], v[30:31], v[8:9] op_sel:[1,0] op_sel_hi:[0,0]
	v_pk_add_f32 v[6:7], v[6:7], v[10:11]
	v_pk_fma_f32 v[10:11], v[30:31], v[18:19], v[8:9] neg_lo:[0,0,1] neg_hi:[0,0,1]
	v_pk_fma_f32 v[8:9], v[30:31], v[18:19], v[8:9] op_sel_hi:[1,0,1]
	s_nop 0
	v_mov_b32_e32 v11, v9
	s_waitcnt vmcnt(1) lgkmcnt(1)
	v_pk_mul_f32 v[8:9], v[32:33], v[20:21] op_sel:[1,1] op_sel_hi:[0,1]
	v_pk_add_f32 v[6:7], v[6:7], v[10:11]
	v_pk_fma_f32 v[10:11], v[32:33], v[20:21], v[8:9] neg_lo:[0,0,1] neg_hi:[0,0,1]
	v_pk_fma_f32 v[8:9], v[32:33], v[20:21], v[8:9] op_sel_hi:[1,0,1]
	s_nop 0
	v_mov_b32_e32 v8, v23
	v_mov_b32_e32 v11, v9
	v_pk_mul_f32 v[8:9], v[34:35], v[8:9] op_sel:[1,0] op_sel_hi:[0,0]
	v_pk_add_f32 v[6:7], v[6:7], v[10:11]
	v_pk_fma_f32 v[10:11], v[34:35], v[22:23], v[8:9] neg_lo:[0,0,1] neg_hi:[0,0,1]
	v_pk_fma_f32 v[8:9], v[34:35], v[22:23], v[8:9] op_sel_hi:[1,0,1]
	s_nop 0
	v_mov_b32_e32 v11, v9
	s_waitcnt vmcnt(0) lgkmcnt(0)
	v_pk_mul_f32 v[8:9], v[4:5], v[38:39] op_sel:[1,1] op_sel_hi:[0,1]
	v_pk_add_f32 v[6:7], v[6:7], v[10:11]
	v_pk_fma_f32 v[10:11], v[4:5], v[38:39], v[8:9] neg_lo:[0,0,1] neg_hi:[0,0,1]
	v_pk_fma_f32 v[4:5], v[4:5], v[38:39], v[8:9] op_sel_hi:[1,0,1]
	s_nop 0
	v_mov_b32_e32 v11, v5
	v_pk_add_f32 v[4:5], v[6:7], v[10:11]
	scratch_load_dwordx2 v[6:7], off, off offset:400
	s_waitcnt vmcnt(0)
	v_pk_add_f32 v[4:5], v[6:7], v[4:5] neg_lo:[0,1] neg_hi:[0,1]
	scratch_store_dwordx2 off, v[4:5], off offset:400
	s_and_saveexec_b64 s[0:1], vcc
	s_cbranch_execz .LBB59_275
; %bb.274:
	scratch_load_dwordx2 v[4:5], off, off offset:392
	v_mov_b32_e32 v3, v2
	scratch_store_dwordx2 off, v[2:3], off offset:392
	s_waitcnt vmcnt(1)
	ds_write_b64 v1, v[4:5]
.LBB59_275:
	s_or_b64 exec, exec, s[0:1]
	s_waitcnt lgkmcnt(0)
	; wave barrier
	ds_read_b128 v[4:7], v2 offset:880
	ds_read_b128 v[8:11], v2 offset:896
	;; [unrolled: 1-line block ×4, first 2 shown]
	scratch_load_dwordx4 v[20:23], off, off offset:400
	scratch_load_dwordx4 v[24:27], off, off offset:416
	scratch_load_dwordx4 v[28:31], off, off offset:432
	scratch_load_dwordx4 v[32:35], off, off offset:448
	scratch_load_dwordx4 v[36:39], off, off offset:464
	v_cmp_lt_u32_e32 vcc, 48, v0
	s_waitcnt vmcnt(4) lgkmcnt(3)
	v_mul_f32_e32 v41, v4, v21
	v_mul_f32_e32 v3, v5, v21
	v_fmac_f32_e32 v41, v5, v20
	v_mul_f32_e32 v43, v6, v23
	v_fma_f32 v40, v4, v20, -v3
	v_mul_f32_e32 v3, v7, v23
	s_waitcnt vmcnt(3) lgkmcnt(2)
	v_pk_mul_f32 v[20:21], v[8:9], v[24:25] op_sel:[1,1] op_sel_hi:[0,1]
	v_fmac_f32_e32 v43, v7, v22
	v_fma_f32 v42, v6, v22, -v3
	v_pk_fma_f32 v[22:23], v[8:9], v[24:25], v[20:21] neg_lo:[0,0,1] neg_hi:[0,0,1]
	v_pk_fma_f32 v[8:9], v[8:9], v[24:25], v[20:21] op_sel_hi:[1,0,1]
	v_pk_add_f32 v[6:7], v[40:41], 0 op_sel_hi:[1,0]
	v_mov_b32_e32 v8, v27
	v_mov_b32_e32 v23, v9
	v_pk_mul_f32 v[8:9], v[10:11], v[8:9] op_sel:[1,0] op_sel_hi:[0,0]
	v_pk_fma_f32 v[20:21], v[10:11], v[26:27], v[8:9] neg_lo:[0,0,1] neg_hi:[0,0,1]
	v_pk_fma_f32 v[8:9], v[10:11], v[26:27], v[8:9] op_sel_hi:[1,0,1]
	v_pk_add_f32 v[6:7], v[6:7], v[42:43]
	v_mov_b32_e32 v21, v9
	s_waitcnt vmcnt(2) lgkmcnt(1)
	v_pk_mul_f32 v[8:9], v[12:13], v[28:29] op_sel:[1,1] op_sel_hi:[0,1]
	v_pk_fma_f32 v[10:11], v[12:13], v[28:29], v[8:9] neg_lo:[0,0,1] neg_hi:[0,0,1]
	v_pk_fma_f32 v[8:9], v[12:13], v[28:29], v[8:9] op_sel_hi:[1,0,1]
	v_pk_add_f32 v[6:7], v[6:7], v[22:23]
	v_mov_b32_e32 v8, v31
	v_pk_add_f32 v[6:7], v[6:7], v[20:21]
	v_mov_b32_e32 v11, v9
	v_pk_mul_f32 v[8:9], v[14:15], v[8:9] op_sel:[1,0] op_sel_hi:[0,0]
	v_pk_add_f32 v[6:7], v[6:7], v[10:11]
	v_pk_fma_f32 v[10:11], v[14:15], v[30:31], v[8:9] neg_lo:[0,0,1] neg_hi:[0,0,1]
	v_pk_fma_f32 v[8:9], v[14:15], v[30:31], v[8:9] op_sel_hi:[1,0,1]
	ds_read_b128 v[2:5], v2 offset:944
	v_mov_b32_e32 v11, v9
	s_waitcnt vmcnt(1) lgkmcnt(1)
	v_pk_mul_f32 v[8:9], v[16:17], v[32:33] op_sel:[1,1] op_sel_hi:[0,1]
	v_pk_add_f32 v[6:7], v[6:7], v[10:11]
	v_pk_fma_f32 v[10:11], v[16:17], v[32:33], v[8:9] neg_lo:[0,0,1] neg_hi:[0,0,1]
	v_pk_fma_f32 v[8:9], v[16:17], v[32:33], v[8:9] op_sel_hi:[1,0,1]
	s_nop 0
	v_mov_b32_e32 v8, v35
	v_mov_b32_e32 v11, v9
	v_pk_mul_f32 v[8:9], v[18:19], v[8:9] op_sel:[1,0] op_sel_hi:[0,0]
	v_pk_add_f32 v[6:7], v[6:7], v[10:11]
	v_pk_fma_f32 v[10:11], v[18:19], v[34:35], v[8:9] neg_lo:[0,0,1] neg_hi:[0,0,1]
	v_pk_fma_f32 v[8:9], v[18:19], v[34:35], v[8:9] op_sel_hi:[1,0,1]
	s_nop 0
	v_mov_b32_e32 v11, v9
	s_waitcnt vmcnt(0) lgkmcnt(0)
	v_pk_mul_f32 v[8:9], v[2:3], v[36:37] op_sel:[1,1] op_sel_hi:[0,1]
	v_pk_add_f32 v[6:7], v[6:7], v[10:11]
	v_pk_fma_f32 v[10:11], v[2:3], v[36:37], v[8:9] neg_lo:[0,0,1] neg_hi:[0,0,1]
	v_pk_fma_f32 v[2:3], v[2:3], v[36:37], v[8:9] op_sel_hi:[1,0,1]
	s_nop 0
	v_mov_b32_e32 v11, v3
	v_pk_add_f32 v[2:3], v[6:7], v[10:11]
	v_mov_b32_e32 v6, v39
	v_pk_mul_f32 v[6:7], v[4:5], v[6:7] op_sel:[1,0] op_sel_hi:[0,0]
	v_pk_fma_f32 v[8:9], v[4:5], v[38:39], v[6:7] neg_lo:[0,0,1] neg_hi:[0,0,1]
	v_pk_fma_f32 v[4:5], v[4:5], v[38:39], v[6:7] op_sel_hi:[1,0,1]
	s_nop 0
	v_mov_b32_e32 v9, v5
	scratch_load_dwordx2 v[4:5], off, off offset:392
	v_pk_add_f32 v[2:3], v[2:3], v[8:9]
	s_waitcnt vmcnt(0)
	v_pk_add_f32 v[2:3], v[4:5], v[2:3] neg_lo:[0,1] neg_hi:[0,1]
	scratch_store_dwordx2 off, v[2:3], off offset:392
	s_and_saveexec_b64 s[0:1], vcc
	s_cbranch_execz .LBB59_277
; %bb.276:
	scratch_load_dwordx2 v[2:3], off, off offset:384
	v_mov_b32_e32 v4, 0
	v_mov_b32_e32 v5, v4
	scratch_store_dwordx2 off, v[4:5], off offset:384
	s_waitcnt vmcnt(1)
	ds_write_b64 v1, v[2:3]
.LBB59_277:
	s_or_b64 exec, exec, s[0:1]
	s_waitcnt lgkmcnt(0)
	; wave barrier
	scratch_load_dwordx4 v[8:11], off, off offset:392
	scratch_load_dwordx4 v[16:19], off, off offset:408
	v_mov_b32_e32 v2, 0
	ds_read2_b64 v[4:7], v2 offset0:109 offset1:110
	ds_read2_b64 v[12:15], v2 offset0:111 offset1:112
	scratch_load_dwordx4 v[20:23], off, off offset:424
	scratch_load_dwordx4 v[24:27], off, off offset:440
	;; [unrolled: 1-line block ×3, first 2 shown]
	scratch_load_dwordx2 v[42:43], off, off offset:472
	v_cmp_lt_u32_e32 vcc, 47, v0
	s_waitcnt vmcnt(5) lgkmcnt(1)
	v_mul_f32_e32 v3, v4, v9
	v_fmac_f32_e32 v3, v5, v8
	v_add_f32_e32 v37, 0, v3
	v_mul_f32_e32 v3, v5, v9
	v_fma_f32 v3, v4, v8, -v3
	v_mul_f32_e32 v39, v6, v11
	v_add_f32_e32 v36, 0, v3
	v_mul_f32_e32 v3, v7, v11
	v_fmac_f32_e32 v39, v7, v10
	s_waitcnt vmcnt(4) lgkmcnt(0)
	v_mul_f32_e32 v41, v12, v17
	v_fma_f32 v38, v6, v10, -v3
	v_mul_f32_e32 v3, v13, v17
	v_fmac_f32_e32 v41, v13, v16
	v_fma_f32 v40, v12, v16, -v3
	v_pk_add_f32 v[16:17], v[36:37], v[38:39]
	v_mov_b32_e32 v36, v19
	v_pk_mul_f32 v[36:37], v[14:15], v[36:37] op_sel:[1,0] op_sel_hi:[0,0]
	ds_read2_b64 v[4:7], v2 offset0:113 offset1:114
	ds_read2_b64 v[8:11], v2 offset0:115 offset1:116
	;; [unrolled: 1-line block ×3, first 2 shown]
	ds_read_b64 v[12:13], v2 offset:952
	v_pk_fma_f32 v[38:39], v[14:15], v[18:19], v[36:37] neg_lo:[0,0,1] neg_hi:[0,0,1]
	v_pk_fma_f32 v[14:15], v[14:15], v[18:19], v[36:37] op_sel_hi:[1,0,1]
	v_pk_add_f32 v[16:17], v[16:17], v[40:41]
	v_mov_b32_e32 v39, v15
	v_pk_add_f32 v[14:15], v[16:17], v[38:39]
	s_waitcnt vmcnt(3) lgkmcnt(3)
	v_pk_mul_f32 v[16:17], v[4:5], v[20:21] op_sel:[1,1] op_sel_hi:[0,1]
	v_pk_fma_f32 v[18:19], v[4:5], v[20:21], v[16:17] neg_lo:[0,0,1] neg_hi:[0,0,1]
	v_pk_fma_f32 v[4:5], v[4:5], v[20:21], v[16:17] op_sel_hi:[1,0,1]
	s_nop 0
	v_mov_b32_e32 v19, v5
	v_pk_add_f32 v[4:5], v[14:15], v[18:19]
	v_mov_b32_e32 v14, v23
	v_pk_mul_f32 v[14:15], v[6:7], v[14:15] op_sel:[1,0] op_sel_hi:[0,0]
	v_pk_fma_f32 v[16:17], v[6:7], v[22:23], v[14:15] neg_lo:[0,0,1] neg_hi:[0,0,1]
	v_pk_fma_f32 v[6:7], v[6:7], v[22:23], v[14:15] op_sel_hi:[1,0,1]
	s_nop 0
	v_mov_b32_e32 v17, v7
	s_waitcnt vmcnt(2) lgkmcnt(2)
	v_pk_mul_f32 v[6:7], v[8:9], v[24:25] op_sel:[1,1] op_sel_hi:[0,1]
	v_pk_fma_f32 v[14:15], v[8:9], v[24:25], v[6:7] neg_lo:[0,0,1] neg_hi:[0,0,1]
	v_pk_fma_f32 v[6:7], v[8:9], v[24:25], v[6:7] op_sel_hi:[1,0,1]
	v_pk_add_f32 v[4:5], v[4:5], v[16:17]
	v_mov_b32_e32 v6, v27
	v_mov_b32_e32 v15, v7
	v_pk_mul_f32 v[6:7], v[10:11], v[6:7] op_sel:[1,0] op_sel_hi:[0,0]
	v_pk_fma_f32 v[8:9], v[10:11], v[26:27], v[6:7] neg_lo:[0,0,1] neg_hi:[0,0,1]
	v_pk_fma_f32 v[6:7], v[10:11], v[26:27], v[6:7] op_sel_hi:[1,0,1]
	v_pk_add_f32 v[4:5], v[4:5], v[14:15]
	v_mov_b32_e32 v9, v7
	s_waitcnt vmcnt(1) lgkmcnt(1)
	v_pk_mul_f32 v[6:7], v[32:33], v[28:29] op_sel:[1,1] op_sel_hi:[0,1]
	v_pk_add_f32 v[4:5], v[4:5], v[8:9]
	v_pk_fma_f32 v[8:9], v[32:33], v[28:29], v[6:7] neg_lo:[0,0,1] neg_hi:[0,0,1]
	v_pk_fma_f32 v[6:7], v[32:33], v[28:29], v[6:7] op_sel_hi:[1,0,1]
	s_nop 0
	v_mov_b32_e32 v6, v31
	v_mov_b32_e32 v9, v7
	v_pk_mul_f32 v[6:7], v[34:35], v[6:7] op_sel:[1,0] op_sel_hi:[0,0]
	v_pk_add_f32 v[4:5], v[4:5], v[8:9]
	v_pk_fma_f32 v[8:9], v[34:35], v[30:31], v[6:7] neg_lo:[0,0,1] neg_hi:[0,0,1]
	v_pk_fma_f32 v[6:7], v[34:35], v[30:31], v[6:7] op_sel_hi:[1,0,1]
	s_nop 0
	v_mov_b32_e32 v9, v7
	s_waitcnt vmcnt(0) lgkmcnt(0)
	v_pk_mul_f32 v[6:7], v[12:13], v[42:43] op_sel:[1,1] op_sel_hi:[0,1]
	v_pk_add_f32 v[4:5], v[4:5], v[8:9]
	v_pk_fma_f32 v[8:9], v[12:13], v[42:43], v[6:7] neg_lo:[0,0,1] neg_hi:[0,0,1]
	v_pk_fma_f32 v[6:7], v[12:13], v[42:43], v[6:7] op_sel_hi:[1,0,1]
	s_nop 0
	v_mov_b32_e32 v9, v7
	scratch_load_dwordx2 v[6:7], off, off offset:384
	v_pk_add_f32 v[4:5], v[4:5], v[8:9]
	s_waitcnt vmcnt(0)
	v_pk_add_f32 v[4:5], v[6:7], v[4:5] neg_lo:[0,1] neg_hi:[0,1]
	scratch_store_dwordx2 off, v[4:5], off offset:384
	s_and_saveexec_b64 s[0:1], vcc
	s_cbranch_execz .LBB59_279
; %bb.278:
	scratch_load_dwordx2 v[4:5], off, off offset:376
	v_mov_b32_e32 v3, v2
	scratch_store_dwordx2 off, v[2:3], off offset:376
	s_waitcnt vmcnt(1)
	ds_write_b64 v1, v[4:5]
.LBB59_279:
	s_or_b64 exec, exec, s[0:1]
	s_waitcnt lgkmcnt(0)
	; wave barrier
	ds_read_b128 v[4:7], v2 offset:864
	ds_read_b128 v[8:11], v2 offset:880
	;; [unrolled: 1-line block ×4, first 2 shown]
	scratch_load_dwordx4 v[20:23], off, off offset:384
	v_cmp_lt_u32_e32 vcc, 46, v0
	s_waitcnt vmcnt(0) lgkmcnt(3)
	v_mul_f32_e32 v3, v4, v21
	v_fmac_f32_e32 v3, v5, v20
	v_mul_f32_e32 v24, v6, v23
	v_add_f32_e32 v3, 0, v3
	v_fmac_f32_e32 v24, v7, v22
	v_add_f32_e32 v45, v3, v24
	scratch_load_dwordx4 v[24:27], off, off offset:400
	scratch_load_dwordx4 v[28:31], off, off offset:416
	;; [unrolled: 1-line block ×5, first 2 shown]
	v_mul_f32_e32 v3, v5, v21
	v_fma_f32 v3, v4, v20, -v3
	v_mul_f32_e32 v4, v7, v23
	v_fma_f32 v4, v6, v22, -v4
	v_add_f32_e32 v3, 0, v3
	v_add_f32_e32 v44, v3, v4
	s_waitcnt vmcnt(3) lgkmcnt(1)
	v_pk_mul_f32 v[20:21], v[12:13], v[28:29] op_sel:[1,1] op_sel_hi:[0,1]
	v_pk_fma_f32 v[22:23], v[12:13], v[28:29], v[20:21] neg_lo:[0,0,1] neg_hi:[0,0,1]
	v_pk_fma_f32 v[12:13], v[12:13], v[28:29], v[20:21] op_sel_hi:[1,0,1]
	v_mul_f32_e32 v47, v8, v25
	v_mov_b32_e32 v12, v31
	v_mul_f32_e32 v3, v9, v25
	v_mov_b32_e32 v23, v13
	v_pk_mul_f32 v[12:13], v[14:15], v[12:13] op_sel:[1,0] op_sel_hi:[0,0]
	v_fmac_f32_e32 v47, v9, v24
	v_mul_f32_e32 v49, v10, v27
	v_fma_f32 v46, v8, v24, -v3
	v_mul_f32_e32 v3, v11, v27
	v_pk_fma_f32 v[20:21], v[14:15], v[30:31], v[12:13] neg_lo:[0,0,1] neg_hi:[0,0,1]
	v_pk_fma_f32 v[12:13], v[14:15], v[30:31], v[12:13] op_sel_hi:[1,0,1]
	v_fmac_f32_e32 v49, v11, v26
	v_fma_f32 v48, v10, v26, -v3
	ds_read_b128 v[4:7], v2 offset:928
	ds_read_b128 v[8:11], v2 offset:944
	v_pk_add_f32 v[2:3], v[44:45], v[46:47]
	v_mov_b32_e32 v21, v13
	s_waitcnt vmcnt(2) lgkmcnt(2)
	v_pk_mul_f32 v[12:13], v[16:17], v[32:33] op_sel:[1,1] op_sel_hi:[0,1]
	v_pk_add_f32 v[2:3], v[2:3], v[48:49]
	v_pk_fma_f32 v[14:15], v[16:17], v[32:33], v[12:13] neg_lo:[0,0,1] neg_hi:[0,0,1]
	v_pk_fma_f32 v[12:13], v[16:17], v[32:33], v[12:13] op_sel_hi:[1,0,1]
	v_pk_add_f32 v[2:3], v[2:3], v[22:23]
	v_mov_b32_e32 v12, v35
	v_pk_add_f32 v[2:3], v[2:3], v[20:21]
	v_mov_b32_e32 v15, v13
	v_pk_mul_f32 v[12:13], v[18:19], v[12:13] op_sel:[1,0] op_sel_hi:[0,0]
	v_pk_add_f32 v[2:3], v[2:3], v[14:15]
	v_pk_fma_f32 v[14:15], v[18:19], v[34:35], v[12:13] neg_lo:[0,0,1] neg_hi:[0,0,1]
	v_pk_fma_f32 v[12:13], v[18:19], v[34:35], v[12:13] op_sel_hi:[1,0,1]
	s_nop 0
	v_mov_b32_e32 v15, v13
	s_waitcnt vmcnt(1) lgkmcnt(1)
	v_pk_mul_f32 v[12:13], v[4:5], v[36:37] op_sel:[1,1] op_sel_hi:[0,1]
	v_pk_add_f32 v[2:3], v[2:3], v[14:15]
	v_pk_fma_f32 v[14:15], v[4:5], v[36:37], v[12:13] neg_lo:[0,0,1] neg_hi:[0,0,1]
	v_pk_fma_f32 v[4:5], v[4:5], v[36:37], v[12:13] op_sel_hi:[1,0,1]
	s_nop 0
	v_mov_b32_e32 v4, v39
	v_mov_b32_e32 v15, v5
	v_pk_mul_f32 v[4:5], v[6:7], v[4:5] op_sel:[1,0] op_sel_hi:[0,0]
	v_pk_fma_f32 v[12:13], v[6:7], v[38:39], v[4:5] neg_lo:[0,0,1] neg_hi:[0,0,1]
	v_pk_fma_f32 v[4:5], v[6:7], v[38:39], v[4:5] op_sel_hi:[1,0,1]
	v_pk_add_f32 v[2:3], v[2:3], v[14:15]
	v_mov_b32_e32 v13, v5
	s_waitcnt vmcnt(0) lgkmcnt(0)
	v_pk_mul_f32 v[4:5], v[8:9], v[40:41] op_sel:[1,1] op_sel_hi:[0,1]
	v_pk_fma_f32 v[6:7], v[8:9], v[40:41], v[4:5] neg_lo:[0,0,1] neg_hi:[0,0,1]
	v_pk_fma_f32 v[4:5], v[8:9], v[40:41], v[4:5] op_sel_hi:[1,0,1]
	v_pk_add_f32 v[2:3], v[2:3], v[12:13]
	v_mov_b32_e32 v4, v43
	v_mov_b32_e32 v7, v5
	v_pk_mul_f32 v[4:5], v[10:11], v[4:5] op_sel:[1,0] op_sel_hi:[0,0]
	v_pk_add_f32 v[2:3], v[2:3], v[6:7]
	v_pk_fma_f32 v[6:7], v[10:11], v[42:43], v[4:5] neg_lo:[0,0,1] neg_hi:[0,0,1]
	v_pk_fma_f32 v[4:5], v[10:11], v[42:43], v[4:5] op_sel_hi:[1,0,1]
	s_nop 0
	v_mov_b32_e32 v7, v5
	scratch_load_dwordx2 v[4:5], off, off offset:376
	v_pk_add_f32 v[2:3], v[2:3], v[6:7]
	s_waitcnt vmcnt(0)
	v_pk_add_f32 v[2:3], v[4:5], v[2:3] neg_lo:[0,1] neg_hi:[0,1]
	scratch_store_dwordx2 off, v[2:3], off offset:376
	s_and_saveexec_b64 s[0:1], vcc
	s_cbranch_execz .LBB59_281
; %bb.280:
	scratch_load_dwordx2 v[2:3], off, off offset:368
	v_mov_b32_e32 v4, 0
	v_mov_b32_e32 v5, v4
	scratch_store_dwordx2 off, v[4:5], off offset:368
	s_waitcnt vmcnt(1)
	ds_write_b64 v1, v[2:3]
.LBB59_281:
	s_or_b64 exec, exec, s[0:1]
	s_waitcnt lgkmcnt(0)
	; wave barrier
	scratch_load_dwordx4 v[8:11], off, off offset:376
	scratch_load_dwordx4 v[16:19], off, off offset:392
	v_mov_b32_e32 v2, 0
	ds_read2_b64 v[4:7], v2 offset0:107 offset1:108
	scratch_load_dwordx4 v[24:27], off, off offset:408
	v_cmp_lt_u32_e32 vcc, 45, v0
	s_waitcnt vmcnt(2) lgkmcnt(0)
	v_mul_f32_e32 v3, v4, v9
	v_fmac_f32_e32 v3, v5, v8
	v_mul_f32_e32 v12, v6, v11
	v_add_f32_e32 v3, 0, v3
	v_fmac_f32_e32 v12, v7, v10
	v_add_f32_e32 v3, v3, v12
	ds_read2_b64 v[12:15], v2 offset0:109 offset1:110
	s_waitcnt vmcnt(1) lgkmcnt(0)
	v_mul_f32_e32 v20, v12, v17
	v_fmac_f32_e32 v20, v13, v16
	v_add_f32_e32 v41, v3, v20
	ds_read2_b64 v[20:23], v2 offset0:111 offset1:112
	scratch_load_dwordx4 v[28:31], off, off offset:424
	scratch_load_dwordx4 v[32:35], off, off offset:440
	;; [unrolled: 1-line block ×3, first 2 shown]
	scratch_load_dwordx2 v[46:47], off, off offset:472
	v_mul_f32_e32 v3, v5, v9
	v_fma_f32 v3, v4, v8, -v3
	v_mul_f32_e32 v4, v7, v11
	v_add_f32_e32 v3, 0, v3
	v_fma_f32 v4, v6, v10, -v4
	v_add_f32_e32 v3, v3, v4
	v_mul_f32_e32 v4, v13, v17
	v_fma_f32 v4, v12, v16, -v4
	v_add_f32_e32 v40, v3, v4
	v_mul_f32_e32 v3, v15, v19
	v_fma_f32 v42, v14, v18, -v3
	s_waitcnt vmcnt(4) lgkmcnt(0)
	v_mul_f32_e32 v3, v21, v25
	v_mul_f32_e32 v43, v14, v19
	;; [unrolled: 1-line block ×3, first 2 shown]
	v_fma_f32 v44, v20, v24, -v3
	v_mov_b32_e32 v20, v27
	v_fmac_f32_e32 v43, v15, v18
	v_fmac_f32_e32 v45, v21, v24
	ds_read2_b64 v[4:7], v2 offset0:113 offset1:114
	ds_read2_b64 v[8:11], v2 offset0:115 offset1:116
	;; [unrolled: 1-line block ×3, first 2 shown]
	ds_read_b64 v[16:17], v2 offset:952
	v_pk_mul_f32 v[20:21], v[22:23], v[20:21] op_sel:[1,0] op_sel_hi:[0,0]
	v_pk_fma_f32 v[24:25], v[22:23], v[26:27], v[20:21] neg_lo:[0,0,1] neg_hi:[0,0,1]
	v_pk_fma_f32 v[20:21], v[22:23], v[26:27], v[20:21] op_sel_hi:[1,0,1]
	v_pk_add_f32 v[18:19], v[40:41], v[42:43]
	v_mov_b32_e32 v25, v21
	v_pk_add_f32 v[18:19], v[18:19], v[44:45]
	s_waitcnt vmcnt(3) lgkmcnt(3)
	v_pk_mul_f32 v[20:21], v[4:5], v[28:29] op_sel:[1,1] op_sel_hi:[0,1]
	v_pk_fma_f32 v[22:23], v[4:5], v[28:29], v[20:21] neg_lo:[0,0,1] neg_hi:[0,0,1]
	v_pk_fma_f32 v[4:5], v[4:5], v[28:29], v[20:21] op_sel_hi:[1,0,1]
	v_pk_add_f32 v[18:19], v[18:19], v[24:25]
	v_mov_b32_e32 v23, v5
	v_pk_add_f32 v[4:5], v[18:19], v[22:23]
	v_mov_b32_e32 v18, v31
	v_pk_mul_f32 v[18:19], v[6:7], v[18:19] op_sel:[1,0] op_sel_hi:[0,0]
	v_pk_fma_f32 v[20:21], v[6:7], v[30:31], v[18:19] neg_lo:[0,0,1] neg_hi:[0,0,1]
	v_pk_fma_f32 v[6:7], v[6:7], v[30:31], v[18:19] op_sel_hi:[1,0,1]
	s_nop 0
	v_mov_b32_e32 v21, v7
	s_waitcnt vmcnt(2) lgkmcnt(2)
	v_pk_mul_f32 v[6:7], v[8:9], v[32:33] op_sel:[1,1] op_sel_hi:[0,1]
	v_pk_fma_f32 v[18:19], v[8:9], v[32:33], v[6:7] neg_lo:[0,0,1] neg_hi:[0,0,1]
	v_pk_fma_f32 v[6:7], v[8:9], v[32:33], v[6:7] op_sel_hi:[1,0,1]
	v_pk_add_f32 v[4:5], v[4:5], v[20:21]
	v_mov_b32_e32 v6, v35
	v_mov_b32_e32 v19, v7
	v_pk_mul_f32 v[6:7], v[10:11], v[6:7] op_sel:[1,0] op_sel_hi:[0,0]
	v_pk_fma_f32 v[8:9], v[10:11], v[34:35], v[6:7] neg_lo:[0,0,1] neg_hi:[0,0,1]
	v_pk_fma_f32 v[6:7], v[10:11], v[34:35], v[6:7] op_sel_hi:[1,0,1]
	v_pk_add_f32 v[4:5], v[4:5], v[18:19]
	v_mov_b32_e32 v9, v7
	s_waitcnt vmcnt(1) lgkmcnt(1)
	v_pk_mul_f32 v[6:7], v[12:13], v[36:37] op_sel:[1,1] op_sel_hi:[0,1]
	v_pk_add_f32 v[4:5], v[4:5], v[8:9]
	v_pk_fma_f32 v[8:9], v[12:13], v[36:37], v[6:7] neg_lo:[0,0,1] neg_hi:[0,0,1]
	v_pk_fma_f32 v[6:7], v[12:13], v[36:37], v[6:7] op_sel_hi:[1,0,1]
	s_nop 0
	v_mov_b32_e32 v6, v39
	v_mov_b32_e32 v9, v7
	v_pk_mul_f32 v[6:7], v[14:15], v[6:7] op_sel:[1,0] op_sel_hi:[0,0]
	v_pk_add_f32 v[4:5], v[4:5], v[8:9]
	v_pk_fma_f32 v[8:9], v[14:15], v[38:39], v[6:7] neg_lo:[0,0,1] neg_hi:[0,0,1]
	v_pk_fma_f32 v[6:7], v[14:15], v[38:39], v[6:7] op_sel_hi:[1,0,1]
	s_nop 0
	v_mov_b32_e32 v9, v7
	s_waitcnt vmcnt(0) lgkmcnt(0)
	v_pk_mul_f32 v[6:7], v[16:17], v[46:47] op_sel:[1,1] op_sel_hi:[0,1]
	v_pk_add_f32 v[4:5], v[4:5], v[8:9]
	v_pk_fma_f32 v[8:9], v[16:17], v[46:47], v[6:7] neg_lo:[0,0,1] neg_hi:[0,0,1]
	v_pk_fma_f32 v[6:7], v[16:17], v[46:47], v[6:7] op_sel_hi:[1,0,1]
	s_nop 0
	v_mov_b32_e32 v9, v7
	scratch_load_dwordx2 v[6:7], off, off offset:368
	v_pk_add_f32 v[4:5], v[4:5], v[8:9]
	s_waitcnt vmcnt(0)
	v_pk_add_f32 v[4:5], v[6:7], v[4:5] neg_lo:[0,1] neg_hi:[0,1]
	scratch_store_dwordx2 off, v[4:5], off offset:368
	s_and_saveexec_b64 s[0:1], vcc
	s_cbranch_execz .LBB59_283
; %bb.282:
	scratch_load_dwordx2 v[4:5], off, off offset:360
	v_mov_b32_e32 v3, v2
	scratch_store_dwordx2 off, v[2:3], off offset:360
	s_waitcnt vmcnt(1)
	ds_write_b64 v1, v[4:5]
.LBB59_283:
	s_or_b64 exec, exec, s[0:1]
	s_waitcnt lgkmcnt(0)
	; wave barrier
	scratch_load_dwordx4 v[4:7], off, off offset:368
	scratch_load_dwordx4 v[8:11], off, off offset:384
	;; [unrolled: 1-line block ×7, first 2 shown]
	ds_read_b128 v[32:35], v2 offset:848
	ds_read_b128 v[36:39], v2 offset:864
	;; [unrolled: 1-line block ×6, first 2 shown]
	scratch_load_dwordx2 v[60:61], off, off offset:360
	ds_read_b128 v[56:59], v2 offset:944
	v_cmp_lt_u32_e32 vcc, 44, v0
	s_waitcnt vmcnt(7) lgkmcnt(6)
	v_mul_f32_e32 v67, v32, v5
	v_mul_f32_e32 v71, v34, v7
	s_waitcnt vmcnt(6) lgkmcnt(5)
	v_mul_f32_e32 v75, v36, v9
	v_mul_f32_e32 v79, v38, v11
	;; [unrolled: 3-line block ×3, first 2 shown]
	v_mul_f32_e32 v2, v33, v5
	v_mul_f32_e32 v5, v35, v7
	;; [unrolled: 1-line block ×6, first 2 shown]
	s_waitcnt vmcnt(4) lgkmcnt(3)
	v_pk_mul_f32 v[64:65], v[44:45], v[16:17] op_sel:[1,1] op_sel_hi:[0,1]
	v_mov_b32_e32 v66, v19
	s_waitcnt vmcnt(3) lgkmcnt(2)
	v_pk_mul_f32 v[68:69], v[48:49], v[20:21] op_sel:[1,1] op_sel_hi:[0,1]
	v_mov_b32_e32 v70, v23
	s_waitcnt vmcnt(1) lgkmcnt(0)
	v_pk_mul_f32 v[76:77], v[56:57], v[28:29] op_sel:[1,1] op_sel_hi:[0,1]
	v_fmac_f32_e32 v67, v33, v4
	v_fmac_f32_e32 v71, v35, v6
	;; [unrolled: 1-line block ×6, first 2 shown]
	v_fma_f32 v37, v32, v4, -v2
	v_fma_f32 v39, v34, v6, -v5
	;; [unrolled: 1-line block ×6, first 2 shown]
	v_pk_fma_f32 v[4:5], v[44:45], v[16:17], v[64:65] neg_lo:[0,0,1] neg_hi:[0,0,1]
	v_pk_fma_f32 v[6:7], v[44:45], v[16:17], v[64:65] op_sel_hi:[1,0,1]
	v_pk_mul_f32 v[8:9], v[46:47], v[66:67] op_sel:[1,0] op_sel_hi:[0,0]
	v_pk_fma_f32 v[10:11], v[48:49], v[20:21], v[68:69] neg_lo:[0,0,1] neg_hi:[0,0,1]
	v_pk_fma_f32 v[12:13], v[48:49], v[20:21], v[68:69] op_sel_hi:[1,0,1]
	v_pk_mul_f32 v[14:15], v[50:51], v[70:71] op_sel:[1,0] op_sel_hi:[0,0]
	v_pk_fma_f32 v[32:33], v[56:57], v[28:29], v[76:77] neg_lo:[0,0,1] neg_hi:[0,0,1]
	v_pk_fma_f32 v[28:29], v[56:57], v[28:29], v[76:77] op_sel_hi:[1,0,1]
	v_add_f32_e32 v37, 0, v37
	v_add_f32_e32 v28, 0, v67
	v_mov_b32_e32 v5, v7
	v_pk_fma_f32 v[6:7], v[46:47], v[18:19], v[8:9] neg_lo:[0,0,1] neg_hi:[0,0,1]
	v_pk_fma_f32 v[8:9], v[46:47], v[18:19], v[8:9] op_sel_hi:[1,0,1]
	v_mov_b32_e32 v11, v13
	v_pk_fma_f32 v[12:13], v[50:51], v[22:23], v[14:15] neg_lo:[0,0,1] neg_hi:[0,0,1]
	v_pk_fma_f32 v[14:15], v[50:51], v[22:23], v[14:15] op_sel_hi:[1,0,1]
	v_add_f32_e32 v8, v28, v71
	v_add_f32_e32 v14, v37, v39
	;; [unrolled: 1-line block ×4, first 2 shown]
	v_mov_b32_e32 v7, v9
	v_add_f32_e32 v9, v8, v79
	v_add_f32_e32 v8, v14, v38
	v_pk_add_f32 v[2:3], v[8:9], v[2:3]
	v_pk_mul_f32 v[72:73], v[52:53], v[24:25] op_sel:[1,1] op_sel_hi:[0,1]
	v_pk_add_f32 v[2:3], v[2:3], v[62:63]
	v_mov_b32_e32 v74, v27
	v_pk_add_f32 v[2:3], v[2:3], v[4:5]
	v_pk_fma_f32 v[16:17], v[52:53], v[24:25], v[72:73] neg_lo:[0,0,1] neg_hi:[0,0,1]
	v_pk_add_f32 v[2:3], v[2:3], v[6:7]
	v_pk_fma_f32 v[20:21], v[52:53], v[24:25], v[72:73] op_sel_hi:[1,0,1]
	v_pk_mul_f32 v[24:25], v[54:55], v[74:75] op_sel:[1,0] op_sel_hi:[0,0]
	v_mov_b32_e32 v13, v15
	v_pk_add_f32 v[2:3], v[2:3], v[10:11]
	v_mov_b32_e32 v78, v31
	v_mov_b32_e32 v17, v21
	v_pk_fma_f32 v[18:19], v[54:55], v[26:27], v[24:25] neg_lo:[0,0,1] neg_hi:[0,0,1]
	v_pk_fma_f32 v[20:21], v[54:55], v[26:27], v[24:25] op_sel_hi:[1,0,1]
	v_pk_add_f32 v[2:3], v[2:3], v[12:13]
	v_pk_mul_f32 v[34:35], v[58:59], v[78:79] op_sel:[1,0] op_sel_hi:[0,0]
	v_mov_b32_e32 v19, v21
	v_pk_add_f32 v[2:3], v[2:3], v[16:17]
	v_mov_b32_e32 v33, v29
	v_pk_fma_f32 v[22:23], v[58:59], v[30:31], v[34:35] neg_lo:[0,0,1] neg_hi:[0,0,1]
	v_pk_fma_f32 v[24:25], v[58:59], v[30:31], v[34:35] op_sel_hi:[1,0,1]
	v_pk_add_f32 v[2:3], v[2:3], v[18:19]
	v_mov_b32_e32 v23, v25
	v_pk_add_f32 v[2:3], v[2:3], v[32:33]
	s_nop 0
	v_pk_add_f32 v[2:3], v[2:3], v[22:23]
	s_waitcnt vmcnt(0)
	v_pk_add_f32 v[2:3], v[60:61], v[2:3] neg_lo:[0,1] neg_hi:[0,1]
	scratch_store_dwordx2 off, v[2:3], off offset:360
	s_and_saveexec_b64 s[0:1], vcc
	s_cbranch_execz .LBB59_285
; %bb.284:
	scratch_load_dwordx2 v[2:3], off, off offset:352
	v_mov_b32_e32 v4, 0
	v_mov_b32_e32 v5, v4
	scratch_store_dwordx2 off, v[4:5], off offset:352
	s_waitcnt vmcnt(1)
	ds_write_b64 v1, v[2:3]
.LBB59_285:
	s_or_b64 exec, exec, s[0:1]
	s_waitcnt lgkmcnt(0)
	; wave barrier
	scratch_load_dwordx4 v[4:7], off, off offset:360
	scratch_load_dwordx4 v[8:11], off, off offset:376
	;; [unrolled: 1-line block ×7, first 2 shown]
	scratch_load_dwordx2 v[60:61], off, off offset:472
	scratch_load_dwordx2 v[62:63], off, off offset:352
	v_mov_b32_e32 v2, 0
	ds_read2_b64 v[32:35], v2 offset0:105 offset1:106
	ds_read2_b64 v[36:39], v2 offset0:107 offset1:108
	;; [unrolled: 1-line block ×7, first 2 shown]
	ds_read_b64 v[64:65], v2 offset:952
	v_cmp_lt_u32_e32 vcc, 43, v0
	s_waitcnt vmcnt(8) lgkmcnt(7)
	v_mul_f32_e32 v71, v34, v7
	v_mul_f32_e32 v3, v32, v5
	s_waitcnt vmcnt(7) lgkmcnt(6)
	v_mul_f32_e32 v75, v36, v9
	s_waitcnt vmcnt(6) lgkmcnt(5)
	v_mul_f32_e32 v83, v40, v13
	v_mul_f32_e32 v67, v42, v15
	;; [unrolled: 1-line block ×5, first 2 shown]
	s_waitcnt vmcnt(5)
	v_mov_b32_e32 v70, v19
	s_waitcnt vmcnt(3) lgkmcnt(2)
	v_pk_mul_f32 v[76:77], v[52:53], v[24:25] op_sel:[1,1] op_sel_hi:[0,1]
	s_waitcnt vmcnt(2) lgkmcnt(1)
	v_pk_mul_f32 v[80:81], v[56:57], v[28:29] op_sel:[1,1] op_sel_hi:[0,1]
	v_fmac_f32_e32 v71, v35, v6
	v_mul_f32_e32 v7, v35, v7
	v_mul_f32_e32 v9, v37, v9
	v_fmac_f32_e32 v3, v33, v4
	v_fmac_f32_e32 v75, v37, v8
	;; [unrolled: 1-line block ×4, first 2 shown]
	v_fma_f32 v32, v32, v4, -v5
	v_fma_f32 v37, v40, v12, -v13
	;; [unrolled: 1-line block ×3, first 2 shown]
	v_pk_mul_f32 v[4:5], v[46:47], v[70:71] op_sel:[1,0] op_sel_hi:[0,0]
	v_pk_fma_f32 v[12:13], v[52:53], v[24:25], v[76:77] neg_lo:[0,0,1] neg_hi:[0,0,1]
	v_pk_fma_f32 v[14:15], v[52:53], v[24:25], v[76:77] op_sel_hi:[1,0,1]
	v_pk_fma_f32 v[24:25], v[56:57], v[28:29], v[80:81] op_sel_hi:[1,0,1]
	v_fma_f32 v34, v34, v6, -v7
	v_add_f32_e32 v3, 0, v3
	v_add_f32_e32 v24, 0, v32
	v_pk_fma_f32 v[32:33], v[46:47], v[18:19], v[4:5] neg_lo:[0,0,1] neg_hi:[0,0,1]
	v_pk_fma_f32 v[4:5], v[46:47], v[18:19], v[4:5] op_sel_hi:[1,0,1]
	v_mul_f32_e32 v79, v38, v11
	v_mul_f32_e32 v11, v39, v11
	v_fma_f32 v35, v36, v8, -v9
	v_add_f32_e32 v3, v3, v71
	v_add_f32_e32 v4, v24, v34
	v_fmac_f32_e32 v79, v39, v10
	v_fma_f32 v36, v38, v10, -v11
	v_add_f32_e32 v3, v3, v75
	v_add_f32_e32 v4, v4, v35
	;; [unrolled: 1-line block ×4, first 2 shown]
	v_mul_f32_e32 v69, v44, v17
	v_mul_f32_e32 v17, v45, v17
	v_mov_b32_e32 v33, v5
	v_add_f32_e32 v5, v3, v83
	v_add_f32_e32 v4, v4, v37
	v_pk_mul_f32 v[72:73], v[48:49], v[20:21] op_sel:[1,1] op_sel_hi:[0,1]
	v_mov_b32_e32 v74, v23
	v_fmac_f32_e32 v69, v45, v16
	v_fma_f32 v68, v44, v16, -v17
	v_pk_add_f32 v[4:5], v[4:5], v[66:67]
	v_pk_fma_f32 v[6:7], v[48:49], v[20:21], v[72:73] neg_lo:[0,0,1] neg_hi:[0,0,1]
	v_pk_fma_f32 v[8:9], v[48:49], v[20:21], v[72:73] op_sel_hi:[1,0,1]
	v_pk_mul_f32 v[10:11], v[50:51], v[74:75] op_sel:[1,0] op_sel_hi:[0,0]
	v_pk_add_f32 v[4:5], v[4:5], v[68:69]
	v_mov_b32_e32 v78, v27
	v_mov_b32_e32 v7, v9
	v_pk_fma_f32 v[8:9], v[50:51], v[22:23], v[10:11] neg_lo:[0,0,1] neg_hi:[0,0,1]
	v_pk_fma_f32 v[10:11], v[50:51], v[22:23], v[10:11] op_sel_hi:[1,0,1]
	v_pk_add_f32 v[4:5], v[4:5], v[32:33]
	v_pk_mul_f32 v[16:17], v[54:55], v[78:79] op_sel:[1,0] op_sel_hi:[0,0]
	v_mov_b32_e32 v9, v11
	v_pk_add_f32 v[4:5], v[4:5], v[6:7]
	v_mov_b32_e32 v82, v31
	v_mov_b32_e32 v13, v15
	v_pk_fma_f32 v[14:15], v[54:55], v[26:27], v[16:17] neg_lo:[0,0,1] neg_hi:[0,0,1]
	v_pk_fma_f32 v[16:17], v[54:55], v[26:27], v[16:17] op_sel_hi:[1,0,1]
	v_pk_add_f32 v[4:5], v[4:5], v[8:9]
	v_pk_fma_f32 v[20:21], v[56:57], v[28:29], v[80:81] neg_lo:[0,0,1] neg_hi:[0,0,1]
	v_pk_mul_f32 v[28:29], v[58:59], v[82:83] op_sel:[1,0] op_sel_hi:[0,0]
	v_mov_b32_e32 v15, v17
	v_pk_add_f32 v[4:5], v[4:5], v[12:13]
	v_mov_b32_e32 v21, v25
	v_pk_add_f32 v[4:5], v[4:5], v[14:15]
	v_pk_fma_f32 v[6:7], v[58:59], v[30:31], v[28:29] neg_lo:[0,0,1] neg_hi:[0,0,1]
	v_pk_fma_f32 v[8:9], v[58:59], v[30:31], v[28:29] op_sel_hi:[1,0,1]
	v_pk_add_f32 v[4:5], v[4:5], v[20:21]
	v_mov_b32_e32 v7, v9
	v_pk_add_f32 v[4:5], v[4:5], v[6:7]
	s_waitcnt vmcnt(1) lgkmcnt(0)
	v_pk_mul_f32 v[6:7], v[64:65], v[60:61] op_sel:[1,1] op_sel_hi:[0,1]
	v_pk_fma_f32 v[8:9], v[64:65], v[60:61], v[6:7] neg_lo:[0,0,1] neg_hi:[0,0,1]
	v_pk_fma_f32 v[6:7], v[64:65], v[60:61], v[6:7] op_sel_hi:[1,0,1]
	s_nop 0
	v_mov_b32_e32 v9, v7
	v_pk_add_f32 v[4:5], v[4:5], v[8:9]
	s_waitcnt vmcnt(0)
	v_pk_add_f32 v[4:5], v[62:63], v[4:5] neg_lo:[0,1] neg_hi:[0,1]
	scratch_store_dwordx2 off, v[4:5], off offset:352
	s_and_saveexec_b64 s[0:1], vcc
	s_cbranch_execz .LBB59_287
; %bb.286:
	scratch_load_dwordx2 v[4:5], off, off offset:344
	v_mov_b32_e32 v3, v2
	scratch_store_dwordx2 off, v[2:3], off offset:344
	s_waitcnt vmcnt(1)
	ds_write_b64 v1, v[4:5]
.LBB59_287:
	s_or_b64 exec, exec, s[0:1]
	s_waitcnt lgkmcnt(0)
	; wave barrier
	scratch_load_dwordx4 v[4:7], off, off offset:352
	scratch_load_dwordx4 v[8:11], off, off offset:368
	;; [unrolled: 1-line block ×7, first 2 shown]
	ds_read_b128 v[32:35], v2 offset:832
	ds_read_b128 v[36:39], v2 offset:848
	;; [unrolled: 1-line block ×4, first 2 shown]
	scratch_load_dwordx4 v[48:51], off, off offset:464
	ds_read_b128 v[52:55], v2 offset:896
	ds_read_b128 v[56:59], v2 offset:912
	;; [unrolled: 1-line block ×4, first 2 shown]
	scratch_load_dwordx2 v[2:3], off, off offset:344
	v_cmp_lt_u32_e32 vcc, 42, v0
	s_waitcnt vmcnt(8) lgkmcnt(7)
	v_mul_f32_e32 v75, v32, v5
	v_mul_f32_e32 v79, v34, v7
	s_waitcnt vmcnt(7) lgkmcnt(6)
	v_mul_f32_e32 v83, v36, v9
	v_mul_f32_e32 v84, v38, v11
	;; [unrolled: 3-line block ×3, first 2 shown]
	v_mul_f32_e32 v5, v33, v5
	v_mul_f32_e32 v7, v35, v7
	;; [unrolled: 1-line block ×6, first 2 shown]
	s_waitcnt vmcnt(4) lgkmcnt(3)
	v_pk_mul_f32 v[72:73], v[52:53], v[20:21] op_sel:[1,1] op_sel_hi:[0,1]
	v_mov_b32_e32 v74, v23
	s_waitcnt vmcnt(3) lgkmcnt(2)
	v_pk_mul_f32 v[76:77], v[56:57], v[24:25] op_sel:[1,1] op_sel_hi:[0,1]
	v_mov_b32_e32 v78, v27
	v_fmac_f32_e32 v75, v33, v4
	v_fmac_f32_e32 v79, v35, v6
	;; [unrolled: 1-line block ×6, first 2 shown]
	v_fma_f32 v32, v32, v4, -v5
	v_fma_f32 v33, v34, v6, -v7
	;; [unrolled: 1-line block ×6, first 2 shown]
	v_pk_fma_f32 v[4:5], v[52:53], v[20:21], v[72:73] neg_lo:[0,0,1] neg_hi:[0,0,1]
	v_pk_fma_f32 v[6:7], v[52:53], v[20:21], v[72:73] op_sel_hi:[1,0,1]
	v_pk_mul_f32 v[8:9], v[54:55], v[74:75] op_sel:[1,0] op_sel_hi:[0,0]
	v_pk_fma_f32 v[10:11], v[56:57], v[24:25], v[76:77] neg_lo:[0,0,1] neg_hi:[0,0,1]
	v_pk_fma_f32 v[12:13], v[56:57], v[24:25], v[76:77] op_sel_hi:[1,0,1]
	v_pk_mul_f32 v[14:15], v[58:59], v[78:79] op_sel:[1,0] op_sel_hi:[0,0]
	v_add_f32_e32 v24, 0, v75
	v_add_f32_e32 v25, 0, v32
	v_mov_b32_e32 v5, v7
	v_pk_fma_f32 v[6:7], v[54:55], v[22:23], v[8:9] neg_lo:[0,0,1] neg_hi:[0,0,1]
	v_pk_fma_f32 v[8:9], v[54:55], v[22:23], v[8:9] op_sel_hi:[1,0,1]
	v_mov_b32_e32 v11, v13
	v_pk_fma_f32 v[12:13], v[58:59], v[26:27], v[14:15] neg_lo:[0,0,1] neg_hi:[0,0,1]
	v_pk_fma_f32 v[14:15], v[58:59], v[26:27], v[14:15] op_sel_hi:[1,0,1]
	v_add_f32_e32 v8, v24, v79
	v_add_f32_e32 v14, v25, v33
	v_mov_b32_e32 v7, v9
	v_add_f32_e32 v8, v8, v83
	v_add_f32_e32 v9, v14, v34
	;; [unrolled: 1-line block ×4, first 2 shown]
	v_mul_f32_e32 v69, v44, v17
	v_mul_f32_e32 v17, v45, v17
	v_add_f32_e32 v8, v8, v85
	v_add_f32_e32 v14, v9, v36
	v_mul_f32_e32 v71, v46, v19
	v_mul_f32_e32 v19, v47, v19
	v_fmac_f32_e32 v69, v45, v16
	v_fma_f32 v68, v44, v16, -v17
	v_add_f32_e32 v9, v8, v86
	v_add_f32_e32 v8, v14, v37
	v_fmac_f32_e32 v71, v47, v18
	v_fma_f32 v70, v46, v18, -v19
	v_pk_add_f32 v[8:9], v[8:9], v[68:69]
	s_waitcnt vmcnt(2) lgkmcnt(1)
	v_pk_mul_f32 v[80:81], v[60:61], v[28:29] op_sel:[1,1] op_sel_hi:[0,1]
	v_mov_b32_e32 v82, v31
	v_pk_add_f32 v[8:9], v[8:9], v[70:71]
	v_pk_fma_f32 v[16:17], v[60:61], v[28:29], v[80:81] neg_lo:[0,0,1] neg_hi:[0,0,1]
	v_pk_fma_f32 v[18:19], v[60:61], v[28:29], v[80:81] op_sel_hi:[1,0,1]
	v_pk_mul_f32 v[20:21], v[62:63], v[82:83] op_sel:[1,0] op_sel_hi:[0,0]
	v_pk_add_f32 v[4:5], v[8:9], v[4:5]
	v_mov_b32_e32 v17, v19
	v_pk_fma_f32 v[18:19], v[62:63], v[30:31], v[20:21] neg_lo:[0,0,1] neg_hi:[0,0,1]
	v_pk_add_f32 v[4:5], v[4:5], v[6:7]
	v_pk_fma_f32 v[6:7], v[62:63], v[30:31], v[20:21] op_sel_hi:[1,0,1]
	v_mov_b32_e32 v13, v15
	v_pk_add_f32 v[4:5], v[4:5], v[10:11]
	v_mov_b32_e32 v19, v7
	s_waitcnt vmcnt(1) lgkmcnt(0)
	v_pk_mul_f32 v[6:7], v[64:65], v[48:49] op_sel:[1,1] op_sel_hi:[0,1]
	v_pk_add_f32 v[4:5], v[4:5], v[12:13]
	v_pk_fma_f32 v[8:9], v[64:65], v[48:49], v[6:7] neg_lo:[0,0,1] neg_hi:[0,0,1]
	v_pk_fma_f32 v[6:7], v[64:65], v[48:49], v[6:7] op_sel_hi:[1,0,1]
	v_pk_add_f32 v[4:5], v[4:5], v[16:17]
	v_mov_b32_e32 v6, v51
	v_pk_add_f32 v[4:5], v[4:5], v[18:19]
	v_mov_b32_e32 v9, v7
	v_pk_mul_f32 v[6:7], v[66:67], v[6:7] op_sel:[1,0] op_sel_hi:[0,0]
	v_pk_add_f32 v[4:5], v[4:5], v[8:9]
	v_pk_fma_f32 v[8:9], v[66:67], v[50:51], v[6:7] neg_lo:[0,0,1] neg_hi:[0,0,1]
	v_pk_fma_f32 v[6:7], v[66:67], v[50:51], v[6:7] op_sel_hi:[1,0,1]
	s_nop 0
	v_mov_b32_e32 v9, v7
	v_pk_add_f32 v[4:5], v[4:5], v[8:9]
	s_waitcnt vmcnt(0)
	v_pk_add_f32 v[2:3], v[2:3], v[4:5] neg_lo:[0,1] neg_hi:[0,1]
	scratch_store_dwordx2 off, v[2:3], off offset:344
	s_and_saveexec_b64 s[0:1], vcc
	s_cbranch_execz .LBB59_289
; %bb.288:
	scratch_load_dwordx2 v[2:3], off, off offset:336
	v_mov_b32_e32 v4, 0
	v_mov_b32_e32 v5, v4
	scratch_store_dwordx2 off, v[4:5], off offset:336
	s_waitcnt vmcnt(1)
	ds_write_b64 v1, v[2:3]
.LBB59_289:
	s_or_b64 exec, exec, s[0:1]
	s_waitcnt lgkmcnt(0)
	; wave barrier
	scratch_load_dwordx4 v[4:7], off, off offset:344
	scratch_load_dwordx4 v[8:11], off, off offset:360
	;; [unrolled: 1-line block ×8, first 2 shown]
	scratch_load_dwordx2 v[68:69], off, off offset:472
	scratch_load_dwordx2 v[70:71], off, off offset:336
	v_mov_b32_e32 v2, 0
	ds_read2_b64 v[36:39], v2 offset0:103 offset1:104
	ds_read2_b64 v[40:43], v2 offset0:105 offset1:106
	;; [unrolled: 1-line block ×8, first 2 shown]
	ds_read_b64 v[72:73], v2 offset:952
	v_cmp_lt_u32_e32 vcc, 41, v0
	s_waitcnt vmcnt(9) lgkmcnt(8)
	v_mul_f32_e32 v79, v38, v7
	v_mul_f32_e32 v3, v36, v5
	s_waitcnt vmcnt(8) lgkmcnt(7)
	v_mul_f32_e32 v83, v40, v9
	s_waitcnt vmcnt(7) lgkmcnt(6)
	v_mul_f32_e32 v87, v44, v13
	v_mul_f32_e32 v5, v37, v5
	;; [unrolled: 1-line block ×5, first 2 shown]
	s_waitcnt vmcnt(5)
	v_mov_b32_e32 v78, v23
	s_waitcnt vmcnt(3) lgkmcnt(2)
	v_pk_mul_f32 v[84:85], v[60:61], v[28:29] op_sel:[1,1] op_sel_hi:[0,1]
	v_fmac_f32_e32 v79, v39, v6
	v_mul_f32_e32 v86, v42, v11
	v_mul_f32_e32 v89, v48, v17
	;; [unrolled: 1-line block ×4, first 2 shown]
	v_fmac_f32_e32 v3, v37, v4
	v_fmac_f32_e32 v87, v45, v12
	v_fma_f32 v36, v36, v4, -v5
	v_fma_f32 v37, v38, v6, -v7
	;; [unrolled: 1-line block ×4, first 2 shown]
	v_pk_mul_f32 v[4:5], v[54:55], v[78:79] op_sel:[1,0] op_sel_hi:[0,0]
	v_pk_fma_f32 v[12:13], v[60:61], v[28:29], v[84:85] neg_lo:[0,0,1] neg_hi:[0,0,1]
	v_fmac_f32_e32 v89, v49, v16
	v_fma_f32 v39, v42, v10, -v11
	v_fma_f32 v42, v48, v16, -v17
	v_add_f32_e32 v3, 0, v3
	v_add_f32_e32 v13, 0, v36
	v_pk_fma_f32 v[16:17], v[54:55], v[22:23], v[4:5] neg_lo:[0,0,1] neg_hi:[0,0,1]
	v_pk_fma_f32 v[4:5], v[54:55], v[22:23], v[4:5] op_sel_hi:[1,0,1]
	v_fmac_f32_e32 v83, v41, v8
	v_add_f32_e32 v3, v3, v79
	v_add_f32_e32 v4, v13, v37
	v_fmac_f32_e32 v86, v43, v10
	v_add_f32_e32 v3, v3, v83
	v_add_f32_e32 v4, v4, v38
	v_mul_f32_e32 v88, v46, v15
	v_mul_f32_e32 v15, v47, v15
	v_add_f32_e32 v3, v3, v86
	v_add_f32_e32 v4, v4, v39
	v_fmac_f32_e32 v88, v47, v14
	v_fma_f32 v41, v46, v14, -v15
	v_add_f32_e32 v3, v3, v87
	v_add_f32_e32 v4, v4, v40
	v_mul_f32_e32 v75, v50, v19
	v_mul_f32_e32 v19, v51, v19
	v_add_f32_e32 v3, v3, v88
	v_add_f32_e32 v4, v4, v41
	v_mul_f32_e32 v77, v52, v21
	v_mul_f32_e32 v21, v53, v21
	v_fmac_f32_e32 v75, v51, v18
	v_fma_f32 v74, v50, v18, -v19
	v_mov_b32_e32 v17, v5
	v_add_f32_e32 v5, v3, v89
	v_add_f32_e32 v4, v4, v42
	v_pk_mul_f32 v[80:81], v[56:57], v[24:25] op_sel:[1,1] op_sel_hi:[0,1]
	v_fmac_f32_e32 v77, v53, v20
	v_fma_f32 v76, v52, v20, -v21
	v_pk_add_f32 v[4:5], v[4:5], v[74:75]
	v_mov_b32_e32 v82, v27
	v_pk_fma_f32 v[6:7], v[56:57], v[24:25], v[80:81] neg_lo:[0,0,1] neg_hi:[0,0,1]
	v_pk_fma_f32 v[8:9], v[56:57], v[24:25], v[80:81] op_sel_hi:[1,0,1]
	v_pk_add_f32 v[4:5], v[4:5], v[76:77]
	v_pk_mul_f32 v[10:11], v[58:59], v[82:83] op_sel:[1,0] op_sel_hi:[0,0]
	v_mov_b32_e32 v7, v9
	v_pk_add_f32 v[4:5], v[4:5], v[16:17]
	v_pk_fma_f32 v[8:9], v[58:59], v[26:27], v[10:11] neg_lo:[0,0,1] neg_hi:[0,0,1]
	v_pk_fma_f32 v[10:11], v[58:59], v[26:27], v[10:11] op_sel_hi:[1,0,1]
	v_pk_add_f32 v[4:5], v[4:5], v[6:7]
	v_mov_b32_e32 v6, v31
	v_pk_fma_f32 v[14:15], v[60:61], v[28:29], v[84:85] op_sel_hi:[1,0,1]
	v_mov_b32_e32 v9, v11
	v_pk_mul_f32 v[6:7], v[62:63], v[6:7] op_sel:[1,0] op_sel_hi:[0,0]
	v_pk_add_f32 v[4:5], v[4:5], v[8:9]
	v_mov_b32_e32 v13, v15
	v_pk_fma_f32 v[8:9], v[62:63], v[30:31], v[6:7] neg_lo:[0,0,1] neg_hi:[0,0,1]
	v_pk_fma_f32 v[6:7], v[62:63], v[30:31], v[6:7] op_sel_hi:[1,0,1]
	v_pk_add_f32 v[4:5], v[4:5], v[12:13]
	v_mov_b32_e32 v9, v7
	s_waitcnt vmcnt(2) lgkmcnt(1)
	v_pk_mul_f32 v[6:7], v[64:65], v[32:33] op_sel:[1,1] op_sel_hi:[0,1]
	v_pk_add_f32 v[4:5], v[4:5], v[8:9]
	v_pk_fma_f32 v[8:9], v[64:65], v[32:33], v[6:7] neg_lo:[0,0,1] neg_hi:[0,0,1]
	v_pk_fma_f32 v[6:7], v[64:65], v[32:33], v[6:7] op_sel_hi:[1,0,1]
	s_nop 0
	v_mov_b32_e32 v6, v35
	v_mov_b32_e32 v9, v7
	v_pk_mul_f32 v[6:7], v[66:67], v[6:7] op_sel:[1,0] op_sel_hi:[0,0]
	v_pk_add_f32 v[4:5], v[4:5], v[8:9]
	v_pk_fma_f32 v[8:9], v[66:67], v[34:35], v[6:7] neg_lo:[0,0,1] neg_hi:[0,0,1]
	v_pk_fma_f32 v[6:7], v[66:67], v[34:35], v[6:7] op_sel_hi:[1,0,1]
	s_nop 0
	v_mov_b32_e32 v9, v7
	s_waitcnt vmcnt(1) lgkmcnt(0)
	v_pk_mul_f32 v[6:7], v[72:73], v[68:69] op_sel:[1,1] op_sel_hi:[0,1]
	v_pk_add_f32 v[4:5], v[4:5], v[8:9]
	v_pk_fma_f32 v[8:9], v[72:73], v[68:69], v[6:7] neg_lo:[0,0,1] neg_hi:[0,0,1]
	v_pk_fma_f32 v[6:7], v[72:73], v[68:69], v[6:7] op_sel_hi:[1,0,1]
	s_nop 0
	v_mov_b32_e32 v9, v7
	v_pk_add_f32 v[4:5], v[4:5], v[8:9]
	s_waitcnt vmcnt(0)
	v_pk_add_f32 v[4:5], v[70:71], v[4:5] neg_lo:[0,1] neg_hi:[0,1]
	scratch_store_dwordx2 off, v[4:5], off offset:336
	s_and_saveexec_b64 s[0:1], vcc
	s_cbranch_execz .LBB59_291
; %bb.290:
	scratch_load_dwordx2 v[4:5], off, off offset:328
	v_mov_b32_e32 v3, v2
	scratch_store_dwordx2 off, v[2:3], off offset:328
	s_waitcnt vmcnt(1)
	ds_write_b64 v1, v[4:5]
.LBB59_291:
	s_or_b64 exec, exec, s[0:1]
	s_waitcnt lgkmcnt(0)
	; wave barrier
	scratch_load_dwordx4 v[4:7], off, off offset:336
	scratch_load_dwordx4 v[8:11], off, off offset:352
	;; [unrolled: 1-line block ×7, first 2 shown]
	ds_read_b128 v[32:35], v2 offset:816
	ds_read_b128 v[36:39], v2 offset:832
	;; [unrolled: 1-line block ×4, first 2 shown]
	scratch_load_dwordx4 v[48:51], off, off offset:448
	scratch_load_dwordx4 v[52:55], off, off offset:464
	ds_read_b128 v[56:59], v2 offset:880
	ds_read_b128 v[60:63], v2 offset:896
	;; [unrolled: 1-line block ×5, first 2 shown]
	scratch_load_dwordx2 v[2:3], off, off offset:328
	v_cmp_lt_u32_e32 vcc, 40, v0
	s_waitcnt vmcnt(9) lgkmcnt(8)
	v_mul_f32_e32 v83, v32, v5
	v_mul_f32_e32 v86, v34, v7
	s_waitcnt vmcnt(8) lgkmcnt(7)
	v_mul_f32_e32 v87, v36, v9
	s_waitcnt vmcnt(7) lgkmcnt(6)
	v_mul_f32_e32 v89, v40, v13
	v_mul_f32_e32 v5, v33, v5
	;; [unrolled: 1-line block ×5, first 2 shown]
	s_waitcnt vmcnt(4) lgkmcnt(3)
	v_pk_mul_f32 v[80:81], v[60:61], v[24:25] op_sel:[1,1] op_sel_hi:[0,1]
	v_mov_b32_e32 v82, v27
	s_waitcnt vmcnt(3) lgkmcnt(2)
	v_pk_mul_f32 v[84:85], v[64:65], v[28:29] op_sel:[1,1] op_sel_hi:[0,1]
	v_fmac_f32_e32 v83, v33, v4
	v_mul_f32_e32 v90, v42, v15
	v_mul_f32_e32 v91, v44, v17
	;; [unrolled: 1-line block ×4, first 2 shown]
	v_fmac_f32_e32 v86, v35, v6
	v_fmac_f32_e32 v87, v37, v8
	;; [unrolled: 1-line block ×3, first 2 shown]
	v_fma_f32 v32, v32, v4, -v5
	v_fma_f32 v33, v34, v6, -v7
	;; [unrolled: 1-line block ×4, first 2 shown]
	v_pk_fma_f32 v[4:5], v[60:61], v[24:25], v[80:81] neg_lo:[0,0,1] neg_hi:[0,0,1]
	v_pk_fma_f32 v[6:7], v[60:61], v[24:25], v[80:81] op_sel_hi:[1,0,1]
	v_pk_mul_f32 v[8:9], v[62:63], v[82:83] op_sel:[1,0] op_sel_hi:[0,0]
	v_pk_fma_f32 v[12:13], v[64:65], v[28:29], v[84:85] op_sel_hi:[1,0,1]
	v_fmac_f32_e32 v90, v43, v14
	v_fma_f32 v14, v42, v14, -v15
	v_fma_f32 v15, v44, v16, -v17
	v_add_f32_e32 v12, 0, v83
	v_add_f32_e32 v17, 0, v32
	v_mov_b32_e32 v5, v7
	v_pk_fma_f32 v[6:7], v[62:63], v[26:27], v[8:9] neg_lo:[0,0,1] neg_hi:[0,0,1]
	v_pk_fma_f32 v[8:9], v[62:63], v[26:27], v[8:9] op_sel_hi:[1,0,1]
	v_mul_f32_e32 v88, v38, v11
	v_mul_f32_e32 v11, v39, v11
	v_add_f32_e32 v8, v12, v86
	v_add_f32_e32 v12, v17, v33
	v_fmac_f32_e32 v88, v39, v10
	v_fma_f32 v35, v38, v10, -v11
	v_mov_b32_e32 v7, v9
	v_add_f32_e32 v8, v8, v87
	v_add_f32_e32 v9, v12, v34
	v_add_f32_e32 v8, v8, v88
	v_add_f32_e32 v9, v9, v35
	v_add_f32_e32 v8, v8, v89
	v_add_f32_e32 v9, v9, v36
	v_mul_f32_e32 v92, v46, v19
	v_mul_f32_e32 v19, v47, v19
	v_fmac_f32_e32 v91, v45, v16
	v_add_f32_e32 v8, v8, v90
	v_add_f32_e32 v9, v9, v14
	v_mul_f32_e32 v77, v56, v21
	v_mul_f32_e32 v21, v57, v21
	v_fmac_f32_e32 v92, v47, v18
	v_fma_f32 v16, v46, v18, -v19
	v_add_f32_e32 v8, v8, v91
	v_add_f32_e32 v12, v9, v15
	v_mul_f32_e32 v79, v58, v23
	v_mul_f32_e32 v23, v59, v23
	v_fmac_f32_e32 v77, v57, v20
	v_fma_f32 v76, v56, v20, -v21
	v_add_f32_e32 v9, v8, v92
	v_add_f32_e32 v8, v12, v16
	v_fmac_f32_e32 v79, v59, v22
	v_fma_f32 v78, v58, v22, -v23
	v_pk_add_f32 v[8:9], v[8:9], v[76:77]
	v_pk_fma_f32 v[10:11], v[64:65], v[28:29], v[84:85] neg_lo:[0,0,1] neg_hi:[0,0,1]
	v_pk_add_f32 v[8:9], v[8:9], v[78:79]
	v_mov_b32_e32 v11, v13
	v_pk_add_f32 v[4:5], v[8:9], v[4:5]
	s_nop 0
	v_pk_add_f32 v[4:5], v[4:5], v[6:7]
	v_mov_b32_e32 v6, v31
	v_pk_mul_f32 v[6:7], v[66:67], v[6:7] op_sel:[1,0] op_sel_hi:[0,0]
	v_pk_fma_f32 v[8:9], v[66:67], v[30:31], v[6:7] neg_lo:[0,0,1] neg_hi:[0,0,1]
	v_pk_fma_f32 v[6:7], v[66:67], v[30:31], v[6:7] op_sel_hi:[1,0,1]
	v_pk_add_f32 v[4:5], v[4:5], v[10:11]
	v_mov_b32_e32 v9, v7
	s_waitcnt vmcnt(2) lgkmcnt(1)
	v_pk_mul_f32 v[6:7], v[68:69], v[48:49] op_sel:[1,1] op_sel_hi:[0,1]
	v_pk_add_f32 v[4:5], v[4:5], v[8:9]
	v_pk_fma_f32 v[8:9], v[68:69], v[48:49], v[6:7] neg_lo:[0,0,1] neg_hi:[0,0,1]
	v_pk_fma_f32 v[6:7], v[68:69], v[48:49], v[6:7] op_sel_hi:[1,0,1]
	s_nop 0
	v_mov_b32_e32 v6, v51
	v_mov_b32_e32 v9, v7
	v_pk_mul_f32 v[6:7], v[70:71], v[6:7] op_sel:[1,0] op_sel_hi:[0,0]
	v_pk_add_f32 v[4:5], v[4:5], v[8:9]
	v_pk_fma_f32 v[8:9], v[70:71], v[50:51], v[6:7] neg_lo:[0,0,1] neg_hi:[0,0,1]
	v_pk_fma_f32 v[6:7], v[70:71], v[50:51], v[6:7] op_sel_hi:[1,0,1]
	s_nop 0
	v_mov_b32_e32 v9, v7
	s_waitcnt vmcnt(1) lgkmcnt(0)
	v_pk_mul_f32 v[6:7], v[72:73], v[52:53] op_sel:[1,1] op_sel_hi:[0,1]
	v_pk_add_f32 v[4:5], v[4:5], v[8:9]
	v_pk_fma_f32 v[8:9], v[72:73], v[52:53], v[6:7] neg_lo:[0,0,1] neg_hi:[0,0,1]
	v_pk_fma_f32 v[6:7], v[72:73], v[52:53], v[6:7] op_sel_hi:[1,0,1]
	s_nop 0
	v_mov_b32_e32 v6, v55
	v_mov_b32_e32 v9, v7
	v_pk_mul_f32 v[6:7], v[74:75], v[6:7] op_sel:[1,0] op_sel_hi:[0,0]
	v_pk_add_f32 v[4:5], v[4:5], v[8:9]
	v_pk_fma_f32 v[8:9], v[74:75], v[54:55], v[6:7] neg_lo:[0,0,1] neg_hi:[0,0,1]
	v_pk_fma_f32 v[6:7], v[74:75], v[54:55], v[6:7] op_sel_hi:[1,0,1]
	s_nop 0
	v_mov_b32_e32 v9, v7
	v_pk_add_f32 v[4:5], v[4:5], v[8:9]
	s_waitcnt vmcnt(0)
	v_pk_add_f32 v[2:3], v[2:3], v[4:5] neg_lo:[0,1] neg_hi:[0,1]
	scratch_store_dwordx2 off, v[2:3], off offset:328
	s_and_saveexec_b64 s[0:1], vcc
	s_cbranch_execz .LBB59_293
; %bb.292:
	scratch_load_dwordx2 v[2:3], off, off offset:320
	v_mov_b32_e32 v4, 0
	v_mov_b32_e32 v5, v4
	scratch_store_dwordx2 off, v[4:5], off offset:320
	s_waitcnt vmcnt(1)
	ds_write_b64 v1, v[2:3]
.LBB59_293:
	s_or_b64 exec, exec, s[0:1]
	s_waitcnt lgkmcnt(0)
	; wave barrier
	scratch_load_dwordx4 v[4:7], off, off offset:328
	scratch_load_dwordx4 v[8:11], off, off offset:344
	scratch_load_dwordx4 v[12:15], off, off offset:360
	scratch_load_dwordx4 v[16:19], off, off offset:376
	scratch_load_dwordx4 v[20:23], off, off offset:392
	scratch_load_dwordx4 v[24:27], off, off offset:408
	scratch_load_dwordx4 v[28:31], off, off offset:424
	scratch_load_dwordx4 v[32:35], off, off offset:440
	scratch_load_dwordx4 v[36:39], off, off offset:456
	scratch_load_dwordx2 v[76:77], off, off offset:472
	scratch_load_dwordx2 v[78:79], off, off offset:320
	v_mov_b32_e32 v2, 0
	ds_read2_b64 v[40:43], v2 offset0:101 offset1:102
	ds_read2_b64 v[44:47], v2 offset0:103 offset1:104
	;; [unrolled: 1-line block ×9, first 2 shown]
	ds_read_b64 v[80:81], v2 offset:952
	v_cmp_lt_u32_e32 vcc, 39, v0
	s_waitcnt vmcnt(10) lgkmcnt(9)
	v_mul_f32_e32 v87, v42, v7
	v_mul_f32_e32 v3, v40, v5
	;; [unrolled: 1-line block ×3, first 2 shown]
	v_fmac_f32_e32 v87, v43, v6
	s_waitcnt vmcnt(9) lgkmcnt(8)
	v_mul_f32_e32 v88, v44, v9
	s_waitcnt vmcnt(5)
	v_mov_b32_e32 v86, v27
	v_mul_f32_e32 v89, v46, v11
	s_waitcnt lgkmcnt(7)
	v_mul_f32_e32 v91, v50, v15
	v_mul_f32_e32 v7, v43, v7
	;; [unrolled: 1-line block ×5, first 2 shown]
	v_fmac_f32_e32 v3, v41, v4
	v_fma_f32 v40, v40, v4, -v5
	s_waitcnt lgkmcnt(4)
	v_pk_mul_f32 v[4:5], v[62:63], v[86:87] op_sel:[1,0] op_sel_hi:[0,0]
	v_fmac_f32_e32 v88, v45, v8
	v_fma_f32 v41, v42, v6, -v7
	v_fma_f32 v8, v44, v8, -v9
	;; [unrolled: 1-line block ×4, first 2 shown]
	v_add_f32_e32 v3, 0, v3
	v_add_f32_e32 v15, 0, v40
	v_pk_fma_f32 v[6:7], v[62:63], v[26:27], v[4:5] neg_lo:[0,0,1] neg_hi:[0,0,1]
	v_pk_fma_f32 v[4:5], v[62:63], v[26:27], v[4:5] op_sel_hi:[1,0,1]
	v_add_f32_e32 v3, v3, v87
	v_add_f32_e32 v4, v15, v41
	v_mul_f32_e32 v90, v48, v13
	v_mul_f32_e32 v13, v49, v13
	v_fmac_f32_e32 v89, v47, v10
	v_add_f32_e32 v3, v3, v88
	v_add_f32_e32 v4, v4, v8
	v_fmac_f32_e32 v90, v49, v12
	v_fma_f32 v10, v48, v12, -v13
	v_add_f32_e32 v3, v3, v89
	v_add_f32_e32 v4, v4, v9
	v_mul_f32_e32 v92, v52, v17
	v_mul_f32_e32 v17, v53, v17
	v_fmac_f32_e32 v91, v51, v14
	v_add_f32_e32 v3, v3, v90
	v_add_f32_e32 v4, v4, v10
	v_mul_f32_e32 v93, v54, v19
	v_mul_f32_e32 v19, v55, v19
	v_fmac_f32_e32 v92, v53, v16
	v_fma_f32 v12, v52, v16, -v17
	v_add_f32_e32 v3, v3, v91
	v_add_f32_e32 v4, v4, v11
	v_mul_f32_e32 v94, v56, v21
	v_mul_f32_e32 v21, v57, v21
	v_fmac_f32_e32 v93, v55, v18
	v_fma_f32 v13, v54, v18, -v19
	;; [unrolled: 6-line block ×4, first 2 shown]
	v_mov_b32_e32 v7, v5
	v_add_f32_e32 v5, v3, v94
	v_add_f32_e32 v4, v4, v14
	v_fmac_f32_e32 v85, v61, v24
	v_fma_f32 v84, v60, v24, -v25
	v_pk_add_f32 v[4:5], v[4:5], v[82:83]
	s_nop 0
	v_pk_add_f32 v[4:5], v[4:5], v[84:85]
	s_nop 0
	v_pk_add_f32 v[4:5], v[4:5], v[6:7]
	s_waitcnt vmcnt(4) lgkmcnt(3)
	v_pk_mul_f32 v[6:7], v[64:65], v[28:29] op_sel:[1,1] op_sel_hi:[0,1]
	v_pk_fma_f32 v[8:9], v[64:65], v[28:29], v[6:7] neg_lo:[0,0,1] neg_hi:[0,0,1]
	v_pk_fma_f32 v[6:7], v[64:65], v[28:29], v[6:7] op_sel_hi:[1,0,1]
	s_nop 0
	v_mov_b32_e32 v6, v31
	v_mov_b32_e32 v9, v7
	v_pk_mul_f32 v[6:7], v[66:67], v[6:7] op_sel:[1,0] op_sel_hi:[0,0]
	v_pk_add_f32 v[4:5], v[4:5], v[8:9]
	v_pk_fma_f32 v[8:9], v[66:67], v[30:31], v[6:7] neg_lo:[0,0,1] neg_hi:[0,0,1]
	v_pk_fma_f32 v[6:7], v[66:67], v[30:31], v[6:7] op_sel_hi:[1,0,1]
	s_nop 0
	v_mov_b32_e32 v9, v7
	s_waitcnt vmcnt(3) lgkmcnt(2)
	v_pk_mul_f32 v[6:7], v[68:69], v[32:33] op_sel:[1,1] op_sel_hi:[0,1]
	v_pk_add_f32 v[4:5], v[4:5], v[8:9]
	v_pk_fma_f32 v[8:9], v[68:69], v[32:33], v[6:7] neg_lo:[0,0,1] neg_hi:[0,0,1]
	v_pk_fma_f32 v[6:7], v[68:69], v[32:33], v[6:7] op_sel_hi:[1,0,1]
	s_nop 0
	v_mov_b32_e32 v6, v35
	v_mov_b32_e32 v9, v7
	v_pk_mul_f32 v[6:7], v[70:71], v[6:7] op_sel:[1,0] op_sel_hi:[0,0]
	v_pk_add_f32 v[4:5], v[4:5], v[8:9]
	v_pk_fma_f32 v[8:9], v[70:71], v[34:35], v[6:7] neg_lo:[0,0,1] neg_hi:[0,0,1]
	v_pk_fma_f32 v[6:7], v[70:71], v[34:35], v[6:7] op_sel_hi:[1,0,1]
	s_nop 0
	v_mov_b32_e32 v9, v7
	s_waitcnt vmcnt(2) lgkmcnt(1)
	v_pk_mul_f32 v[6:7], v[72:73], v[36:37] op_sel:[1,1] op_sel_hi:[0,1]
	v_pk_add_f32 v[4:5], v[4:5], v[8:9]
	v_pk_fma_f32 v[8:9], v[72:73], v[36:37], v[6:7] neg_lo:[0,0,1] neg_hi:[0,0,1]
	v_pk_fma_f32 v[6:7], v[72:73], v[36:37], v[6:7] op_sel_hi:[1,0,1]
	s_nop 0
	v_mov_b32_e32 v6, v39
	v_mov_b32_e32 v9, v7
	v_pk_mul_f32 v[6:7], v[74:75], v[6:7] op_sel:[1,0] op_sel_hi:[0,0]
	v_pk_add_f32 v[4:5], v[4:5], v[8:9]
	v_pk_fma_f32 v[8:9], v[74:75], v[38:39], v[6:7] neg_lo:[0,0,1] neg_hi:[0,0,1]
	v_pk_fma_f32 v[6:7], v[74:75], v[38:39], v[6:7] op_sel_hi:[1,0,1]
	s_nop 0
	v_mov_b32_e32 v9, v7
	s_waitcnt vmcnt(1) lgkmcnt(0)
	v_pk_mul_f32 v[6:7], v[80:81], v[76:77] op_sel:[1,1] op_sel_hi:[0,1]
	v_pk_add_f32 v[4:5], v[4:5], v[8:9]
	v_pk_fma_f32 v[8:9], v[80:81], v[76:77], v[6:7] neg_lo:[0,0,1] neg_hi:[0,0,1]
	v_pk_fma_f32 v[6:7], v[80:81], v[76:77], v[6:7] op_sel_hi:[1,0,1]
	s_nop 0
	v_mov_b32_e32 v9, v7
	v_pk_add_f32 v[4:5], v[4:5], v[8:9]
	s_waitcnt vmcnt(0)
	v_pk_add_f32 v[4:5], v[78:79], v[4:5] neg_lo:[0,1] neg_hi:[0,1]
	scratch_store_dwordx2 off, v[4:5], off offset:320
	s_and_saveexec_b64 s[0:1], vcc
	s_cbranch_execz .LBB59_295
; %bb.294:
	scratch_load_dwordx2 v[4:5], off, off offset:312
	v_mov_b32_e32 v3, v2
	scratch_store_dwordx2 off, v[2:3], off offset:312
	s_waitcnt vmcnt(1)
	ds_write_b64 v1, v[4:5]
.LBB59_295:
	s_or_b64 exec, exec, s[0:1]
	s_waitcnt lgkmcnt(0)
	; wave barrier
	scratch_load_dwordx4 v[4:7], off, off offset:320
	scratch_load_dwordx4 v[8:11], off, off offset:336
	;; [unrolled: 1-line block ×7, first 2 shown]
	ds_read_b128 v[32:35], v2 offset:800
	ds_read_b128 v[36:39], v2 offset:816
	;; [unrolled: 1-line block ×6, first 2 shown]
	scratch_load_dwordx4 v[56:59], off, off offset:432
	scratch_load_dwordx4 v[60:63], off, off offset:448
	;; [unrolled: 1-line block ×3, first 2 shown]
	ds_read_b128 v[68:71], v2 offset:896
	ds_read_b128 v[72:75], v2 offset:912
	ds_read_b128 v[76:79], v2 offset:928
	ds_read_b128 v[80:83], v2 offset:944
	scratch_load_dwordx2 v[2:3], off, off offset:312
	v_cmp_lt_u32_e32 vcc, 38, v0
	s_waitcnt vmcnt(10) lgkmcnt(9)
	v_mul_f32_e32 v90, v32, v5
	v_mul_f32_e32 v5, v33, v5
	;; [unrolled: 1-line block ×3, first 2 shown]
	s_waitcnt vmcnt(9) lgkmcnt(8)
	v_mul_f32_e32 v92, v36, v9
	s_waitcnt vmcnt(8) lgkmcnt(7)
	v_mul_f32_e32 v95, v42, v15
	v_mul_f32_e32 v7, v35, v7
	;; [unrolled: 1-line block ×4, first 2 shown]
	v_fmac_f32_e32 v90, v33, v4
	v_fma_f32 v4, v32, v4, -v5
	v_fmac_f32_e32 v91, v35, v6
	v_fmac_f32_e32 v95, v43, v14
	v_fma_f32 v5, v34, v6, -v7
	v_fma_f32 v6, v36, v8, -v9
	;; [unrolled: 1-line block ×3, first 2 shown]
	v_add_f32_e32 v14, 0, v90
	v_add_f32_e32 v4, 0, v4
	v_mul_f32_e32 v93, v38, v11
	v_mul_f32_e32 v11, v39, v11
	v_fmac_f32_e32 v92, v37, v8
	v_add_f32_e32 v14, v14, v91
	v_add_f32_e32 v4, v4, v5
	v_mul_f32_e32 v94, v40, v13
	v_mul_f32_e32 v13, v41, v13
	v_fmac_f32_e32 v93, v39, v10
	v_fma_f32 v7, v38, v10, -v11
	v_add_f32_e32 v5, v14, v92
	v_add_f32_e32 v4, v4, v6
	v_fmac_f32_e32 v94, v41, v12
	v_fma_f32 v8, v40, v12, -v13
	v_add_f32_e32 v5, v5, v93
	v_add_f32_e32 v4, v4, v7
	s_waitcnt vmcnt(7) lgkmcnt(6)
	v_mul_f32_e32 v96, v44, v17
	v_mul_f32_e32 v17, v45, v17
	v_add_f32_e32 v5, v5, v94
	v_add_f32_e32 v4, v4, v8
	v_mul_f32_e32 v97, v46, v19
	v_mul_f32_e32 v19, v47, v19
	v_fmac_f32_e32 v96, v45, v16
	v_fma_f32 v10, v44, v16, -v17
	v_add_f32_e32 v5, v5, v95
	v_add_f32_e32 v4, v4, v9
	s_waitcnt vmcnt(6) lgkmcnt(5)
	v_mul_f32_e32 v98, v48, v21
	v_mul_f32_e32 v21, v49, v21
	v_fmac_f32_e32 v97, v47, v18
	v_fma_f32 v11, v46, v18, -v19
	v_add_f32_e32 v5, v5, v96
	v_add_f32_e32 v4, v4, v10
	v_mul_f32_e32 v99, v50, v23
	v_mul_f32_e32 v23, v51, v23
	v_fmac_f32_e32 v98, v49, v20
	v_fma_f32 v12, v48, v20, -v21
	v_add_f32_e32 v5, v5, v97
	v_add_f32_e32 v4, v4, v11
	s_waitcnt vmcnt(5) lgkmcnt(4)
	v_mul_f32_e32 v85, v52, v25
	v_mul_f32_e32 v25, v53, v25
	v_fmac_f32_e32 v99, v51, v22
	v_fma_f32 v13, v50, v22, -v23
	v_add_f32_e32 v5, v5, v98
	v_add_f32_e32 v4, v4, v12
	v_mul_f32_e32 v87, v54, v27
	v_mul_f32_e32 v27, v55, v27
	s_waitcnt vmcnt(4) lgkmcnt(3)
	v_pk_mul_f32 v[88:89], v[68:69], v[28:29] op_sel:[1,1] op_sel_hi:[0,1]
	v_fmac_f32_e32 v85, v53, v24
	v_fma_f32 v84, v52, v24, -v25
	v_add_f32_e32 v5, v5, v99
	v_add_f32_e32 v4, v4, v13
	v_fmac_f32_e32 v87, v55, v26
	v_fma_f32 v86, v54, v26, -v27
	v_pk_add_f32 v[4:5], v[4:5], v[84:85]
	v_pk_fma_f32 v[6:7], v[68:69], v[28:29], v[88:89] neg_lo:[0,0,1] neg_hi:[0,0,1]
	v_pk_fma_f32 v[8:9], v[68:69], v[28:29], v[88:89] op_sel_hi:[1,0,1]
	v_pk_add_f32 v[4:5], v[4:5], v[86:87]
	v_mov_b32_e32 v7, v9
	v_pk_add_f32 v[4:5], v[4:5], v[6:7]
	v_mov_b32_e32 v6, v31
	v_pk_mul_f32 v[6:7], v[70:71], v[6:7] op_sel:[1,0] op_sel_hi:[0,0]
	v_pk_fma_f32 v[8:9], v[70:71], v[30:31], v[6:7] neg_lo:[0,0,1] neg_hi:[0,0,1]
	v_pk_fma_f32 v[6:7], v[70:71], v[30:31], v[6:7] op_sel_hi:[1,0,1]
	s_nop 0
	v_mov_b32_e32 v9, v7
	s_waitcnt vmcnt(3) lgkmcnt(2)
	v_pk_mul_f32 v[6:7], v[72:73], v[56:57] op_sel:[1,1] op_sel_hi:[0,1]
	v_pk_add_f32 v[4:5], v[4:5], v[8:9]
	v_pk_fma_f32 v[8:9], v[72:73], v[56:57], v[6:7] neg_lo:[0,0,1] neg_hi:[0,0,1]
	v_pk_fma_f32 v[6:7], v[72:73], v[56:57], v[6:7] op_sel_hi:[1,0,1]
	s_nop 0
	v_mov_b32_e32 v6, v59
	v_mov_b32_e32 v9, v7
	v_pk_mul_f32 v[6:7], v[74:75], v[6:7] op_sel:[1,0] op_sel_hi:[0,0]
	v_pk_add_f32 v[4:5], v[4:5], v[8:9]
	v_pk_fma_f32 v[8:9], v[74:75], v[58:59], v[6:7] neg_lo:[0,0,1] neg_hi:[0,0,1]
	v_pk_fma_f32 v[6:7], v[74:75], v[58:59], v[6:7] op_sel_hi:[1,0,1]
	s_nop 0
	v_mov_b32_e32 v9, v7
	s_waitcnt vmcnt(2) lgkmcnt(1)
	v_pk_mul_f32 v[6:7], v[76:77], v[60:61] op_sel:[1,1] op_sel_hi:[0,1]
	v_pk_add_f32 v[4:5], v[4:5], v[8:9]
	v_pk_fma_f32 v[8:9], v[76:77], v[60:61], v[6:7] neg_lo:[0,0,1] neg_hi:[0,0,1]
	v_pk_fma_f32 v[6:7], v[76:77], v[60:61], v[6:7] op_sel_hi:[1,0,1]
	s_nop 0
	v_mov_b32_e32 v6, v63
	v_mov_b32_e32 v9, v7
	v_pk_mul_f32 v[6:7], v[78:79], v[6:7] op_sel:[1,0] op_sel_hi:[0,0]
	v_pk_add_f32 v[4:5], v[4:5], v[8:9]
	;; [unrolled: 14-line block ×3, first 2 shown]
	v_pk_fma_f32 v[8:9], v[82:83], v[66:67], v[6:7] neg_lo:[0,0,1] neg_hi:[0,0,1]
	v_pk_fma_f32 v[6:7], v[82:83], v[66:67], v[6:7] op_sel_hi:[1,0,1]
	s_nop 0
	v_mov_b32_e32 v9, v7
	v_pk_add_f32 v[4:5], v[4:5], v[8:9]
	s_waitcnt vmcnt(0)
	v_pk_add_f32 v[2:3], v[2:3], v[4:5] neg_lo:[0,1] neg_hi:[0,1]
	scratch_store_dwordx2 off, v[2:3], off offset:312
	s_and_saveexec_b64 s[0:1], vcc
	s_cbranch_execz .LBB59_297
; %bb.296:
	scratch_load_dwordx2 v[2:3], off, off offset:304
	v_mov_b32_e32 v4, 0
	v_mov_b32_e32 v5, v4
	scratch_store_dwordx2 off, v[4:5], off offset:304
	s_waitcnt vmcnt(1)
	ds_write_b64 v1, v[2:3]
.LBB59_297:
	s_or_b64 exec, exec, s[0:1]
	s_waitcnt lgkmcnt(0)
	; wave barrier
	scratch_load_dwordx4 v[2:5], off, off offset:312
	scratch_load_dwordx4 v[8:11], off, off offset:328
	;; [unrolled: 1-line block ×10, first 2 shown]
	scratch_load_dwordx2 v[76:77], off, off offset:472
	scratch_load_dwordx2 v[78:79], off, off offset:304
	v_mov_b32_e32 v6, 0
	ds_read2_b64 v[44:47], v6 offset0:99 offset1:100
	ds_read2_b64 v[48:51], v6 offset0:101 offset1:102
	;; [unrolled: 1-line block ×8, first 2 shown]
	v_cmp_lt_u32_e32 vcc, 37, v0
	s_waitcnt vmcnt(11) lgkmcnt(7)
	v_mul_f32_e32 v7, v44, v3
	v_mul_f32_e32 v3, v45, v3
	v_mul_f32_e32 v80, v46, v5
	v_mul_f32_e32 v5, v47, v5
	v_fmac_f32_e32 v7, v45, v2
	v_fma_f32 v2, v44, v2, -v3
	s_waitcnt vmcnt(10) lgkmcnt(6)
	v_mul_f32_e32 v82, v48, v9
	v_mul_f32_e32 v9, v49, v9
	v_fma_f32 v3, v46, v4, -v5
	v_add_f32_e32 v2, 0, v2
	v_mul_f32_e32 v84, v50, v11
	v_mul_f32_e32 v11, v51, v11
	v_fmac_f32_e32 v80, v47, v4
	v_fma_f32 v4, v48, v8, -v9
	v_add_f32_e32 v7, 0, v7
	v_add_f32_e32 v2, v2, v3
	s_waitcnt vmcnt(9) lgkmcnt(5)
	v_mul_f32_e32 v85, v52, v13
	v_mul_f32_e32 v13, v53, v13
	v_fmac_f32_e32 v82, v49, v8
	v_fma_f32 v5, v50, v10, -v11
	v_add_f32_e32 v7, v7, v80
	v_add_f32_e32 v2, v2, v4
	v_mul_f32_e32 v86, v54, v15
	v_mul_f32_e32 v15, v55, v15
	v_fmac_f32_e32 v84, v51, v10
	v_fma_f32 v8, v52, v12, -v13
	v_add_f32_e32 v3, v7, v82
	v_add_f32_e32 v2, v2, v5
	s_waitcnt vmcnt(8) lgkmcnt(4)
	v_mul_f32_e32 v87, v56, v17
	v_mul_f32_e32 v17, v57, v17
	v_fmac_f32_e32 v85, v53, v12
	v_fma_f32 v9, v54, v14, -v15
	v_add_f32_e32 v3, v3, v84
	;; [unrolled: 13-line block ×4, first 2 shown]
	v_add_f32_e32 v2, v2, v12
	v_fmac_f32_e32 v90, v63, v22
	v_fma_f32 v14, v64, v24, -v25
	v_add_f32_e32 v3, v3, v89
	v_add_f32_e32 v2, v2, v13
	v_mul_f32_e32 v81, v66, v27
	v_fmac_f32_e32 v91, v65, v24
	v_add_f32_e32 v3, v3, v90
	v_add_f32_e32 v12, v2, v14
	v_mul_f32_e32 v2, v67, v27
	s_waitcnt vmcnt(5)
	v_mov_b32_e32 v16, v31
	s_waitcnt lgkmcnt(1)
	v_mul_f32_e32 v83, v68, v29
	v_fmac_f32_e32 v81, v67, v26
	v_add_f32_e32 v13, v3, v91
	v_fma_f32 v80, v66, v26, -v2
	v_mul_f32_e32 v2, v69, v29
	v_pk_mul_f32 v[16:17], v[70:71], v[16:17] op_sel:[1,0] op_sel_hi:[0,0]
	v_fmac_f32_e32 v83, v69, v28
	v_fma_f32 v82, v68, v28, -v2
	v_pk_add_f32 v[12:13], v[12:13], v[80:81]
	v_pk_fma_f32 v[18:19], v[70:71], v[30:31], v[16:17] neg_lo:[0,0,1] neg_hi:[0,0,1]
	v_pk_fma_f32 v[16:17], v[70:71], v[30:31], v[16:17] op_sel_hi:[1,0,1]
	v_pk_add_f32 v[12:13], v[12:13], v[82:83]
	v_mov_b32_e32 v19, v17
	s_waitcnt vmcnt(4) lgkmcnt(0)
	v_pk_mul_f32 v[16:17], v[72:73], v[32:33] op_sel:[1,1] op_sel_hi:[0,1]
	v_pk_add_f32 v[12:13], v[12:13], v[18:19]
	v_pk_fma_f32 v[18:19], v[72:73], v[32:33], v[16:17] neg_lo:[0,0,1] neg_hi:[0,0,1]
	v_pk_fma_f32 v[16:17], v[72:73], v[32:33], v[16:17] op_sel_hi:[1,0,1]
	ds_read2_b64 v[2:5], v6 offset0:115 offset1:116
	ds_read2_b64 v[8:11], v6 offset0:117 offset1:118
	ds_read_b64 v[14:15], v6 offset:952
	v_mov_b32_e32 v16, v35
	v_mov_b32_e32 v19, v17
	v_pk_mul_f32 v[16:17], v[74:75], v[16:17] op_sel:[1,0] op_sel_hi:[0,0]
	v_pk_add_f32 v[12:13], v[12:13], v[18:19]
	v_pk_fma_f32 v[18:19], v[74:75], v[34:35], v[16:17] neg_lo:[0,0,1] neg_hi:[0,0,1]
	v_pk_fma_f32 v[16:17], v[74:75], v[34:35], v[16:17] op_sel_hi:[1,0,1]
	s_nop 0
	v_mov_b32_e32 v19, v17
	s_waitcnt vmcnt(3) lgkmcnt(2)
	v_pk_mul_f32 v[16:17], v[2:3], v[36:37] op_sel:[1,1] op_sel_hi:[0,1]
	v_pk_add_f32 v[12:13], v[12:13], v[18:19]
	v_pk_fma_f32 v[18:19], v[2:3], v[36:37], v[16:17] neg_lo:[0,0,1] neg_hi:[0,0,1]
	v_pk_fma_f32 v[2:3], v[2:3], v[36:37], v[16:17] op_sel_hi:[1,0,1]
	s_nop 0
	v_mov_b32_e32 v19, v3
	v_pk_add_f32 v[2:3], v[12:13], v[18:19]
	v_mov_b32_e32 v12, v39
	v_pk_mul_f32 v[12:13], v[4:5], v[12:13] op_sel:[1,0] op_sel_hi:[0,0]
	v_pk_fma_f32 v[16:17], v[4:5], v[38:39], v[12:13] neg_lo:[0,0,1] neg_hi:[0,0,1]
	v_pk_fma_f32 v[4:5], v[4:5], v[38:39], v[12:13] op_sel_hi:[1,0,1]
	s_nop 0
	v_mov_b32_e32 v17, v5
	s_waitcnt vmcnt(2) lgkmcnt(1)
	v_pk_mul_f32 v[4:5], v[8:9], v[40:41] op_sel:[1,1] op_sel_hi:[0,1]
	v_pk_fma_f32 v[12:13], v[8:9], v[40:41], v[4:5] neg_lo:[0,0,1] neg_hi:[0,0,1]
	v_pk_fma_f32 v[4:5], v[8:9], v[40:41], v[4:5] op_sel_hi:[1,0,1]
	v_pk_add_f32 v[2:3], v[2:3], v[16:17]
	v_mov_b32_e32 v4, v43
	v_mov_b32_e32 v13, v5
	v_pk_mul_f32 v[4:5], v[10:11], v[4:5] op_sel:[1,0] op_sel_hi:[0,0]
	v_pk_fma_f32 v[8:9], v[10:11], v[42:43], v[4:5] neg_lo:[0,0,1] neg_hi:[0,0,1]
	v_pk_fma_f32 v[4:5], v[10:11], v[42:43], v[4:5] op_sel_hi:[1,0,1]
	v_pk_add_f32 v[2:3], v[2:3], v[12:13]
	v_mov_b32_e32 v9, v5
	s_waitcnt vmcnt(1) lgkmcnt(0)
	v_pk_mul_f32 v[4:5], v[14:15], v[76:77] op_sel:[1,1] op_sel_hi:[0,1]
	v_pk_add_f32 v[2:3], v[2:3], v[8:9]
	v_pk_fma_f32 v[8:9], v[14:15], v[76:77], v[4:5] neg_lo:[0,0,1] neg_hi:[0,0,1]
	v_pk_fma_f32 v[4:5], v[14:15], v[76:77], v[4:5] op_sel_hi:[1,0,1]
	s_nop 0
	v_mov_b32_e32 v9, v5
	v_pk_add_f32 v[2:3], v[2:3], v[8:9]
	s_waitcnt vmcnt(0)
	v_pk_add_f32 v[2:3], v[78:79], v[2:3] neg_lo:[0,1] neg_hi:[0,1]
	scratch_store_dwordx2 off, v[2:3], off offset:304
	s_and_saveexec_b64 s[0:1], vcc
	s_cbranch_execz .LBB59_299
; %bb.298:
	scratch_load_dwordx2 v[2:3], off, off offset:296
	v_mov_b32_e32 v7, v6
	scratch_store_dwordx2 off, v[6:7], off offset:296
	s_waitcnt vmcnt(1)
	ds_write_b64 v1, v[2:3]
.LBB59_299:
	s_or_b64 exec, exec, s[0:1]
	s_waitcnt lgkmcnt(0)
	; wave barrier
	scratch_load_dwordx4 v[8:11], off, off offset:304
	scratch_load_dwordx4 v[12:15], off, off offset:320
	scratch_load_dwordx4 v[16:19], off, off offset:336
	scratch_load_dwordx4 v[20:23], off, off offset:352
	scratch_load_dwordx4 v[24:27], off, off offset:368
	scratch_load_dwordx4 v[28:31], off, off offset:384
	scratch_load_dwordx4 v[32:35], off, off offset:400
	ds_read_b128 v[36:39], v6 offset:784
	ds_read_b128 v[40:43], v6 offset:800
	;; [unrolled: 1-line block ×6, first 2 shown]
	scratch_load_dwordx4 v[60:63], off, off offset:416
	scratch_load_dwordx4 v[64:67], off, off offset:432
	;; [unrolled: 1-line block ×4, first 2 shown]
	ds_read_b128 v[72:75], v6 offset:880
	ds_read_b128 v[76:79], v6 offset:896
	scratch_load_dwordx2 v[80:81], off, off offset:296
	v_cmp_lt_u32_e32 vcc, 36, v0
	s_waitcnt vmcnt(11) lgkmcnt(7)
	v_mul_f32_e32 v7, v36, v9
	v_mul_f32_e32 v82, v38, v11
	;; [unrolled: 1-line block ×3, first 2 shown]
	v_fmac_f32_e32 v7, v37, v8
	s_waitcnt vmcnt(10) lgkmcnt(6)
	v_mul_f32_e32 v84, v40, v13
	v_mul_f32_e32 v11, v39, v11
	v_fmac_f32_e32 v82, v39, v10
	v_fma_f32 v8, v36, v8, -v9
	v_add_f32_e32 v7, 0, v7
	v_mul_f32_e32 v86, v42, v15
	v_mul_f32_e32 v13, v41, v13
	v_fmac_f32_e32 v84, v41, v12
	v_fma_f32 v9, v38, v10, -v11
	v_add_f32_e32 v8, 0, v8
	v_add_f32_e32 v7, v7, v82
	s_waitcnt vmcnt(9) lgkmcnt(5)
	v_mul_f32_e32 v87, v44, v17
	v_mul_f32_e32 v15, v43, v15
	v_fmac_f32_e32 v86, v43, v14
	v_fma_f32 v10, v40, v12, -v13
	v_add_f32_e32 v8, v8, v9
	v_add_f32_e32 v7, v7, v84
	v_mul_f32_e32 v88, v46, v19
	v_mul_f32_e32 v17, v45, v17
	v_fmac_f32_e32 v87, v45, v16
	v_fma_f32 v11, v42, v14, -v15
	v_add_f32_e32 v8, v8, v10
	v_add_f32_e32 v7, v7, v86
	s_waitcnt vmcnt(8) lgkmcnt(4)
	v_mul_f32_e32 v89, v48, v21
	v_mul_f32_e32 v19, v47, v19
	v_fmac_f32_e32 v88, v47, v18
	v_fma_f32 v12, v44, v16, -v17
	v_add_f32_e32 v8, v8, v11
	;; [unrolled: 13-line block ×4, first 2 shown]
	v_add_f32_e32 v7, v7, v91
	v_mul_f32_e32 v94, v58, v31
	v_mul_f32_e32 v29, v57, v29
	v_fmac_f32_e32 v93, v57, v28
	v_fma_f32 v17, v54, v26, -v27
	v_add_f32_e32 v8, v8, v16
	v_add_f32_e32 v7, v7, v92
	v_fmac_f32_e32 v94, v59, v30
	v_fma_f32 v18, v56, v28, -v29
	v_add_f32_e32 v8, v8, v17
	v_add_f32_e32 v7, v7, v93
	;; [unrolled: 1-line block ×4, first 2 shown]
	v_mul_f32_e32 v8, v59, v31
	v_fma_f32 v8, v58, v30, -v8
	s_waitcnt vmcnt(5) lgkmcnt(1)
	v_mul_f32_e32 v83, v72, v33
	v_add_f32_e32 v20, v7, v8
	v_mul_f32_e32 v7, v73, v33
	v_fmac_f32_e32 v83, v73, v32
	v_fma_f32 v82, v72, v32, -v7
	v_mul_f32_e32 v7, v75, v35
	v_fma_f32 v84, v74, v34, -v7
	ds_read_b128 v[8:11], v6 offset:912
	ds_read_b128 v[12:15], v6 offset:928
	;; [unrolled: 1-line block ×3, first 2 shown]
	v_pk_add_f32 v[6:7], v[20:21], v[82:83]
	s_waitcnt vmcnt(4) lgkmcnt(3)
	v_pk_mul_f32 v[20:21], v[76:77], v[60:61] op_sel:[1,1] op_sel_hi:[0,1]
	v_mul_f32_e32 v85, v74, v35
	v_pk_fma_f32 v[22:23], v[76:77], v[60:61], v[20:21] neg_lo:[0,0,1] neg_hi:[0,0,1]
	v_pk_fma_f32 v[20:21], v[76:77], v[60:61], v[20:21] op_sel_hi:[1,0,1]
	v_fmac_f32_e32 v85, v75, v34
	v_mov_b32_e32 v20, v63
	v_pk_add_f32 v[6:7], v[6:7], v[84:85]
	v_mov_b32_e32 v23, v21
	v_pk_mul_f32 v[20:21], v[78:79], v[20:21] op_sel:[1,0] op_sel_hi:[0,0]
	v_pk_add_f32 v[6:7], v[6:7], v[22:23]
	v_pk_fma_f32 v[22:23], v[78:79], v[62:63], v[20:21] neg_lo:[0,0,1] neg_hi:[0,0,1]
	v_pk_fma_f32 v[20:21], v[78:79], v[62:63], v[20:21] op_sel_hi:[1,0,1]
	s_nop 0
	v_mov_b32_e32 v23, v21
	s_waitcnt vmcnt(3) lgkmcnt(2)
	v_pk_mul_f32 v[20:21], v[8:9], v[64:65] op_sel:[1,1] op_sel_hi:[0,1]
	v_pk_add_f32 v[6:7], v[6:7], v[22:23]
	v_pk_fma_f32 v[22:23], v[8:9], v[64:65], v[20:21] neg_lo:[0,0,1] neg_hi:[0,0,1]
	v_pk_fma_f32 v[8:9], v[8:9], v[64:65], v[20:21] op_sel_hi:[1,0,1]
	s_nop 0
	v_mov_b32_e32 v8, v67
	v_mov_b32_e32 v23, v9
	v_pk_mul_f32 v[8:9], v[10:11], v[8:9] op_sel:[1,0] op_sel_hi:[0,0]
	v_pk_fma_f32 v[20:21], v[10:11], v[66:67], v[8:9] neg_lo:[0,0,1] neg_hi:[0,0,1]
	v_pk_fma_f32 v[8:9], v[10:11], v[66:67], v[8:9] op_sel_hi:[1,0,1]
	v_pk_add_f32 v[6:7], v[6:7], v[22:23]
	v_mov_b32_e32 v21, v9
	s_waitcnt vmcnt(2) lgkmcnt(1)
	v_pk_mul_f32 v[8:9], v[12:13], v[68:69] op_sel:[1,1] op_sel_hi:[0,1]
	v_pk_fma_f32 v[10:11], v[12:13], v[68:69], v[8:9] neg_lo:[0,0,1] neg_hi:[0,0,1]
	v_pk_fma_f32 v[8:9], v[12:13], v[68:69], v[8:9] op_sel_hi:[1,0,1]
	v_pk_add_f32 v[6:7], v[6:7], v[20:21]
	v_mov_b32_e32 v8, v71
	v_mov_b32_e32 v11, v9
	v_pk_mul_f32 v[8:9], v[14:15], v[8:9] op_sel:[1,0] op_sel_hi:[0,0]
	v_pk_add_f32 v[6:7], v[6:7], v[10:11]
	v_pk_fma_f32 v[10:11], v[14:15], v[70:71], v[8:9] neg_lo:[0,0,1] neg_hi:[0,0,1]
	v_pk_fma_f32 v[8:9], v[14:15], v[70:71], v[8:9] op_sel_hi:[1,0,1]
	s_nop 0
	v_mov_b32_e32 v11, v9
	s_waitcnt vmcnt(1) lgkmcnt(0)
	v_pk_mul_f32 v[8:9], v[16:17], v[2:3] op_sel:[1,1] op_sel_hi:[0,1]
	v_pk_add_f32 v[6:7], v[6:7], v[10:11]
	v_pk_fma_f32 v[10:11], v[16:17], v[2:3], v[8:9] neg_lo:[0,0,1] neg_hi:[0,0,1]
	v_pk_fma_f32 v[2:3], v[16:17], v[2:3], v[8:9] op_sel_hi:[1,0,1]
	s_nop 0
	v_mov_b32_e32 v11, v3
	v_pk_add_f32 v[2:3], v[6:7], v[10:11]
	v_mov_b32_e32 v6, v5
	v_pk_mul_f32 v[6:7], v[18:19], v[6:7] op_sel:[1,0] op_sel_hi:[0,0]
	v_pk_fma_f32 v[8:9], v[18:19], v[4:5], v[6:7] neg_lo:[0,0,1] neg_hi:[0,0,1]
	v_pk_fma_f32 v[4:5], v[18:19], v[4:5], v[6:7] op_sel_hi:[1,0,1]
	s_nop 0
	v_mov_b32_e32 v9, v5
	v_pk_add_f32 v[2:3], v[2:3], v[8:9]
	s_waitcnt vmcnt(0)
	v_pk_add_f32 v[2:3], v[80:81], v[2:3] neg_lo:[0,1] neg_hi:[0,1]
	scratch_store_dwordx2 off, v[2:3], off offset:296
	s_and_saveexec_b64 s[0:1], vcc
	s_cbranch_execz .LBB59_301
; %bb.300:
	scratch_load_dwordx2 v[2:3], off, off offset:288
	v_mov_b32_e32 v4, 0
	v_mov_b32_e32 v5, v4
	scratch_store_dwordx2 off, v[4:5], off offset:288
	s_waitcnt vmcnt(1)
	ds_write_b64 v1, v[2:3]
.LBB59_301:
	s_or_b64 exec, exec, s[0:1]
	s_waitcnt lgkmcnt(0)
	; wave barrier
	scratch_load_dwordx4 v[2:5], off, off offset:296
	scratch_load_dwordx4 v[14:17], off, off offset:312
	;; [unrolled: 1-line block ×11, first 2 shown]
	scratch_load_dwordx2 v[22:23], off, off offset:472
	scratch_load_dwordx2 v[36:37], off, off offset:288
	v_mov_b32_e32 v38, 0
	ds_read2_b64 v[52:55], v38 offset0:97 offset1:98
	ds_read2_b64 v[56:59], v38 offset0:99 offset1:100
	;; [unrolled: 1-line block ×8, first 2 shown]
	v_cmp_lt_u32_e32 vcc, 35, v0
	s_waitcnt vmcnt(12) lgkmcnt(7)
	v_mul_f32_e32 v39, v52, v3
	v_mul_f32_e32 v84, v54, v5
	;; [unrolled: 1-line block ×3, first 2 shown]
	v_fmac_f32_e32 v39, v53, v2
	s_waitcnt vmcnt(8) lgkmcnt(3)
	v_mul_f32_e32 v93, v68, v19
	v_mul_f32_e32 v19, v69, v19
	;; [unrolled: 1-line block ×4, first 2 shown]
	v_fmac_f32_e32 v84, v55, v4
	v_fmac_f32_e32 v93, v69, v18
	v_fma_f32 v2, v52, v2, -v3
	v_fma_f32 v18, v68, v18, -v19
	v_add_f32_e32 v19, 0, v39
	v_mul_f32_e32 v88, v58, v17
	v_fmac_f32_e32 v86, v57, v14
	v_fma_f32 v3, v54, v4, -v5
	v_add_f32_e32 v2, 0, v2
	v_add_f32_e32 v19, v19, v84
	v_mul_f32_e32 v89, v60, v25
	v_fmac_f32_e32 v88, v59, v16
	v_add_f32_e32 v2, v2, v3
	v_add_f32_e32 v3, v19, v86
	v_mul_f32_e32 v90, v62, v27
	v_fmac_f32_e32 v89, v61, v24
	v_add_f32_e32 v3, v3, v88
	v_mul_f32_e32 v91, v64, v29
	v_mul_f32_e32 v15, v57, v15
	v_fmac_f32_e32 v90, v63, v26
	v_add_f32_e32 v3, v3, v89
	v_mul_f32_e32 v92, v66, v31
	v_mul_f32_e32 v17, v59, v17
	v_fmac_f32_e32 v91, v65, v28
	v_fma_f32 v4, v56, v14, -v15
	v_add_f32_e32 v3, v3, v90
	v_mul_f32_e32 v25, v61, v25
	v_fmac_f32_e32 v92, v67, v30
	v_fma_f32 v5, v58, v16, -v17
	v_add_f32_e32 v2, v2, v4
	v_add_f32_e32 v3, v3, v91
	v_mul_f32_e32 v94, v70, v21
	v_mul_f32_e32 v27, v63, v27
	v_fma_f32 v14, v60, v24, -v25
	v_add_f32_e32 v2, v2, v5
	v_add_f32_e32 v3, v3, v92
	s_waitcnt vmcnt(7) lgkmcnt(2)
	v_mul_f32_e32 v95, v72, v33
	v_mul_f32_e32 v29, v65, v29
	v_fmac_f32_e32 v94, v71, v20
	v_fma_f32 v15, v62, v26, -v27
	v_add_f32_e32 v2, v2, v14
	v_add_f32_e32 v3, v3, v93
	v_mul_f32_e32 v96, v74, v35
	v_mul_f32_e32 v31, v67, v31
	v_fmac_f32_e32 v95, v73, v32
	v_fma_f32 v16, v64, v28, -v29
	v_add_f32_e32 v2, v2, v15
	v_add_f32_e32 v3, v3, v94
	s_waitcnt vmcnt(6) lgkmcnt(1)
	v_mul_f32_e32 v97, v76, v41
	v_fmac_f32_e32 v96, v75, v34
	v_fma_f32 v17, v66, v30, -v31
	v_add_f32_e32 v2, v2, v16
	v_add_f32_e32 v3, v3, v95
	v_mul_f32_e32 v21, v71, v21
	v_fmac_f32_e32 v97, v77, v40
	v_add_f32_e32 v2, v2, v17
	v_add_f32_e32 v3, v3, v96
	;; [unrolled: 1-line block ×4, first 2 shown]
	v_fma_f32 v3, v70, v20, -v21
	v_add_f32_e32 v2, v2, v3
	v_mul_f32_e32 v3, v73, v33
	v_fma_f32 v3, v72, v32, -v3
	v_add_f32_e32 v2, v2, v3
	v_mul_f32_e32 v3, v75, v35
	;; [unrolled: 3-line block ×4, first 2 shown]
	v_mul_f32_e32 v85, v78, v43
	v_fma_f32 v84, v78, v42, -v2
	s_waitcnt vmcnt(5) lgkmcnt(0)
	v_mul_f32_e32 v2, v81, v45
	v_mov_b32_e32 v28, v47
	v_mul_f32_e32 v87, v80, v45
	v_fmac_f32_e32 v85, v79, v42
	v_fma_f32 v86, v80, v44, -v2
	ds_read2_b64 v[2:5], v38 offset0:113 offset1:114
	ds_read2_b64 v[14:17], v38 offset0:115 offset1:116
	;; [unrolled: 1-line block ×3, first 2 shown]
	ds_read_b64 v[26:27], v38 offset:952
	v_pk_mul_f32 v[28:29], v[82:83], v[28:29] op_sel:[1,0] op_sel_hi:[0,0]
	v_fmac_f32_e32 v87, v81, v44
	v_pk_add_f32 v[24:25], v[24:25], v[84:85]
	v_pk_fma_f32 v[30:31], v[82:83], v[46:47], v[28:29] neg_lo:[0,0,1] neg_hi:[0,0,1]
	v_pk_fma_f32 v[28:29], v[82:83], v[46:47], v[28:29] op_sel_hi:[1,0,1]
	v_pk_add_f32 v[24:25], v[24:25], v[86:87]
	v_mov_b32_e32 v31, v29
	s_waitcnt vmcnt(4) lgkmcnt(3)
	v_pk_mul_f32 v[28:29], v[2:3], v[48:49] op_sel:[1,1] op_sel_hi:[0,1]
	v_pk_add_f32 v[24:25], v[24:25], v[30:31]
	v_pk_fma_f32 v[30:31], v[2:3], v[48:49], v[28:29] neg_lo:[0,0,1] neg_hi:[0,0,1]
	v_pk_fma_f32 v[2:3], v[2:3], v[48:49], v[28:29] op_sel_hi:[1,0,1]
	s_nop 0
	v_mov_b32_e32 v31, v3
	v_pk_add_f32 v[2:3], v[24:25], v[30:31]
	v_mov_b32_e32 v24, v51
	v_pk_mul_f32 v[24:25], v[4:5], v[24:25] op_sel:[1,0] op_sel_hi:[0,0]
	v_pk_fma_f32 v[28:29], v[4:5], v[50:51], v[24:25] neg_lo:[0,0,1] neg_hi:[0,0,1]
	v_pk_fma_f32 v[4:5], v[4:5], v[50:51], v[24:25] op_sel_hi:[1,0,1]
	s_nop 0
	v_mov_b32_e32 v29, v5
	s_waitcnt vmcnt(3) lgkmcnt(2)
	v_pk_mul_f32 v[4:5], v[14:15], v[10:11] op_sel:[1,1] op_sel_hi:[0,1]
	v_pk_fma_f32 v[24:25], v[14:15], v[10:11], v[4:5] neg_lo:[0,0,1] neg_hi:[0,0,1]
	v_pk_fma_f32 v[4:5], v[14:15], v[10:11], v[4:5] op_sel_hi:[1,0,1]
	v_pk_add_f32 v[2:3], v[2:3], v[28:29]
	v_mov_b32_e32 v4, v13
	v_mov_b32_e32 v25, v5
	v_pk_mul_f32 v[4:5], v[16:17], v[4:5] op_sel:[1,0] op_sel_hi:[0,0]
	v_pk_fma_f32 v[10:11], v[16:17], v[12:13], v[4:5] neg_lo:[0,0,1] neg_hi:[0,0,1]
	v_pk_fma_f32 v[4:5], v[16:17], v[12:13], v[4:5] op_sel_hi:[1,0,1]
	v_pk_add_f32 v[2:3], v[2:3], v[24:25]
	v_mov_b32_e32 v11, v5
	s_waitcnt vmcnt(2) lgkmcnt(1)
	v_pk_mul_f32 v[4:5], v[18:19], v[6:7] op_sel:[1,1] op_sel_hi:[0,1]
	v_pk_add_f32 v[2:3], v[2:3], v[10:11]
	v_pk_fma_f32 v[10:11], v[18:19], v[6:7], v[4:5] neg_lo:[0,0,1] neg_hi:[0,0,1]
	v_pk_fma_f32 v[4:5], v[18:19], v[6:7], v[4:5] op_sel_hi:[1,0,1]
	s_nop 0
	v_mov_b32_e32 v4, v9
	v_mov_b32_e32 v11, v5
	v_pk_mul_f32 v[4:5], v[20:21], v[4:5] op_sel:[1,0] op_sel_hi:[0,0]
	v_pk_fma_f32 v[6:7], v[20:21], v[8:9], v[4:5] neg_lo:[0,0,1] neg_hi:[0,0,1]
	v_pk_fma_f32 v[4:5], v[20:21], v[8:9], v[4:5] op_sel_hi:[1,0,1]
	v_pk_add_f32 v[2:3], v[2:3], v[10:11]
	v_mov_b32_e32 v7, v5
	s_waitcnt vmcnt(1) lgkmcnt(0)
	v_pk_mul_f32 v[4:5], v[26:27], v[22:23] op_sel:[1,1] op_sel_hi:[0,1]
	v_pk_add_f32 v[2:3], v[2:3], v[6:7]
	v_pk_fma_f32 v[6:7], v[26:27], v[22:23], v[4:5] neg_lo:[0,0,1] neg_hi:[0,0,1]
	v_pk_fma_f32 v[4:5], v[26:27], v[22:23], v[4:5] op_sel_hi:[1,0,1]
	s_nop 0
	v_mov_b32_e32 v7, v5
	v_pk_add_f32 v[2:3], v[2:3], v[6:7]
	s_waitcnt vmcnt(0)
	v_pk_add_f32 v[2:3], v[36:37], v[2:3] neg_lo:[0,1] neg_hi:[0,1]
	scratch_store_dwordx2 off, v[2:3], off offset:288
	s_and_saveexec_b64 s[0:1], vcc
	s_cbranch_execz .LBB59_303
; %bb.302:
	scratch_load_dwordx2 v[2:3], off, off offset:280
	v_mov_b32_e32 v39, v38
	scratch_store_dwordx2 off, v[38:39], off offset:280
	s_waitcnt vmcnt(1)
	ds_write_b64 v1, v[2:3]
.LBB59_303:
	s_or_b64 exec, exec, s[0:1]
	s_waitcnt lgkmcnt(0)
	; wave barrier
	scratch_load_dwordx4 v[6:9], off, off offset:288
	scratch_load_dwordx4 v[18:21], off, off offset:304
	;; [unrolled: 1-line block ×8, first 2 shown]
	ds_read_b128 v[48:51], v38 offset:768
	ds_read_b128 v[52:55], v38 offset:784
	ds_read_b128 v[56:59], v38 offset:800
	ds_read_b128 v[60:63], v38 offset:816
	ds_read_b128 v[64:67], v38 offset:832
	ds_read_b128 v[68:71], v38 offset:848
	ds_read_b128 v[72:75], v38 offset:864
	ds_read_b128 v[76:79], v38 offset:880
	scratch_load_dwordx4 v[80:83], off, off offset:416
	scratch_load_dwordx4 v[26:29], off, off offset:432
	;; [unrolled: 1-line block ×4, first 2 shown]
	scratch_load_dwordx2 v[84:85], off, off offset:280
	v_cmp_lt_u32_e32 vcc, 34, v0
	s_waitcnt vmcnt(12) lgkmcnt(7)
	v_mul_f32_e32 v39, v48, v7
	v_mul_f32_e32 v86, v50, v9
	;; [unrolled: 1-line block ×3, first 2 shown]
	v_fmac_f32_e32 v39, v49, v6
	s_waitcnt vmcnt(8) lgkmcnt(3)
	v_mul_f32_e32 v95, v64, v15
	v_mul_f32_e32 v15, v65, v15
	v_mul_f32_e32 v88, v52, v19
	v_mul_f32_e32 v9, v51, v9
	v_fmac_f32_e32 v86, v51, v8
	v_fmac_f32_e32 v95, v65, v14
	v_fma_f32 v6, v48, v6, -v7
	v_fma_f32 v14, v64, v14, -v15
	v_add_f32_e32 v15, 0, v39
	v_mul_f32_e32 v90, v54, v21
	v_fmac_f32_e32 v88, v53, v18
	v_fma_f32 v7, v50, v8, -v9
	v_add_f32_e32 v6, 0, v6
	v_add_f32_e32 v15, v15, v86
	v_mul_f32_e32 v91, v56, v35
	v_fmac_f32_e32 v90, v55, v20
	v_add_f32_e32 v6, v6, v7
	v_add_f32_e32 v7, v15, v88
	v_mul_f32_e32 v92, v58, v37
	v_fmac_f32_e32 v91, v57, v34
	v_add_f32_e32 v7, v7, v90
	v_mul_f32_e32 v93, v60, v41
	v_fmac_f32_e32 v92, v59, v36
	v_add_f32_e32 v7, v7, v91
	v_mul_f32_e32 v94, v62, v43
	v_fmac_f32_e32 v93, v61, v40
	v_add_f32_e32 v7, v7, v92
	v_mul_f32_e32 v19, v53, v19
	v_fmac_f32_e32 v94, v63, v42
	v_add_f32_e32 v7, v7, v93
	v_mul_f32_e32 v96, v66, v17
	v_mul_f32_e32 v21, v55, v21
	v_fma_f32 v8, v52, v18, -v19
	v_add_f32_e32 v7, v7, v94
	s_waitcnt vmcnt(7) lgkmcnt(2)
	v_mul_f32_e32 v97, v68, v23
	v_mul_f32_e32 v35, v57, v35
	v_fmac_f32_e32 v96, v67, v16
	v_fma_f32 v9, v54, v20, -v21
	v_add_f32_e32 v6, v6, v8
	v_add_f32_e32 v7, v7, v95
	v_mul_f32_e32 v98, v70, v25
	v_mul_f32_e32 v37, v59, v37
	v_fmac_f32_e32 v97, v69, v22
	v_fma_f32 v18, v56, v34, -v35
	v_add_f32_e32 v6, v6, v9
	v_add_f32_e32 v7, v7, v96
	s_waitcnt vmcnt(6) lgkmcnt(1)
	v_mul_f32_e32 v99, v72, v31
	v_mul_f32_e32 v41, v61, v41
	v_fmac_f32_e32 v98, v71, v24
	v_fma_f32 v19, v58, v36, -v37
	v_add_f32_e32 v6, v6, v18
	v_add_f32_e32 v7, v7, v97
	v_mul_f32_e32 v100, v74, v33
	v_mul_f32_e32 v43, v63, v43
	v_fmac_f32_e32 v99, v73, v30
	v_fma_f32 v20, v60, v40, -v41
	v_add_f32_e32 v6, v6, v19
	v_add_f32_e32 v7, v7, v98
	v_fmac_f32_e32 v100, v75, v32
	v_fma_f32 v21, v62, v42, -v43
	v_add_f32_e32 v6, v6, v20
	v_add_f32_e32 v7, v7, v99
	;; [unrolled: 1-line block ×4, first 2 shown]
	v_mul_f32_e32 v7, v67, v17
	v_add_f32_e32 v6, v6, v14
	v_fma_f32 v7, v66, v16, -v7
	v_add_f32_e32 v6, v6, v7
	v_mul_f32_e32 v7, v69, v23
	v_fma_f32 v7, v68, v22, -v7
	v_add_f32_e32 v6, v6, v7
	v_mul_f32_e32 v7, v71, v25
	;; [unrolled: 3-line block ×4, first 2 shown]
	v_fma_f32 v7, v74, v32, -v7
	v_add_f32_e32 v34, v6, v7
	s_waitcnt vmcnt(5) lgkmcnt(0)
	v_mul_f32_e32 v6, v77, v45
	v_fma_f32 v86, v76, v44, -v6
	v_mul_f32_e32 v6, v79, v47
	v_fma_f32 v88, v78, v46, -v6
	ds_read_b128 v[6:9], v38 offset:896
	ds_read_b128 v[14:17], v38 offset:912
	;; [unrolled: 1-line block ×4, first 2 shown]
	v_mul_f32_e32 v87, v76, v45
	v_mul_f32_e32 v89, v78, v47
	v_fmac_f32_e32 v87, v77, v44
	s_waitcnt vmcnt(4) lgkmcnt(3)
	v_pk_mul_f32 v[32:33], v[6:7], v[80:81] op_sel:[1,1] op_sel_hi:[0,1]
	v_fmac_f32_e32 v89, v79, v46
	v_pk_add_f32 v[30:31], v[34:35], v[86:87]
	v_pk_fma_f32 v[34:35], v[6:7], v[80:81], v[32:33] neg_lo:[0,0,1] neg_hi:[0,0,1]
	v_pk_fma_f32 v[6:7], v[6:7], v[80:81], v[32:33] op_sel_hi:[1,0,1]
	v_pk_add_f32 v[30:31], v[30:31], v[88:89]
	v_mov_b32_e32 v35, v7
	v_pk_add_f32 v[6:7], v[30:31], v[34:35]
	v_mov_b32_e32 v30, v83
	v_pk_mul_f32 v[30:31], v[8:9], v[30:31] op_sel:[1,0] op_sel_hi:[0,0]
	v_pk_fma_f32 v[32:33], v[8:9], v[82:83], v[30:31] neg_lo:[0,0,1] neg_hi:[0,0,1]
	v_pk_fma_f32 v[8:9], v[8:9], v[82:83], v[30:31] op_sel_hi:[1,0,1]
	s_nop 0
	v_mov_b32_e32 v33, v9
	s_waitcnt vmcnt(3) lgkmcnt(2)
	v_pk_mul_f32 v[8:9], v[14:15], v[26:27] op_sel:[1,1] op_sel_hi:[0,1]
	v_pk_fma_f32 v[30:31], v[14:15], v[26:27], v[8:9] neg_lo:[0,0,1] neg_hi:[0,0,1]
	v_pk_fma_f32 v[8:9], v[14:15], v[26:27], v[8:9] op_sel_hi:[1,0,1]
	v_pk_add_f32 v[6:7], v[6:7], v[32:33]
	v_mov_b32_e32 v8, v29
	v_mov_b32_e32 v31, v9
	v_pk_mul_f32 v[8:9], v[16:17], v[8:9] op_sel:[1,0] op_sel_hi:[0,0]
	v_pk_fma_f32 v[14:15], v[16:17], v[28:29], v[8:9] neg_lo:[0,0,1] neg_hi:[0,0,1]
	v_pk_fma_f32 v[8:9], v[16:17], v[28:29], v[8:9] op_sel_hi:[1,0,1]
	v_pk_add_f32 v[6:7], v[6:7], v[30:31]
	v_mov_b32_e32 v15, v9
	s_waitcnt vmcnt(2) lgkmcnt(1)
	v_pk_mul_f32 v[8:9], v[18:19], v[10:11] op_sel:[1,1] op_sel_hi:[0,1]
	v_pk_add_f32 v[6:7], v[6:7], v[14:15]
	v_pk_fma_f32 v[14:15], v[18:19], v[10:11], v[8:9] neg_lo:[0,0,1] neg_hi:[0,0,1]
	v_pk_fma_f32 v[8:9], v[18:19], v[10:11], v[8:9] op_sel_hi:[1,0,1]
	s_nop 0
	v_mov_b32_e32 v8, v13
	v_mov_b32_e32 v15, v9
	v_pk_mul_f32 v[8:9], v[20:21], v[8:9] op_sel:[1,0] op_sel_hi:[0,0]
	v_pk_fma_f32 v[10:11], v[20:21], v[12:13], v[8:9] neg_lo:[0,0,1] neg_hi:[0,0,1]
	v_pk_fma_f32 v[8:9], v[20:21], v[12:13], v[8:9] op_sel_hi:[1,0,1]
	v_pk_add_f32 v[6:7], v[6:7], v[14:15]
	v_mov_b32_e32 v11, v9
	s_waitcnt vmcnt(1) lgkmcnt(0)
	v_pk_mul_f32 v[8:9], v[22:23], v[2:3] op_sel:[1,1] op_sel_hi:[0,1]
	v_pk_add_f32 v[6:7], v[6:7], v[10:11]
	v_pk_fma_f32 v[10:11], v[22:23], v[2:3], v[8:9] neg_lo:[0,0,1] neg_hi:[0,0,1]
	v_pk_fma_f32 v[2:3], v[22:23], v[2:3], v[8:9] op_sel_hi:[1,0,1]
	s_nop 0
	v_mov_b32_e32 v11, v3
	v_pk_add_f32 v[2:3], v[6:7], v[10:11]
	v_mov_b32_e32 v6, v5
	v_pk_mul_f32 v[6:7], v[24:25], v[6:7] op_sel:[1,0] op_sel_hi:[0,0]
	v_pk_fma_f32 v[8:9], v[24:25], v[4:5], v[6:7] neg_lo:[0,0,1] neg_hi:[0,0,1]
	v_pk_fma_f32 v[4:5], v[24:25], v[4:5], v[6:7] op_sel_hi:[1,0,1]
	s_nop 0
	v_mov_b32_e32 v9, v5
	v_pk_add_f32 v[2:3], v[2:3], v[8:9]
	s_waitcnt vmcnt(0)
	v_pk_add_f32 v[2:3], v[84:85], v[2:3] neg_lo:[0,1] neg_hi:[0,1]
	scratch_store_dwordx2 off, v[2:3], off offset:280
	s_and_saveexec_b64 s[0:1], vcc
	s_cbranch_execz .LBB59_305
; %bb.304:
	scratch_load_dwordx2 v[2:3], off, off offset:272
	v_mov_b32_e32 v4, 0
	v_mov_b32_e32 v5, v4
	scratch_store_dwordx2 off, v[4:5], off offset:272
	s_waitcnt vmcnt(1)
	ds_write_b64 v1, v[2:3]
.LBB59_305:
	s_or_b64 exec, exec, s[0:1]
	s_waitcnt lgkmcnt(0)
	; wave barrier
	scratch_load_dwordx4 v[2:5], off, off offset:280
	scratch_load_dwordx4 v[22:25], off, off offset:296
	;; [unrolled: 1-line block ×12, first 2 shown]
	scratch_load_dwordx2 v[50:51], off, off offset:472
	scratch_load_dwordx2 v[56:57], off, off offset:272
	v_mov_b32_e32 v58, 0
	ds_read2_b64 v[52:55], v58 offset0:95 offset1:96
	ds_read2_b64 v[60:63], v58 offset0:97 offset1:98
	ds_read2_b64 v[64:67], v58 offset0:99 offset1:100
	ds_read2_b64 v[68:71], v58 offset0:101 offset1:102
	ds_read2_b64 v[72:75], v58 offset0:103 offset1:104
	ds_read2_b64 v[76:79], v58 offset0:105 offset1:106
	ds_read2_b64 v[80:83], v58 offset0:107 offset1:108
	ds_read2_b64 v[84:87], v58 offset0:109 offset1:110
	ds_read2_b64 v[88:91], v58 offset0:111 offset1:112
	ds_read2_b64 v[92:95], v58 offset0:113 offset1:114
	v_cmp_lt_u32_e32 vcc, 33, v0
	s_waitcnt vmcnt(13) lgkmcnt(9)
	v_mul_f32_e32 v59, v52, v3
	v_mul_f32_e32 v96, v54, v5
	v_mul_f32_e32 v3, v53, v3
	s_waitcnt vmcnt(10) lgkmcnt(6)
	v_mul_f32_e32 v103, v68, v11
	v_mul_f32_e32 v11, v69, v11
	v_fmac_f32_e32 v59, v53, v2
	v_mul_f32_e32 v98, v60, v23
	v_mul_f32_e32 v5, v55, v5
	v_fmac_f32_e32 v96, v55, v4
	v_fmac_f32_e32 v103, v69, v10
	v_fma_f32 v2, v52, v2, -v3
	v_fma_f32 v10, v68, v10, -v11
	v_add_f32_e32 v11, 0, v59
	v_mul_f32_e32 v100, v62, v25
	v_fmac_f32_e32 v98, v61, v22
	v_fma_f32 v3, v54, v4, -v5
	v_add_f32_e32 v2, 0, v2
	v_add_f32_e32 v11, v11, v96
	v_mul_f32_e32 v101, v64, v39
	v_fmac_f32_e32 v100, v63, v24
	v_add_f32_e32 v2, v2, v3
	v_add_f32_e32 v3, v11, v98
	v_mul_f32_e32 v102, v66, v41
	v_fmac_f32_e32 v101, v65, v38
	v_add_f32_e32 v3, v3, v100
	v_fmac_f32_e32 v102, v67, v40
	v_add_f32_e32 v3, v3, v101
	v_mul_f32_e32 v104, v70, v13
	v_add_f32_e32 v3, v3, v102
	s_waitcnt vmcnt(9) lgkmcnt(5)
	v_mul_f32_e32 v105, v72, v15
	v_fmac_f32_e32 v104, v71, v12
	v_add_f32_e32 v3, v3, v103
	v_mul_f32_e32 v106, v74, v17
	v_fmac_f32_e32 v105, v73, v14
	v_add_f32_e32 v3, v3, v104
	s_waitcnt vmcnt(8) lgkmcnt(4)
	v_mul_f32_e32 v107, v76, v27
	v_fmac_f32_e32 v106, v75, v16
	v_add_f32_e32 v3, v3, v105
	v_mul_f32_e32 v108, v78, v29
	v_mul_f32_e32 v23, v61, v23
	v_fmac_f32_e32 v107, v77, v26
	v_add_f32_e32 v3, v3, v106
	s_waitcnt vmcnt(7) lgkmcnt(3)
	v_mul_f32_e32 v109, v80, v31
	v_mul_f32_e32 v25, v63, v25
	v_fmac_f32_e32 v108, v79, v28
	v_fma_f32 v4, v60, v22, -v23
	v_add_f32_e32 v3, v3, v107
	v_mul_f32_e32 v110, v82, v33
	v_mul_f32_e32 v39, v65, v39
	v_fmac_f32_e32 v109, v81, v30
	v_fma_f32 v5, v62, v24, -v25
	v_add_f32_e32 v2, v2, v4
	v_add_f32_e32 v3, v3, v108
	s_waitcnt vmcnt(6) lgkmcnt(2)
	v_mul_f32_e32 v111, v84, v43
	v_mul_f32_e32 v41, v67, v41
	v_fmac_f32_e32 v110, v83, v32
	v_fma_f32 v22, v64, v38, -v39
	v_add_f32_e32 v2, v2, v5
	v_add_f32_e32 v3, v3, v109
	v_fmac_f32_e32 v111, v85, v42
	v_fma_f32 v23, v66, v40, -v41
	v_add_f32_e32 v2, v2, v22
	v_add_f32_e32 v3, v3, v110
	;; [unrolled: 1-line block ×4, first 2 shown]
	v_mul_f32_e32 v3, v71, v13
	v_add_f32_e32 v2, v2, v10
	v_fma_f32 v3, v70, v12, -v3
	v_add_f32_e32 v2, v2, v3
	v_mul_f32_e32 v3, v73, v15
	v_fma_f32 v3, v72, v14, -v3
	v_add_f32_e32 v2, v2, v3
	v_mul_f32_e32 v3, v75, v17
	;; [unrolled: 3-line block ×7, first 2 shown]
	v_fma_f32 v3, v84, v42, -v3
	v_mul_f32_e32 v97, v86, v45
	v_add_f32_e32 v22, v2, v3
	v_mul_f32_e32 v2, v87, v45
	v_fmac_f32_e32 v97, v87, v44
	v_fma_f32 v96, v86, v44, -v2
	v_pk_add_f32 v[16:17], v[22:23], v[96:97]
	s_waitcnt vmcnt(5)
	v_mov_b32_e32 v22, v49
	s_waitcnt lgkmcnt(1)
	v_mul_f32_e32 v99, v88, v47
	v_mul_f32_e32 v2, v89, v47
	v_pk_mul_f32 v[22:23], v[90:91], v[22:23] op_sel:[1,0] op_sel_hi:[0,0]
	v_fmac_f32_e32 v99, v89, v46
	v_fma_f32 v98, v88, v46, -v2
	v_pk_fma_f32 v[24:25], v[90:91], v[48:49], v[22:23] neg_lo:[0,0,1] neg_hi:[0,0,1]
	v_pk_fma_f32 v[22:23], v[90:91], v[48:49], v[22:23] op_sel_hi:[1,0,1]
	v_pk_add_f32 v[16:17], v[16:17], v[98:99]
	v_mov_b32_e32 v25, v23
	s_waitcnt vmcnt(4) lgkmcnt(0)
	v_pk_mul_f32 v[22:23], v[92:93], v[34:35] op_sel:[1,1] op_sel_hi:[0,1]
	v_pk_add_f32 v[16:17], v[16:17], v[24:25]
	v_pk_fma_f32 v[24:25], v[92:93], v[34:35], v[22:23] neg_lo:[0,0,1] neg_hi:[0,0,1]
	v_pk_fma_f32 v[22:23], v[92:93], v[34:35], v[22:23] op_sel_hi:[1,0,1]
	ds_read2_b64 v[2:5], v58 offset0:115 offset1:116
	ds_read2_b64 v[10:13], v58 offset0:117 offset1:118
	ds_read_b64 v[14:15], v58 offset:952
	v_mov_b32_e32 v22, v37
	v_mov_b32_e32 v25, v23
	v_pk_mul_f32 v[22:23], v[94:95], v[22:23] op_sel:[1,0] op_sel_hi:[0,0]
	v_pk_add_f32 v[16:17], v[16:17], v[24:25]
	v_pk_fma_f32 v[24:25], v[94:95], v[36:37], v[22:23] neg_lo:[0,0,1] neg_hi:[0,0,1]
	v_pk_fma_f32 v[22:23], v[94:95], v[36:37], v[22:23] op_sel_hi:[1,0,1]
	s_nop 0
	v_mov_b32_e32 v25, v23
	s_waitcnt vmcnt(3) lgkmcnt(2)
	v_pk_mul_f32 v[22:23], v[2:3], v[18:19] op_sel:[1,1] op_sel_hi:[0,1]
	v_pk_add_f32 v[16:17], v[16:17], v[24:25]
	v_pk_fma_f32 v[24:25], v[2:3], v[18:19], v[22:23] neg_lo:[0,0,1] neg_hi:[0,0,1]
	v_pk_fma_f32 v[2:3], v[2:3], v[18:19], v[22:23] op_sel_hi:[1,0,1]
	s_nop 0
	v_mov_b32_e32 v25, v3
	v_pk_add_f32 v[2:3], v[16:17], v[24:25]
	v_mov_b32_e32 v16, v21
	v_pk_mul_f32 v[16:17], v[4:5], v[16:17] op_sel:[1,0] op_sel_hi:[0,0]
	v_pk_fma_f32 v[18:19], v[4:5], v[20:21], v[16:17] neg_lo:[0,0,1] neg_hi:[0,0,1]
	v_pk_fma_f32 v[4:5], v[4:5], v[20:21], v[16:17] op_sel_hi:[1,0,1]
	s_nop 0
	v_mov_b32_e32 v19, v5
	s_waitcnt vmcnt(2) lgkmcnt(1)
	v_pk_mul_f32 v[4:5], v[10:11], v[6:7] op_sel:[1,1] op_sel_hi:[0,1]
	v_pk_fma_f32 v[16:17], v[10:11], v[6:7], v[4:5] neg_lo:[0,0,1] neg_hi:[0,0,1]
	v_pk_fma_f32 v[4:5], v[10:11], v[6:7], v[4:5] op_sel_hi:[1,0,1]
	v_pk_add_f32 v[2:3], v[2:3], v[18:19]
	v_mov_b32_e32 v4, v9
	v_mov_b32_e32 v17, v5
	v_pk_mul_f32 v[4:5], v[12:13], v[4:5] op_sel:[1,0] op_sel_hi:[0,0]
	v_pk_fma_f32 v[6:7], v[12:13], v[8:9], v[4:5] neg_lo:[0,0,1] neg_hi:[0,0,1]
	v_pk_fma_f32 v[4:5], v[12:13], v[8:9], v[4:5] op_sel_hi:[1,0,1]
	v_pk_add_f32 v[2:3], v[2:3], v[16:17]
	v_mov_b32_e32 v7, v5
	s_waitcnt vmcnt(1) lgkmcnt(0)
	v_pk_mul_f32 v[4:5], v[14:15], v[50:51] op_sel:[1,1] op_sel_hi:[0,1]
	v_pk_add_f32 v[2:3], v[2:3], v[6:7]
	v_pk_fma_f32 v[6:7], v[14:15], v[50:51], v[4:5] neg_lo:[0,0,1] neg_hi:[0,0,1]
	v_pk_fma_f32 v[4:5], v[14:15], v[50:51], v[4:5] op_sel_hi:[1,0,1]
	s_nop 0
	v_mov_b32_e32 v7, v5
	v_pk_add_f32 v[2:3], v[2:3], v[6:7]
	s_waitcnt vmcnt(0)
	v_pk_add_f32 v[2:3], v[56:57], v[2:3] neg_lo:[0,1] neg_hi:[0,1]
	scratch_store_dwordx2 off, v[2:3], off offset:272
	s_and_saveexec_b64 s[0:1], vcc
	s_cbranch_execz .LBB59_307
; %bb.306:
	scratch_load_dwordx2 v[2:3], off, off offset:264
	v_mov_b32_e32 v59, v58
	scratch_store_dwordx2 off, v[58:59], off offset:264
	s_waitcnt vmcnt(1)
	ds_write_b64 v1, v[2:3]
.LBB59_307:
	s_or_b64 exec, exec, s[0:1]
	s_waitcnt lgkmcnt(0)
	; wave barrier
	scratch_load_dwordx4 v[10:13], off, off offset:272
	scratch_load_dwordx4 v[26:29], off, off offset:288
	;; [unrolled: 1-line block ×9, first 2 shown]
	ds_read_b128 v[60:63], v58 offset:752
	ds_read_b128 v[64:67], v58 offset:768
	;; [unrolled: 1-line block ×8, first 2 shown]
	scratch_load_dwordx4 v[50:53], off, off offset:416
	scratch_load_dwordx4 v[34:37], off, off offset:432
	;; [unrolled: 1-line block ×4, first 2 shown]
	ds_read_b128 v[88:91], v58 offset:880
	ds_read_b128 v[92:95], v58 offset:896
	scratch_load_dwordx2 v[96:97], off, off offset:264
	v_cmp_lt_u32_e32 vcc, 32, v0
	s_waitcnt vmcnt(13) lgkmcnt(9)
	v_mul_f32_e32 v59, v60, v11
	v_mul_f32_e32 v98, v62, v13
	v_fmac_f32_e32 v59, v61, v10
	s_waitcnt vmcnt(10) lgkmcnt(6)
	v_mul_f32_e32 v105, v72, v3
	v_mul_f32_e32 v3, v73, v3
	;; [unrolled: 1-line block ×3, first 2 shown]
	v_fmac_f32_e32 v98, v63, v12
	v_fmac_f32_e32 v105, v73, v2
	v_fma_f32 v2, v72, v2, -v3
	v_add_f32_e32 v3, 0, v59
	v_mul_f32_e32 v102, v66, v29
	v_fmac_f32_e32 v100, v65, v26
	v_add_f32_e32 v3, v3, v98
	v_mul_f32_e32 v103, v68, v43
	v_fmac_f32_e32 v102, v67, v28
	;; [unrolled: 3-line block ×3, first 2 shown]
	v_add_f32_e32 v3, v3, v102
	v_fmac_f32_e32 v104, v71, v44
	v_add_f32_e32 v3, v3, v103
	v_mul_f32_e32 v106, v74, v5
	v_add_f32_e32 v3, v3, v104
	s_waitcnt vmcnt(9) lgkmcnt(5)
	v_mul_f32_e32 v107, v76, v15
	v_fmac_f32_e32 v106, v75, v4
	v_add_f32_e32 v3, v3, v105
	v_mul_f32_e32 v108, v78, v17
	v_fmac_f32_e32 v107, v77, v14
	v_add_f32_e32 v3, v3, v106
	s_waitcnt vmcnt(8) lgkmcnt(4)
	v_mul_f32_e32 v109, v80, v19
	v_mul_f32_e32 v11, v61, v11
	v_fmac_f32_e32 v108, v79, v16
	v_add_f32_e32 v3, v3, v107
	v_mul_f32_e32 v110, v82, v21
	v_mul_f32_e32 v13, v63, v13
	v_fmac_f32_e32 v109, v81, v18
	v_fma_f32 v10, v60, v10, -v11
	v_add_f32_e32 v3, v3, v108
	s_waitcnt vmcnt(7) lgkmcnt(3)
	v_mul_f32_e32 v111, v84, v31
	v_mul_f32_e32 v27, v65, v27
	v_fmac_f32_e32 v110, v83, v20
	v_fma_f32 v11, v62, v12, -v13
	v_add_f32_e32 v10, 0, v10
	v_add_f32_e32 v3, v3, v109
	v_mul_f32_e32 v112, v86, v33
	v_mul_f32_e32 v29, v67, v29
	v_fmac_f32_e32 v111, v85, v30
	v_fma_f32 v12, v64, v26, -v27
	v_add_f32_e32 v10, v10, v11
	v_add_f32_e32 v3, v3, v110
	s_waitcnt vmcnt(6) lgkmcnt(2)
	v_mul_f32_e32 v113, v54, v39
	v_mul_f32_e32 v43, v69, v43
	v_fmac_f32_e32 v112, v87, v32
	v_fma_f32 v13, v66, v28, -v29
	v_add_f32_e32 v10, v10, v12
	v_add_f32_e32 v3, v3, v111
	v_mul_f32_e32 v114, v56, v41
	v_mul_f32_e32 v45, v71, v45
	v_fmac_f32_e32 v113, v55, v38
	v_fma_f32 v26, v68, v42, -v43
	v_add_f32_e32 v10, v10, v13
	v_add_f32_e32 v3, v3, v112
	v_fmac_f32_e32 v114, v57, v40
	v_fma_f32 v27, v70, v44, -v45
	v_add_f32_e32 v10, v10, v26
	v_add_f32_e32 v3, v3, v113
	;; [unrolled: 1-line block ×4, first 2 shown]
	v_mul_f32_e32 v3, v75, v5
	v_add_f32_e32 v2, v10, v2
	v_fma_f32 v3, v74, v4, -v3
	v_add_f32_e32 v2, v2, v3
	v_mul_f32_e32 v3, v77, v15
	v_fma_f32 v3, v76, v14, -v3
	v_add_f32_e32 v2, v2, v3
	v_mul_f32_e32 v3, v79, v17
	;; [unrolled: 3-line block ×8, first 2 shown]
	v_fma_f32 v3, v56, v40, -v3
	s_waitcnt vmcnt(5) lgkmcnt(1)
	v_mul_f32_e32 v99, v88, v47
	v_add_f32_e32 v26, v2, v3
	v_mul_f32_e32 v2, v89, v47
	v_fmac_f32_e32 v99, v89, v46
	v_fma_f32 v98, v88, v46, -v2
	s_waitcnt vmcnt(4) lgkmcnt(0)
	v_pk_mul_f32 v[20:21], v[92:93], v[50:51] op_sel:[1,1] op_sel_hi:[0,1]
	v_mul_f32_e32 v101, v90, v49
	v_mul_f32_e32 v2, v91, v49
	v_pk_add_f32 v[18:19], v[26:27], v[98:99]
	v_pk_fma_f32 v[26:27], v[92:93], v[50:51], v[20:21] neg_lo:[0,0,1] neg_hi:[0,0,1]
	v_pk_fma_f32 v[20:21], v[92:93], v[50:51], v[20:21] op_sel_hi:[1,0,1]
	v_fmac_f32_e32 v101, v91, v48
	v_fma_f32 v100, v90, v48, -v2
	ds_read_b128 v[2:5], v58 offset:912
	ds_read_b128 v[10:13], v58 offset:928
	;; [unrolled: 1-line block ×3, first 2 shown]
	v_mov_b32_e32 v20, v53
	v_pk_add_f32 v[18:19], v[18:19], v[100:101]
	v_mov_b32_e32 v27, v21
	v_pk_mul_f32 v[20:21], v[94:95], v[20:21] op_sel:[1,0] op_sel_hi:[0,0]
	v_pk_add_f32 v[18:19], v[18:19], v[26:27]
	v_pk_fma_f32 v[26:27], v[94:95], v[52:53], v[20:21] neg_lo:[0,0,1] neg_hi:[0,0,1]
	v_pk_fma_f32 v[20:21], v[94:95], v[52:53], v[20:21] op_sel_hi:[1,0,1]
	s_nop 0
	v_mov_b32_e32 v27, v21
	s_waitcnt vmcnt(3) lgkmcnt(2)
	v_pk_mul_f32 v[20:21], v[2:3], v[34:35] op_sel:[1,1] op_sel_hi:[0,1]
	v_pk_add_f32 v[18:19], v[18:19], v[26:27]
	v_pk_fma_f32 v[26:27], v[2:3], v[34:35], v[20:21] neg_lo:[0,0,1] neg_hi:[0,0,1]
	v_pk_fma_f32 v[2:3], v[2:3], v[34:35], v[20:21] op_sel_hi:[1,0,1]
	s_nop 0
	v_mov_b32_e32 v27, v3
	v_pk_add_f32 v[2:3], v[18:19], v[26:27]
	v_mov_b32_e32 v18, v37
	v_pk_mul_f32 v[18:19], v[4:5], v[18:19] op_sel:[1,0] op_sel_hi:[0,0]
	v_pk_fma_f32 v[20:21], v[4:5], v[36:37], v[18:19] neg_lo:[0,0,1] neg_hi:[0,0,1]
	v_pk_fma_f32 v[4:5], v[4:5], v[36:37], v[18:19] op_sel_hi:[1,0,1]
	s_nop 0
	v_mov_b32_e32 v21, v5
	s_waitcnt vmcnt(2) lgkmcnt(1)
	v_pk_mul_f32 v[4:5], v[10:11], v[22:23] op_sel:[1,1] op_sel_hi:[0,1]
	v_pk_fma_f32 v[18:19], v[10:11], v[22:23], v[4:5] neg_lo:[0,0,1] neg_hi:[0,0,1]
	v_pk_fma_f32 v[4:5], v[10:11], v[22:23], v[4:5] op_sel_hi:[1,0,1]
	v_pk_add_f32 v[2:3], v[2:3], v[20:21]
	v_mov_b32_e32 v4, v25
	v_mov_b32_e32 v19, v5
	v_pk_mul_f32 v[4:5], v[12:13], v[4:5] op_sel:[1,0] op_sel_hi:[0,0]
	v_pk_fma_f32 v[10:11], v[12:13], v[24:25], v[4:5] neg_lo:[0,0,1] neg_hi:[0,0,1]
	v_pk_fma_f32 v[4:5], v[12:13], v[24:25], v[4:5] op_sel_hi:[1,0,1]
	v_pk_add_f32 v[2:3], v[2:3], v[18:19]
	v_mov_b32_e32 v11, v5
	s_waitcnt vmcnt(1) lgkmcnt(0)
	v_pk_mul_f32 v[4:5], v[14:15], v[6:7] op_sel:[1,1] op_sel_hi:[0,1]
	v_pk_add_f32 v[2:3], v[2:3], v[10:11]
	v_pk_fma_f32 v[10:11], v[14:15], v[6:7], v[4:5] neg_lo:[0,0,1] neg_hi:[0,0,1]
	v_pk_fma_f32 v[4:5], v[14:15], v[6:7], v[4:5] op_sel_hi:[1,0,1]
	s_nop 0
	v_mov_b32_e32 v4, v9
	v_mov_b32_e32 v11, v5
	v_pk_mul_f32 v[4:5], v[16:17], v[4:5] op_sel:[1,0] op_sel_hi:[0,0]
	v_pk_fma_f32 v[6:7], v[16:17], v[8:9], v[4:5] neg_lo:[0,0,1] neg_hi:[0,0,1]
	v_pk_fma_f32 v[4:5], v[16:17], v[8:9], v[4:5] op_sel_hi:[1,0,1]
	v_pk_add_f32 v[2:3], v[2:3], v[10:11]
	v_mov_b32_e32 v7, v5
	v_pk_add_f32 v[2:3], v[2:3], v[6:7]
	s_waitcnt vmcnt(0)
	v_pk_add_f32 v[2:3], v[96:97], v[2:3] neg_lo:[0,1] neg_hi:[0,1]
	scratch_store_dwordx2 off, v[2:3], off offset:264
	s_and_saveexec_b64 s[0:1], vcc
	s_cbranch_execz .LBB59_309
; %bb.308:
	scratch_load_dwordx2 v[2:3], off, off offset:256
	v_mov_b32_e32 v4, 0
	v_mov_b32_e32 v5, v4
	scratch_store_dwordx2 off, v[4:5], off offset:256
	s_waitcnt vmcnt(1)
	ds_write_b64 v1, v[2:3]
.LBB59_309:
	s_or_b64 exec, exec, s[0:1]
	s_waitcnt lgkmcnt(0)
	; wave barrier
	scratch_load_dwordx4 v[10:13], off, off offset:264
	scratch_load_dwordx4 v[30:33], off, off offset:280
	;; [unrolled: 1-line block ×13, first 2 shown]
	scratch_load_dwordx2 v[54:55], off, off offset:472
	scratch_load_dwordx2 v[80:81], off, off offset:256
	v_mov_b32_e32 v82, 0
	ds_read2_b64 v[56:59], v82 offset0:93 offset1:94
	ds_read2_b64 v[60:63], v82 offset0:95 offset1:96
	ds_read2_b64 v[64:67], v82 offset0:97 offset1:98
	ds_read2_b64 v[68:71], v82 offset0:99 offset1:100
	ds_read2_b64 v[72:75], v82 offset0:101 offset1:102
	ds_read2_b64 v[76:79], v82 offset0:103 offset1:104
	ds_read2_b64 v[84:87], v82 offset0:105 offset1:106
	ds_read2_b64 v[88:91], v82 offset0:107 offset1:108
	ds_read2_b64 v[92:95], v82 offset0:109 offset1:110
	ds_read2_b64 v[96:99], v82 offset0:111 offset1:112
	v_cmp_lt_u32_e32 vcc, 31, v0
	s_waitcnt vmcnt(14) lgkmcnt(9)
	v_mul_f32_e32 v83, v56, v11
	v_mul_f32_e32 v100, v58, v13
	s_waitcnt vmcnt(12) lgkmcnt(7)
	v_mul_f32_e32 v105, v64, v3
	v_mul_f32_e32 v3, v65, v3
	v_fmac_f32_e32 v83, v57, v10
	v_mul_f32_e32 v102, v60, v31
	v_fmac_f32_e32 v100, v59, v12
	v_fmac_f32_e32 v105, v65, v2
	v_fma_f32 v2, v64, v2, -v3
	v_add_f32_e32 v3, 0, v83
	v_mul_f32_e32 v104, v62, v33
	v_fmac_f32_e32 v102, v61, v30
	v_add_f32_e32 v3, v3, v100
	v_fmac_f32_e32 v104, v63, v32
	v_add_f32_e32 v3, v3, v102
	v_mul_f32_e32 v106, v66, v5
	v_add_f32_e32 v3, v3, v104
	s_waitcnt vmcnt(11) lgkmcnt(6)
	v_mul_f32_e32 v107, v68, v7
	v_fmac_f32_e32 v106, v67, v4
	v_add_f32_e32 v3, v3, v105
	v_mul_f32_e32 v108, v70, v9
	v_fmac_f32_e32 v107, v69, v6
	v_add_f32_e32 v3, v3, v106
	s_waitcnt vmcnt(10) lgkmcnt(5)
	v_mul_f32_e32 v109, v72, v19
	v_fmac_f32_e32 v108, v71, v8
	v_add_f32_e32 v3, v3, v107
	v_mul_f32_e32 v110, v74, v21
	v_fmac_f32_e32 v109, v73, v18
	;; [unrolled: 7-line block ×3, first 2 shown]
	v_add_f32_e32 v3, v3, v110
	s_waitcnt vmcnt(8) lgkmcnt(3)
	v_mul_f32_e32 v113, v84, v35
	v_mul_f32_e32 v11, v57, v11
	v_fmac_f32_e32 v112, v79, v24
	v_add_f32_e32 v3, v3, v111
	v_mul_f32_e32 v114, v86, v37
	v_mul_f32_e32 v13, v59, v13
	v_fmac_f32_e32 v113, v85, v34
	v_fma_f32 v10, v56, v10, -v11
	v_add_f32_e32 v3, v3, v112
	s_waitcnt vmcnt(7) lgkmcnt(2)
	v_mul_f32_e32 v115, v88, v39
	v_mul_f32_e32 v31, v61, v31
	v_fmac_f32_e32 v114, v87, v36
	v_fma_f32 v11, v58, v12, -v13
	v_add_f32_e32 v10, 0, v10
	v_add_f32_e32 v3, v3, v113
	v_mul_f32_e32 v116, v90, v41
	v_mul_f32_e32 v33, v63, v33
	v_fmac_f32_e32 v115, v89, v38
	v_fma_f32 v12, v60, v30, -v31
	v_add_f32_e32 v10, v10, v11
	v_add_f32_e32 v3, v3, v114
	s_waitcnt vmcnt(6) lgkmcnt(1)
	v_mul_f32_e32 v117, v92, v51
	v_fmac_f32_e32 v116, v91, v40
	v_fma_f32 v13, v62, v32, -v33
	v_add_f32_e32 v10, v10, v12
	v_add_f32_e32 v3, v3, v115
	v_mul_f32_e32 v5, v67, v5
	v_fmac_f32_e32 v117, v93, v50
	v_add_f32_e32 v10, v10, v13
	v_add_f32_e32 v3, v3, v116
	;; [unrolled: 1-line block ×4, first 2 shown]
	v_fma_f32 v3, v66, v4, -v5
	v_add_f32_e32 v2, v2, v3
	v_mul_f32_e32 v3, v69, v7
	v_fma_f32 v3, v68, v6, -v3
	v_add_f32_e32 v2, v2, v3
	v_mul_f32_e32 v3, v71, v9
	;; [unrolled: 3-line block ×12, first 2 shown]
	v_mul_f32_e32 v101, v94, v53
	v_fma_f32 v100, v94, v52, -v2
	s_waitcnt vmcnt(5) lgkmcnt(0)
	v_mul_f32_e32 v2, v97, v47
	v_mov_b32_e32 v22, v49
	v_mul_f32_e32 v103, v96, v47
	v_fmac_f32_e32 v101, v95, v52
	v_fma_f32 v102, v96, v46, -v2
	ds_read2_b64 v[2:5], v82 offset0:113 offset1:114
	ds_read2_b64 v[6:9], v82 offset0:115 offset1:116
	;; [unrolled: 1-line block ×3, first 2 shown]
	ds_read_b64 v[18:19], v82 offset:952
	v_pk_mul_f32 v[22:23], v[98:99], v[22:23] op_sel:[1,0] op_sel_hi:[0,0]
	v_fmac_f32_e32 v103, v97, v46
	v_pk_add_f32 v[20:21], v[30:31], v[100:101]
	v_pk_fma_f32 v[24:25], v[98:99], v[48:49], v[22:23] neg_lo:[0,0,1] neg_hi:[0,0,1]
	v_pk_fma_f32 v[22:23], v[98:99], v[48:49], v[22:23] op_sel_hi:[1,0,1]
	v_pk_add_f32 v[20:21], v[20:21], v[102:103]
	v_mov_b32_e32 v25, v23
	s_waitcnt vmcnt(4) lgkmcnt(3)
	v_pk_mul_f32 v[22:23], v[2:3], v[42:43] op_sel:[1,1] op_sel_hi:[0,1]
	v_pk_add_f32 v[20:21], v[20:21], v[24:25]
	v_pk_fma_f32 v[24:25], v[2:3], v[42:43], v[22:23] neg_lo:[0,0,1] neg_hi:[0,0,1]
	v_pk_fma_f32 v[2:3], v[2:3], v[42:43], v[22:23] op_sel_hi:[1,0,1]
	s_nop 0
	v_mov_b32_e32 v25, v3
	v_pk_add_f32 v[2:3], v[20:21], v[24:25]
	v_mov_b32_e32 v20, v45
	v_pk_mul_f32 v[20:21], v[4:5], v[20:21] op_sel:[1,0] op_sel_hi:[0,0]
	v_pk_fma_f32 v[22:23], v[4:5], v[44:45], v[20:21] neg_lo:[0,0,1] neg_hi:[0,0,1]
	v_pk_fma_f32 v[4:5], v[4:5], v[44:45], v[20:21] op_sel_hi:[1,0,1]
	s_nop 0
	v_mov_b32_e32 v23, v5
	s_waitcnt vmcnt(3) lgkmcnt(2)
	v_pk_mul_f32 v[4:5], v[6:7], v[26:27] op_sel:[1,1] op_sel_hi:[0,1]
	v_pk_fma_f32 v[20:21], v[6:7], v[26:27], v[4:5] neg_lo:[0,0,1] neg_hi:[0,0,1]
	v_pk_fma_f32 v[4:5], v[6:7], v[26:27], v[4:5] op_sel_hi:[1,0,1]
	v_pk_add_f32 v[2:3], v[2:3], v[22:23]
	v_mov_b32_e32 v4, v29
	v_mov_b32_e32 v21, v5
	v_pk_mul_f32 v[4:5], v[8:9], v[4:5] op_sel:[1,0] op_sel_hi:[0,0]
	v_pk_fma_f32 v[6:7], v[8:9], v[28:29], v[4:5] neg_lo:[0,0,1] neg_hi:[0,0,1]
	v_pk_fma_f32 v[4:5], v[8:9], v[28:29], v[4:5] op_sel_hi:[1,0,1]
	v_pk_add_f32 v[2:3], v[2:3], v[20:21]
	v_mov_b32_e32 v7, v5
	s_waitcnt vmcnt(2) lgkmcnt(1)
	v_pk_mul_f32 v[4:5], v[10:11], v[14:15] op_sel:[1,1] op_sel_hi:[0,1]
	v_pk_add_f32 v[2:3], v[2:3], v[6:7]
	v_pk_fma_f32 v[6:7], v[10:11], v[14:15], v[4:5] neg_lo:[0,0,1] neg_hi:[0,0,1]
	v_pk_fma_f32 v[4:5], v[10:11], v[14:15], v[4:5] op_sel_hi:[1,0,1]
	s_nop 0
	v_mov_b32_e32 v4, v17
	v_mov_b32_e32 v7, v5
	v_pk_mul_f32 v[4:5], v[12:13], v[4:5] op_sel:[1,0] op_sel_hi:[0,0]
	v_pk_add_f32 v[2:3], v[2:3], v[6:7]
	v_pk_fma_f32 v[6:7], v[12:13], v[16:17], v[4:5] neg_lo:[0,0,1] neg_hi:[0,0,1]
	v_pk_fma_f32 v[4:5], v[12:13], v[16:17], v[4:5] op_sel_hi:[1,0,1]
	s_nop 0
	v_mov_b32_e32 v7, v5
	s_waitcnt vmcnt(1) lgkmcnt(0)
	v_pk_mul_f32 v[4:5], v[18:19], v[54:55] op_sel:[1,1] op_sel_hi:[0,1]
	v_pk_add_f32 v[2:3], v[2:3], v[6:7]
	v_pk_fma_f32 v[6:7], v[18:19], v[54:55], v[4:5] neg_lo:[0,0,1] neg_hi:[0,0,1]
	v_pk_fma_f32 v[4:5], v[18:19], v[54:55], v[4:5] op_sel_hi:[1,0,1]
	s_nop 0
	v_mov_b32_e32 v7, v5
	v_pk_add_f32 v[2:3], v[2:3], v[6:7]
	s_waitcnt vmcnt(0)
	v_pk_add_f32 v[2:3], v[80:81], v[2:3] neg_lo:[0,1] neg_hi:[0,1]
	scratch_store_dwordx2 off, v[2:3], off offset:256
	s_and_saveexec_b64 s[0:1], vcc
	s_cbranch_execz .LBB59_311
; %bb.310:
	scratch_load_dwordx2 v[2:3], off, off offset:248
	v_mov_b32_e32 v83, v82
	scratch_store_dwordx2 off, v[82:83], off offset:248
	s_waitcnt vmcnt(1)
	ds_write_b64 v1, v[2:3]
.LBB59_311:
	s_or_b64 exec, exec, s[0:1]
	s_waitcnt lgkmcnt(0)
	; wave barrier
	scratch_load_dwordx4 v[18:21], off, off offset:256
	scratch_load_dwordx4 v[34:37], off, off offset:272
	scratch_load_dwordx4 v[2:5], off, off offset:288
	scratch_load_dwordx4 v[6:9], off, off offset:304
	scratch_load_dwordx4 v[10:13], off, off offset:320
	scratch_load_dwordx4 v[22:25], off, off offset:336
	scratch_load_dwordx4 v[26:29], off, off offset:352
	scratch_load_dwordx4 v[38:41], off, off offset:368
	scratch_load_dwordx4 v[42:45], off, off offset:384
	scratch_load_dwordx4 v[50:53], off, off offset:400
	ds_read_b128 v[84:87], v82 offset:736
	ds_read_b128 v[88:91], v82 offset:752
	;; [unrolled: 1-line block ×10, first 2 shown]
	scratch_load_dwordx4 v[54:57], off, off offset:416
	scratch_load_dwordx4 v[46:49], off, off offset:432
	;; [unrolled: 1-line block ×4, first 2 shown]
	scratch_load_dwordx2 v[100:101], off, off offset:248
	v_cmp_lt_u32_e32 vcc, 30, v0
	s_waitcnt vmcnt(14) lgkmcnt(9)
	v_mul_f32_e32 v83, v84, v19
	v_mul_f32_e32 v102, v86, v21
	s_waitcnt vmcnt(12) lgkmcnt(7)
	v_mul_f32_e32 v107, v92, v3
	v_mul_f32_e32 v3, v93, v3
	v_fmac_f32_e32 v83, v85, v18
	v_mul_f32_e32 v104, v88, v35
	v_fmac_f32_e32 v102, v87, v20
	v_fmac_f32_e32 v107, v93, v2
	v_fma_f32 v2, v92, v2, -v3
	v_add_f32_e32 v3, 0, v83
	v_mul_f32_e32 v106, v90, v37
	v_fmac_f32_e32 v104, v89, v34
	v_add_f32_e32 v3, v3, v102
	v_fmac_f32_e32 v106, v91, v36
	v_add_f32_e32 v3, v3, v104
	v_mul_f32_e32 v108, v94, v5
	v_add_f32_e32 v3, v3, v106
	s_waitcnt vmcnt(11) lgkmcnt(6)
	v_mul_f32_e32 v109, v96, v7
	v_fmac_f32_e32 v108, v95, v4
	v_add_f32_e32 v3, v3, v107
	v_mul_f32_e32 v110, v98, v9
	v_fmac_f32_e32 v109, v97, v6
	v_add_f32_e32 v3, v3, v108
	s_waitcnt vmcnt(10) lgkmcnt(5)
	v_mul_f32_e32 v111, v78, v11
	v_fmac_f32_e32 v110, v99, v8
	v_add_f32_e32 v3, v3, v109
	v_mul_f32_e32 v112, v80, v13
	v_fmac_f32_e32 v111, v79, v10
	;; [unrolled: 7-line block ×4, first 2 shown]
	v_add_f32_e32 v3, v3, v114
	s_waitcnt vmcnt(7) lgkmcnt(2)
	v_mul_f32_e32 v117, v66, v39
	v_mul_f32_e32 v19, v85, v19
	v_fmac_f32_e32 v116, v73, v28
	v_add_f32_e32 v3, v3, v115
	v_mul_f32_e32 v118, v68, v41
	v_mul_f32_e32 v21, v87, v21
	v_fmac_f32_e32 v117, v67, v38
	v_fma_f32 v18, v84, v18, -v19
	v_add_f32_e32 v3, v3, v116
	s_waitcnt vmcnt(6) lgkmcnt(1)
	v_mul_f32_e32 v119, v62, v43
	v_mul_f32_e32 v35, v89, v35
	v_fmac_f32_e32 v118, v69, v40
	v_fma_f32 v19, v86, v20, -v21
	v_add_f32_e32 v18, 0, v18
	v_add_f32_e32 v3, v3, v117
	v_mul_f32_e32 v120, v64, v45
	v_mul_f32_e32 v37, v91, v37
	v_fmac_f32_e32 v119, v63, v42
	v_fma_f32 v20, v88, v34, -v35
	v_add_f32_e32 v18, v18, v19
	v_add_f32_e32 v3, v3, v118
	v_fmac_f32_e32 v120, v65, v44
	v_fma_f32 v21, v90, v36, -v37
	v_add_f32_e32 v18, v18, v20
	v_add_f32_e32 v3, v3, v119
	;; [unrolled: 1-line block ×4, first 2 shown]
	v_mul_f32_e32 v3, v95, v5
	v_add_f32_e32 v2, v18, v2
	v_fma_f32 v3, v94, v4, -v3
	v_add_f32_e32 v2, v2, v3
	v_mul_f32_e32 v3, v97, v7
	v_fma_f32 v3, v96, v6, -v3
	v_add_f32_e32 v2, v2, v3
	v_mul_f32_e32 v3, v99, v9
	;; [unrolled: 3-line block ×12, first 2 shown]
	v_fma_f32 v3, v64, v44, -v3
	v_add_f32_e32 v34, v2, v3
	s_waitcnt vmcnt(5) lgkmcnt(0)
	v_mul_f32_e32 v2, v59, v51
	v_fma_f32 v102, v58, v50, -v2
	v_mul_f32_e32 v2, v61, v53
	v_fma_f32 v104, v60, v52, -v2
	ds_read_b128 v[2:5], v82 offset:896
	ds_read_b128 v[6:9], v82 offset:912
	;; [unrolled: 1-line block ×4, first 2 shown]
	v_mul_f32_e32 v103, v58, v51
	v_mul_f32_e32 v105, v60, v53
	v_fmac_f32_e32 v103, v59, v50
	s_waitcnt vmcnt(4) lgkmcnt(3)
	v_pk_mul_f32 v[24:25], v[2:3], v[54:55] op_sel:[1,1] op_sel_hi:[0,1]
	v_fmac_f32_e32 v105, v61, v52
	v_pk_add_f32 v[22:23], v[34:35], v[102:103]
	v_pk_fma_f32 v[26:27], v[2:3], v[54:55], v[24:25] neg_lo:[0,0,1] neg_hi:[0,0,1]
	v_pk_fma_f32 v[2:3], v[2:3], v[54:55], v[24:25] op_sel_hi:[1,0,1]
	v_pk_add_f32 v[22:23], v[22:23], v[104:105]
	v_mov_b32_e32 v27, v3
	v_pk_add_f32 v[2:3], v[22:23], v[26:27]
	v_mov_b32_e32 v22, v57
	v_pk_mul_f32 v[22:23], v[4:5], v[22:23] op_sel:[1,0] op_sel_hi:[0,0]
	v_pk_fma_f32 v[24:25], v[4:5], v[56:57], v[22:23] neg_lo:[0,0,1] neg_hi:[0,0,1]
	v_pk_fma_f32 v[4:5], v[4:5], v[56:57], v[22:23] op_sel_hi:[1,0,1]
	s_nop 0
	v_mov_b32_e32 v25, v5
	s_waitcnt vmcnt(3) lgkmcnt(2)
	v_pk_mul_f32 v[4:5], v[6:7], v[46:47] op_sel:[1,1] op_sel_hi:[0,1]
	v_pk_fma_f32 v[22:23], v[6:7], v[46:47], v[4:5] neg_lo:[0,0,1] neg_hi:[0,0,1]
	v_pk_fma_f32 v[4:5], v[6:7], v[46:47], v[4:5] op_sel_hi:[1,0,1]
	v_pk_add_f32 v[2:3], v[2:3], v[24:25]
	v_mov_b32_e32 v4, v49
	v_mov_b32_e32 v23, v5
	v_pk_mul_f32 v[4:5], v[8:9], v[4:5] op_sel:[1,0] op_sel_hi:[0,0]
	v_pk_fma_f32 v[6:7], v[8:9], v[48:49], v[4:5] neg_lo:[0,0,1] neg_hi:[0,0,1]
	v_pk_fma_f32 v[4:5], v[8:9], v[48:49], v[4:5] op_sel_hi:[1,0,1]
	v_pk_add_f32 v[2:3], v[2:3], v[22:23]
	v_mov_b32_e32 v7, v5
	s_waitcnt vmcnt(2) lgkmcnt(1)
	v_pk_mul_f32 v[4:5], v[10:11], v[30:31] op_sel:[1,1] op_sel_hi:[0,1]
	v_pk_add_f32 v[2:3], v[2:3], v[6:7]
	v_pk_fma_f32 v[6:7], v[10:11], v[30:31], v[4:5] neg_lo:[0,0,1] neg_hi:[0,0,1]
	v_pk_fma_f32 v[4:5], v[10:11], v[30:31], v[4:5] op_sel_hi:[1,0,1]
	s_nop 0
	v_mov_b32_e32 v4, v33
	v_mov_b32_e32 v7, v5
	v_pk_mul_f32 v[4:5], v[12:13], v[4:5] op_sel:[1,0] op_sel_hi:[0,0]
	v_pk_add_f32 v[2:3], v[2:3], v[6:7]
	v_pk_fma_f32 v[6:7], v[12:13], v[32:33], v[4:5] neg_lo:[0,0,1] neg_hi:[0,0,1]
	v_pk_fma_f32 v[4:5], v[12:13], v[32:33], v[4:5] op_sel_hi:[1,0,1]
	s_nop 0
	v_mov_b32_e32 v7, v5
	s_waitcnt vmcnt(1) lgkmcnt(0)
	v_pk_mul_f32 v[4:5], v[18:19], v[14:15] op_sel:[1,1] op_sel_hi:[0,1]
	v_pk_add_f32 v[2:3], v[2:3], v[6:7]
	v_pk_fma_f32 v[6:7], v[18:19], v[14:15], v[4:5] neg_lo:[0,0,1] neg_hi:[0,0,1]
	v_pk_fma_f32 v[4:5], v[18:19], v[14:15], v[4:5] op_sel_hi:[1,0,1]
	s_nop 0
	v_mov_b32_e32 v4, v17
	v_mov_b32_e32 v7, v5
	v_pk_mul_f32 v[4:5], v[20:21], v[4:5] op_sel:[1,0] op_sel_hi:[0,0]
	v_pk_add_f32 v[2:3], v[2:3], v[6:7]
	v_pk_fma_f32 v[6:7], v[20:21], v[16:17], v[4:5] neg_lo:[0,0,1] neg_hi:[0,0,1]
	v_pk_fma_f32 v[4:5], v[20:21], v[16:17], v[4:5] op_sel_hi:[1,0,1]
	s_nop 0
	v_mov_b32_e32 v7, v5
	v_pk_add_f32 v[2:3], v[2:3], v[6:7]
	s_waitcnt vmcnt(0)
	v_pk_add_f32 v[2:3], v[100:101], v[2:3] neg_lo:[0,1] neg_hi:[0,1]
	scratch_store_dwordx2 off, v[2:3], off offset:248
	s_and_saveexec_b64 s[0:1], vcc
	s_cbranch_execz .LBB59_313
; %bb.312:
	scratch_load_dwordx2 v[2:3], off, off offset:240
	v_mov_b32_e32 v4, 0
	v_mov_b32_e32 v5, v4
	scratch_store_dwordx2 off, v[4:5], off offset:240
	s_waitcnt vmcnt(1)
	ds_write_b64 v1, v[2:3]
.LBB59_313:
	s_or_b64 exec, exec, s[0:1]
	s_waitcnt lgkmcnt(0)
	; wave barrier
	scratch_load_dwordx4 v[18:21], off, off offset:248
	scratch_load_dwordx4 v[2:5], off, off offset:264
	scratch_load_dwordx4 v[6:9], off, off offset:280
	scratch_load_dwordx4 v[10:13], off, off offset:296
	scratch_load_dwordx4 v[14:17], off, off offset:312
	scratch_load_dwordx4 v[26:29], off, off offset:328
	scratch_load_dwordx4 v[30:33], off, off offset:344
	scratch_load_dwordx4 v[38:41], off, off offset:360
	scratch_load_dwordx4 v[42:45], off, off offset:376
	scratch_load_dwordx4 v[50:53], off, off offset:392
	scratch_load_dwordx4 v[54:57], off, off offset:408
	scratch_load_dwordx4 v[46:49], off, off offset:424
	scratch_load_dwordx4 v[34:37], off, off offset:440
	scratch_load_dwordx4 v[22:25], off, off offset:456
	scratch_load_dwordx2 v[58:59], off, off offset:472
	scratch_load_dwordx2 v[100:101], off, off offset:240
	v_mov_b32_e32 v102, 0
	ds_read2_b64 v[60:63], v102 offset0:91 offset1:92
	ds_read2_b64 v[64:67], v102 offset0:93 offset1:94
	;; [unrolled: 1-line block ×12, first 2 shown]
	v_cmp_lt_u32_e32 vcc, 29, v0
	s_waitcnt vmcnt(15) lgkmcnt(11)
	v_mul_f32_e32 v103, v60, v19
	v_mul_f32_e32 v112, v62, v21
	s_waitcnt vmcnt(14) lgkmcnt(10)
	v_mul_f32_e32 v114, v64, v3
	v_mul_f32_e32 v3, v65, v3
	v_fmac_f32_e32 v103, v61, v18
	v_fmac_f32_e32 v112, v63, v20
	;; [unrolled: 1-line block ×3, first 2 shown]
	v_fma_f32 v2, v64, v2, -v3
	v_add_f32_e32 v3, 0, v103
	v_mul_f32_e32 v116, v66, v5
	v_add_f32_e32 v3, v3, v112
	s_waitcnt vmcnt(13) lgkmcnt(9)
	v_mul_f32_e32 v117, v68, v7
	v_fmac_f32_e32 v116, v67, v4
	v_add_f32_e32 v3, v3, v114
	v_mul_f32_e32 v118, v70, v9
	v_fmac_f32_e32 v117, v69, v6
	v_add_f32_e32 v3, v3, v116
	s_waitcnt vmcnt(12) lgkmcnt(8)
	v_mul_f32_e32 v119, v72, v11
	v_fmac_f32_e32 v118, v71, v8
	v_add_f32_e32 v3, v3, v117
	v_mul_f32_e32 v120, v74, v13
	v_fmac_f32_e32 v119, v73, v10
	;; [unrolled: 7-line block ×6, first 2 shown]
	v_add_f32_e32 v3, v3, v126
	s_waitcnt vmcnt(7) lgkmcnt(3)
	v_mul_f32_e32 v129, v92, v43
	v_fmac_f32_e32 v128, v91, v40
	v_add_f32_e32 v3, v3, v127
	v_mul_f32_e32 v130, v94, v45
	v_mul_f32_e32 v19, v61, v19
	v_fmac_f32_e32 v129, v93, v42
	v_add_f32_e32 v3, v3, v128
	s_waitcnt vmcnt(6) lgkmcnt(2)
	v_mul_f32_e32 v131, v96, v51
	v_mul_f32_e32 v21, v63, v21
	v_fmac_f32_e32 v130, v95, v44
	v_fma_f32 v18, v60, v18, -v19
	v_add_f32_e32 v3, v3, v129
	v_fmac_f32_e32 v131, v97, v50
	v_fma_f32 v19, v62, v20, -v21
	v_add_f32_e32 v18, 0, v18
	v_add_f32_e32 v3, v3, v130
	;; [unrolled: 1-line block ×4, first 2 shown]
	v_mul_f32_e32 v3, v67, v5
	v_add_f32_e32 v2, v18, v2
	v_fma_f32 v3, v66, v4, -v3
	v_add_f32_e32 v2, v2, v3
	v_mul_f32_e32 v3, v69, v7
	v_fma_f32 v3, v68, v6, -v3
	v_add_f32_e32 v2, v2, v3
	v_mul_f32_e32 v3, v71, v9
	;; [unrolled: 3-line block ×15, first 2 shown]
	v_fma_f32 v3, v96, v50, -v3
	v_mul_f32_e32 v113, v98, v53
	v_add_f32_e32 v18, v2, v3
	v_mul_f32_e32 v2, v99, v53
	s_waitcnt vmcnt(5)
	v_mov_b32_e32 v14, v57
	s_waitcnt lgkmcnt(1)
	v_mul_f32_e32 v115, v104, v55
	v_fmac_f32_e32 v113, v99, v52
	v_fma_f32 v112, v98, v52, -v2
	v_mul_f32_e32 v2, v105, v55
	v_pk_mul_f32 v[14:15], v[106:107], v[14:15] op_sel:[1,0] op_sel_hi:[0,0]
	v_fmac_f32_e32 v115, v105, v54
	v_fma_f32 v114, v104, v54, -v2
	v_pk_add_f32 v[12:13], v[18:19], v[112:113]
	v_pk_fma_f32 v[16:17], v[106:107], v[56:57], v[14:15] neg_lo:[0,0,1] neg_hi:[0,0,1]
	v_pk_fma_f32 v[14:15], v[106:107], v[56:57], v[14:15] op_sel_hi:[1,0,1]
	v_pk_add_f32 v[12:13], v[12:13], v[114:115]
	v_mov_b32_e32 v17, v15
	s_waitcnt vmcnt(4) lgkmcnt(0)
	v_pk_mul_f32 v[14:15], v[108:109], v[46:47] op_sel:[1,1] op_sel_hi:[0,1]
	v_pk_add_f32 v[12:13], v[12:13], v[16:17]
	v_pk_fma_f32 v[16:17], v[108:109], v[46:47], v[14:15] neg_lo:[0,0,1] neg_hi:[0,0,1]
	v_pk_fma_f32 v[14:15], v[108:109], v[46:47], v[14:15] op_sel_hi:[1,0,1]
	ds_read2_b64 v[2:5], v102 offset0:115 offset1:116
	ds_read2_b64 v[6:9], v102 offset0:117 offset1:118
	ds_read_b64 v[10:11], v102 offset:952
	v_mov_b32_e32 v14, v49
	v_mov_b32_e32 v17, v15
	v_pk_mul_f32 v[14:15], v[110:111], v[14:15] op_sel:[1,0] op_sel_hi:[0,0]
	v_pk_add_f32 v[12:13], v[12:13], v[16:17]
	v_pk_fma_f32 v[16:17], v[110:111], v[48:49], v[14:15] neg_lo:[0,0,1] neg_hi:[0,0,1]
	v_pk_fma_f32 v[14:15], v[110:111], v[48:49], v[14:15] op_sel_hi:[1,0,1]
	s_nop 0
	v_mov_b32_e32 v17, v15
	s_waitcnt vmcnt(3) lgkmcnt(2)
	v_pk_mul_f32 v[14:15], v[2:3], v[34:35] op_sel:[1,1] op_sel_hi:[0,1]
	v_pk_add_f32 v[12:13], v[12:13], v[16:17]
	v_pk_fma_f32 v[16:17], v[2:3], v[34:35], v[14:15] neg_lo:[0,0,1] neg_hi:[0,0,1]
	v_pk_fma_f32 v[2:3], v[2:3], v[34:35], v[14:15] op_sel_hi:[1,0,1]
	s_nop 0
	v_mov_b32_e32 v17, v3
	v_pk_add_f32 v[2:3], v[12:13], v[16:17]
	v_mov_b32_e32 v12, v37
	v_pk_mul_f32 v[12:13], v[4:5], v[12:13] op_sel:[1,0] op_sel_hi:[0,0]
	v_pk_fma_f32 v[14:15], v[4:5], v[36:37], v[12:13] neg_lo:[0,0,1] neg_hi:[0,0,1]
	v_pk_fma_f32 v[4:5], v[4:5], v[36:37], v[12:13] op_sel_hi:[1,0,1]
	s_nop 0
	v_mov_b32_e32 v15, v5
	s_waitcnt vmcnt(2) lgkmcnt(1)
	v_pk_mul_f32 v[4:5], v[6:7], v[22:23] op_sel:[1,1] op_sel_hi:[0,1]
	v_pk_fma_f32 v[12:13], v[6:7], v[22:23], v[4:5] neg_lo:[0,0,1] neg_hi:[0,0,1]
	v_pk_fma_f32 v[4:5], v[6:7], v[22:23], v[4:5] op_sel_hi:[1,0,1]
	v_pk_add_f32 v[2:3], v[2:3], v[14:15]
	v_mov_b32_e32 v4, v25
	v_mov_b32_e32 v13, v5
	v_pk_mul_f32 v[4:5], v[8:9], v[4:5] op_sel:[1,0] op_sel_hi:[0,0]
	v_pk_fma_f32 v[6:7], v[8:9], v[24:25], v[4:5] neg_lo:[0,0,1] neg_hi:[0,0,1]
	v_pk_fma_f32 v[4:5], v[8:9], v[24:25], v[4:5] op_sel_hi:[1,0,1]
	v_pk_add_f32 v[2:3], v[2:3], v[12:13]
	v_mov_b32_e32 v7, v5
	s_waitcnt vmcnt(1) lgkmcnt(0)
	v_pk_mul_f32 v[4:5], v[10:11], v[58:59] op_sel:[1,1] op_sel_hi:[0,1]
	v_pk_add_f32 v[2:3], v[2:3], v[6:7]
	v_pk_fma_f32 v[6:7], v[10:11], v[58:59], v[4:5] neg_lo:[0,0,1] neg_hi:[0,0,1]
	v_pk_fma_f32 v[4:5], v[10:11], v[58:59], v[4:5] op_sel_hi:[1,0,1]
	s_nop 0
	v_mov_b32_e32 v7, v5
	v_pk_add_f32 v[2:3], v[2:3], v[6:7]
	s_waitcnt vmcnt(0)
	v_pk_add_f32 v[2:3], v[100:101], v[2:3] neg_lo:[0,1] neg_hi:[0,1]
	scratch_store_dwordx2 off, v[2:3], off offset:240
	s_and_saveexec_b64 s[0:1], vcc
	s_cbranch_execz .LBB59_315
; %bb.314:
	scratch_load_dwordx2 v[2:3], off, off offset:232
	v_mov_b32_e32 v103, v102
	scratch_store_dwordx2 off, v[102:103], off offset:232
	s_waitcnt vmcnt(1)
	ds_write_b64 v1, v[2:3]
.LBB59_315:
	s_or_b64 exec, exec, s[0:1]
	s_waitcnt lgkmcnt(0)
	; wave barrier
	scratch_load_dwordx4 v[22:25], off, off offset:240
	scratch_load_dwordx4 v[2:5], off, off offset:256
	;; [unrolled: 1-line block ×11, first 2 shown]
	ds_read_b128 v[104:107], v102 offset:720
	ds_read_b128 v[98:101], v102 offset:736
	;; [unrolled: 1-line block ×10, first 2 shown]
	scratch_load_dwordx4 v[58:61], off, off offset:416
	scratch_load_dwordx4 v[50:53], off, off offset:432
	;; [unrolled: 1-line block ×4, first 2 shown]
	ds_read_b128 v[78:81], v102 offset:880
	ds_read_b128 v[108:111], v102 offset:896
	scratch_load_dwordx2 v[112:113], off, off offset:232
	v_cmp_lt_u32_e32 vcc, 28, v0
	s_waitcnt vmcnt(15) lgkmcnt(11)
	v_mul_f32_e32 v103, v104, v23
	v_mul_f32_e32 v114, v106, v25
	s_waitcnt vmcnt(14) lgkmcnt(10)
	v_mul_f32_e32 v116, v98, v3
	v_mul_f32_e32 v3, v99, v3
	v_fmac_f32_e32 v103, v105, v22
	v_fmac_f32_e32 v114, v107, v24
	;; [unrolled: 1-line block ×3, first 2 shown]
	v_fma_f32 v2, v98, v2, -v3
	v_add_f32_e32 v3, 0, v103
	v_mul_f32_e32 v118, v100, v5
	v_add_f32_e32 v3, v3, v114
	s_waitcnt vmcnt(13) lgkmcnt(9)
	v_mul_f32_e32 v119, v94, v7
	v_fmac_f32_e32 v118, v101, v4
	v_add_f32_e32 v3, v3, v116
	v_mul_f32_e32 v120, v96, v9
	v_fmac_f32_e32 v119, v95, v6
	v_add_f32_e32 v3, v3, v118
	s_waitcnt vmcnt(12) lgkmcnt(8)
	v_mul_f32_e32 v121, v90, v11
	v_fmac_f32_e32 v120, v97, v8
	v_add_f32_e32 v3, v3, v119
	v_mul_f32_e32 v122, v92, v13
	v_fmac_f32_e32 v121, v91, v10
	;; [unrolled: 7-line block ×7, first 2 shown]
	v_add_f32_e32 v3, v3, v130
	s_waitcnt vmcnt(6) lgkmcnt(2)
	v_mul_f32_e32 v133, v62, v47
	v_mul_f32_e32 v23, v105, v23
	v_fmac_f32_e32 v132, v69, v44
	v_add_f32_e32 v3, v3, v131
	v_mul_f32_e32 v134, v64, v49
	v_mul_f32_e32 v25, v107, v25
	v_fmac_f32_e32 v133, v63, v46
	v_fma_f32 v22, v104, v22, -v23
	v_add_f32_e32 v3, v3, v132
	v_fmac_f32_e32 v134, v65, v48
	v_fma_f32 v23, v106, v24, -v25
	v_add_f32_e32 v22, 0, v22
	v_add_f32_e32 v3, v3, v133
	;; [unrolled: 1-line block ×4, first 2 shown]
	v_mul_f32_e32 v3, v101, v5
	v_add_f32_e32 v2, v22, v2
	v_fma_f32 v3, v100, v4, -v3
	v_add_f32_e32 v2, v2, v3
	v_mul_f32_e32 v3, v95, v7
	v_fma_f32 v3, v94, v6, -v3
	v_add_f32_e32 v2, v2, v3
	v_mul_f32_e32 v3, v97, v9
	;; [unrolled: 3-line block ×16, first 2 shown]
	v_fma_f32 v3, v64, v48, -v3
	s_waitcnt vmcnt(5) lgkmcnt(1)
	v_mul_f32_e32 v115, v78, v55
	v_add_f32_e32 v22, v2, v3
	v_mul_f32_e32 v2, v79, v55
	s_waitcnt vmcnt(4) lgkmcnt(0)
	v_pk_mul_f32 v[16:17], v[108:109], v[58:59] op_sel:[1,1] op_sel_hi:[0,1]
	v_mul_f32_e32 v117, v80, v57
	v_fmac_f32_e32 v115, v79, v54
	v_fma_f32 v114, v78, v54, -v2
	v_mul_f32_e32 v2, v81, v57
	v_pk_fma_f32 v[18:19], v[108:109], v[58:59], v[16:17] neg_lo:[0,0,1] neg_hi:[0,0,1]
	v_pk_fma_f32 v[16:17], v[108:109], v[58:59], v[16:17] op_sel_hi:[1,0,1]
	v_fmac_f32_e32 v117, v81, v56
	v_fma_f32 v116, v80, v56, -v2
	ds_read_b128 v[2:5], v102 offset:912
	ds_read_b128 v[6:9], v102 offset:928
	;; [unrolled: 1-line block ×3, first 2 shown]
	v_pk_add_f32 v[14:15], v[22:23], v[114:115]
	v_mov_b32_e32 v16, v61
	v_pk_add_f32 v[14:15], v[14:15], v[116:117]
	v_mov_b32_e32 v19, v17
	v_pk_mul_f32 v[16:17], v[110:111], v[16:17] op_sel:[1,0] op_sel_hi:[0,0]
	v_pk_add_f32 v[14:15], v[14:15], v[18:19]
	v_pk_fma_f32 v[18:19], v[110:111], v[60:61], v[16:17] neg_lo:[0,0,1] neg_hi:[0,0,1]
	v_pk_fma_f32 v[16:17], v[110:111], v[60:61], v[16:17] op_sel_hi:[1,0,1]
	s_nop 0
	v_mov_b32_e32 v19, v17
	s_waitcnt vmcnt(3) lgkmcnt(2)
	v_pk_mul_f32 v[16:17], v[2:3], v[50:51] op_sel:[1,1] op_sel_hi:[0,1]
	v_pk_add_f32 v[14:15], v[14:15], v[18:19]
	v_pk_fma_f32 v[18:19], v[2:3], v[50:51], v[16:17] neg_lo:[0,0,1] neg_hi:[0,0,1]
	v_pk_fma_f32 v[2:3], v[2:3], v[50:51], v[16:17] op_sel_hi:[1,0,1]
	s_nop 0
	v_mov_b32_e32 v19, v3
	v_pk_add_f32 v[2:3], v[14:15], v[18:19]
	v_mov_b32_e32 v14, v53
	v_pk_mul_f32 v[14:15], v[4:5], v[14:15] op_sel:[1,0] op_sel_hi:[0,0]
	v_pk_fma_f32 v[16:17], v[4:5], v[52:53], v[14:15] neg_lo:[0,0,1] neg_hi:[0,0,1]
	v_pk_fma_f32 v[4:5], v[4:5], v[52:53], v[14:15] op_sel_hi:[1,0,1]
	s_nop 0
	v_mov_b32_e32 v17, v5
	s_waitcnt vmcnt(2) lgkmcnt(1)
	v_pk_mul_f32 v[4:5], v[6:7], v[38:39] op_sel:[1,1] op_sel_hi:[0,1]
	v_pk_fma_f32 v[14:15], v[6:7], v[38:39], v[4:5] neg_lo:[0,0,1] neg_hi:[0,0,1]
	v_pk_fma_f32 v[4:5], v[6:7], v[38:39], v[4:5] op_sel_hi:[1,0,1]
	v_pk_add_f32 v[2:3], v[2:3], v[16:17]
	v_mov_b32_e32 v4, v41
	v_mov_b32_e32 v15, v5
	v_pk_mul_f32 v[4:5], v[8:9], v[4:5] op_sel:[1,0] op_sel_hi:[0,0]
	v_pk_fma_f32 v[6:7], v[8:9], v[40:41], v[4:5] neg_lo:[0,0,1] neg_hi:[0,0,1]
	v_pk_fma_f32 v[4:5], v[8:9], v[40:41], v[4:5] op_sel_hi:[1,0,1]
	v_pk_add_f32 v[2:3], v[2:3], v[14:15]
	v_mov_b32_e32 v7, v5
	s_waitcnt vmcnt(1) lgkmcnt(0)
	v_pk_mul_f32 v[4:5], v[10:11], v[26:27] op_sel:[1,1] op_sel_hi:[0,1]
	v_pk_add_f32 v[2:3], v[2:3], v[6:7]
	v_pk_fma_f32 v[6:7], v[10:11], v[26:27], v[4:5] neg_lo:[0,0,1] neg_hi:[0,0,1]
	v_pk_fma_f32 v[4:5], v[10:11], v[26:27], v[4:5] op_sel_hi:[1,0,1]
	s_nop 0
	v_mov_b32_e32 v4, v29
	v_mov_b32_e32 v7, v5
	v_pk_mul_f32 v[4:5], v[12:13], v[4:5] op_sel:[1,0] op_sel_hi:[0,0]
	v_pk_add_f32 v[2:3], v[2:3], v[6:7]
	v_pk_fma_f32 v[6:7], v[12:13], v[28:29], v[4:5] neg_lo:[0,0,1] neg_hi:[0,0,1]
	v_pk_fma_f32 v[4:5], v[12:13], v[28:29], v[4:5] op_sel_hi:[1,0,1]
	s_nop 0
	v_mov_b32_e32 v7, v5
	v_pk_add_f32 v[2:3], v[2:3], v[6:7]
	s_waitcnt vmcnt(0)
	v_pk_add_f32 v[2:3], v[112:113], v[2:3] neg_lo:[0,1] neg_hi:[0,1]
	scratch_store_dwordx2 off, v[2:3], off offset:232
	s_and_saveexec_b64 s[0:1], vcc
	s_cbranch_execz .LBB59_317
; %bb.316:
	scratch_load_dwordx2 v[2:3], off, off offset:224
	v_mov_b32_e32 v4, 0
	v_mov_b32_e32 v5, v4
	scratch_store_dwordx2 off, v[4:5], off offset:224
	s_waitcnt vmcnt(1)
	ds_write_b64 v1, v[2:3]
.LBB59_317:
	s_or_b64 exec, exec, s[0:1]
	s_waitcnt lgkmcnt(0)
	; wave barrier
	scratch_load_dwordx4 v[6:9], off, off offset:232
	scratch_load_dwordx4 v[14:17], off, off offset:248
	;; [unrolled: 1-line block ×10, first 2 shown]
	v_mov_b32_e32 v62, 0
	ds_read2_b64 v[2:5], v62 offset0:89 offset1:90
	scratch_load_dwordx4 v[88:91], off, off offset:392
	scratch_load_dwordx4 v[96:99], off, off offset:408
	v_cmp_lt_u32_e32 vcc, 27, v0
	s_waitcnt vmcnt(11) lgkmcnt(0)
	v_mul_f32_e32 v10, v2, v7
	v_fmac_f32_e32 v10, v3, v6
	v_mul_f32_e32 v11, v4, v9
	v_add_f32_e32 v10, 0, v10
	v_fmac_f32_e32 v11, v5, v8
	v_add_f32_e32 v18, v10, v11
	ds_read2_b64 v[10:13], v62 offset0:91 offset1:92
	v_mul_f32_e32 v3, v3, v7
	v_fma_f32 v2, v2, v6, -v3
	v_mul_f32_e32 v3, v5, v9
	v_add_f32_e32 v2, 0, v2
	s_waitcnt vmcnt(10) lgkmcnt(0)
	v_mul_f32_e32 v19, v10, v15
	v_fmac_f32_e32 v19, v11, v14
	v_add_f32_e32 v18, v18, v19
	v_mul_f32_e32 v19, v12, v17
	v_fmac_f32_e32 v19, v13, v16
	v_add_f32_e32 v26, v18, v19
	ds_read2_b64 v[18:21], v62 offset0:93 offset1:94
	v_fma_f32 v3, v4, v8, -v3
	v_add_f32_e32 v2, v2, v3
	v_mul_f32_e32 v3, v11, v15
	v_fma_f32 v3, v10, v14, -v3
	s_waitcnt vmcnt(9) lgkmcnt(0)
	v_mul_f32_e32 v27, v18, v23
	v_fmac_f32_e32 v27, v19, v22
	v_add_f32_e32 v26, v26, v27
	v_mul_f32_e32 v27, v20, v25
	v_fmac_f32_e32 v27, v21, v24
	v_add_f32_e32 v34, v26, v27
	ds_read2_b64 v[26:29], v62 offset0:95 offset1:96
	v_add_f32_e32 v2, v2, v3
	v_mul_f32_e32 v3, v13, v17
	v_fma_f32 v3, v12, v16, -v3
	v_add_f32_e32 v2, v2, v3
	s_waitcnt vmcnt(8) lgkmcnt(0)
	v_mul_f32_e32 v35, v26, v31
	v_fmac_f32_e32 v35, v27, v30
	v_add_f32_e32 v34, v34, v35
	v_mul_f32_e32 v35, v28, v33
	v_fmac_f32_e32 v35, v29, v32
	v_add_f32_e32 v42, v34, v35
	ds_read2_b64 v[34:37], v62 offset0:97 offset1:98
	v_mul_f32_e32 v3, v19, v23
	v_fma_f32 v3, v18, v22, -v3
	v_add_f32_e32 v2, v2, v3
	v_mul_f32_e32 v3, v21, v25
	s_waitcnt vmcnt(7) lgkmcnt(0)
	v_mul_f32_e32 v43, v34, v39
	v_fmac_f32_e32 v43, v35, v38
	v_add_f32_e32 v42, v42, v43
	v_mul_f32_e32 v43, v36, v41
	v_fmac_f32_e32 v43, v37, v40
	v_add_f32_e32 v50, v42, v43
	ds_read2_b64 v[42:45], v62 offset0:99 offset1:100
	v_fma_f32 v3, v20, v24, -v3
	v_add_f32_e32 v2, v2, v3
	v_mul_f32_e32 v3, v27, v31
	v_fma_f32 v3, v26, v30, -v3
	s_waitcnt vmcnt(6) lgkmcnt(0)
	v_mul_f32_e32 v51, v42, v47
	v_fmac_f32_e32 v51, v43, v46
	v_add_f32_e32 v50, v50, v51
	v_mul_f32_e32 v51, v44, v49
	v_fmac_f32_e32 v51, v45, v48
	v_add_f32_e32 v58, v50, v51
	ds_read2_b64 v[50:53], v62 offset0:101 offset1:102
	v_add_f32_e32 v2, v2, v3
	v_mul_f32_e32 v3, v29, v33
	v_fma_f32 v3, v28, v32, -v3
	v_add_f32_e32 v2, v2, v3
	s_waitcnt vmcnt(5) lgkmcnt(0)
	v_mul_f32_e32 v59, v50, v55
	v_fmac_f32_e32 v59, v51, v54
	v_add_f32_e32 v58, v58, v59
	v_mul_f32_e32 v59, v52, v57
	v_fmac_f32_e32 v59, v53, v56
	v_add_f32_e32 v63, v58, v59
	ds_read2_b64 v[58:61], v62 offset0:103 offset1:104
	v_mul_f32_e32 v3, v35, v39
	v_fma_f32 v3, v34, v38, -v3
	v_add_f32_e32 v2, v2, v3
	v_mul_f32_e32 v3, v37, v41
	;; [unrolled: 36-line block ×3, first 2 shown]
	s_waitcnt vmcnt(1) lgkmcnt(0)
	v_mul_f32_e32 v92, v84, v89
	v_fmac_f32_e32 v92, v85, v88
	v_add_f32_e32 v113, v63, v92
	ds_read2_b64 v[92:95], v62 offset0:111 offset1:112
	scratch_load_dwordx4 v[100:103], off, off offset:424
	scratch_load_dwordx4 v[104:107], off, off offset:440
	;; [unrolled: 1-line block ×3, first 2 shown]
	scratch_load_dwordx2 v[118:119], off, off offset:472
	v_fma_f32 v3, v52, v56, -v3
	v_add_f32_e32 v2, v2, v3
	v_mul_f32_e32 v3, v59, v65
	v_fma_f32 v3, v58, v64, -v3
	v_add_f32_e32 v2, v2, v3
	v_mul_f32_e32 v3, v61, v67
	;; [unrolled: 3-line block ×8, first 2 shown]
	v_mul_f32_e32 v115, v86, v91
	v_fma_f32 v114, v86, v90, -v2
	s_waitcnt vmcnt(4) lgkmcnt(0)
	v_mul_f32_e32 v2, v93, v97
	v_mov_b32_e32 v18, v99
	v_fmac_f32_e32 v115, v87, v90
	v_mul_f32_e32 v117, v92, v97
	v_fma_f32 v116, v92, v96, -v2
	ds_read2_b64 v[2:5], v62 offset0:113 offset1:114
	ds_read2_b64 v[6:9], v62 offset0:115 offset1:116
	;; [unrolled: 1-line block ×3, first 2 shown]
	ds_read_b64 v[14:15], v62 offset:952
	v_pk_mul_f32 v[18:19], v[94:95], v[18:19] op_sel:[1,0] op_sel_hi:[0,0]
	v_fmac_f32_e32 v117, v93, v96
	v_pk_add_f32 v[16:17], v[112:113], v[114:115]
	v_pk_fma_f32 v[20:21], v[94:95], v[98:99], v[18:19] neg_lo:[0,0,1] neg_hi:[0,0,1]
	v_pk_fma_f32 v[18:19], v[94:95], v[98:99], v[18:19] op_sel_hi:[1,0,1]
	v_pk_add_f32 v[16:17], v[16:17], v[116:117]
	v_mov_b32_e32 v21, v19
	v_pk_add_f32 v[16:17], v[16:17], v[20:21]
	s_waitcnt vmcnt(3) lgkmcnt(3)
	v_pk_mul_f32 v[18:19], v[2:3], v[100:101] op_sel:[1,1] op_sel_hi:[0,1]
	v_pk_fma_f32 v[20:21], v[2:3], v[100:101], v[18:19] neg_lo:[0,0,1] neg_hi:[0,0,1]
	v_pk_fma_f32 v[2:3], v[2:3], v[100:101], v[18:19] op_sel_hi:[1,0,1]
	s_nop 0
	v_mov_b32_e32 v21, v3
	v_pk_add_f32 v[2:3], v[16:17], v[20:21]
	v_mov_b32_e32 v16, v103
	v_pk_mul_f32 v[16:17], v[4:5], v[16:17] op_sel:[1,0] op_sel_hi:[0,0]
	v_pk_fma_f32 v[18:19], v[4:5], v[102:103], v[16:17] neg_lo:[0,0,1] neg_hi:[0,0,1]
	v_pk_fma_f32 v[4:5], v[4:5], v[102:103], v[16:17] op_sel_hi:[1,0,1]
	s_nop 0
	v_mov_b32_e32 v19, v5
	s_waitcnt vmcnt(2) lgkmcnt(2)
	v_pk_mul_f32 v[4:5], v[6:7], v[104:105] op_sel:[1,1] op_sel_hi:[0,1]
	v_pk_fma_f32 v[16:17], v[6:7], v[104:105], v[4:5] neg_lo:[0,0,1] neg_hi:[0,0,1]
	v_pk_fma_f32 v[4:5], v[6:7], v[104:105], v[4:5] op_sel_hi:[1,0,1]
	v_pk_add_f32 v[2:3], v[2:3], v[18:19]
	v_mov_b32_e32 v4, v107
	v_mov_b32_e32 v17, v5
	v_pk_mul_f32 v[4:5], v[8:9], v[4:5] op_sel:[1,0] op_sel_hi:[0,0]
	v_pk_fma_f32 v[6:7], v[8:9], v[106:107], v[4:5] neg_lo:[0,0,1] neg_hi:[0,0,1]
	v_pk_fma_f32 v[4:5], v[8:9], v[106:107], v[4:5] op_sel_hi:[1,0,1]
	v_pk_add_f32 v[2:3], v[2:3], v[16:17]
	v_mov_b32_e32 v7, v5
	s_waitcnt vmcnt(1) lgkmcnt(1)
	v_pk_mul_f32 v[4:5], v[10:11], v[108:109] op_sel:[1,1] op_sel_hi:[0,1]
	v_pk_add_f32 v[2:3], v[2:3], v[6:7]
	v_pk_fma_f32 v[6:7], v[10:11], v[108:109], v[4:5] neg_lo:[0,0,1] neg_hi:[0,0,1]
	v_pk_fma_f32 v[4:5], v[10:11], v[108:109], v[4:5] op_sel_hi:[1,0,1]
	s_nop 0
	v_mov_b32_e32 v4, v111
	v_mov_b32_e32 v7, v5
	v_pk_mul_f32 v[4:5], v[12:13], v[4:5] op_sel:[1,0] op_sel_hi:[0,0]
	v_pk_add_f32 v[2:3], v[2:3], v[6:7]
	v_pk_fma_f32 v[6:7], v[12:13], v[110:111], v[4:5] neg_lo:[0,0,1] neg_hi:[0,0,1]
	v_pk_fma_f32 v[4:5], v[12:13], v[110:111], v[4:5] op_sel_hi:[1,0,1]
	s_nop 0
	v_mov_b32_e32 v7, v5
	s_waitcnt vmcnt(0) lgkmcnt(0)
	v_pk_mul_f32 v[4:5], v[14:15], v[118:119] op_sel:[1,1] op_sel_hi:[0,1]
	v_pk_add_f32 v[2:3], v[2:3], v[6:7]
	v_pk_fma_f32 v[6:7], v[14:15], v[118:119], v[4:5] neg_lo:[0,0,1] neg_hi:[0,0,1]
	v_pk_fma_f32 v[4:5], v[14:15], v[118:119], v[4:5] op_sel_hi:[1,0,1]
	s_nop 0
	v_mov_b32_e32 v7, v5
	scratch_load_dwordx2 v[4:5], off, off offset:224
	v_pk_add_f32 v[2:3], v[2:3], v[6:7]
	s_waitcnt vmcnt(0)
	v_pk_add_f32 v[2:3], v[4:5], v[2:3] neg_lo:[0,1] neg_hi:[0,1]
	scratch_store_dwordx2 off, v[2:3], off offset:224
	s_and_saveexec_b64 s[0:1], vcc
	s_cbranch_execz .LBB59_319
; %bb.318:
	scratch_load_dwordx2 v[2:3], off, off offset:216
	v_mov_b32_e32 v63, v62
	scratch_store_dwordx2 off, v[62:63], off offset:216
	s_waitcnt vmcnt(1)
	ds_write_b64 v1, v[2:3]
.LBB59_319:
	s_or_b64 exec, exec, s[0:1]
	s_waitcnt lgkmcnt(0)
	; wave barrier
	ds_read_b128 v[14:17], v62 offset:704
	ds_read_b128 v[10:13], v62 offset:720
	;; [unrolled: 1-line block ×4, first 2 shown]
	scratch_load_dwordx4 v[18:21], off, off offset:224
	scratch_load_dwordx4 v[38:41], off, off offset:288
	;; [unrolled: 1-line block ×6, first 2 shown]
	v_cmp_lt_u32_e32 vcc, 26, v0
	scratch_load_dwordx4 v[46:49], off, off offset:304
	scratch_load_dwordx4 v[54:57], off, off offset:320
	;; [unrolled: 1-line block ×3, first 2 shown]
	s_waitcnt vmcnt(8) lgkmcnt(3)
	v_mul_f32_e32 v22, v14, v19
	v_fmac_f32_e32 v22, v15, v18
	v_mul_f32_e32 v23, v16, v21
	v_add_f32_e32 v22, 0, v22
	v_fmac_f32_e32 v23, v17, v20
	v_add_f32_e32 v26, v22, v23
	scratch_load_dwordx4 v[22:25], off, off offset:240
	v_mul_f32_e32 v15, v15, v19
	v_fma_f32 v14, v14, v18, -v15
	v_mul_f32_e32 v15, v17, v21
	v_add_f32_e32 v14, 0, v14
	v_fma_f32 v15, v16, v20, -v15
	v_add_f32_e32 v14, v14, v15
	s_waitcnt vmcnt(0) lgkmcnt(2)
	v_mul_f32_e32 v27, v10, v23
	v_fmac_f32_e32 v27, v11, v22
	v_add_f32_e32 v26, v26, v27
	v_mul_f32_e32 v27, v12, v25
	v_fmac_f32_e32 v27, v13, v24
	v_add_f32_e32 v30, v26, v27
	scratch_load_dwordx4 v[26:29], off, off offset:256
	v_mul_f32_e32 v11, v11, v23
	v_fma_f32 v10, v10, v22, -v11
	v_mul_f32_e32 v11, v13, v25
	v_add_f32_e32 v10, v14, v10
	v_fma_f32 v11, v12, v24, -v11
	v_add_f32_e32 v10, v10, v11
	s_waitcnt vmcnt(0) lgkmcnt(1)
	v_mul_f32_e32 v31, v6, v27
	v_fmac_f32_e32 v31, v7, v26
	v_add_f32_e32 v30, v30, v31
	v_mul_f32_e32 v31, v8, v29
	;; [unrolled: 14-line block ×3, first 2 shown]
	v_fmac_f32_e32 v35, v5, v32
	v_add_f32_e32 v42, v34, v35
	ds_read_b128 v[34:37], v62 offset:768
	v_mul_f32_e32 v3, v3, v31
	v_fma_f32 v2, v2, v30, -v3
	v_mul_f32_e32 v3, v5, v33
	v_add_f32_e32 v2, v6, v2
	s_waitcnt lgkmcnt(0)
	v_mul_f32_e32 v43, v34, v39
	v_fmac_f32_e32 v43, v35, v38
	v_add_f32_e32 v42, v42, v43
	v_mul_f32_e32 v43, v36, v41
	v_fmac_f32_e32 v43, v37, v40
	v_add_f32_e32 v50, v42, v43
	ds_read_b128 v[42:45], v62 offset:784
	v_fma_f32 v3, v4, v32, -v3
	v_add_f32_e32 v2, v2, v3
	v_mul_f32_e32 v3, v35, v39
	v_fma_f32 v3, v34, v38, -v3
	s_waitcnt lgkmcnt(0)
	v_mul_f32_e32 v51, v42, v47
	v_fmac_f32_e32 v51, v43, v46
	v_add_f32_e32 v50, v50, v51
	v_mul_f32_e32 v51, v44, v49
	v_fmac_f32_e32 v51, v45, v48
	v_add_f32_e32 v58, v50, v51
	ds_read_b128 v[50:53], v62 offset:800
	v_add_f32_e32 v2, v2, v3
	v_mul_f32_e32 v3, v37, v41
	v_fma_f32 v3, v36, v40, -v3
	v_add_f32_e32 v2, v2, v3
	s_waitcnt lgkmcnt(0)
	v_mul_f32_e32 v59, v50, v55
	v_fmac_f32_e32 v59, v51, v54
	v_add_f32_e32 v58, v58, v59
	v_mul_f32_e32 v59, v52, v57
	v_fmac_f32_e32 v59, v53, v56
	v_add_f32_e32 v63, v58, v59
	ds_read_b128 v[58:61], v62 offset:816
	v_mul_f32_e32 v3, v43, v47
	v_fma_f32 v3, v42, v46, -v3
	v_add_f32_e32 v2, v2, v3
	v_mul_f32_e32 v3, v45, v49
	s_waitcnt lgkmcnt(0)
	v_mul_f32_e32 v68, v58, v65
	v_fmac_f32_e32 v68, v59, v64
	v_add_f32_e32 v63, v63, v68
	v_mul_f32_e32 v68, v60, v67
	v_fmac_f32_e32 v68, v61, v66
	v_add_f32_e32 v63, v63, v68
	ds_read_b128 v[68:71], v62 offset:832
	v_fma_f32 v3, v44, v48, -v3
	v_add_f32_e32 v2, v2, v3
	v_mul_f32_e32 v3, v51, v55
	v_fma_f32 v3, v50, v54, -v3
	s_waitcnt lgkmcnt(0)
	v_mul_f32_e32 v76, v68, v73
	v_fmac_f32_e32 v76, v69, v72
	v_add_f32_e32 v63, v63, v76
	v_mul_f32_e32 v76, v70, v75
	v_fmac_f32_e32 v76, v71, v74
	v_add_f32_e32 v63, v63, v76
	ds_read_b128 v[76:79], v62 offset:848
	v_add_f32_e32 v2, v2, v3
	v_mul_f32_e32 v3, v53, v57
	v_fma_f32 v3, v52, v56, -v3
	v_add_f32_e32 v2, v2, v3
	s_waitcnt lgkmcnt(0)
	v_mul_f32_e32 v84, v76, v81
	v_fmac_f32_e32 v84, v77, v80
	v_add_f32_e32 v63, v63, v84
	v_mul_f32_e32 v84, v78, v83
	v_fmac_f32_e32 v84, v79, v82
	v_add_f32_e32 v63, v63, v84
	ds_read_b128 v[84:87], v62 offset:864
	v_mul_f32_e32 v3, v59, v65
	v_fma_f32 v3, v58, v64, -v3
	v_add_f32_e32 v2, v2, v3
	v_mul_f32_e32 v3, v61, v67
	s_waitcnt lgkmcnt(0)
	v_mul_f32_e32 v92, v84, v89
	v_fmac_f32_e32 v92, v85, v88
	v_add_f32_e32 v63, v63, v92
	v_mul_f32_e32 v92, v86, v91
	v_fmac_f32_e32 v92, v87, v90
	v_add_f32_e32 v117, v63, v92
	ds_read_b128 v[92:95], v62 offset:880
	scratch_load_dwordx4 v[100:103], off, off offset:416
	scratch_load_dwordx4 v[104:107], off, off offset:432
	scratch_load_dwordx4 v[108:111], off, off offset:448
	scratch_load_dwordx4 v[112:115], off, off offset:464
	v_fma_f32 v3, v60, v66, -v3
	v_add_f32_e32 v2, v2, v3
	v_mul_f32_e32 v3, v69, v73
	v_fma_f32 v3, v68, v72, -v3
	v_add_f32_e32 v2, v2, v3
	v_mul_f32_e32 v3, v71, v75
	;; [unrolled: 3-line block ×6, first 2 shown]
	v_fma_f32 v3, v86, v90, -v3
	v_add_f32_e32 v116, v2, v3
	s_waitcnt lgkmcnt(0)
	v_mul_f32_e32 v2, v93, v97
	v_fma_f32 v118, v92, v96, -v2
	v_mul_f32_e32 v2, v95, v99
	v_fma_f32 v120, v94, v98, -v2
	ds_read_b128 v[2:5], v62 offset:896
	ds_read_b128 v[6:9], v62 offset:912
	;; [unrolled: 1-line block ×4, first 2 shown]
	v_mul_f32_e32 v119, v92, v97
	v_fmac_f32_e32 v119, v93, v96
	v_mul_f32_e32 v121, v94, v99
	v_fmac_f32_e32 v121, v95, v98
	v_pk_add_f32 v[18:19], v[116:117], v[118:119]
	s_waitcnt vmcnt(3) lgkmcnt(3)
	v_pk_mul_f32 v[20:21], v[2:3], v[100:101] op_sel:[1,1] op_sel_hi:[0,1]
	v_pk_fma_f32 v[22:23], v[2:3], v[100:101], v[20:21] neg_lo:[0,0,1] neg_hi:[0,0,1]
	v_pk_fma_f32 v[2:3], v[2:3], v[100:101], v[20:21] op_sel_hi:[1,0,1]
	v_pk_add_f32 v[18:19], v[18:19], v[120:121]
	v_mov_b32_e32 v23, v3
	v_pk_add_f32 v[2:3], v[18:19], v[22:23]
	v_mov_b32_e32 v18, v103
	v_pk_mul_f32 v[18:19], v[4:5], v[18:19] op_sel:[1,0] op_sel_hi:[0,0]
	v_pk_fma_f32 v[20:21], v[4:5], v[102:103], v[18:19] neg_lo:[0,0,1] neg_hi:[0,0,1]
	v_pk_fma_f32 v[4:5], v[4:5], v[102:103], v[18:19] op_sel_hi:[1,0,1]
	s_nop 0
	v_mov_b32_e32 v21, v5
	s_waitcnt vmcnt(2) lgkmcnt(2)
	v_pk_mul_f32 v[4:5], v[6:7], v[104:105] op_sel:[1,1] op_sel_hi:[0,1]
	v_pk_fma_f32 v[18:19], v[6:7], v[104:105], v[4:5] neg_lo:[0,0,1] neg_hi:[0,0,1]
	v_pk_fma_f32 v[4:5], v[6:7], v[104:105], v[4:5] op_sel_hi:[1,0,1]
	v_pk_add_f32 v[2:3], v[2:3], v[20:21]
	v_mov_b32_e32 v4, v107
	v_mov_b32_e32 v19, v5
	v_pk_mul_f32 v[4:5], v[8:9], v[4:5] op_sel:[1,0] op_sel_hi:[0,0]
	v_pk_fma_f32 v[6:7], v[8:9], v[106:107], v[4:5] neg_lo:[0,0,1] neg_hi:[0,0,1]
	v_pk_fma_f32 v[4:5], v[8:9], v[106:107], v[4:5] op_sel_hi:[1,0,1]
	v_pk_add_f32 v[2:3], v[2:3], v[18:19]
	v_mov_b32_e32 v7, v5
	s_waitcnt vmcnt(1) lgkmcnt(1)
	v_pk_mul_f32 v[4:5], v[10:11], v[108:109] op_sel:[1,1] op_sel_hi:[0,1]
	v_pk_add_f32 v[2:3], v[2:3], v[6:7]
	v_pk_fma_f32 v[6:7], v[10:11], v[108:109], v[4:5] neg_lo:[0,0,1] neg_hi:[0,0,1]
	v_pk_fma_f32 v[4:5], v[10:11], v[108:109], v[4:5] op_sel_hi:[1,0,1]
	s_nop 0
	v_mov_b32_e32 v4, v111
	v_mov_b32_e32 v7, v5
	v_pk_mul_f32 v[4:5], v[12:13], v[4:5] op_sel:[1,0] op_sel_hi:[0,0]
	v_pk_add_f32 v[2:3], v[2:3], v[6:7]
	v_pk_fma_f32 v[6:7], v[12:13], v[110:111], v[4:5] neg_lo:[0,0,1] neg_hi:[0,0,1]
	v_pk_fma_f32 v[4:5], v[12:13], v[110:111], v[4:5] op_sel_hi:[1,0,1]
	s_nop 0
	v_mov_b32_e32 v7, v5
	s_waitcnt vmcnt(0) lgkmcnt(0)
	v_pk_mul_f32 v[4:5], v[14:15], v[112:113] op_sel:[1,1] op_sel_hi:[0,1]
	v_pk_add_f32 v[2:3], v[2:3], v[6:7]
	v_pk_fma_f32 v[6:7], v[14:15], v[112:113], v[4:5] neg_lo:[0,0,1] neg_hi:[0,0,1]
	v_pk_fma_f32 v[4:5], v[14:15], v[112:113], v[4:5] op_sel_hi:[1,0,1]
	s_nop 0
	v_mov_b32_e32 v4, v115
	v_mov_b32_e32 v7, v5
	v_pk_mul_f32 v[4:5], v[16:17], v[4:5] op_sel:[1,0] op_sel_hi:[0,0]
	v_pk_add_f32 v[2:3], v[2:3], v[6:7]
	v_pk_fma_f32 v[6:7], v[16:17], v[114:115], v[4:5] neg_lo:[0,0,1] neg_hi:[0,0,1]
	v_pk_fma_f32 v[4:5], v[16:17], v[114:115], v[4:5] op_sel_hi:[1,0,1]
	s_nop 0
	v_mov_b32_e32 v7, v5
	scratch_load_dwordx2 v[4:5], off, off offset:216
	v_pk_add_f32 v[2:3], v[2:3], v[6:7]
	s_waitcnt vmcnt(0)
	v_pk_add_f32 v[2:3], v[4:5], v[2:3] neg_lo:[0,1] neg_hi:[0,1]
	scratch_store_dwordx2 off, v[2:3], off offset:216
	s_and_saveexec_b64 s[0:1], vcc
	s_cbranch_execz .LBB59_321
; %bb.320:
	scratch_load_dwordx2 v[2:3], off, off offset:208
	v_mov_b32_e32 v4, 0
	v_mov_b32_e32 v5, v4
	scratch_store_dwordx2 off, v[4:5], off offset:208
	s_waitcnt vmcnt(1)
	ds_write_b64 v1, v[2:3]
.LBB59_321:
	s_or_b64 exec, exec, s[0:1]
	s_waitcnt lgkmcnt(0)
	; wave barrier
	scratch_load_dwordx4 v[6:9], off, off offset:216
	scratch_load_dwordx4 v[14:17], off, off offset:232
	;; [unrolled: 1-line block ×10, first 2 shown]
	v_mov_b32_e32 v70, 0
	ds_read2_b64 v[2:5], v70 offset0:87 offset1:88
	scratch_load_dwordx4 v[88:91], off, off offset:376
	scratch_load_dwordx4 v[96:99], off, off offset:392
	scratch_load_dwordx4 v[104:107], off, off offset:408
	v_cmp_lt_u32_e32 vcc, 25, v0
	s_waitcnt vmcnt(12) lgkmcnt(0)
	v_mul_f32_e32 v10, v2, v7
	v_fmac_f32_e32 v10, v3, v6
	v_mul_f32_e32 v11, v4, v9
	v_add_f32_e32 v10, 0, v10
	v_fmac_f32_e32 v11, v5, v8
	v_add_f32_e32 v18, v10, v11
	ds_read2_b64 v[10:13], v70 offset0:89 offset1:90
	v_mul_f32_e32 v3, v3, v7
	v_fma_f32 v2, v2, v6, -v3
	v_mul_f32_e32 v3, v5, v9
	v_add_f32_e32 v2, 0, v2
	s_waitcnt vmcnt(11) lgkmcnt(0)
	v_mul_f32_e32 v19, v10, v15
	v_fmac_f32_e32 v19, v11, v14
	v_add_f32_e32 v18, v18, v19
	v_mul_f32_e32 v19, v12, v17
	v_fmac_f32_e32 v19, v13, v16
	v_add_f32_e32 v26, v18, v19
	ds_read2_b64 v[18:21], v70 offset0:91 offset1:92
	v_fma_f32 v3, v4, v8, -v3
	v_add_f32_e32 v2, v2, v3
	v_mul_f32_e32 v3, v11, v15
	v_fma_f32 v3, v10, v14, -v3
	s_waitcnt vmcnt(10) lgkmcnt(0)
	v_mul_f32_e32 v27, v18, v23
	v_fmac_f32_e32 v27, v19, v22
	v_add_f32_e32 v26, v26, v27
	v_mul_f32_e32 v27, v20, v25
	v_fmac_f32_e32 v27, v21, v24
	v_add_f32_e32 v34, v26, v27
	ds_read2_b64 v[26:29], v70 offset0:93 offset1:94
	v_add_f32_e32 v2, v2, v3
	v_mul_f32_e32 v3, v13, v17
	v_fma_f32 v3, v12, v16, -v3
	v_add_f32_e32 v2, v2, v3
	s_waitcnt vmcnt(9) lgkmcnt(0)
	v_mul_f32_e32 v35, v26, v31
	v_fmac_f32_e32 v35, v27, v30
	v_add_f32_e32 v34, v34, v35
	v_mul_f32_e32 v35, v28, v33
	v_fmac_f32_e32 v35, v29, v32
	v_add_f32_e32 v42, v34, v35
	ds_read2_b64 v[34:37], v70 offset0:95 offset1:96
	v_mul_f32_e32 v3, v19, v23
	v_fma_f32 v3, v18, v22, -v3
	v_add_f32_e32 v2, v2, v3
	v_mul_f32_e32 v3, v21, v25
	s_waitcnt vmcnt(8) lgkmcnt(0)
	v_mul_f32_e32 v43, v34, v39
	v_fmac_f32_e32 v43, v35, v38
	v_add_f32_e32 v42, v42, v43
	v_mul_f32_e32 v43, v36, v41
	v_fmac_f32_e32 v43, v37, v40
	v_add_f32_e32 v50, v42, v43
	ds_read2_b64 v[42:45], v70 offset0:97 offset1:98
	v_fma_f32 v3, v20, v24, -v3
	v_add_f32_e32 v2, v2, v3
	v_mul_f32_e32 v3, v27, v31
	v_fma_f32 v3, v26, v30, -v3
	s_waitcnt vmcnt(7) lgkmcnt(0)
	v_mul_f32_e32 v51, v42, v47
	v_fmac_f32_e32 v51, v43, v46
	v_add_f32_e32 v50, v50, v51
	v_mul_f32_e32 v51, v44, v49
	v_fmac_f32_e32 v51, v45, v48
	v_add_f32_e32 v58, v50, v51
	ds_read2_b64 v[50:53], v70 offset0:99 offset1:100
	v_add_f32_e32 v2, v2, v3
	v_mul_f32_e32 v3, v29, v33
	v_fma_f32 v3, v28, v32, -v3
	v_add_f32_e32 v2, v2, v3
	s_waitcnt vmcnt(6) lgkmcnt(0)
	v_mul_f32_e32 v59, v50, v55
	v_fmac_f32_e32 v59, v51, v54
	v_add_f32_e32 v58, v58, v59
	v_mul_f32_e32 v59, v52, v57
	v_fmac_f32_e32 v59, v53, v56
	v_add_f32_e32 v66, v58, v59
	ds_read2_b64 v[58:61], v70 offset0:101 offset1:102
	v_mul_f32_e32 v3, v35, v39
	v_fma_f32 v3, v34, v38, -v3
	v_add_f32_e32 v2, v2, v3
	v_mul_f32_e32 v3, v37, v41
	;; [unrolled: 36-line block ×3, first 2 shown]
	s_waitcnt vmcnt(2) lgkmcnt(0)
	v_mul_f32_e32 v92, v84, v89
	v_fmac_f32_e32 v92, v85, v88
	v_add_f32_e32 v71, v71, v92
	v_mul_f32_e32 v92, v86, v91
	v_fmac_f32_e32 v92, v87, v90
	v_add_f32_e32 v71, v71, v92
	ds_read2_b64 v[92:95], v70 offset0:109 offset1:110
	v_fma_f32 v3, v52, v56, -v3
	v_add_f32_e32 v2, v2, v3
	v_mul_f32_e32 v3, v59, v63
	v_fma_f32 v3, v58, v62, -v3
	s_waitcnt vmcnt(1) lgkmcnt(0)
	v_mul_f32_e32 v100, v92, v97
	v_fmac_f32_e32 v100, v93, v96
	v_add_f32_e32 v121, v71, v100
	ds_read2_b64 v[100:103], v70 offset0:111 offset1:112
	scratch_load_dwordx4 v[108:111], off, off offset:424
	scratch_load_dwordx4 v[112:115], off, off offset:440
	;; [unrolled: 1-line block ×3, first 2 shown]
	scratch_load_dwordx2 v[126:127], off, off offset:472
	v_add_f32_e32 v2, v2, v3
	v_mul_f32_e32 v3, v61, v65
	v_fma_f32 v3, v60, v64, -v3
	v_add_f32_e32 v2, v2, v3
	v_mul_f32_e32 v3, v67, v73
	v_fma_f32 v3, v66, v72, -v3
	v_add_f32_e32 v2, v2, v3
	v_mul_f32_e32 v3, v69, v75
	v_fma_f32 v3, v68, v74, -v3
	v_add_f32_e32 v2, v2, v3
	v_mul_f32_e32 v3, v77, v81
	v_fma_f32 v3, v76, v80, -v3
	v_add_f32_e32 v2, v2, v3
	v_mul_f32_e32 v3, v79, v83
	v_fma_f32 v3, v78, v82, -v3
	v_add_f32_e32 v2, v2, v3
	v_mul_f32_e32 v3, v85, v89
	v_fma_f32 v3, v84, v88, -v3
	v_add_f32_e32 v2, v2, v3
	v_mul_f32_e32 v3, v87, v91
	v_fma_f32 v3, v86, v90, -v3
	v_add_f32_e32 v2, v2, v3
	v_mul_f32_e32 v3, v93, v97
	v_fma_f32 v3, v92, v96, -v3
	v_add_f32_e32 v120, v2, v3
	v_mul_f32_e32 v2, v95, v99
	v_mul_f32_e32 v123, v94, v99
	v_fma_f32 v122, v94, v98, -v2
	s_waitcnt vmcnt(4) lgkmcnt(0)
	v_mul_f32_e32 v2, v101, v105
	v_mov_b32_e32 v18, v107
	v_fmac_f32_e32 v123, v95, v98
	v_mul_f32_e32 v125, v100, v105
	v_fma_f32 v124, v100, v104, -v2
	ds_read2_b64 v[2:5], v70 offset0:113 offset1:114
	ds_read2_b64 v[6:9], v70 offset0:115 offset1:116
	;; [unrolled: 1-line block ×3, first 2 shown]
	ds_read_b64 v[14:15], v70 offset:952
	v_pk_mul_f32 v[18:19], v[102:103], v[18:19] op_sel:[1,0] op_sel_hi:[0,0]
	v_fmac_f32_e32 v125, v101, v104
	v_pk_add_f32 v[16:17], v[120:121], v[122:123]
	v_pk_fma_f32 v[20:21], v[102:103], v[106:107], v[18:19] neg_lo:[0,0,1] neg_hi:[0,0,1]
	v_pk_fma_f32 v[18:19], v[102:103], v[106:107], v[18:19] op_sel_hi:[1,0,1]
	v_pk_add_f32 v[16:17], v[16:17], v[124:125]
	v_mov_b32_e32 v21, v19
	v_pk_add_f32 v[16:17], v[16:17], v[20:21]
	s_waitcnt vmcnt(3) lgkmcnt(3)
	v_pk_mul_f32 v[18:19], v[2:3], v[108:109] op_sel:[1,1] op_sel_hi:[0,1]
	v_pk_fma_f32 v[20:21], v[2:3], v[108:109], v[18:19] neg_lo:[0,0,1] neg_hi:[0,0,1]
	v_pk_fma_f32 v[2:3], v[2:3], v[108:109], v[18:19] op_sel_hi:[1,0,1]
	s_nop 0
	v_mov_b32_e32 v21, v3
	v_pk_add_f32 v[2:3], v[16:17], v[20:21]
	v_mov_b32_e32 v16, v111
	v_pk_mul_f32 v[16:17], v[4:5], v[16:17] op_sel:[1,0] op_sel_hi:[0,0]
	v_pk_fma_f32 v[18:19], v[4:5], v[110:111], v[16:17] neg_lo:[0,0,1] neg_hi:[0,0,1]
	v_pk_fma_f32 v[4:5], v[4:5], v[110:111], v[16:17] op_sel_hi:[1,0,1]
	s_nop 0
	v_mov_b32_e32 v19, v5
	s_waitcnt vmcnt(2) lgkmcnt(2)
	v_pk_mul_f32 v[4:5], v[6:7], v[112:113] op_sel:[1,1] op_sel_hi:[0,1]
	v_pk_fma_f32 v[16:17], v[6:7], v[112:113], v[4:5] neg_lo:[0,0,1] neg_hi:[0,0,1]
	v_pk_fma_f32 v[4:5], v[6:7], v[112:113], v[4:5] op_sel_hi:[1,0,1]
	v_pk_add_f32 v[2:3], v[2:3], v[18:19]
	v_mov_b32_e32 v4, v115
	v_mov_b32_e32 v17, v5
	v_pk_mul_f32 v[4:5], v[8:9], v[4:5] op_sel:[1,0] op_sel_hi:[0,0]
	v_pk_fma_f32 v[6:7], v[8:9], v[114:115], v[4:5] neg_lo:[0,0,1] neg_hi:[0,0,1]
	v_pk_fma_f32 v[4:5], v[8:9], v[114:115], v[4:5] op_sel_hi:[1,0,1]
	v_pk_add_f32 v[2:3], v[2:3], v[16:17]
	v_mov_b32_e32 v7, v5
	s_waitcnt vmcnt(1) lgkmcnt(1)
	v_pk_mul_f32 v[4:5], v[10:11], v[116:117] op_sel:[1,1] op_sel_hi:[0,1]
	v_pk_add_f32 v[2:3], v[2:3], v[6:7]
	v_pk_fma_f32 v[6:7], v[10:11], v[116:117], v[4:5] neg_lo:[0,0,1] neg_hi:[0,0,1]
	v_pk_fma_f32 v[4:5], v[10:11], v[116:117], v[4:5] op_sel_hi:[1,0,1]
	s_nop 0
	v_mov_b32_e32 v4, v119
	v_mov_b32_e32 v7, v5
	v_pk_mul_f32 v[4:5], v[12:13], v[4:5] op_sel:[1,0] op_sel_hi:[0,0]
	v_pk_add_f32 v[2:3], v[2:3], v[6:7]
	v_pk_fma_f32 v[6:7], v[12:13], v[118:119], v[4:5] neg_lo:[0,0,1] neg_hi:[0,0,1]
	v_pk_fma_f32 v[4:5], v[12:13], v[118:119], v[4:5] op_sel_hi:[1,0,1]
	s_nop 0
	v_mov_b32_e32 v7, v5
	s_waitcnt vmcnt(0) lgkmcnt(0)
	v_pk_mul_f32 v[4:5], v[14:15], v[126:127] op_sel:[1,1] op_sel_hi:[0,1]
	v_pk_add_f32 v[2:3], v[2:3], v[6:7]
	v_pk_fma_f32 v[6:7], v[14:15], v[126:127], v[4:5] neg_lo:[0,0,1] neg_hi:[0,0,1]
	v_pk_fma_f32 v[4:5], v[14:15], v[126:127], v[4:5] op_sel_hi:[1,0,1]
	s_nop 0
	v_mov_b32_e32 v7, v5
	scratch_load_dwordx2 v[4:5], off, off offset:208
	v_pk_add_f32 v[2:3], v[2:3], v[6:7]
	s_waitcnt vmcnt(0)
	v_pk_add_f32 v[2:3], v[4:5], v[2:3] neg_lo:[0,1] neg_hi:[0,1]
	scratch_store_dwordx2 off, v[2:3], off offset:208
	s_and_saveexec_b64 s[0:1], vcc
	s_cbranch_execz .LBB59_323
; %bb.322:
	scratch_load_dwordx2 v[2:3], off, off offset:200
	v_mov_b32_e32 v71, v70
	scratch_store_dwordx2 off, v[70:71], off offset:200
	s_waitcnt vmcnt(1)
	ds_write_b64 v1, v[2:3]
.LBB59_323:
	s_or_b64 exec, exec, s[0:1]
	s_waitcnt lgkmcnt(0)
	; wave barrier
	ds_read_b128 v[14:17], v70 offset:688
	ds_read_b128 v[10:13], v70 offset:704
	ds_read_b128 v[6:9], v70 offset:720
	ds_read_b128 v[2:5], v70 offset:736
	scratch_load_dwordx4 v[18:21], off, off offset:208
	scratch_load_dwordx4 v[34:37], off, off offset:256
	;; [unrolled: 1-line block ×8, first 2 shown]
	ds_read_b128 v[38:41], v70 offset:752
	ds_read_b128 v[54:57], v70 offset:768
	;; [unrolled: 1-line block ×8, first 2 shown]
	scratch_load_dwordx4 v[126:129], off, off offset:400
	ds_read_b128 v[122:125], v70 offset:880
	v_cmp_lt_u32_e32 vcc, 24, v0
	scratch_load_dwordx4 v[50:53], off, off offset:272
	scratch_load_dwordx4 v[62:65], off, off offset:288
	s_waitcnt vmcnt(10) lgkmcnt(12)
	v_mul_f32_e32 v22, v14, v19
	v_fmac_f32_e32 v22, v15, v18
	v_mul_f32_e32 v23, v16, v21
	v_add_f32_e32 v22, 0, v22
	v_fmac_f32_e32 v23, v17, v20
	v_add_f32_e32 v26, v22, v23
	scratch_load_dwordx4 v[22:25], off, off offset:224
	v_mul_f32_e32 v15, v15, v19
	v_fma_f32 v14, v14, v18, -v15
	v_mul_f32_e32 v15, v17, v21
	v_add_f32_e32 v14, 0, v14
	v_fma_f32 v15, v16, v20, -v15
	v_add_f32_e32 v14, v14, v15
	s_waitcnt vmcnt(3) lgkmcnt(0)
	v_mul_f32_e32 v75, v122, v127
	v_fmac_f32_e32 v75, v123, v126
	v_mul_f32_e32 v77, v124, v129
	v_fmac_f32_e32 v77, v125, v128
	s_waitcnt vmcnt(0)
	v_mul_f32_e32 v27, v10, v23
	v_fmac_f32_e32 v27, v11, v22
	v_add_f32_e32 v26, v26, v27
	v_mul_f32_e32 v27, v12, v25
	v_fmac_f32_e32 v27, v13, v24
	v_add_f32_e32 v30, v26, v27
	scratch_load_dwordx4 v[26:29], off, off offset:240
	v_mul_f32_e32 v11, v11, v23
	v_fma_f32 v10, v10, v22, -v11
	v_mul_f32_e32 v11, v13, v25
	v_add_f32_e32 v10, v14, v10
	v_fma_f32 v11, v12, v24, -v11
	v_add_f32_e32 v10, v10, v11
	s_waitcnt vmcnt(0)
	v_mul_f32_e32 v31, v6, v27
	v_fmac_f32_e32 v31, v7, v26
	v_add_f32_e32 v30, v30, v31
	v_mul_f32_e32 v31, v8, v29
	v_fmac_f32_e32 v31, v9, v28
	v_add_f32_e32 v30, v30, v31
	;; [unrolled: 3-line block ×20, first 2 shown]
	scratch_load_dwordx4 v[58:61], off, off offset:416
	scratch_load_dwordx4 v[46:49], off, off offset:432
	;; [unrolled: 1-line block ×4, first 2 shown]
	v_mul_f32_e32 v7, v7, v27
	v_fma_f32 v6, v6, v26, -v7
	v_mul_f32_e32 v7, v9, v29
	v_add_f32_e32 v6, v10, v6
	v_fma_f32 v7, v8, v28, -v7
	v_mul_f32_e32 v3, v3, v35
	v_add_f32_e32 v6, v6, v7
	;; [unrolled: 3-line block ×3, first 2 shown]
	v_fma_f32 v3, v4, v36, -v3
	v_add_f32_e32 v2, v2, v3
	v_mul_f32_e32 v3, v39, v51
	v_fma_f32 v3, v38, v50, -v3
	v_add_f32_e32 v2, v2, v3
	v_mul_f32_e32 v3, v41, v53
	;; [unrolled: 3-line block ×17, first 2 shown]
	v_fma_f32 v74, v122, v126, -v2
	v_mul_f32_e32 v2, v125, v129
	v_fma_f32 v76, v124, v128, -v2
	ds_read_b128 v[2:5], v70 offset:896
	ds_read_b128 v[6:9], v70 offset:912
	;; [unrolled: 1-line block ×4, first 2 shown]
	v_pk_add_f32 v[18:19], v[72:73], v[74:75]
	s_waitcnt vmcnt(3) lgkmcnt(3)
	v_pk_mul_f32 v[20:21], v[2:3], v[58:59] op_sel:[1,1] op_sel_hi:[0,1]
	v_pk_fma_f32 v[22:23], v[2:3], v[58:59], v[20:21] neg_lo:[0,0,1] neg_hi:[0,0,1]
	v_pk_fma_f32 v[2:3], v[2:3], v[58:59], v[20:21] op_sel_hi:[1,0,1]
	v_pk_add_f32 v[18:19], v[18:19], v[76:77]
	v_mov_b32_e32 v23, v3
	v_pk_add_f32 v[2:3], v[18:19], v[22:23]
	v_mov_b32_e32 v18, v61
	v_pk_mul_f32 v[18:19], v[4:5], v[18:19] op_sel:[1,0] op_sel_hi:[0,0]
	v_pk_fma_f32 v[20:21], v[4:5], v[60:61], v[18:19] neg_lo:[0,0,1] neg_hi:[0,0,1]
	v_pk_fma_f32 v[4:5], v[4:5], v[60:61], v[18:19] op_sel_hi:[1,0,1]
	s_nop 0
	v_mov_b32_e32 v21, v5
	s_waitcnt vmcnt(2) lgkmcnt(2)
	v_pk_mul_f32 v[4:5], v[6:7], v[46:47] op_sel:[1,1] op_sel_hi:[0,1]
	v_pk_fma_f32 v[18:19], v[6:7], v[46:47], v[4:5] neg_lo:[0,0,1] neg_hi:[0,0,1]
	v_pk_fma_f32 v[4:5], v[6:7], v[46:47], v[4:5] op_sel_hi:[1,0,1]
	v_pk_add_f32 v[2:3], v[2:3], v[20:21]
	v_mov_b32_e32 v4, v49
	v_mov_b32_e32 v19, v5
	v_pk_mul_f32 v[4:5], v[8:9], v[4:5] op_sel:[1,0] op_sel_hi:[0,0]
	v_pk_fma_f32 v[6:7], v[8:9], v[48:49], v[4:5] neg_lo:[0,0,1] neg_hi:[0,0,1]
	v_pk_fma_f32 v[4:5], v[8:9], v[48:49], v[4:5] op_sel_hi:[1,0,1]
	v_pk_add_f32 v[2:3], v[2:3], v[18:19]
	v_mov_b32_e32 v7, v5
	s_waitcnt vmcnt(1) lgkmcnt(1)
	v_pk_mul_f32 v[4:5], v[10:11], v[42:43] op_sel:[1,1] op_sel_hi:[0,1]
	v_pk_add_f32 v[2:3], v[2:3], v[6:7]
	v_pk_fma_f32 v[6:7], v[10:11], v[42:43], v[4:5] neg_lo:[0,0,1] neg_hi:[0,0,1]
	v_pk_fma_f32 v[4:5], v[10:11], v[42:43], v[4:5] op_sel_hi:[1,0,1]
	s_nop 0
	v_mov_b32_e32 v4, v45
	v_mov_b32_e32 v7, v5
	v_pk_mul_f32 v[4:5], v[12:13], v[4:5] op_sel:[1,0] op_sel_hi:[0,0]
	v_pk_add_f32 v[2:3], v[2:3], v[6:7]
	v_pk_fma_f32 v[6:7], v[12:13], v[44:45], v[4:5] neg_lo:[0,0,1] neg_hi:[0,0,1]
	v_pk_fma_f32 v[4:5], v[12:13], v[44:45], v[4:5] op_sel_hi:[1,0,1]
	s_nop 0
	v_mov_b32_e32 v7, v5
	s_waitcnt vmcnt(0) lgkmcnt(0)
	v_pk_mul_f32 v[4:5], v[14:15], v[30:31] op_sel:[1,1] op_sel_hi:[0,1]
	v_pk_add_f32 v[2:3], v[2:3], v[6:7]
	v_pk_fma_f32 v[6:7], v[14:15], v[30:31], v[4:5] neg_lo:[0,0,1] neg_hi:[0,0,1]
	v_pk_fma_f32 v[4:5], v[14:15], v[30:31], v[4:5] op_sel_hi:[1,0,1]
	s_nop 0
	v_mov_b32_e32 v4, v33
	v_mov_b32_e32 v7, v5
	v_pk_mul_f32 v[4:5], v[16:17], v[4:5] op_sel:[1,0] op_sel_hi:[0,0]
	v_pk_add_f32 v[2:3], v[2:3], v[6:7]
	v_pk_fma_f32 v[6:7], v[16:17], v[32:33], v[4:5] neg_lo:[0,0,1] neg_hi:[0,0,1]
	v_pk_fma_f32 v[4:5], v[16:17], v[32:33], v[4:5] op_sel_hi:[1,0,1]
	s_nop 0
	v_mov_b32_e32 v7, v5
	scratch_load_dwordx2 v[4:5], off, off offset:200
	v_pk_add_f32 v[2:3], v[2:3], v[6:7]
	s_waitcnt vmcnt(0)
	v_pk_add_f32 v[2:3], v[4:5], v[2:3] neg_lo:[0,1] neg_hi:[0,1]
	scratch_store_dwordx2 off, v[2:3], off offset:200
	s_and_saveexec_b64 s[0:1], vcc
	s_cbranch_execz .LBB59_325
; %bb.324:
	scratch_load_dwordx2 v[2:3], off, off offset:192
	v_mov_b32_e32 v4, 0
	v_mov_b32_e32 v5, v4
	scratch_store_dwordx2 off, v[4:5], off offset:192
	s_waitcnt vmcnt(1)
	ds_write_b64 v1, v[2:3]
.LBB59_325:
	s_or_b64 exec, exec, s[0:1]
	s_waitcnt lgkmcnt(0)
	; wave barrier
	scratch_load_dwordx4 v[6:9], off, off offset:200
	scratch_load_dwordx4 v[14:17], off, off offset:216
	;; [unrolled: 1-line block ×10, first 2 shown]
	v_mov_b32_e32 v70, 0
	ds_read2_b64 v[2:5], v70 offset0:85 offset1:86
	scratch_load_dwordx4 v[88:91], off, off offset:360
	scratch_load_dwordx4 v[96:99], off, off offset:376
	;; [unrolled: 1-line block ×4, first 2 shown]
	v_cmp_lt_u32_e32 vcc, 23, v0
	s_waitcnt vmcnt(13) lgkmcnt(0)
	v_mul_f32_e32 v10, v2, v7
	v_fmac_f32_e32 v10, v3, v6
	v_mul_f32_e32 v11, v4, v9
	v_add_f32_e32 v10, 0, v10
	v_fmac_f32_e32 v11, v5, v8
	v_add_f32_e32 v18, v10, v11
	ds_read2_b64 v[10:13], v70 offset0:87 offset1:88
	v_mul_f32_e32 v3, v3, v7
	v_fma_f32 v2, v2, v6, -v3
	v_mul_f32_e32 v3, v5, v9
	v_add_f32_e32 v2, 0, v2
	s_waitcnt vmcnt(12) lgkmcnt(0)
	v_mul_f32_e32 v19, v10, v15
	v_fmac_f32_e32 v19, v11, v14
	v_add_f32_e32 v18, v18, v19
	v_mul_f32_e32 v19, v12, v17
	v_fmac_f32_e32 v19, v13, v16
	v_add_f32_e32 v26, v18, v19
	ds_read2_b64 v[18:21], v70 offset0:89 offset1:90
	v_fma_f32 v3, v4, v8, -v3
	v_add_f32_e32 v2, v2, v3
	v_mul_f32_e32 v3, v11, v15
	v_fma_f32 v3, v10, v14, -v3
	s_waitcnt vmcnt(11) lgkmcnt(0)
	v_mul_f32_e32 v27, v18, v23
	v_fmac_f32_e32 v27, v19, v22
	v_add_f32_e32 v26, v26, v27
	v_mul_f32_e32 v27, v20, v25
	v_fmac_f32_e32 v27, v21, v24
	v_add_f32_e32 v34, v26, v27
	ds_read2_b64 v[26:29], v70 offset0:91 offset1:92
	v_add_f32_e32 v2, v2, v3
	v_mul_f32_e32 v3, v13, v17
	v_fma_f32 v3, v12, v16, -v3
	v_add_f32_e32 v2, v2, v3
	s_waitcnt vmcnt(10) lgkmcnt(0)
	v_mul_f32_e32 v35, v26, v31
	v_fmac_f32_e32 v35, v27, v30
	v_add_f32_e32 v34, v34, v35
	v_mul_f32_e32 v35, v28, v33
	v_fmac_f32_e32 v35, v29, v32
	v_add_f32_e32 v42, v34, v35
	ds_read2_b64 v[34:37], v70 offset0:93 offset1:94
	v_mul_f32_e32 v3, v19, v23
	v_fma_f32 v3, v18, v22, -v3
	v_add_f32_e32 v2, v2, v3
	v_mul_f32_e32 v3, v21, v25
	s_waitcnt vmcnt(9) lgkmcnt(0)
	v_mul_f32_e32 v43, v34, v39
	v_fmac_f32_e32 v43, v35, v38
	v_add_f32_e32 v42, v42, v43
	v_mul_f32_e32 v43, v36, v41
	v_fmac_f32_e32 v43, v37, v40
	v_add_f32_e32 v50, v42, v43
	ds_read2_b64 v[42:45], v70 offset0:95 offset1:96
	v_fma_f32 v3, v20, v24, -v3
	v_add_f32_e32 v2, v2, v3
	v_mul_f32_e32 v3, v27, v31
	v_fma_f32 v3, v26, v30, -v3
	s_waitcnt vmcnt(8) lgkmcnt(0)
	v_mul_f32_e32 v51, v42, v47
	v_fmac_f32_e32 v51, v43, v46
	v_add_f32_e32 v50, v50, v51
	v_mul_f32_e32 v51, v44, v49
	v_fmac_f32_e32 v51, v45, v48
	v_add_f32_e32 v58, v50, v51
	ds_read2_b64 v[50:53], v70 offset0:97 offset1:98
	v_add_f32_e32 v2, v2, v3
	v_mul_f32_e32 v3, v29, v33
	v_fma_f32 v3, v28, v32, -v3
	v_add_f32_e32 v2, v2, v3
	s_waitcnt vmcnt(7) lgkmcnt(0)
	v_mul_f32_e32 v59, v50, v55
	v_fmac_f32_e32 v59, v51, v54
	v_add_f32_e32 v58, v58, v59
	v_mul_f32_e32 v59, v52, v57
	v_fmac_f32_e32 v59, v53, v56
	v_add_f32_e32 v66, v58, v59
	ds_read2_b64 v[58:61], v70 offset0:99 offset1:100
	v_mul_f32_e32 v3, v35, v39
	v_fma_f32 v3, v34, v38, -v3
	v_add_f32_e32 v2, v2, v3
	v_mul_f32_e32 v3, v37, v41
	;; [unrolled: 36-line block ×3, first 2 shown]
	s_waitcnt vmcnt(3) lgkmcnt(0)
	v_mul_f32_e32 v92, v84, v89
	v_fmac_f32_e32 v92, v85, v88
	v_add_f32_e32 v71, v71, v92
	v_mul_f32_e32 v92, v86, v91
	v_fmac_f32_e32 v92, v87, v90
	v_add_f32_e32 v71, v71, v92
	ds_read2_b64 v[92:95], v70 offset0:107 offset1:108
	v_fma_f32 v3, v52, v56, -v3
	v_add_f32_e32 v2, v2, v3
	v_mul_f32_e32 v3, v59, v63
	v_fma_f32 v3, v58, v62, -v3
	s_waitcnt vmcnt(2) lgkmcnt(0)
	v_mul_f32_e32 v100, v92, v97
	v_fmac_f32_e32 v100, v93, v96
	v_add_f32_e32 v71, v71, v100
	v_mul_f32_e32 v100, v94, v99
	v_fmac_f32_e32 v100, v95, v98
	v_add_f32_e32 v71, v71, v100
	ds_read2_b64 v[100:103], v70 offset0:109 offset1:110
	v_add_f32_e32 v2, v2, v3
	v_mul_f32_e32 v3, v61, v65
	v_fma_f32 v3, v60, v64, -v3
	v_add_f32_e32 v2, v2, v3
	s_waitcnt vmcnt(1) lgkmcnt(0)
	v_mul_f32_e32 v108, v100, v105
	v_fmac_f32_e32 v108, v101, v104
	v_add_f32_e32 v129, v71, v108
	ds_read2_b64 v[108:111], v70 offset0:111 offset1:112
	scratch_load_dwordx4 v[116:119], off, off offset:424
	scratch_load_dwordx4 v[120:123], off, off offset:440
	;; [unrolled: 1-line block ×3, first 2 shown]
	scratch_load_dwordx2 v[134:135], off, off offset:472
	v_mul_f32_e32 v3, v67, v73
	v_fma_f32 v3, v66, v72, -v3
	v_add_f32_e32 v2, v2, v3
	v_mul_f32_e32 v3, v69, v75
	v_fma_f32 v3, v68, v74, -v3
	v_add_f32_e32 v2, v2, v3
	;; [unrolled: 3-line block ×9, first 2 shown]
	v_mul_f32_e32 v2, v103, v107
	v_mul_f32_e32 v131, v102, v107
	v_fma_f32 v130, v102, v106, -v2
	s_waitcnt vmcnt(4) lgkmcnt(0)
	v_mul_f32_e32 v2, v109, v113
	v_mov_b32_e32 v18, v115
	v_fmac_f32_e32 v131, v103, v106
	v_mul_f32_e32 v133, v108, v113
	v_fma_f32 v132, v108, v112, -v2
	ds_read2_b64 v[2:5], v70 offset0:113 offset1:114
	ds_read2_b64 v[6:9], v70 offset0:115 offset1:116
	;; [unrolled: 1-line block ×3, first 2 shown]
	ds_read_b64 v[14:15], v70 offset:952
	v_pk_mul_f32 v[18:19], v[110:111], v[18:19] op_sel:[1,0] op_sel_hi:[0,0]
	v_fmac_f32_e32 v133, v109, v112
	v_pk_add_f32 v[16:17], v[128:129], v[130:131]
	v_pk_fma_f32 v[20:21], v[110:111], v[114:115], v[18:19] neg_lo:[0,0,1] neg_hi:[0,0,1]
	v_pk_fma_f32 v[18:19], v[110:111], v[114:115], v[18:19] op_sel_hi:[1,0,1]
	v_pk_add_f32 v[16:17], v[16:17], v[132:133]
	v_mov_b32_e32 v21, v19
	v_pk_add_f32 v[16:17], v[16:17], v[20:21]
	s_waitcnt vmcnt(3) lgkmcnt(3)
	v_pk_mul_f32 v[18:19], v[2:3], v[116:117] op_sel:[1,1] op_sel_hi:[0,1]
	v_pk_fma_f32 v[20:21], v[2:3], v[116:117], v[18:19] neg_lo:[0,0,1] neg_hi:[0,0,1]
	v_pk_fma_f32 v[2:3], v[2:3], v[116:117], v[18:19] op_sel_hi:[1,0,1]
	s_nop 0
	v_mov_b32_e32 v21, v3
	v_pk_add_f32 v[2:3], v[16:17], v[20:21]
	v_mov_b32_e32 v16, v119
	v_pk_mul_f32 v[16:17], v[4:5], v[16:17] op_sel:[1,0] op_sel_hi:[0,0]
	v_pk_fma_f32 v[18:19], v[4:5], v[118:119], v[16:17] neg_lo:[0,0,1] neg_hi:[0,0,1]
	v_pk_fma_f32 v[4:5], v[4:5], v[118:119], v[16:17] op_sel_hi:[1,0,1]
	s_nop 0
	v_mov_b32_e32 v19, v5
	s_waitcnt vmcnt(2) lgkmcnt(2)
	v_pk_mul_f32 v[4:5], v[6:7], v[120:121] op_sel:[1,1] op_sel_hi:[0,1]
	v_pk_fma_f32 v[16:17], v[6:7], v[120:121], v[4:5] neg_lo:[0,0,1] neg_hi:[0,0,1]
	v_pk_fma_f32 v[4:5], v[6:7], v[120:121], v[4:5] op_sel_hi:[1,0,1]
	v_pk_add_f32 v[2:3], v[2:3], v[18:19]
	v_mov_b32_e32 v4, v123
	v_mov_b32_e32 v17, v5
	v_pk_mul_f32 v[4:5], v[8:9], v[4:5] op_sel:[1,0] op_sel_hi:[0,0]
	v_pk_fma_f32 v[6:7], v[8:9], v[122:123], v[4:5] neg_lo:[0,0,1] neg_hi:[0,0,1]
	v_pk_fma_f32 v[4:5], v[8:9], v[122:123], v[4:5] op_sel_hi:[1,0,1]
	v_pk_add_f32 v[2:3], v[2:3], v[16:17]
	v_mov_b32_e32 v7, v5
	s_waitcnt vmcnt(1) lgkmcnt(1)
	v_pk_mul_f32 v[4:5], v[10:11], v[124:125] op_sel:[1,1] op_sel_hi:[0,1]
	v_pk_add_f32 v[2:3], v[2:3], v[6:7]
	v_pk_fma_f32 v[6:7], v[10:11], v[124:125], v[4:5] neg_lo:[0,0,1] neg_hi:[0,0,1]
	v_pk_fma_f32 v[4:5], v[10:11], v[124:125], v[4:5] op_sel_hi:[1,0,1]
	s_nop 0
	v_mov_b32_e32 v4, v127
	v_mov_b32_e32 v7, v5
	v_pk_mul_f32 v[4:5], v[12:13], v[4:5] op_sel:[1,0] op_sel_hi:[0,0]
	v_pk_add_f32 v[2:3], v[2:3], v[6:7]
	v_pk_fma_f32 v[6:7], v[12:13], v[126:127], v[4:5] neg_lo:[0,0,1] neg_hi:[0,0,1]
	v_pk_fma_f32 v[4:5], v[12:13], v[126:127], v[4:5] op_sel_hi:[1,0,1]
	s_nop 0
	v_mov_b32_e32 v7, v5
	s_waitcnt vmcnt(0) lgkmcnt(0)
	v_pk_mul_f32 v[4:5], v[14:15], v[134:135] op_sel:[1,1] op_sel_hi:[0,1]
	v_pk_add_f32 v[2:3], v[2:3], v[6:7]
	v_pk_fma_f32 v[6:7], v[14:15], v[134:135], v[4:5] neg_lo:[0,0,1] neg_hi:[0,0,1]
	v_pk_fma_f32 v[4:5], v[14:15], v[134:135], v[4:5] op_sel_hi:[1,0,1]
	s_nop 0
	v_mov_b32_e32 v7, v5
	scratch_load_dwordx2 v[4:5], off, off offset:192
	v_pk_add_f32 v[2:3], v[2:3], v[6:7]
	s_waitcnt vmcnt(0)
	v_pk_add_f32 v[2:3], v[4:5], v[2:3] neg_lo:[0,1] neg_hi:[0,1]
	scratch_store_dwordx2 off, v[2:3], off offset:192
	s_and_saveexec_b64 s[0:1], vcc
	s_cbranch_execz .LBB59_327
; %bb.326:
	scratch_load_dwordx2 v[2:3], off, off offset:184
	v_mov_b32_e32 v71, v70
	scratch_store_dwordx2 off, v[70:71], off offset:184
	s_waitcnt vmcnt(1)
	ds_write_b64 v1, v[2:3]
.LBB59_327:
	s_or_b64 exec, exec, s[0:1]
	s_waitcnt lgkmcnt(0)
	; wave barrier
	ds_read_b128 v[14:17], v70 offset:672
	ds_read_b128 v[10:13], v70 offset:688
	ds_read_b128 v[6:9], v70 offset:704
	ds_read_b128 v[2:5], v70 offset:720
	scratch_load_dwordx4 v[18:21], off, off offset:192
	scratch_load_dwordx4 v[38:41], off, off offset:256
	;; [unrolled: 1-line block ×8, first 2 shown]
	v_cmp_lt_u32_e32 vcc, 22, v0
	scratch_load_dwordx4 v[46:49], off, off offset:272
	scratch_load_dwordx4 v[54:57], off, off offset:288
	;; [unrolled: 1-line block ×3, first 2 shown]
	s_waitcnt vmcnt(10) lgkmcnt(3)
	v_mul_f32_e32 v22, v14, v19
	v_fmac_f32_e32 v22, v15, v18
	v_mul_f32_e32 v23, v16, v21
	v_add_f32_e32 v22, 0, v22
	v_fmac_f32_e32 v23, v17, v20
	v_add_f32_e32 v26, v22, v23
	scratch_load_dwordx4 v[22:25], off, off offset:208
	v_mul_f32_e32 v15, v15, v19
	v_fma_f32 v14, v14, v18, -v15
	v_mul_f32_e32 v15, v17, v21
	v_add_f32_e32 v14, 0, v14
	v_fma_f32 v15, v16, v20, -v15
	v_add_f32_e32 v14, v14, v15
	s_waitcnt vmcnt(0) lgkmcnt(2)
	v_mul_f32_e32 v27, v10, v23
	v_fmac_f32_e32 v27, v11, v22
	v_add_f32_e32 v26, v26, v27
	v_mul_f32_e32 v27, v12, v25
	v_fmac_f32_e32 v27, v13, v24
	v_add_f32_e32 v30, v26, v27
	scratch_load_dwordx4 v[26:29], off, off offset:224
	v_mul_f32_e32 v11, v11, v23
	v_fma_f32 v10, v10, v22, -v11
	v_mul_f32_e32 v11, v13, v25
	v_add_f32_e32 v10, v14, v10
	v_fma_f32 v11, v12, v24, -v11
	v_add_f32_e32 v10, v10, v11
	s_waitcnt vmcnt(0) lgkmcnt(1)
	v_mul_f32_e32 v31, v6, v27
	v_fmac_f32_e32 v31, v7, v26
	v_add_f32_e32 v30, v30, v31
	v_mul_f32_e32 v31, v8, v29
	;; [unrolled: 14-line block ×3, first 2 shown]
	v_fmac_f32_e32 v35, v5, v32
	v_add_f32_e32 v42, v34, v35
	ds_read_b128 v[34:37], v70 offset:736
	v_mul_f32_e32 v3, v3, v31
	v_fma_f32 v2, v2, v30, -v3
	v_mul_f32_e32 v3, v5, v33
	v_add_f32_e32 v2, v6, v2
	s_waitcnt lgkmcnt(0)
	v_mul_f32_e32 v43, v34, v39
	v_fmac_f32_e32 v43, v35, v38
	v_add_f32_e32 v42, v42, v43
	v_mul_f32_e32 v43, v36, v41
	v_fmac_f32_e32 v43, v37, v40
	v_add_f32_e32 v50, v42, v43
	ds_read_b128 v[42:45], v70 offset:752
	v_fma_f32 v3, v4, v32, -v3
	v_add_f32_e32 v2, v2, v3
	v_mul_f32_e32 v3, v35, v39
	v_fma_f32 v3, v34, v38, -v3
	s_waitcnt lgkmcnt(0)
	v_mul_f32_e32 v51, v42, v47
	v_fmac_f32_e32 v51, v43, v46
	v_add_f32_e32 v50, v50, v51
	v_mul_f32_e32 v51, v44, v49
	v_fmac_f32_e32 v51, v45, v48
	v_add_f32_e32 v58, v50, v51
	ds_read_b128 v[50:53], v70 offset:768
	v_add_f32_e32 v2, v2, v3
	v_mul_f32_e32 v3, v37, v41
	v_fma_f32 v3, v36, v40, -v3
	v_add_f32_e32 v2, v2, v3
	s_waitcnt lgkmcnt(0)
	v_mul_f32_e32 v59, v50, v55
	v_fmac_f32_e32 v59, v51, v54
	v_add_f32_e32 v58, v58, v59
	v_mul_f32_e32 v59, v52, v57
	v_fmac_f32_e32 v59, v53, v56
	v_add_f32_e32 v66, v58, v59
	ds_read_b128 v[58:61], v70 offset:784
	v_mul_f32_e32 v3, v43, v47
	v_fma_f32 v3, v42, v46, -v3
	v_add_f32_e32 v2, v2, v3
	v_mul_f32_e32 v3, v45, v49
	s_waitcnt lgkmcnt(0)
	v_mul_f32_e32 v67, v58, v63
	v_fmac_f32_e32 v67, v59, v62
	v_add_f32_e32 v66, v66, v67
	v_mul_f32_e32 v67, v60, v65
	v_fmac_f32_e32 v67, v61, v64
	v_add_f32_e32 v71, v66, v67
	ds_read_b128 v[66:69], v70 offset:800
	v_fma_f32 v3, v44, v48, -v3
	v_add_f32_e32 v2, v2, v3
	v_mul_f32_e32 v3, v51, v55
	v_fma_f32 v3, v50, v54, -v3
	s_waitcnt lgkmcnt(0)
	v_mul_f32_e32 v76, v66, v73
	v_fmac_f32_e32 v76, v67, v72
	v_add_f32_e32 v71, v71, v76
	v_mul_f32_e32 v76, v68, v75
	v_fmac_f32_e32 v76, v69, v74
	v_add_f32_e32 v71, v71, v76
	ds_read_b128 v[76:79], v70 offset:816
	v_add_f32_e32 v2, v2, v3
	v_mul_f32_e32 v3, v53, v57
	v_fma_f32 v3, v52, v56, -v3
	v_add_f32_e32 v2, v2, v3
	s_waitcnt lgkmcnt(0)
	v_mul_f32_e32 v84, v76, v81
	v_fmac_f32_e32 v84, v77, v80
	v_add_f32_e32 v71, v71, v84
	v_mul_f32_e32 v84, v78, v83
	v_fmac_f32_e32 v84, v79, v82
	v_add_f32_e32 v71, v71, v84
	ds_read_b128 v[84:87], v70 offset:832
	v_mul_f32_e32 v3, v59, v63
	v_fma_f32 v3, v58, v62, -v3
	v_add_f32_e32 v2, v2, v3
	v_mul_f32_e32 v3, v61, v65
	s_waitcnt lgkmcnt(0)
	v_mul_f32_e32 v92, v84, v89
	v_fmac_f32_e32 v92, v85, v88
	v_add_f32_e32 v71, v71, v92
	v_mul_f32_e32 v92, v86, v91
	v_fmac_f32_e32 v92, v87, v90
	v_add_f32_e32 v71, v71, v92
	ds_read_b128 v[92:95], v70 offset:848
	v_fma_f32 v3, v60, v64, -v3
	v_add_f32_e32 v2, v2, v3
	v_mul_f32_e32 v3, v67, v73
	v_fma_f32 v3, v66, v72, -v3
	s_waitcnt lgkmcnt(0)
	v_mul_f32_e32 v100, v92, v97
	v_fmac_f32_e32 v100, v93, v96
	v_add_f32_e32 v71, v71, v100
	v_mul_f32_e32 v100, v94, v99
	v_fmac_f32_e32 v100, v95, v98
	v_add_f32_e32 v71, v71, v100
	ds_read_b128 v[100:103], v70 offset:864
	v_add_f32_e32 v2, v2, v3
	v_mul_f32_e32 v3, v69, v75
	v_fma_f32 v3, v68, v74, -v3
	v_add_f32_e32 v2, v2, v3
	s_waitcnt lgkmcnt(0)
	v_mul_f32_e32 v108, v100, v105
	v_fmac_f32_e32 v108, v101, v104
	v_add_f32_e32 v71, v71, v108
	v_mul_f32_e32 v108, v102, v107
	v_fmac_f32_e32 v108, v103, v106
	v_add_f32_e32 v133, v71, v108
	ds_read_b128 v[108:111], v70 offset:880
	scratch_load_dwordx4 v[116:119], off, off offset:416
	scratch_load_dwordx4 v[120:123], off, off offset:432
	;; [unrolled: 1-line block ×4, first 2 shown]
	v_mul_f32_e32 v3, v77, v81
	v_fma_f32 v3, v76, v80, -v3
	v_add_f32_e32 v2, v2, v3
	v_mul_f32_e32 v3, v79, v83
	v_fma_f32 v3, v78, v82, -v3
	v_add_f32_e32 v2, v2, v3
	v_mul_f32_e32 v3, v85, v89
	v_fma_f32 v3, v84, v88, -v3
	v_add_f32_e32 v2, v2, v3
	v_mul_f32_e32 v3, v87, v91
	v_fma_f32 v3, v86, v90, -v3
	v_add_f32_e32 v2, v2, v3
	v_mul_f32_e32 v3, v93, v97
	v_fma_f32 v3, v92, v96, -v3
	v_add_f32_e32 v2, v2, v3
	v_mul_f32_e32 v3, v95, v99
	v_fma_f32 v3, v94, v98, -v3
	v_add_f32_e32 v2, v2, v3
	v_mul_f32_e32 v3, v101, v105
	v_fma_f32 v3, v100, v104, -v3
	v_add_f32_e32 v2, v2, v3
	v_mul_f32_e32 v3, v103, v107
	v_fma_f32 v3, v102, v106, -v3
	v_add_f32_e32 v132, v2, v3
	s_waitcnt lgkmcnt(0)
	v_mul_f32_e32 v2, v109, v113
	v_fma_f32 v134, v108, v112, -v2
	v_mul_f32_e32 v2, v111, v115
	v_fma_f32 v136, v110, v114, -v2
	ds_read_b128 v[2:5], v70 offset:896
	ds_read_b128 v[6:9], v70 offset:912
	;; [unrolled: 1-line block ×4, first 2 shown]
	v_mul_f32_e32 v135, v108, v113
	v_fmac_f32_e32 v135, v109, v112
	v_mul_f32_e32 v137, v110, v115
	v_fmac_f32_e32 v137, v111, v114
	v_pk_add_f32 v[18:19], v[132:133], v[134:135]
	s_waitcnt vmcnt(3) lgkmcnt(3)
	v_pk_mul_f32 v[20:21], v[2:3], v[116:117] op_sel:[1,1] op_sel_hi:[0,1]
	v_pk_fma_f32 v[22:23], v[2:3], v[116:117], v[20:21] neg_lo:[0,0,1] neg_hi:[0,0,1]
	v_pk_fma_f32 v[2:3], v[2:3], v[116:117], v[20:21] op_sel_hi:[1,0,1]
	v_pk_add_f32 v[18:19], v[18:19], v[136:137]
	v_mov_b32_e32 v23, v3
	v_pk_add_f32 v[2:3], v[18:19], v[22:23]
	v_mov_b32_e32 v18, v119
	v_pk_mul_f32 v[18:19], v[4:5], v[18:19] op_sel:[1,0] op_sel_hi:[0,0]
	v_pk_fma_f32 v[20:21], v[4:5], v[118:119], v[18:19] neg_lo:[0,0,1] neg_hi:[0,0,1]
	v_pk_fma_f32 v[4:5], v[4:5], v[118:119], v[18:19] op_sel_hi:[1,0,1]
	s_nop 0
	v_mov_b32_e32 v21, v5
	s_waitcnt vmcnt(2) lgkmcnt(2)
	v_pk_mul_f32 v[4:5], v[6:7], v[120:121] op_sel:[1,1] op_sel_hi:[0,1]
	v_pk_fma_f32 v[18:19], v[6:7], v[120:121], v[4:5] neg_lo:[0,0,1] neg_hi:[0,0,1]
	v_pk_fma_f32 v[4:5], v[6:7], v[120:121], v[4:5] op_sel_hi:[1,0,1]
	v_pk_add_f32 v[2:3], v[2:3], v[20:21]
	v_mov_b32_e32 v4, v123
	v_mov_b32_e32 v19, v5
	v_pk_mul_f32 v[4:5], v[8:9], v[4:5] op_sel:[1,0] op_sel_hi:[0,0]
	v_pk_fma_f32 v[6:7], v[8:9], v[122:123], v[4:5] neg_lo:[0,0,1] neg_hi:[0,0,1]
	v_pk_fma_f32 v[4:5], v[8:9], v[122:123], v[4:5] op_sel_hi:[1,0,1]
	v_pk_add_f32 v[2:3], v[2:3], v[18:19]
	v_mov_b32_e32 v7, v5
	s_waitcnt vmcnt(1) lgkmcnt(1)
	v_pk_mul_f32 v[4:5], v[10:11], v[124:125] op_sel:[1,1] op_sel_hi:[0,1]
	v_pk_add_f32 v[2:3], v[2:3], v[6:7]
	v_pk_fma_f32 v[6:7], v[10:11], v[124:125], v[4:5] neg_lo:[0,0,1] neg_hi:[0,0,1]
	v_pk_fma_f32 v[4:5], v[10:11], v[124:125], v[4:5] op_sel_hi:[1,0,1]
	s_nop 0
	v_mov_b32_e32 v4, v127
	v_mov_b32_e32 v7, v5
	v_pk_mul_f32 v[4:5], v[12:13], v[4:5] op_sel:[1,0] op_sel_hi:[0,0]
	v_pk_add_f32 v[2:3], v[2:3], v[6:7]
	v_pk_fma_f32 v[6:7], v[12:13], v[126:127], v[4:5] neg_lo:[0,0,1] neg_hi:[0,0,1]
	v_pk_fma_f32 v[4:5], v[12:13], v[126:127], v[4:5] op_sel_hi:[1,0,1]
	s_nop 0
	v_mov_b32_e32 v7, v5
	s_waitcnt vmcnt(0) lgkmcnt(0)
	v_pk_mul_f32 v[4:5], v[14:15], v[128:129] op_sel:[1,1] op_sel_hi:[0,1]
	v_pk_add_f32 v[2:3], v[2:3], v[6:7]
	v_pk_fma_f32 v[6:7], v[14:15], v[128:129], v[4:5] neg_lo:[0,0,1] neg_hi:[0,0,1]
	v_pk_fma_f32 v[4:5], v[14:15], v[128:129], v[4:5] op_sel_hi:[1,0,1]
	s_nop 0
	v_mov_b32_e32 v4, v131
	v_mov_b32_e32 v7, v5
	v_pk_mul_f32 v[4:5], v[16:17], v[4:5] op_sel:[1,0] op_sel_hi:[0,0]
	v_pk_add_f32 v[2:3], v[2:3], v[6:7]
	v_pk_fma_f32 v[6:7], v[16:17], v[130:131], v[4:5] neg_lo:[0,0,1] neg_hi:[0,0,1]
	v_pk_fma_f32 v[4:5], v[16:17], v[130:131], v[4:5] op_sel_hi:[1,0,1]
	s_nop 0
	v_mov_b32_e32 v7, v5
	scratch_load_dwordx2 v[4:5], off, off offset:184
	v_pk_add_f32 v[2:3], v[2:3], v[6:7]
	s_waitcnt vmcnt(0)
	v_pk_add_f32 v[2:3], v[4:5], v[2:3] neg_lo:[0,1] neg_hi:[0,1]
	scratch_store_dwordx2 off, v[2:3], off offset:184
	s_and_saveexec_b64 s[0:1], vcc
	s_cbranch_execz .LBB59_329
; %bb.328:
	scratch_load_dwordx2 v[2:3], off, off offset:176
	v_mov_b32_e32 v4, 0
	v_mov_b32_e32 v5, v4
	scratch_store_dwordx2 off, v[4:5], off offset:176
	s_waitcnt vmcnt(1)
	ds_write_b64 v1, v[2:3]
.LBB59_329:
	s_or_b64 exec, exec, s[0:1]
	s_waitcnt lgkmcnt(0)
	; wave barrier
	scratch_load_dwordx4 v[6:9], off, off offset:184
	scratch_load_dwordx4 v[14:17], off, off offset:200
	;; [unrolled: 1-line block ×10, first 2 shown]
	v_mov_b32_e32 v86, 0
	ds_read2_b64 v[2:5], v86 offset0:83 offset1:84
	scratch_load_dwordx4 v[88:91], off, off offset:344
	scratch_load_dwordx4 v[96:99], off, off offset:360
	scratch_load_dwordx4 v[104:107], off, off offset:376
	scratch_load_dwordx4 v[112:115], off, off offset:392
	scratch_load_dwordx4 v[120:123], off, off offset:408
	v_cmp_lt_u32_e32 vcc, 21, v0
	s_waitcnt vmcnt(14) lgkmcnt(0)
	v_mul_f32_e32 v10, v2, v7
	v_fmac_f32_e32 v10, v3, v6
	v_mul_f32_e32 v11, v4, v9
	v_add_f32_e32 v10, 0, v10
	v_fmac_f32_e32 v11, v5, v8
	v_add_f32_e32 v18, v10, v11
	ds_read2_b64 v[10:13], v86 offset0:85 offset1:86
	v_mul_f32_e32 v3, v3, v7
	v_fma_f32 v2, v2, v6, -v3
	v_mul_f32_e32 v3, v5, v9
	v_add_f32_e32 v2, 0, v2
	s_waitcnt vmcnt(13) lgkmcnt(0)
	v_mul_f32_e32 v19, v10, v15
	v_fmac_f32_e32 v19, v11, v14
	v_add_f32_e32 v18, v18, v19
	v_mul_f32_e32 v19, v12, v17
	v_fmac_f32_e32 v19, v13, v16
	v_add_f32_e32 v26, v18, v19
	ds_read2_b64 v[18:21], v86 offset0:87 offset1:88
	v_fma_f32 v3, v4, v8, -v3
	v_add_f32_e32 v2, v2, v3
	v_mul_f32_e32 v3, v11, v15
	v_fma_f32 v3, v10, v14, -v3
	s_waitcnt vmcnt(12) lgkmcnt(0)
	v_mul_f32_e32 v27, v18, v23
	v_fmac_f32_e32 v27, v19, v22
	v_add_f32_e32 v26, v26, v27
	v_mul_f32_e32 v27, v20, v25
	v_fmac_f32_e32 v27, v21, v24
	v_add_f32_e32 v34, v26, v27
	ds_read2_b64 v[26:29], v86 offset0:89 offset1:90
	v_add_f32_e32 v2, v2, v3
	v_mul_f32_e32 v3, v13, v17
	v_fma_f32 v3, v12, v16, -v3
	v_add_f32_e32 v2, v2, v3
	s_waitcnt vmcnt(11) lgkmcnt(0)
	v_mul_f32_e32 v35, v26, v31
	v_fmac_f32_e32 v35, v27, v30
	v_add_f32_e32 v34, v34, v35
	v_mul_f32_e32 v35, v28, v33
	v_fmac_f32_e32 v35, v29, v32
	v_add_f32_e32 v42, v34, v35
	ds_read2_b64 v[34:37], v86 offset0:91 offset1:92
	v_mul_f32_e32 v3, v19, v23
	v_fma_f32 v3, v18, v22, -v3
	v_add_f32_e32 v2, v2, v3
	v_mul_f32_e32 v3, v21, v25
	s_waitcnt vmcnt(10) lgkmcnt(0)
	v_mul_f32_e32 v43, v34, v39
	v_fmac_f32_e32 v43, v35, v38
	v_add_f32_e32 v42, v42, v43
	v_mul_f32_e32 v43, v36, v41
	v_fmac_f32_e32 v43, v37, v40
	v_add_f32_e32 v50, v42, v43
	ds_read2_b64 v[42:45], v86 offset0:93 offset1:94
	v_fma_f32 v3, v20, v24, -v3
	v_add_f32_e32 v2, v2, v3
	v_mul_f32_e32 v3, v27, v31
	v_fma_f32 v3, v26, v30, -v3
	s_waitcnt vmcnt(9) lgkmcnt(0)
	v_mul_f32_e32 v51, v42, v47
	v_fmac_f32_e32 v51, v43, v46
	v_add_f32_e32 v50, v50, v51
	v_mul_f32_e32 v51, v44, v49
	v_fmac_f32_e32 v51, v45, v48
	v_add_f32_e32 v58, v50, v51
	ds_read2_b64 v[50:53], v86 offset0:95 offset1:96
	v_add_f32_e32 v2, v2, v3
	v_mul_f32_e32 v3, v29, v33
	v_fma_f32 v3, v28, v32, -v3
	v_add_f32_e32 v2, v2, v3
	s_waitcnt vmcnt(8) lgkmcnt(0)
	v_mul_f32_e32 v59, v50, v55
	v_fmac_f32_e32 v59, v51, v54
	v_add_f32_e32 v58, v58, v59
	v_mul_f32_e32 v59, v52, v57
	v_fmac_f32_e32 v59, v53, v56
	v_add_f32_e32 v66, v58, v59
	ds_read2_b64 v[58:61], v86 offset0:97 offset1:98
	v_mul_f32_e32 v3, v35, v39
	v_fma_f32 v3, v34, v38, -v3
	v_add_f32_e32 v2, v2, v3
	v_mul_f32_e32 v3, v37, v41
	;; [unrolled: 36-line block ×4, first 2 shown]
	s_waitcnt vmcnt(1) lgkmcnt(0)
	v_mul_f32_e32 v116, v108, v113
	v_fmac_f32_e32 v116, v109, v112
	v_add_f32_e32 v137, v87, v116
	ds_read2_b64 v[116:119], v86 offset0:111 offset1:112
	scratch_load_dwordx4 v[124:127], off, off offset:424
	scratch_load_dwordx4 v[128:131], off, off offset:440
	;; [unrolled: 1-line block ×3, first 2 shown]
	scratch_load_dwordx2 v[142:143], off, off offset:472
	v_fma_f32 v3, v68, v72, -v3
	v_add_f32_e32 v2, v2, v3
	v_mul_f32_e32 v3, v75, v79
	v_fma_f32 v3, v74, v78, -v3
	v_add_f32_e32 v2, v2, v3
	v_mul_f32_e32 v3, v77, v81
	;; [unrolled: 3-line block ×10, first 2 shown]
	v_mul_f32_e32 v139, v110, v115
	v_fma_f32 v138, v110, v114, -v2
	s_waitcnt vmcnt(4) lgkmcnt(0)
	v_mul_f32_e32 v2, v117, v121
	v_mov_b32_e32 v18, v123
	v_fmac_f32_e32 v139, v111, v114
	v_mul_f32_e32 v141, v116, v121
	v_fma_f32 v140, v116, v120, -v2
	ds_read2_b64 v[2:5], v86 offset0:113 offset1:114
	ds_read2_b64 v[6:9], v86 offset0:115 offset1:116
	;; [unrolled: 1-line block ×3, first 2 shown]
	ds_read_b64 v[14:15], v86 offset:952
	v_pk_mul_f32 v[18:19], v[118:119], v[18:19] op_sel:[1,0] op_sel_hi:[0,0]
	v_fmac_f32_e32 v141, v117, v120
	v_pk_add_f32 v[16:17], v[136:137], v[138:139]
	v_pk_fma_f32 v[20:21], v[118:119], v[122:123], v[18:19] neg_lo:[0,0,1] neg_hi:[0,0,1]
	v_pk_fma_f32 v[18:19], v[118:119], v[122:123], v[18:19] op_sel_hi:[1,0,1]
	v_pk_add_f32 v[16:17], v[16:17], v[140:141]
	v_mov_b32_e32 v21, v19
	v_pk_add_f32 v[16:17], v[16:17], v[20:21]
	s_waitcnt vmcnt(3) lgkmcnt(3)
	v_pk_mul_f32 v[18:19], v[2:3], v[124:125] op_sel:[1,1] op_sel_hi:[0,1]
	v_pk_fma_f32 v[20:21], v[2:3], v[124:125], v[18:19] neg_lo:[0,0,1] neg_hi:[0,0,1]
	v_pk_fma_f32 v[2:3], v[2:3], v[124:125], v[18:19] op_sel_hi:[1,0,1]
	s_nop 0
	v_mov_b32_e32 v21, v3
	v_pk_add_f32 v[2:3], v[16:17], v[20:21]
	v_mov_b32_e32 v16, v127
	v_pk_mul_f32 v[16:17], v[4:5], v[16:17] op_sel:[1,0] op_sel_hi:[0,0]
	v_pk_fma_f32 v[18:19], v[4:5], v[126:127], v[16:17] neg_lo:[0,0,1] neg_hi:[0,0,1]
	v_pk_fma_f32 v[4:5], v[4:5], v[126:127], v[16:17] op_sel_hi:[1,0,1]
	s_nop 0
	v_mov_b32_e32 v19, v5
	s_waitcnt vmcnt(2) lgkmcnt(2)
	v_pk_mul_f32 v[4:5], v[6:7], v[128:129] op_sel:[1,1] op_sel_hi:[0,1]
	v_pk_fma_f32 v[16:17], v[6:7], v[128:129], v[4:5] neg_lo:[0,0,1] neg_hi:[0,0,1]
	v_pk_fma_f32 v[4:5], v[6:7], v[128:129], v[4:5] op_sel_hi:[1,0,1]
	v_pk_add_f32 v[2:3], v[2:3], v[18:19]
	v_mov_b32_e32 v4, v131
	v_mov_b32_e32 v17, v5
	v_pk_mul_f32 v[4:5], v[8:9], v[4:5] op_sel:[1,0] op_sel_hi:[0,0]
	v_pk_fma_f32 v[6:7], v[8:9], v[130:131], v[4:5] neg_lo:[0,0,1] neg_hi:[0,0,1]
	v_pk_fma_f32 v[4:5], v[8:9], v[130:131], v[4:5] op_sel_hi:[1,0,1]
	v_pk_add_f32 v[2:3], v[2:3], v[16:17]
	v_mov_b32_e32 v7, v5
	s_waitcnt vmcnt(1) lgkmcnt(1)
	v_pk_mul_f32 v[4:5], v[10:11], v[132:133] op_sel:[1,1] op_sel_hi:[0,1]
	v_pk_add_f32 v[2:3], v[2:3], v[6:7]
	v_pk_fma_f32 v[6:7], v[10:11], v[132:133], v[4:5] neg_lo:[0,0,1] neg_hi:[0,0,1]
	v_pk_fma_f32 v[4:5], v[10:11], v[132:133], v[4:5] op_sel_hi:[1,0,1]
	s_nop 0
	v_mov_b32_e32 v4, v135
	v_mov_b32_e32 v7, v5
	v_pk_mul_f32 v[4:5], v[12:13], v[4:5] op_sel:[1,0] op_sel_hi:[0,0]
	v_pk_add_f32 v[2:3], v[2:3], v[6:7]
	v_pk_fma_f32 v[6:7], v[12:13], v[134:135], v[4:5] neg_lo:[0,0,1] neg_hi:[0,0,1]
	v_pk_fma_f32 v[4:5], v[12:13], v[134:135], v[4:5] op_sel_hi:[1,0,1]
	s_nop 0
	v_mov_b32_e32 v7, v5
	s_waitcnt vmcnt(0) lgkmcnt(0)
	v_pk_mul_f32 v[4:5], v[14:15], v[142:143] op_sel:[1,1] op_sel_hi:[0,1]
	v_pk_add_f32 v[2:3], v[2:3], v[6:7]
	v_pk_fma_f32 v[6:7], v[14:15], v[142:143], v[4:5] neg_lo:[0,0,1] neg_hi:[0,0,1]
	v_pk_fma_f32 v[4:5], v[14:15], v[142:143], v[4:5] op_sel_hi:[1,0,1]
	s_nop 0
	v_mov_b32_e32 v7, v5
	scratch_load_dwordx2 v[4:5], off, off offset:176
	v_pk_add_f32 v[2:3], v[2:3], v[6:7]
	s_waitcnt vmcnt(0)
	v_pk_add_f32 v[2:3], v[4:5], v[2:3] neg_lo:[0,1] neg_hi:[0,1]
	scratch_store_dwordx2 off, v[2:3], off offset:176
	s_and_saveexec_b64 s[0:1], vcc
	s_cbranch_execz .LBB59_331
; %bb.330:
	scratch_load_dwordx2 v[2:3], off, off offset:168
	v_mov_b32_e32 v87, v86
	scratch_store_dwordx2 off, v[86:87], off offset:168
	s_waitcnt vmcnt(1)
	ds_write_b64 v1, v[2:3]
.LBB59_331:
	s_or_b64 exec, exec, s[0:1]
	s_waitcnt lgkmcnt(0)
	; wave barrier
	ds_read_b128 v[14:17], v86 offset:656
	ds_read_b128 v[10:13], v86 offset:672
	;; [unrolled: 1-line block ×4, first 2 shown]
	scratch_load_dwordx4 v[18:21], off, off offset:176
	scratch_load_dwordx4 v[38:41], off, off offset:240
	;; [unrolled: 1-line block ×9, first 2 shown]
	v_cmp_lt_u32_e32 vcc, 20, v0
	scratch_load_dwordx4 v[46:49], off, off offset:256
	scratch_load_dwordx4 v[54:57], off, off offset:272
	;; [unrolled: 1-line block ×3, first 2 shown]
	s_waitcnt vmcnt(11) lgkmcnt(3)
	v_mul_f32_e32 v22, v14, v19
	v_fmac_f32_e32 v22, v15, v18
	v_mul_f32_e32 v23, v16, v21
	v_add_f32_e32 v22, 0, v22
	v_fmac_f32_e32 v23, v17, v20
	v_add_f32_e32 v26, v22, v23
	scratch_load_dwordx4 v[22:25], off, off offset:192
	v_mul_f32_e32 v15, v15, v19
	v_fma_f32 v14, v14, v18, -v15
	v_mul_f32_e32 v15, v17, v21
	v_add_f32_e32 v14, 0, v14
	v_fma_f32 v15, v16, v20, -v15
	v_add_f32_e32 v14, v14, v15
	s_waitcnt vmcnt(0) lgkmcnt(2)
	v_mul_f32_e32 v27, v10, v23
	v_fmac_f32_e32 v27, v11, v22
	v_add_f32_e32 v26, v26, v27
	v_mul_f32_e32 v27, v12, v25
	v_fmac_f32_e32 v27, v13, v24
	v_add_f32_e32 v30, v26, v27
	scratch_load_dwordx4 v[26:29], off, off offset:208
	v_mul_f32_e32 v11, v11, v23
	v_fma_f32 v10, v10, v22, -v11
	v_mul_f32_e32 v11, v13, v25
	v_add_f32_e32 v10, v14, v10
	v_fma_f32 v11, v12, v24, -v11
	v_add_f32_e32 v10, v10, v11
	s_waitcnt vmcnt(0) lgkmcnt(1)
	v_mul_f32_e32 v31, v6, v27
	v_fmac_f32_e32 v31, v7, v26
	v_add_f32_e32 v30, v30, v31
	v_mul_f32_e32 v31, v8, v29
	;; [unrolled: 14-line block ×3, first 2 shown]
	v_fmac_f32_e32 v35, v5, v32
	v_add_f32_e32 v42, v34, v35
	ds_read_b128 v[34:37], v86 offset:720
	v_mul_f32_e32 v3, v3, v31
	v_fma_f32 v2, v2, v30, -v3
	v_mul_f32_e32 v3, v5, v33
	v_add_f32_e32 v2, v6, v2
	s_waitcnt lgkmcnt(0)
	v_mul_f32_e32 v43, v34, v39
	v_fmac_f32_e32 v43, v35, v38
	v_add_f32_e32 v42, v42, v43
	v_mul_f32_e32 v43, v36, v41
	v_fmac_f32_e32 v43, v37, v40
	v_add_f32_e32 v50, v42, v43
	ds_read_b128 v[42:45], v86 offset:736
	v_fma_f32 v3, v4, v32, -v3
	v_add_f32_e32 v2, v2, v3
	v_mul_f32_e32 v3, v35, v39
	v_fma_f32 v3, v34, v38, -v3
	s_waitcnt lgkmcnt(0)
	v_mul_f32_e32 v51, v42, v47
	v_fmac_f32_e32 v51, v43, v46
	v_add_f32_e32 v50, v50, v51
	v_mul_f32_e32 v51, v44, v49
	v_fmac_f32_e32 v51, v45, v48
	v_add_f32_e32 v58, v50, v51
	ds_read_b128 v[50:53], v86 offset:752
	v_add_f32_e32 v2, v2, v3
	v_mul_f32_e32 v3, v37, v41
	v_fma_f32 v3, v36, v40, -v3
	v_add_f32_e32 v2, v2, v3
	s_waitcnt lgkmcnt(0)
	v_mul_f32_e32 v59, v50, v55
	v_fmac_f32_e32 v59, v51, v54
	v_add_f32_e32 v58, v58, v59
	v_mul_f32_e32 v59, v52, v57
	v_fmac_f32_e32 v59, v53, v56
	v_add_f32_e32 v66, v58, v59
	ds_read_b128 v[58:61], v86 offset:768
	v_mul_f32_e32 v3, v43, v47
	v_fma_f32 v3, v42, v46, -v3
	v_add_f32_e32 v2, v2, v3
	v_mul_f32_e32 v3, v45, v49
	s_waitcnt lgkmcnt(0)
	v_mul_f32_e32 v67, v58, v63
	v_fmac_f32_e32 v67, v59, v62
	v_add_f32_e32 v66, v66, v67
	v_mul_f32_e32 v67, v60, v65
	v_fmac_f32_e32 v67, v61, v64
	v_add_f32_e32 v74, v66, v67
	ds_read_b128 v[66:69], v86 offset:784
	v_fma_f32 v3, v44, v48, -v3
	v_add_f32_e32 v2, v2, v3
	v_mul_f32_e32 v3, v51, v55
	v_fma_f32 v3, v50, v54, -v3
	s_waitcnt lgkmcnt(0)
	v_mul_f32_e32 v75, v66, v71
	v_fmac_f32_e32 v75, v67, v70
	v_add_f32_e32 v74, v74, v75
	v_mul_f32_e32 v75, v68, v73
	v_fmac_f32_e32 v75, v69, v72
	v_add_f32_e32 v82, v74, v75
	ds_read_b128 v[74:77], v86 offset:800
	v_add_f32_e32 v2, v2, v3
	v_mul_f32_e32 v3, v53, v57
	v_fma_f32 v3, v52, v56, -v3
	v_add_f32_e32 v2, v2, v3
	s_waitcnt lgkmcnt(0)
	v_mul_f32_e32 v83, v74, v79
	v_fmac_f32_e32 v83, v75, v78
	v_add_f32_e32 v82, v82, v83
	v_mul_f32_e32 v83, v76, v81
	v_fmac_f32_e32 v83, v77, v80
	v_add_f32_e32 v87, v82, v83
	ds_read_b128 v[82:85], v86 offset:816
	v_mul_f32_e32 v3, v59, v63
	v_fma_f32 v3, v58, v62, -v3
	v_add_f32_e32 v2, v2, v3
	v_mul_f32_e32 v3, v61, v65
	;; [unrolled: 36-line block ×3, first 2 shown]
	s_waitcnt lgkmcnt(0)
	v_mul_f32_e32 v116, v108, v113
	v_fmac_f32_e32 v116, v109, v112
	v_add_f32_e32 v87, v87, v116
	v_mul_f32_e32 v116, v110, v115
	v_fmac_f32_e32 v116, v111, v114
	v_add_f32_e32 v141, v87, v116
	ds_read_b128 v[116:119], v86 offset:880
	scratch_load_dwordx4 v[124:127], off, off offset:416
	scratch_load_dwordx4 v[128:131], off, off offset:432
	;; [unrolled: 1-line block ×4, first 2 shown]
	v_fma_f32 v3, v76, v80, -v3
	v_add_f32_e32 v2, v2, v3
	v_mul_f32_e32 v3, v83, v89
	v_fma_f32 v3, v82, v88, -v3
	v_add_f32_e32 v2, v2, v3
	v_mul_f32_e32 v3, v85, v91
	;; [unrolled: 3-line block ×8, first 2 shown]
	v_fma_f32 v3, v110, v114, -v3
	v_add_f32_e32 v140, v2, v3
	s_waitcnt lgkmcnt(0)
	v_mul_f32_e32 v2, v117, v121
	v_fma_f32 v142, v116, v120, -v2
	v_mul_f32_e32 v2, v119, v123
	v_fma_f32 v144, v118, v122, -v2
	ds_read_b128 v[2:5], v86 offset:896
	ds_read_b128 v[6:9], v86 offset:912
	;; [unrolled: 1-line block ×4, first 2 shown]
	v_mul_f32_e32 v143, v116, v121
	v_fmac_f32_e32 v143, v117, v120
	v_mul_f32_e32 v145, v118, v123
	v_fmac_f32_e32 v145, v119, v122
	v_pk_add_f32 v[18:19], v[140:141], v[142:143]
	s_waitcnt vmcnt(3) lgkmcnt(3)
	v_pk_mul_f32 v[20:21], v[2:3], v[124:125] op_sel:[1,1] op_sel_hi:[0,1]
	v_pk_fma_f32 v[22:23], v[2:3], v[124:125], v[20:21] neg_lo:[0,0,1] neg_hi:[0,0,1]
	v_pk_fma_f32 v[2:3], v[2:3], v[124:125], v[20:21] op_sel_hi:[1,0,1]
	v_pk_add_f32 v[18:19], v[18:19], v[144:145]
	v_mov_b32_e32 v23, v3
	v_pk_add_f32 v[2:3], v[18:19], v[22:23]
	v_mov_b32_e32 v18, v127
	v_pk_mul_f32 v[18:19], v[4:5], v[18:19] op_sel:[1,0] op_sel_hi:[0,0]
	v_pk_fma_f32 v[20:21], v[4:5], v[126:127], v[18:19] neg_lo:[0,0,1] neg_hi:[0,0,1]
	v_pk_fma_f32 v[4:5], v[4:5], v[126:127], v[18:19] op_sel_hi:[1,0,1]
	s_nop 0
	v_mov_b32_e32 v21, v5
	s_waitcnt vmcnt(2) lgkmcnt(2)
	v_pk_mul_f32 v[4:5], v[6:7], v[128:129] op_sel:[1,1] op_sel_hi:[0,1]
	v_pk_fma_f32 v[18:19], v[6:7], v[128:129], v[4:5] neg_lo:[0,0,1] neg_hi:[0,0,1]
	v_pk_fma_f32 v[4:5], v[6:7], v[128:129], v[4:5] op_sel_hi:[1,0,1]
	v_pk_add_f32 v[2:3], v[2:3], v[20:21]
	v_mov_b32_e32 v4, v131
	v_mov_b32_e32 v19, v5
	v_pk_mul_f32 v[4:5], v[8:9], v[4:5] op_sel:[1,0] op_sel_hi:[0,0]
	v_pk_fma_f32 v[6:7], v[8:9], v[130:131], v[4:5] neg_lo:[0,0,1] neg_hi:[0,0,1]
	v_pk_fma_f32 v[4:5], v[8:9], v[130:131], v[4:5] op_sel_hi:[1,0,1]
	v_pk_add_f32 v[2:3], v[2:3], v[18:19]
	v_mov_b32_e32 v7, v5
	s_waitcnt vmcnt(1) lgkmcnt(1)
	v_pk_mul_f32 v[4:5], v[10:11], v[132:133] op_sel:[1,1] op_sel_hi:[0,1]
	v_pk_add_f32 v[2:3], v[2:3], v[6:7]
	v_pk_fma_f32 v[6:7], v[10:11], v[132:133], v[4:5] neg_lo:[0,0,1] neg_hi:[0,0,1]
	v_pk_fma_f32 v[4:5], v[10:11], v[132:133], v[4:5] op_sel_hi:[1,0,1]
	s_nop 0
	v_mov_b32_e32 v4, v135
	v_mov_b32_e32 v7, v5
	v_pk_mul_f32 v[4:5], v[12:13], v[4:5] op_sel:[1,0] op_sel_hi:[0,0]
	v_pk_add_f32 v[2:3], v[2:3], v[6:7]
	v_pk_fma_f32 v[6:7], v[12:13], v[134:135], v[4:5] neg_lo:[0,0,1] neg_hi:[0,0,1]
	v_pk_fma_f32 v[4:5], v[12:13], v[134:135], v[4:5] op_sel_hi:[1,0,1]
	s_nop 0
	v_mov_b32_e32 v7, v5
	s_waitcnt vmcnt(0) lgkmcnt(0)
	v_pk_mul_f32 v[4:5], v[14:15], v[136:137] op_sel:[1,1] op_sel_hi:[0,1]
	v_pk_add_f32 v[2:3], v[2:3], v[6:7]
	v_pk_fma_f32 v[6:7], v[14:15], v[136:137], v[4:5] neg_lo:[0,0,1] neg_hi:[0,0,1]
	v_pk_fma_f32 v[4:5], v[14:15], v[136:137], v[4:5] op_sel_hi:[1,0,1]
	s_nop 0
	v_mov_b32_e32 v4, v139
	v_mov_b32_e32 v7, v5
	v_pk_mul_f32 v[4:5], v[16:17], v[4:5] op_sel:[1,0] op_sel_hi:[0,0]
	v_pk_add_f32 v[2:3], v[2:3], v[6:7]
	v_pk_fma_f32 v[6:7], v[16:17], v[138:139], v[4:5] neg_lo:[0,0,1] neg_hi:[0,0,1]
	v_pk_fma_f32 v[4:5], v[16:17], v[138:139], v[4:5] op_sel_hi:[1,0,1]
	s_nop 0
	v_mov_b32_e32 v7, v5
	scratch_load_dwordx2 v[4:5], off, off offset:168
	v_pk_add_f32 v[2:3], v[2:3], v[6:7]
	s_waitcnt vmcnt(0)
	v_pk_add_f32 v[2:3], v[4:5], v[2:3] neg_lo:[0,1] neg_hi:[0,1]
	scratch_store_dwordx2 off, v[2:3], off offset:168
	s_and_saveexec_b64 s[0:1], vcc
	s_cbranch_execz .LBB59_333
; %bb.332:
	scratch_load_dwordx2 v[2:3], off, off offset:160
	v_mov_b32_e32 v4, 0
	v_mov_b32_e32 v5, v4
	scratch_store_dwordx2 off, v[4:5], off offset:160
	s_waitcnt vmcnt(1)
	ds_write_b64 v1, v[2:3]
.LBB59_333:
	s_or_b64 exec, exec, s[0:1]
	s_waitcnt lgkmcnt(0)
	; wave barrier
	scratch_load_dwordx4 v[6:9], off, off offset:168
	scratch_load_dwordx4 v[14:17], off, off offset:184
	scratch_load_dwordx4 v[22:25], off, off offset:200
	scratch_load_dwordx4 v[30:33], off, off offset:216
	scratch_load_dwordx4 v[38:41], off, off offset:232
	scratch_load_dwordx4 v[46:49], off, off offset:248
	scratch_load_dwordx4 v[54:57], off, off offset:264
	scratch_load_dwordx4 v[62:65], off, off offset:280
	scratch_load_dwordx4 v[70:73], off, off offset:296
	scratch_load_dwordx4 v[78:81], off, off offset:312
	v_mov_b32_e32 v94, 0
	ds_read2_b64 v[2:5], v94 offset0:81 offset1:82
	scratch_load_dwordx4 v[86:89], off, off offset:328
	scratch_load_dwordx4 v[96:99], off, off offset:344
	;; [unrolled: 1-line block ×6, first 2 shown]
	v_cmp_lt_u32_e32 vcc, 19, v0
	s_waitcnt vmcnt(15) lgkmcnt(0)
	v_mul_f32_e32 v10, v2, v7
	v_fmac_f32_e32 v10, v3, v6
	v_mul_f32_e32 v11, v4, v9
	v_add_f32_e32 v10, 0, v10
	v_fmac_f32_e32 v11, v5, v8
	v_add_f32_e32 v18, v10, v11
	ds_read2_b64 v[10:13], v94 offset0:83 offset1:84
	v_mul_f32_e32 v3, v3, v7
	v_fma_f32 v2, v2, v6, -v3
	v_mul_f32_e32 v3, v5, v9
	v_add_f32_e32 v2, 0, v2
	s_waitcnt vmcnt(14) lgkmcnt(0)
	v_mul_f32_e32 v19, v10, v15
	v_fmac_f32_e32 v19, v11, v14
	v_add_f32_e32 v18, v18, v19
	v_mul_f32_e32 v19, v12, v17
	v_fmac_f32_e32 v19, v13, v16
	v_add_f32_e32 v26, v18, v19
	ds_read2_b64 v[18:21], v94 offset0:85 offset1:86
	v_fma_f32 v3, v4, v8, -v3
	v_add_f32_e32 v2, v2, v3
	v_mul_f32_e32 v3, v11, v15
	v_fma_f32 v3, v10, v14, -v3
	s_waitcnt vmcnt(13) lgkmcnt(0)
	v_mul_f32_e32 v27, v18, v23
	v_fmac_f32_e32 v27, v19, v22
	v_add_f32_e32 v26, v26, v27
	v_mul_f32_e32 v27, v20, v25
	v_fmac_f32_e32 v27, v21, v24
	v_add_f32_e32 v34, v26, v27
	ds_read2_b64 v[26:29], v94 offset0:87 offset1:88
	v_add_f32_e32 v2, v2, v3
	v_mul_f32_e32 v3, v13, v17
	v_fma_f32 v3, v12, v16, -v3
	v_add_f32_e32 v2, v2, v3
	s_waitcnt vmcnt(12) lgkmcnt(0)
	v_mul_f32_e32 v35, v26, v31
	v_fmac_f32_e32 v35, v27, v30
	v_add_f32_e32 v34, v34, v35
	v_mul_f32_e32 v35, v28, v33
	v_fmac_f32_e32 v35, v29, v32
	v_add_f32_e32 v42, v34, v35
	ds_read2_b64 v[34:37], v94 offset0:89 offset1:90
	v_mul_f32_e32 v3, v19, v23
	v_fma_f32 v3, v18, v22, -v3
	v_add_f32_e32 v2, v2, v3
	v_mul_f32_e32 v3, v21, v25
	s_waitcnt vmcnt(11) lgkmcnt(0)
	v_mul_f32_e32 v43, v34, v39
	v_fmac_f32_e32 v43, v35, v38
	v_add_f32_e32 v42, v42, v43
	v_mul_f32_e32 v43, v36, v41
	v_fmac_f32_e32 v43, v37, v40
	v_add_f32_e32 v50, v42, v43
	ds_read2_b64 v[42:45], v94 offset0:91 offset1:92
	v_fma_f32 v3, v20, v24, -v3
	v_add_f32_e32 v2, v2, v3
	v_mul_f32_e32 v3, v27, v31
	v_fma_f32 v3, v26, v30, -v3
	s_waitcnt vmcnt(10) lgkmcnt(0)
	v_mul_f32_e32 v51, v42, v47
	v_fmac_f32_e32 v51, v43, v46
	v_add_f32_e32 v50, v50, v51
	v_mul_f32_e32 v51, v44, v49
	v_fmac_f32_e32 v51, v45, v48
	v_add_f32_e32 v58, v50, v51
	ds_read2_b64 v[50:53], v94 offset0:93 offset1:94
	v_add_f32_e32 v2, v2, v3
	v_mul_f32_e32 v3, v29, v33
	v_fma_f32 v3, v28, v32, -v3
	v_add_f32_e32 v2, v2, v3
	s_waitcnt vmcnt(9) lgkmcnt(0)
	v_mul_f32_e32 v59, v50, v55
	v_fmac_f32_e32 v59, v51, v54
	v_add_f32_e32 v58, v58, v59
	v_mul_f32_e32 v59, v52, v57
	v_fmac_f32_e32 v59, v53, v56
	v_add_f32_e32 v66, v58, v59
	ds_read2_b64 v[58:61], v94 offset0:95 offset1:96
	v_mul_f32_e32 v3, v35, v39
	v_fma_f32 v3, v34, v38, -v3
	v_add_f32_e32 v2, v2, v3
	v_mul_f32_e32 v3, v37, v41
	;; [unrolled: 36-line block ×4, first 2 shown]
	s_waitcnt vmcnt(2) lgkmcnt(0)
	v_mul_f32_e32 v116, v108, v113
	v_fmac_f32_e32 v116, v109, v112
	v_add_f32_e32 v95, v95, v116
	v_mul_f32_e32 v116, v110, v115
	v_fmac_f32_e32 v116, v111, v114
	v_add_f32_e32 v95, v95, v116
	ds_read2_b64 v[116:119], v94 offset0:109 offset1:110
	v_fma_f32 v3, v68, v72, -v3
	v_add_f32_e32 v2, v2, v3
	v_mul_f32_e32 v3, v75, v79
	v_fma_f32 v3, v74, v78, -v3
	s_waitcnt vmcnt(1) lgkmcnt(0)
	v_mul_f32_e32 v124, v116, v121
	v_fmac_f32_e32 v124, v117, v120
	v_add_f32_e32 v145, v95, v124
	ds_read2_b64 v[124:127], v94 offset0:111 offset1:112
	scratch_load_dwordx4 v[132:135], off, off offset:424
	scratch_load_dwordx4 v[136:139], off, off offset:440
	;; [unrolled: 1-line block ×3, first 2 shown]
	scratch_load_dwordx2 v[164:165], off, off offset:472
	v_add_f32_e32 v2, v2, v3
	v_mul_f32_e32 v3, v77, v81
	v_fma_f32 v3, v76, v80, -v3
	v_add_f32_e32 v2, v2, v3
	v_mul_f32_e32 v3, v83, v87
	v_fma_f32 v3, v82, v86, -v3
	;; [unrolled: 3-line block ×10, first 2 shown]
	v_add_f32_e32 v144, v2, v3
	v_mul_f32_e32 v2, v119, v123
	v_mul_f32_e32 v147, v118, v123
	v_fma_f32 v146, v118, v122, -v2
	s_waitcnt vmcnt(4) lgkmcnt(0)
	v_mul_f32_e32 v2, v125, v129
	v_mov_b32_e32 v18, v131
	v_fmac_f32_e32 v147, v119, v122
	v_mul_f32_e32 v149, v124, v129
	v_fma_f32 v148, v124, v128, -v2
	ds_read2_b64 v[2:5], v94 offset0:113 offset1:114
	ds_read2_b64 v[6:9], v94 offset0:115 offset1:116
	;; [unrolled: 1-line block ×3, first 2 shown]
	ds_read_b64 v[14:15], v94 offset:952
	v_pk_mul_f32 v[18:19], v[126:127], v[18:19] op_sel:[1,0] op_sel_hi:[0,0]
	v_fmac_f32_e32 v149, v125, v128
	v_pk_add_f32 v[16:17], v[144:145], v[146:147]
	v_pk_fma_f32 v[20:21], v[126:127], v[130:131], v[18:19] neg_lo:[0,0,1] neg_hi:[0,0,1]
	v_pk_fma_f32 v[18:19], v[126:127], v[130:131], v[18:19] op_sel_hi:[1,0,1]
	v_pk_add_f32 v[16:17], v[16:17], v[148:149]
	v_mov_b32_e32 v21, v19
	v_pk_add_f32 v[16:17], v[16:17], v[20:21]
	s_waitcnt vmcnt(3) lgkmcnt(3)
	v_pk_mul_f32 v[18:19], v[2:3], v[132:133] op_sel:[1,1] op_sel_hi:[0,1]
	v_pk_fma_f32 v[20:21], v[2:3], v[132:133], v[18:19] neg_lo:[0,0,1] neg_hi:[0,0,1]
	v_pk_fma_f32 v[2:3], v[2:3], v[132:133], v[18:19] op_sel_hi:[1,0,1]
	s_nop 0
	v_mov_b32_e32 v21, v3
	v_pk_add_f32 v[2:3], v[16:17], v[20:21]
	v_mov_b32_e32 v16, v135
	v_pk_mul_f32 v[16:17], v[4:5], v[16:17] op_sel:[1,0] op_sel_hi:[0,0]
	v_pk_fma_f32 v[18:19], v[4:5], v[134:135], v[16:17] neg_lo:[0,0,1] neg_hi:[0,0,1]
	v_pk_fma_f32 v[4:5], v[4:5], v[134:135], v[16:17] op_sel_hi:[1,0,1]
	s_nop 0
	v_mov_b32_e32 v19, v5
	s_waitcnt vmcnt(2) lgkmcnt(2)
	v_pk_mul_f32 v[4:5], v[6:7], v[136:137] op_sel:[1,1] op_sel_hi:[0,1]
	v_pk_fma_f32 v[16:17], v[6:7], v[136:137], v[4:5] neg_lo:[0,0,1] neg_hi:[0,0,1]
	v_pk_fma_f32 v[4:5], v[6:7], v[136:137], v[4:5] op_sel_hi:[1,0,1]
	v_pk_add_f32 v[2:3], v[2:3], v[18:19]
	v_mov_b32_e32 v4, v139
	v_mov_b32_e32 v17, v5
	v_pk_mul_f32 v[4:5], v[8:9], v[4:5] op_sel:[1,0] op_sel_hi:[0,0]
	v_pk_fma_f32 v[6:7], v[8:9], v[138:139], v[4:5] neg_lo:[0,0,1] neg_hi:[0,0,1]
	v_pk_fma_f32 v[4:5], v[8:9], v[138:139], v[4:5] op_sel_hi:[1,0,1]
	v_pk_add_f32 v[2:3], v[2:3], v[16:17]
	v_mov_b32_e32 v7, v5
	s_waitcnt vmcnt(1) lgkmcnt(1)
	v_pk_mul_f32 v[4:5], v[10:11], v[140:141] op_sel:[1,1] op_sel_hi:[0,1]
	v_pk_add_f32 v[2:3], v[2:3], v[6:7]
	v_pk_fma_f32 v[6:7], v[10:11], v[140:141], v[4:5] neg_lo:[0,0,1] neg_hi:[0,0,1]
	v_pk_fma_f32 v[4:5], v[10:11], v[140:141], v[4:5] op_sel_hi:[1,0,1]
	s_nop 0
	v_mov_b32_e32 v4, v143
	v_mov_b32_e32 v7, v5
	v_pk_mul_f32 v[4:5], v[12:13], v[4:5] op_sel:[1,0] op_sel_hi:[0,0]
	v_pk_add_f32 v[2:3], v[2:3], v[6:7]
	v_pk_fma_f32 v[6:7], v[12:13], v[142:143], v[4:5] neg_lo:[0,0,1] neg_hi:[0,0,1]
	v_pk_fma_f32 v[4:5], v[12:13], v[142:143], v[4:5] op_sel_hi:[1,0,1]
	s_nop 0
	v_mov_b32_e32 v7, v5
	s_waitcnt vmcnt(0) lgkmcnt(0)
	v_pk_mul_f32 v[4:5], v[14:15], v[164:165] op_sel:[1,1] op_sel_hi:[0,1]
	v_pk_add_f32 v[2:3], v[2:3], v[6:7]
	v_pk_fma_f32 v[6:7], v[14:15], v[164:165], v[4:5] neg_lo:[0,0,1] neg_hi:[0,0,1]
	v_pk_fma_f32 v[4:5], v[14:15], v[164:165], v[4:5] op_sel_hi:[1,0,1]
	s_nop 0
	v_mov_b32_e32 v7, v5
	scratch_load_dwordx2 v[4:5], off, off offset:160
	v_pk_add_f32 v[2:3], v[2:3], v[6:7]
	s_waitcnt vmcnt(0)
	v_pk_add_f32 v[2:3], v[4:5], v[2:3] neg_lo:[0,1] neg_hi:[0,1]
	scratch_store_dwordx2 off, v[2:3], off offset:160
	s_and_saveexec_b64 s[0:1], vcc
	s_cbranch_execz .LBB59_335
; %bb.334:
	scratch_load_dwordx2 v[2:3], off, off offset:152
	v_mov_b32_e32 v95, v94
	scratch_store_dwordx2 off, v[94:95], off offset:152
	s_waitcnt vmcnt(1)
	ds_write_b64 v1, v[2:3]
.LBB59_335:
	s_or_b64 exec, exec, s[0:1]
	s_waitcnt lgkmcnt(0)
	; wave barrier
	ds_read_b128 v[14:17], v94 offset:640
	ds_read_b128 v[10:13], v94 offset:656
	;; [unrolled: 1-line block ×4, first 2 shown]
	scratch_load_dwordx4 v[18:21], off, off offset:160
	scratch_load_dwordx4 v[38:41], off, off offset:224
	;; [unrolled: 1-line block ×10, first 2 shown]
	v_cmp_lt_u32_e32 vcc, 18, v0
	scratch_load_dwordx4 v[46:49], off, off offset:240
	scratch_load_dwordx4 v[54:57], off, off offset:256
	;; [unrolled: 1-line block ×3, first 2 shown]
	s_waitcnt vmcnt(12) lgkmcnt(3)
	v_mul_f32_e32 v22, v14, v19
	v_fmac_f32_e32 v22, v15, v18
	v_mul_f32_e32 v23, v16, v21
	v_add_f32_e32 v22, 0, v22
	v_fmac_f32_e32 v23, v17, v20
	v_add_f32_e32 v26, v22, v23
	scratch_load_dwordx4 v[22:25], off, off offset:176
	v_mul_f32_e32 v15, v15, v19
	v_fma_f32 v14, v14, v18, -v15
	v_mul_f32_e32 v15, v17, v21
	v_add_f32_e32 v14, 0, v14
	v_fma_f32 v15, v16, v20, -v15
	v_add_f32_e32 v14, v14, v15
	s_waitcnt vmcnt(0) lgkmcnt(2)
	v_mul_f32_e32 v27, v10, v23
	v_fmac_f32_e32 v27, v11, v22
	v_add_f32_e32 v26, v26, v27
	v_mul_f32_e32 v27, v12, v25
	v_fmac_f32_e32 v27, v13, v24
	v_add_f32_e32 v30, v26, v27
	scratch_load_dwordx4 v[26:29], off, off offset:192
	v_mul_f32_e32 v11, v11, v23
	v_fma_f32 v10, v10, v22, -v11
	v_mul_f32_e32 v11, v13, v25
	v_add_f32_e32 v10, v14, v10
	v_fma_f32 v11, v12, v24, -v11
	v_add_f32_e32 v10, v10, v11
	s_waitcnt vmcnt(0) lgkmcnt(1)
	v_mul_f32_e32 v31, v6, v27
	v_fmac_f32_e32 v31, v7, v26
	v_add_f32_e32 v30, v30, v31
	v_mul_f32_e32 v31, v8, v29
	;; [unrolled: 14-line block ×3, first 2 shown]
	v_fmac_f32_e32 v35, v5, v32
	v_add_f32_e32 v42, v34, v35
	ds_read_b128 v[34:37], v94 offset:704
	v_mul_f32_e32 v3, v3, v31
	v_fma_f32 v2, v2, v30, -v3
	v_mul_f32_e32 v3, v5, v33
	v_add_f32_e32 v2, v6, v2
	s_waitcnt lgkmcnt(0)
	v_mul_f32_e32 v43, v34, v39
	v_fmac_f32_e32 v43, v35, v38
	v_add_f32_e32 v42, v42, v43
	v_mul_f32_e32 v43, v36, v41
	v_fmac_f32_e32 v43, v37, v40
	v_add_f32_e32 v50, v42, v43
	ds_read_b128 v[42:45], v94 offset:720
	v_fma_f32 v3, v4, v32, -v3
	v_add_f32_e32 v2, v2, v3
	v_mul_f32_e32 v3, v35, v39
	v_fma_f32 v3, v34, v38, -v3
	s_waitcnt lgkmcnt(0)
	v_mul_f32_e32 v51, v42, v47
	v_fmac_f32_e32 v51, v43, v46
	v_add_f32_e32 v50, v50, v51
	v_mul_f32_e32 v51, v44, v49
	v_fmac_f32_e32 v51, v45, v48
	v_add_f32_e32 v58, v50, v51
	ds_read_b128 v[50:53], v94 offset:736
	v_add_f32_e32 v2, v2, v3
	v_mul_f32_e32 v3, v37, v41
	v_fma_f32 v3, v36, v40, -v3
	v_add_f32_e32 v2, v2, v3
	s_waitcnt lgkmcnt(0)
	v_mul_f32_e32 v59, v50, v55
	v_fmac_f32_e32 v59, v51, v54
	v_add_f32_e32 v58, v58, v59
	v_mul_f32_e32 v59, v52, v57
	v_fmac_f32_e32 v59, v53, v56
	v_add_f32_e32 v66, v58, v59
	ds_read_b128 v[58:61], v94 offset:752
	v_mul_f32_e32 v3, v43, v47
	v_fma_f32 v3, v42, v46, -v3
	v_add_f32_e32 v2, v2, v3
	v_mul_f32_e32 v3, v45, v49
	s_waitcnt lgkmcnt(0)
	v_mul_f32_e32 v67, v58, v63
	v_fmac_f32_e32 v67, v59, v62
	v_add_f32_e32 v66, v66, v67
	v_mul_f32_e32 v67, v60, v65
	v_fmac_f32_e32 v67, v61, v64
	v_add_f32_e32 v74, v66, v67
	ds_read_b128 v[66:69], v94 offset:768
	v_fma_f32 v3, v44, v48, -v3
	v_add_f32_e32 v2, v2, v3
	v_mul_f32_e32 v3, v51, v55
	v_fma_f32 v3, v50, v54, -v3
	s_waitcnt lgkmcnt(0)
	v_mul_f32_e32 v75, v66, v71
	v_fmac_f32_e32 v75, v67, v70
	v_add_f32_e32 v74, v74, v75
	v_mul_f32_e32 v75, v68, v73
	v_fmac_f32_e32 v75, v69, v72
	v_add_f32_e32 v82, v74, v75
	ds_read_b128 v[74:77], v94 offset:784
	v_add_f32_e32 v2, v2, v3
	v_mul_f32_e32 v3, v53, v57
	v_fma_f32 v3, v52, v56, -v3
	v_add_f32_e32 v2, v2, v3
	s_waitcnt lgkmcnt(0)
	v_mul_f32_e32 v83, v74, v79
	v_fmac_f32_e32 v83, v75, v78
	v_add_f32_e32 v82, v82, v83
	v_mul_f32_e32 v83, v76, v81
	v_fmac_f32_e32 v83, v77, v80
	v_add_f32_e32 v90, v82, v83
	ds_read_b128 v[82:85], v94 offset:800
	v_mul_f32_e32 v3, v59, v63
	v_fma_f32 v3, v58, v62, -v3
	v_add_f32_e32 v2, v2, v3
	v_mul_f32_e32 v3, v61, v65
	;; [unrolled: 36-line block ×3, first 2 shown]
	s_waitcnt lgkmcnt(0)
	v_mul_f32_e32 v116, v108, v113
	v_fmac_f32_e32 v116, v109, v112
	v_add_f32_e32 v95, v95, v116
	v_mul_f32_e32 v116, v110, v115
	v_fmac_f32_e32 v116, v111, v114
	v_add_f32_e32 v95, v95, v116
	ds_read_b128 v[116:119], v94 offset:864
	v_fma_f32 v3, v76, v80, -v3
	v_add_f32_e32 v2, v2, v3
	v_mul_f32_e32 v3, v83, v87
	v_fma_f32 v3, v82, v86, -v3
	s_waitcnt lgkmcnt(0)
	v_mul_f32_e32 v124, v116, v121
	v_fmac_f32_e32 v124, v117, v120
	v_add_f32_e32 v95, v95, v124
	v_mul_f32_e32 v124, v118, v123
	v_fmac_f32_e32 v124, v119, v122
	v_add_f32_e32 v149, v95, v124
	ds_read_b128 v[124:127], v94 offset:880
	scratch_load_dwordx4 v[132:135], off, off offset:416
	scratch_load_dwordx4 v[136:139], off, off offset:432
	scratch_load_dwordx4 v[140:143], off, off offset:448
	scratch_load_dwordx4 v[144:147], off, off offset:464
	v_add_f32_e32 v2, v2, v3
	v_mul_f32_e32 v3, v85, v89
	v_fma_f32 v3, v84, v88, -v3
	v_add_f32_e32 v2, v2, v3
	v_mul_f32_e32 v3, v91, v97
	v_fma_f32 v3, v90, v96, -v3
	;; [unrolled: 3-line block ×9, first 2 shown]
	v_add_f32_e32 v148, v2, v3
	s_waitcnt lgkmcnt(0)
	v_mul_f32_e32 v2, v125, v129
	v_fma_f32 v164, v124, v128, -v2
	v_mul_f32_e32 v2, v127, v131
	v_fma_f32 v166, v126, v130, -v2
	ds_read_b128 v[2:5], v94 offset:896
	ds_read_b128 v[6:9], v94 offset:912
	;; [unrolled: 1-line block ×4, first 2 shown]
	v_mul_f32_e32 v165, v124, v129
	v_fmac_f32_e32 v165, v125, v128
	v_mul_f32_e32 v167, v126, v131
	v_fmac_f32_e32 v167, v127, v130
	v_pk_add_f32 v[18:19], v[148:149], v[164:165]
	s_waitcnt vmcnt(3) lgkmcnt(3)
	v_pk_mul_f32 v[20:21], v[2:3], v[132:133] op_sel:[1,1] op_sel_hi:[0,1]
	v_pk_fma_f32 v[22:23], v[2:3], v[132:133], v[20:21] neg_lo:[0,0,1] neg_hi:[0,0,1]
	v_pk_fma_f32 v[2:3], v[2:3], v[132:133], v[20:21] op_sel_hi:[1,0,1]
	v_pk_add_f32 v[18:19], v[18:19], v[166:167]
	v_mov_b32_e32 v23, v3
	v_pk_add_f32 v[2:3], v[18:19], v[22:23]
	v_mov_b32_e32 v18, v135
	v_pk_mul_f32 v[18:19], v[4:5], v[18:19] op_sel:[1,0] op_sel_hi:[0,0]
	v_pk_fma_f32 v[20:21], v[4:5], v[134:135], v[18:19] neg_lo:[0,0,1] neg_hi:[0,0,1]
	v_pk_fma_f32 v[4:5], v[4:5], v[134:135], v[18:19] op_sel_hi:[1,0,1]
	s_nop 0
	v_mov_b32_e32 v21, v5
	s_waitcnt vmcnt(2) lgkmcnt(2)
	v_pk_mul_f32 v[4:5], v[6:7], v[136:137] op_sel:[1,1] op_sel_hi:[0,1]
	v_pk_fma_f32 v[18:19], v[6:7], v[136:137], v[4:5] neg_lo:[0,0,1] neg_hi:[0,0,1]
	v_pk_fma_f32 v[4:5], v[6:7], v[136:137], v[4:5] op_sel_hi:[1,0,1]
	v_pk_add_f32 v[2:3], v[2:3], v[20:21]
	v_mov_b32_e32 v4, v139
	v_mov_b32_e32 v19, v5
	v_pk_mul_f32 v[4:5], v[8:9], v[4:5] op_sel:[1,0] op_sel_hi:[0,0]
	v_pk_fma_f32 v[6:7], v[8:9], v[138:139], v[4:5] neg_lo:[0,0,1] neg_hi:[0,0,1]
	v_pk_fma_f32 v[4:5], v[8:9], v[138:139], v[4:5] op_sel_hi:[1,0,1]
	v_pk_add_f32 v[2:3], v[2:3], v[18:19]
	v_mov_b32_e32 v7, v5
	s_waitcnt vmcnt(1) lgkmcnt(1)
	v_pk_mul_f32 v[4:5], v[10:11], v[140:141] op_sel:[1,1] op_sel_hi:[0,1]
	v_pk_add_f32 v[2:3], v[2:3], v[6:7]
	v_pk_fma_f32 v[6:7], v[10:11], v[140:141], v[4:5] neg_lo:[0,0,1] neg_hi:[0,0,1]
	v_pk_fma_f32 v[4:5], v[10:11], v[140:141], v[4:5] op_sel_hi:[1,0,1]
	s_nop 0
	v_mov_b32_e32 v4, v143
	v_mov_b32_e32 v7, v5
	v_pk_mul_f32 v[4:5], v[12:13], v[4:5] op_sel:[1,0] op_sel_hi:[0,0]
	v_pk_add_f32 v[2:3], v[2:3], v[6:7]
	v_pk_fma_f32 v[6:7], v[12:13], v[142:143], v[4:5] neg_lo:[0,0,1] neg_hi:[0,0,1]
	v_pk_fma_f32 v[4:5], v[12:13], v[142:143], v[4:5] op_sel_hi:[1,0,1]
	s_nop 0
	v_mov_b32_e32 v7, v5
	s_waitcnt vmcnt(0) lgkmcnt(0)
	v_pk_mul_f32 v[4:5], v[14:15], v[144:145] op_sel:[1,1] op_sel_hi:[0,1]
	v_pk_add_f32 v[2:3], v[2:3], v[6:7]
	v_pk_fma_f32 v[6:7], v[14:15], v[144:145], v[4:5] neg_lo:[0,0,1] neg_hi:[0,0,1]
	v_pk_fma_f32 v[4:5], v[14:15], v[144:145], v[4:5] op_sel_hi:[1,0,1]
	s_nop 0
	v_mov_b32_e32 v4, v147
	v_mov_b32_e32 v7, v5
	v_pk_mul_f32 v[4:5], v[16:17], v[4:5] op_sel:[1,0] op_sel_hi:[0,0]
	v_pk_add_f32 v[2:3], v[2:3], v[6:7]
	v_pk_fma_f32 v[6:7], v[16:17], v[146:147], v[4:5] neg_lo:[0,0,1] neg_hi:[0,0,1]
	v_pk_fma_f32 v[4:5], v[16:17], v[146:147], v[4:5] op_sel_hi:[1,0,1]
	s_nop 0
	v_mov_b32_e32 v7, v5
	scratch_load_dwordx2 v[4:5], off, off offset:152
	v_pk_add_f32 v[2:3], v[2:3], v[6:7]
	s_waitcnt vmcnt(0)
	v_pk_add_f32 v[2:3], v[4:5], v[2:3] neg_lo:[0,1] neg_hi:[0,1]
	scratch_store_dwordx2 off, v[2:3], off offset:152
	s_and_saveexec_b64 s[0:1], vcc
	s_cbranch_execz .LBB59_337
; %bb.336:
	scratch_load_dwordx2 v[2:3], off, off offset:144
	v_mov_b32_e32 v4, 0
	v_mov_b32_e32 v5, v4
	scratch_store_dwordx2 off, v[4:5], off offset:144
	s_waitcnt vmcnt(1)
	ds_write_b64 v1, v[2:3]
.LBB59_337:
	s_or_b64 exec, exec, s[0:1]
	s_waitcnt lgkmcnt(0)
	; wave barrier
	scratch_load_dwordx4 v[6:9], off, off offset:152
	scratch_load_dwordx4 v[14:17], off, off offset:168
	;; [unrolled: 1-line block ×10, first 2 shown]
	v_mov_b32_e32 v102, 0
	ds_read2_b64 v[2:5], v102 offset0:79 offset1:80
	scratch_load_dwordx4 v[86:89], off, off offset:312
	scratch_load_dwordx4 v[94:97], off, off offset:328
	;; [unrolled: 1-line block ×7, first 2 shown]
	v_cmp_lt_u32_e32 vcc, 17, v0
	s_waitcnt vmcnt(16) lgkmcnt(0)
	v_mul_f32_e32 v10, v2, v7
	v_fmac_f32_e32 v10, v3, v6
	v_mul_f32_e32 v11, v4, v9
	v_add_f32_e32 v10, 0, v10
	v_fmac_f32_e32 v11, v5, v8
	v_add_f32_e32 v18, v10, v11
	ds_read2_b64 v[10:13], v102 offset0:81 offset1:82
	v_mul_f32_e32 v3, v3, v7
	v_fma_f32 v2, v2, v6, -v3
	v_mul_f32_e32 v3, v5, v9
	v_add_f32_e32 v2, 0, v2
	s_waitcnt vmcnt(15) lgkmcnt(0)
	v_mul_f32_e32 v19, v10, v15
	v_fmac_f32_e32 v19, v11, v14
	v_add_f32_e32 v18, v18, v19
	v_mul_f32_e32 v19, v12, v17
	v_fmac_f32_e32 v19, v13, v16
	v_add_f32_e32 v26, v18, v19
	ds_read2_b64 v[18:21], v102 offset0:83 offset1:84
	v_fma_f32 v3, v4, v8, -v3
	v_add_f32_e32 v2, v2, v3
	v_mul_f32_e32 v3, v11, v15
	v_fma_f32 v3, v10, v14, -v3
	s_waitcnt vmcnt(14) lgkmcnt(0)
	v_mul_f32_e32 v27, v18, v23
	v_fmac_f32_e32 v27, v19, v22
	v_add_f32_e32 v26, v26, v27
	v_mul_f32_e32 v27, v20, v25
	v_fmac_f32_e32 v27, v21, v24
	v_add_f32_e32 v34, v26, v27
	ds_read2_b64 v[26:29], v102 offset0:85 offset1:86
	v_add_f32_e32 v2, v2, v3
	v_mul_f32_e32 v3, v13, v17
	v_fma_f32 v3, v12, v16, -v3
	v_add_f32_e32 v2, v2, v3
	s_waitcnt vmcnt(13) lgkmcnt(0)
	v_mul_f32_e32 v35, v26, v31
	v_fmac_f32_e32 v35, v27, v30
	v_add_f32_e32 v34, v34, v35
	v_mul_f32_e32 v35, v28, v33
	v_fmac_f32_e32 v35, v29, v32
	v_add_f32_e32 v42, v34, v35
	ds_read2_b64 v[34:37], v102 offset0:87 offset1:88
	v_mul_f32_e32 v3, v19, v23
	v_fma_f32 v3, v18, v22, -v3
	v_add_f32_e32 v2, v2, v3
	v_mul_f32_e32 v3, v21, v25
	s_waitcnt vmcnt(12) lgkmcnt(0)
	v_mul_f32_e32 v43, v34, v39
	v_fmac_f32_e32 v43, v35, v38
	v_add_f32_e32 v42, v42, v43
	v_mul_f32_e32 v43, v36, v41
	v_fmac_f32_e32 v43, v37, v40
	v_add_f32_e32 v50, v42, v43
	ds_read2_b64 v[42:45], v102 offset0:89 offset1:90
	v_fma_f32 v3, v20, v24, -v3
	v_add_f32_e32 v2, v2, v3
	v_mul_f32_e32 v3, v27, v31
	v_fma_f32 v3, v26, v30, -v3
	s_waitcnt vmcnt(11) lgkmcnt(0)
	v_mul_f32_e32 v51, v42, v47
	v_fmac_f32_e32 v51, v43, v46
	v_add_f32_e32 v50, v50, v51
	v_mul_f32_e32 v51, v44, v49
	v_fmac_f32_e32 v51, v45, v48
	v_add_f32_e32 v58, v50, v51
	ds_read2_b64 v[50:53], v102 offset0:91 offset1:92
	v_add_f32_e32 v2, v2, v3
	v_mul_f32_e32 v3, v29, v33
	v_fma_f32 v3, v28, v32, -v3
	v_add_f32_e32 v2, v2, v3
	s_waitcnt vmcnt(10) lgkmcnt(0)
	v_mul_f32_e32 v59, v50, v55
	v_fmac_f32_e32 v59, v51, v54
	v_add_f32_e32 v58, v58, v59
	v_mul_f32_e32 v59, v52, v57
	v_fmac_f32_e32 v59, v53, v56
	v_add_f32_e32 v66, v58, v59
	ds_read2_b64 v[58:61], v102 offset0:93 offset1:94
	v_mul_f32_e32 v3, v35, v39
	v_fma_f32 v3, v34, v38, -v3
	v_add_f32_e32 v2, v2, v3
	v_mul_f32_e32 v3, v37, v41
	;; [unrolled: 36-line block ×4, first 2 shown]
	s_waitcnt vmcnt(3) lgkmcnt(0)
	v_mul_f32_e32 v116, v108, v113
	v_fmac_f32_e32 v116, v109, v112
	v_add_f32_e32 v103, v103, v116
	v_mul_f32_e32 v116, v110, v115
	v_fmac_f32_e32 v116, v111, v114
	v_add_f32_e32 v103, v103, v116
	ds_read2_b64 v[116:119], v102 offset0:107 offset1:108
	v_fma_f32 v3, v68, v72, -v3
	v_add_f32_e32 v2, v2, v3
	v_mul_f32_e32 v3, v75, v79
	v_fma_f32 v3, v74, v78, -v3
	s_waitcnt vmcnt(2) lgkmcnt(0)
	v_mul_f32_e32 v124, v116, v121
	v_fmac_f32_e32 v124, v117, v120
	v_add_f32_e32 v103, v103, v124
	v_mul_f32_e32 v124, v118, v123
	v_fmac_f32_e32 v124, v119, v122
	v_add_f32_e32 v103, v103, v124
	ds_read2_b64 v[124:127], v102 offset0:109 offset1:110
	v_add_f32_e32 v2, v2, v3
	v_mul_f32_e32 v3, v77, v81
	v_fma_f32 v3, v76, v80, -v3
	v_add_f32_e32 v2, v2, v3
	s_waitcnt vmcnt(1) lgkmcnt(0)
	v_mul_f32_e32 v132, v124, v129
	v_fmac_f32_e32 v132, v125, v128
	v_add_f32_e32 v149, v103, v132
	ds_read2_b64 v[132:135], v102 offset0:111 offset1:112
	scratch_load_dwordx4 v[140:143], off, off offset:424
	scratch_load_dwordx4 v[144:147], off, off offset:440
	;; [unrolled: 1-line block ×3, first 2 shown]
	scratch_load_dwordx2 v[172:173], off, off offset:472
	v_mul_f32_e32 v3, v83, v87
	v_fma_f32 v3, v82, v86, -v3
	v_add_f32_e32 v2, v2, v3
	v_mul_f32_e32 v3, v85, v89
	v_fma_f32 v3, v84, v88, -v3
	v_add_f32_e32 v2, v2, v3
	;; [unrolled: 3-line block ×11, first 2 shown]
	v_mul_f32_e32 v2, v127, v131
	v_mul_f32_e32 v169, v126, v131
	v_fma_f32 v168, v126, v130, -v2
	s_waitcnt vmcnt(4) lgkmcnt(0)
	v_mul_f32_e32 v2, v133, v137
	v_mov_b32_e32 v18, v139
	v_fmac_f32_e32 v169, v127, v130
	v_mul_f32_e32 v171, v132, v137
	v_fma_f32 v170, v132, v136, -v2
	ds_read2_b64 v[2:5], v102 offset0:113 offset1:114
	ds_read2_b64 v[6:9], v102 offset0:115 offset1:116
	;; [unrolled: 1-line block ×3, first 2 shown]
	ds_read_b64 v[14:15], v102 offset:952
	v_pk_mul_f32 v[18:19], v[134:135], v[18:19] op_sel:[1,0] op_sel_hi:[0,0]
	v_fmac_f32_e32 v171, v133, v136
	v_pk_add_f32 v[16:17], v[148:149], v[168:169]
	v_pk_fma_f32 v[20:21], v[134:135], v[138:139], v[18:19] neg_lo:[0,0,1] neg_hi:[0,0,1]
	v_pk_fma_f32 v[18:19], v[134:135], v[138:139], v[18:19] op_sel_hi:[1,0,1]
	v_pk_add_f32 v[16:17], v[16:17], v[170:171]
	v_mov_b32_e32 v21, v19
	v_pk_add_f32 v[16:17], v[16:17], v[20:21]
	s_waitcnt vmcnt(3) lgkmcnt(3)
	v_pk_mul_f32 v[18:19], v[2:3], v[140:141] op_sel:[1,1] op_sel_hi:[0,1]
	v_pk_fma_f32 v[20:21], v[2:3], v[140:141], v[18:19] neg_lo:[0,0,1] neg_hi:[0,0,1]
	v_pk_fma_f32 v[2:3], v[2:3], v[140:141], v[18:19] op_sel_hi:[1,0,1]
	s_nop 0
	v_mov_b32_e32 v21, v3
	v_pk_add_f32 v[2:3], v[16:17], v[20:21]
	v_mov_b32_e32 v16, v143
	v_pk_mul_f32 v[16:17], v[4:5], v[16:17] op_sel:[1,0] op_sel_hi:[0,0]
	v_pk_fma_f32 v[18:19], v[4:5], v[142:143], v[16:17] neg_lo:[0,0,1] neg_hi:[0,0,1]
	v_pk_fma_f32 v[4:5], v[4:5], v[142:143], v[16:17] op_sel_hi:[1,0,1]
	s_nop 0
	v_mov_b32_e32 v19, v5
	s_waitcnt vmcnt(2) lgkmcnt(2)
	v_pk_mul_f32 v[4:5], v[6:7], v[144:145] op_sel:[1,1] op_sel_hi:[0,1]
	v_pk_fma_f32 v[16:17], v[6:7], v[144:145], v[4:5] neg_lo:[0,0,1] neg_hi:[0,0,1]
	v_pk_fma_f32 v[4:5], v[6:7], v[144:145], v[4:5] op_sel_hi:[1,0,1]
	v_pk_add_f32 v[2:3], v[2:3], v[18:19]
	v_mov_b32_e32 v4, v147
	v_mov_b32_e32 v17, v5
	v_pk_mul_f32 v[4:5], v[8:9], v[4:5] op_sel:[1,0] op_sel_hi:[0,0]
	v_pk_fma_f32 v[6:7], v[8:9], v[146:147], v[4:5] neg_lo:[0,0,1] neg_hi:[0,0,1]
	v_pk_fma_f32 v[4:5], v[8:9], v[146:147], v[4:5] op_sel_hi:[1,0,1]
	v_pk_add_f32 v[2:3], v[2:3], v[16:17]
	v_mov_b32_e32 v7, v5
	s_waitcnt vmcnt(1) lgkmcnt(1)
	v_pk_mul_f32 v[4:5], v[10:11], v[164:165] op_sel:[1,1] op_sel_hi:[0,1]
	v_pk_add_f32 v[2:3], v[2:3], v[6:7]
	v_pk_fma_f32 v[6:7], v[10:11], v[164:165], v[4:5] neg_lo:[0,0,1] neg_hi:[0,0,1]
	v_pk_fma_f32 v[4:5], v[10:11], v[164:165], v[4:5] op_sel_hi:[1,0,1]
	s_nop 0
	v_mov_b32_e32 v4, v167
	v_mov_b32_e32 v7, v5
	v_pk_mul_f32 v[4:5], v[12:13], v[4:5] op_sel:[1,0] op_sel_hi:[0,0]
	v_pk_add_f32 v[2:3], v[2:3], v[6:7]
	v_pk_fma_f32 v[6:7], v[12:13], v[166:167], v[4:5] neg_lo:[0,0,1] neg_hi:[0,0,1]
	v_pk_fma_f32 v[4:5], v[12:13], v[166:167], v[4:5] op_sel_hi:[1,0,1]
	s_nop 0
	v_mov_b32_e32 v7, v5
	s_waitcnt vmcnt(0) lgkmcnt(0)
	v_pk_mul_f32 v[4:5], v[14:15], v[172:173] op_sel:[1,1] op_sel_hi:[0,1]
	v_pk_add_f32 v[2:3], v[2:3], v[6:7]
	v_pk_fma_f32 v[6:7], v[14:15], v[172:173], v[4:5] neg_lo:[0,0,1] neg_hi:[0,0,1]
	v_pk_fma_f32 v[4:5], v[14:15], v[172:173], v[4:5] op_sel_hi:[1,0,1]
	s_nop 0
	v_mov_b32_e32 v7, v5
	scratch_load_dwordx2 v[4:5], off, off offset:144
	v_pk_add_f32 v[2:3], v[2:3], v[6:7]
	s_waitcnt vmcnt(0)
	v_pk_add_f32 v[2:3], v[4:5], v[2:3] neg_lo:[0,1] neg_hi:[0,1]
	scratch_store_dwordx2 off, v[2:3], off offset:144
	s_and_saveexec_b64 s[0:1], vcc
	s_cbranch_execz .LBB59_339
; %bb.338:
	scratch_load_dwordx2 v[2:3], off, off offset:136
	v_mov_b32_e32 v103, v102
	scratch_store_dwordx2 off, v[102:103], off offset:136
	s_waitcnt vmcnt(1)
	ds_write_b64 v1, v[2:3]
.LBB59_339:
	s_or_b64 exec, exec, s[0:1]
	s_waitcnt lgkmcnt(0)
	; wave barrier
	ds_read_b128 v[14:17], v102 offset:624
	ds_read_b128 v[10:13], v102 offset:640
	;; [unrolled: 1-line block ×4, first 2 shown]
	scratch_load_dwordx4 v[18:21], off, off offset:144
	scratch_load_dwordx4 v[38:41], off, off offset:208
	;; [unrolled: 1-line block ×11, first 2 shown]
	v_cmp_lt_u32_e32 vcc, 16, v0
	scratch_load_dwordx4 v[46:49], off, off offset:224
	scratch_load_dwordx4 v[54:57], off, off offset:240
	;; [unrolled: 1-line block ×3, first 2 shown]
	s_waitcnt vmcnt(13) lgkmcnt(3)
	v_mul_f32_e32 v22, v14, v19
	v_fmac_f32_e32 v22, v15, v18
	v_mul_f32_e32 v23, v16, v21
	v_add_f32_e32 v22, 0, v22
	v_fmac_f32_e32 v23, v17, v20
	v_add_f32_e32 v26, v22, v23
	scratch_load_dwordx4 v[22:25], off, off offset:160
	v_mul_f32_e32 v15, v15, v19
	v_fma_f32 v14, v14, v18, -v15
	v_mul_f32_e32 v15, v17, v21
	v_add_f32_e32 v14, 0, v14
	v_fma_f32 v15, v16, v20, -v15
	v_add_f32_e32 v14, v14, v15
	s_waitcnt vmcnt(0) lgkmcnt(2)
	v_mul_f32_e32 v27, v10, v23
	v_fmac_f32_e32 v27, v11, v22
	v_add_f32_e32 v26, v26, v27
	v_mul_f32_e32 v27, v12, v25
	v_fmac_f32_e32 v27, v13, v24
	v_add_f32_e32 v30, v26, v27
	scratch_load_dwordx4 v[26:29], off, off offset:176
	v_mul_f32_e32 v11, v11, v23
	v_fma_f32 v10, v10, v22, -v11
	v_mul_f32_e32 v11, v13, v25
	v_add_f32_e32 v10, v14, v10
	v_fma_f32 v11, v12, v24, -v11
	v_add_f32_e32 v10, v10, v11
	s_waitcnt vmcnt(0) lgkmcnt(1)
	v_mul_f32_e32 v31, v6, v27
	v_fmac_f32_e32 v31, v7, v26
	v_add_f32_e32 v30, v30, v31
	v_mul_f32_e32 v31, v8, v29
	v_fmac_f32_e32 v31, v9, v28
	v_add_f32_e32 v34, v30, v31
	scratch_load_dwordx4 v[30:33], off, off offset:192
	v_mul_f32_e32 v7, v7, v27
	v_fma_f32 v6, v6, v26, -v7
	v_mul_f32_e32 v7, v9, v29
	v_add_f32_e32 v6, v10, v6
	v_fma_f32 v7, v8, v28, -v7
	v_add_f32_e32 v6, v6, v7
	s_waitcnt vmcnt(0) lgkmcnt(0)
	v_mul_f32_e32 v35, v2, v31
	v_fmac_f32_e32 v35, v3, v30
	v_add_f32_e32 v34, v34, v35
	v_mul_f32_e32 v35, v4, v33
	v_fmac_f32_e32 v35, v5, v32
	v_add_f32_e32 v42, v34, v35
	ds_read_b128 v[34:37], v102 offset:688
	v_mul_f32_e32 v3, v3, v31
	v_fma_f32 v2, v2, v30, -v3
	v_mul_f32_e32 v3, v5, v33
	v_add_f32_e32 v2, v6, v2
	s_waitcnt lgkmcnt(0)
	v_mul_f32_e32 v43, v34, v39
	v_fmac_f32_e32 v43, v35, v38
	v_add_f32_e32 v42, v42, v43
	v_mul_f32_e32 v43, v36, v41
	v_fmac_f32_e32 v43, v37, v40
	v_add_f32_e32 v50, v42, v43
	ds_read_b128 v[42:45], v102 offset:704
	v_fma_f32 v3, v4, v32, -v3
	v_add_f32_e32 v2, v2, v3
	v_mul_f32_e32 v3, v35, v39
	v_fma_f32 v3, v34, v38, -v3
	s_waitcnt lgkmcnt(0)
	v_mul_f32_e32 v51, v42, v47
	v_fmac_f32_e32 v51, v43, v46
	v_add_f32_e32 v50, v50, v51
	v_mul_f32_e32 v51, v44, v49
	v_fmac_f32_e32 v51, v45, v48
	v_add_f32_e32 v58, v50, v51
	ds_read_b128 v[50:53], v102 offset:720
	v_add_f32_e32 v2, v2, v3
	v_mul_f32_e32 v3, v37, v41
	v_fma_f32 v3, v36, v40, -v3
	v_add_f32_e32 v2, v2, v3
	s_waitcnt lgkmcnt(0)
	v_mul_f32_e32 v59, v50, v55
	v_fmac_f32_e32 v59, v51, v54
	v_add_f32_e32 v58, v58, v59
	v_mul_f32_e32 v59, v52, v57
	v_fmac_f32_e32 v59, v53, v56
	v_add_f32_e32 v66, v58, v59
	ds_read_b128 v[58:61], v102 offset:736
	v_mul_f32_e32 v3, v43, v47
	v_fma_f32 v3, v42, v46, -v3
	v_add_f32_e32 v2, v2, v3
	v_mul_f32_e32 v3, v45, v49
	s_waitcnt lgkmcnt(0)
	v_mul_f32_e32 v67, v58, v63
	v_fmac_f32_e32 v67, v59, v62
	v_add_f32_e32 v66, v66, v67
	v_mul_f32_e32 v67, v60, v65
	v_fmac_f32_e32 v67, v61, v64
	v_add_f32_e32 v74, v66, v67
	ds_read_b128 v[66:69], v102 offset:752
	v_fma_f32 v3, v44, v48, -v3
	v_add_f32_e32 v2, v2, v3
	v_mul_f32_e32 v3, v51, v55
	v_fma_f32 v3, v50, v54, -v3
	s_waitcnt lgkmcnt(0)
	v_mul_f32_e32 v75, v66, v71
	v_fmac_f32_e32 v75, v67, v70
	v_add_f32_e32 v74, v74, v75
	v_mul_f32_e32 v75, v68, v73
	v_fmac_f32_e32 v75, v69, v72
	v_add_f32_e32 v82, v74, v75
	ds_read_b128 v[74:77], v102 offset:768
	v_add_f32_e32 v2, v2, v3
	v_mul_f32_e32 v3, v53, v57
	v_fma_f32 v3, v52, v56, -v3
	v_add_f32_e32 v2, v2, v3
	s_waitcnt lgkmcnt(0)
	v_mul_f32_e32 v83, v74, v79
	v_fmac_f32_e32 v83, v75, v78
	v_add_f32_e32 v82, v82, v83
	v_mul_f32_e32 v83, v76, v81
	v_fmac_f32_e32 v83, v77, v80
	v_add_f32_e32 v90, v82, v83
	ds_read_b128 v[82:85], v102 offset:784
	v_mul_f32_e32 v3, v59, v63
	v_fma_f32 v3, v58, v62, -v3
	v_add_f32_e32 v2, v2, v3
	v_mul_f32_e32 v3, v61, v65
	s_waitcnt lgkmcnt(0)
	v_mul_f32_e32 v91, v82, v87
	v_fmac_f32_e32 v91, v83, v86
	v_add_f32_e32 v90, v90, v91
	v_mul_f32_e32 v91, v84, v89
	v_fmac_f32_e32 v91, v85, v88
	v_add_f32_e32 v98, v90, v91
	ds_read_b128 v[90:93], v102 offset:800
	v_fma_f32 v3, v60, v64, -v3
	v_add_f32_e32 v2, v2, v3
	v_mul_f32_e32 v3, v67, v71
	v_fma_f32 v3, v66, v70, -v3
	s_waitcnt lgkmcnt(0)
	v_mul_f32_e32 v99, v90, v95
	v_fmac_f32_e32 v99, v91, v94
	v_add_f32_e32 v98, v98, v99
	v_mul_f32_e32 v99, v92, v97
	v_fmac_f32_e32 v99, v93, v96
	v_add_f32_e32 v103, v98, v99
	ds_read_b128 v[98:101], v102 offset:816
	v_add_f32_e32 v2, v2, v3
	v_mul_f32_e32 v3, v69, v73
	v_fma_f32 v3, v68, v72, -v3
	v_add_f32_e32 v2, v2, v3
	s_waitcnt lgkmcnt(0)
	v_mul_f32_e32 v108, v98, v105
	v_fmac_f32_e32 v108, v99, v104
	v_add_f32_e32 v103, v103, v108
	v_mul_f32_e32 v108, v100, v107
	v_fmac_f32_e32 v108, v101, v106
	v_add_f32_e32 v103, v103, v108
	ds_read_b128 v[108:111], v102 offset:832
	v_mul_f32_e32 v3, v75, v79
	v_fma_f32 v3, v74, v78, -v3
	v_add_f32_e32 v2, v2, v3
	v_mul_f32_e32 v3, v77, v81
	s_waitcnt lgkmcnt(0)
	v_mul_f32_e32 v116, v108, v113
	v_fmac_f32_e32 v116, v109, v112
	v_add_f32_e32 v103, v103, v116
	v_mul_f32_e32 v116, v110, v115
	v_fmac_f32_e32 v116, v111, v114
	v_add_f32_e32 v103, v103, v116
	ds_read_b128 v[116:119], v102 offset:848
	v_fma_f32 v3, v76, v80, -v3
	v_add_f32_e32 v2, v2, v3
	v_mul_f32_e32 v3, v83, v87
	v_fma_f32 v3, v82, v86, -v3
	s_waitcnt lgkmcnt(0)
	v_mul_f32_e32 v124, v116, v121
	v_fmac_f32_e32 v124, v117, v120
	v_add_f32_e32 v103, v103, v124
	v_mul_f32_e32 v124, v118, v123
	v_fmac_f32_e32 v124, v119, v122
	v_add_f32_e32 v103, v103, v124
	ds_read_b128 v[124:127], v102 offset:864
	v_add_f32_e32 v2, v2, v3
	v_mul_f32_e32 v3, v85, v89
	v_fma_f32 v3, v84, v88, -v3
	v_add_f32_e32 v2, v2, v3
	s_waitcnt lgkmcnt(0)
	v_mul_f32_e32 v132, v124, v129
	v_fmac_f32_e32 v132, v125, v128
	v_add_f32_e32 v103, v103, v132
	v_mul_f32_e32 v132, v126, v131
	v_fmac_f32_e32 v132, v127, v130
	v_add_f32_e32 v149, v103, v132
	ds_read_b128 v[132:135], v102 offset:880
	scratch_load_dwordx4 v[140:143], off, off offset:416
	scratch_load_dwordx4 v[144:147], off, off offset:432
	;; [unrolled: 1-line block ×4, first 2 shown]
	v_mul_f32_e32 v3, v91, v95
	v_fma_f32 v3, v90, v94, -v3
	v_add_f32_e32 v2, v2, v3
	v_mul_f32_e32 v3, v93, v97
	v_fma_f32 v3, v92, v96, -v3
	v_add_f32_e32 v2, v2, v3
	;; [unrolled: 3-line block ×10, first 2 shown]
	s_waitcnt lgkmcnt(0)
	v_mul_f32_e32 v2, v133, v137
	v_fma_f32 v172, v132, v136, -v2
	v_mul_f32_e32 v2, v135, v139
	v_fma_f32 v174, v134, v138, -v2
	ds_read_b128 v[2:5], v102 offset:896
	ds_read_b128 v[6:9], v102 offset:912
	;; [unrolled: 1-line block ×4, first 2 shown]
	v_mul_f32_e32 v173, v132, v137
	v_fmac_f32_e32 v173, v133, v136
	v_mul_f32_e32 v175, v134, v139
	v_fmac_f32_e32 v175, v135, v138
	v_pk_add_f32 v[18:19], v[148:149], v[172:173]
	s_waitcnt vmcnt(3) lgkmcnt(3)
	v_pk_mul_f32 v[20:21], v[2:3], v[140:141] op_sel:[1,1] op_sel_hi:[0,1]
	v_pk_fma_f32 v[22:23], v[2:3], v[140:141], v[20:21] neg_lo:[0,0,1] neg_hi:[0,0,1]
	v_pk_fma_f32 v[2:3], v[2:3], v[140:141], v[20:21] op_sel_hi:[1,0,1]
	v_pk_add_f32 v[18:19], v[18:19], v[174:175]
	v_mov_b32_e32 v23, v3
	v_pk_add_f32 v[2:3], v[18:19], v[22:23]
	v_mov_b32_e32 v18, v143
	v_pk_mul_f32 v[18:19], v[4:5], v[18:19] op_sel:[1,0] op_sel_hi:[0,0]
	v_pk_fma_f32 v[20:21], v[4:5], v[142:143], v[18:19] neg_lo:[0,0,1] neg_hi:[0,0,1]
	v_pk_fma_f32 v[4:5], v[4:5], v[142:143], v[18:19] op_sel_hi:[1,0,1]
	s_nop 0
	v_mov_b32_e32 v21, v5
	s_waitcnt vmcnt(2) lgkmcnt(2)
	v_pk_mul_f32 v[4:5], v[6:7], v[144:145] op_sel:[1,1] op_sel_hi:[0,1]
	v_pk_fma_f32 v[18:19], v[6:7], v[144:145], v[4:5] neg_lo:[0,0,1] neg_hi:[0,0,1]
	v_pk_fma_f32 v[4:5], v[6:7], v[144:145], v[4:5] op_sel_hi:[1,0,1]
	v_pk_add_f32 v[2:3], v[2:3], v[20:21]
	v_mov_b32_e32 v4, v147
	v_mov_b32_e32 v19, v5
	v_pk_mul_f32 v[4:5], v[8:9], v[4:5] op_sel:[1,0] op_sel_hi:[0,0]
	v_pk_fma_f32 v[6:7], v[8:9], v[146:147], v[4:5] neg_lo:[0,0,1] neg_hi:[0,0,1]
	v_pk_fma_f32 v[4:5], v[8:9], v[146:147], v[4:5] op_sel_hi:[1,0,1]
	v_pk_add_f32 v[2:3], v[2:3], v[18:19]
	v_mov_b32_e32 v7, v5
	s_waitcnt vmcnt(1) lgkmcnt(1)
	v_pk_mul_f32 v[4:5], v[10:11], v[164:165] op_sel:[1,1] op_sel_hi:[0,1]
	v_pk_add_f32 v[2:3], v[2:3], v[6:7]
	v_pk_fma_f32 v[6:7], v[10:11], v[164:165], v[4:5] neg_lo:[0,0,1] neg_hi:[0,0,1]
	v_pk_fma_f32 v[4:5], v[10:11], v[164:165], v[4:5] op_sel_hi:[1,0,1]
	s_nop 0
	v_mov_b32_e32 v4, v167
	v_mov_b32_e32 v7, v5
	v_pk_mul_f32 v[4:5], v[12:13], v[4:5] op_sel:[1,0] op_sel_hi:[0,0]
	v_pk_add_f32 v[2:3], v[2:3], v[6:7]
	v_pk_fma_f32 v[6:7], v[12:13], v[166:167], v[4:5] neg_lo:[0,0,1] neg_hi:[0,0,1]
	v_pk_fma_f32 v[4:5], v[12:13], v[166:167], v[4:5] op_sel_hi:[1,0,1]
	s_nop 0
	v_mov_b32_e32 v7, v5
	s_waitcnt vmcnt(0) lgkmcnt(0)
	v_pk_mul_f32 v[4:5], v[14:15], v[168:169] op_sel:[1,1] op_sel_hi:[0,1]
	v_pk_add_f32 v[2:3], v[2:3], v[6:7]
	v_pk_fma_f32 v[6:7], v[14:15], v[168:169], v[4:5] neg_lo:[0,0,1] neg_hi:[0,0,1]
	v_pk_fma_f32 v[4:5], v[14:15], v[168:169], v[4:5] op_sel_hi:[1,0,1]
	s_nop 0
	v_mov_b32_e32 v4, v171
	v_mov_b32_e32 v7, v5
	v_pk_mul_f32 v[4:5], v[16:17], v[4:5] op_sel:[1,0] op_sel_hi:[0,0]
	v_pk_add_f32 v[2:3], v[2:3], v[6:7]
	v_pk_fma_f32 v[6:7], v[16:17], v[170:171], v[4:5] neg_lo:[0,0,1] neg_hi:[0,0,1]
	v_pk_fma_f32 v[4:5], v[16:17], v[170:171], v[4:5] op_sel_hi:[1,0,1]
	s_nop 0
	v_mov_b32_e32 v7, v5
	scratch_load_dwordx2 v[4:5], off, off offset:136
	v_pk_add_f32 v[2:3], v[2:3], v[6:7]
	s_waitcnt vmcnt(0)
	v_pk_add_f32 v[2:3], v[4:5], v[2:3] neg_lo:[0,1] neg_hi:[0,1]
	scratch_store_dwordx2 off, v[2:3], off offset:136
	s_and_saveexec_b64 s[0:1], vcc
	s_cbranch_execz .LBB59_341
; %bb.340:
	scratch_load_dwordx2 v[2:3], off, off offset:128
	v_mov_b32_e32 v4, 0
	v_mov_b32_e32 v5, v4
	scratch_store_dwordx2 off, v[4:5], off offset:128
	s_waitcnt vmcnt(1)
	ds_write_b64 v1, v[2:3]
.LBB59_341:
	s_or_b64 exec, exec, s[0:1]
	s_waitcnt lgkmcnt(0)
	; wave barrier
	scratch_load_dwordx4 v[6:9], off, off offset:136
	scratch_load_dwordx4 v[14:17], off, off offset:152
	;; [unrolled: 1-line block ×10, first 2 shown]
	v_mov_b32_e32 v102, 0
	ds_read2_b64 v[2:5], v102 offset0:77 offset1:78
	scratch_load_dwordx4 v[86:89], off, off offset:296
	scratch_load_dwordx4 v[94:97], off, off offset:312
	;; [unrolled: 1-line block ×8, first 2 shown]
	v_cmp_lt_u32_e32 vcc, 15, v0
	s_waitcnt vmcnt(17) lgkmcnt(0)
	v_mul_f32_e32 v10, v2, v7
	v_fmac_f32_e32 v10, v3, v6
	v_mul_f32_e32 v11, v4, v9
	v_add_f32_e32 v10, 0, v10
	v_fmac_f32_e32 v11, v5, v8
	v_add_f32_e32 v18, v10, v11
	ds_read2_b64 v[10:13], v102 offset0:79 offset1:80
	v_mul_f32_e32 v3, v3, v7
	v_fma_f32 v2, v2, v6, -v3
	v_mul_f32_e32 v3, v5, v9
	v_add_f32_e32 v2, 0, v2
	s_waitcnt vmcnt(16) lgkmcnt(0)
	v_mul_f32_e32 v19, v10, v15
	v_fmac_f32_e32 v19, v11, v14
	v_add_f32_e32 v18, v18, v19
	v_mul_f32_e32 v19, v12, v17
	v_fmac_f32_e32 v19, v13, v16
	v_add_f32_e32 v26, v18, v19
	ds_read2_b64 v[18:21], v102 offset0:81 offset1:82
	v_fma_f32 v3, v4, v8, -v3
	v_add_f32_e32 v2, v2, v3
	v_mul_f32_e32 v3, v11, v15
	v_fma_f32 v3, v10, v14, -v3
	s_waitcnt vmcnt(15) lgkmcnt(0)
	v_mul_f32_e32 v27, v18, v23
	v_fmac_f32_e32 v27, v19, v22
	v_add_f32_e32 v26, v26, v27
	v_mul_f32_e32 v27, v20, v25
	v_fmac_f32_e32 v27, v21, v24
	v_add_f32_e32 v34, v26, v27
	ds_read2_b64 v[26:29], v102 offset0:83 offset1:84
	v_add_f32_e32 v2, v2, v3
	v_mul_f32_e32 v3, v13, v17
	v_fma_f32 v3, v12, v16, -v3
	v_add_f32_e32 v2, v2, v3
	s_waitcnt vmcnt(14) lgkmcnt(0)
	v_mul_f32_e32 v35, v26, v31
	v_fmac_f32_e32 v35, v27, v30
	v_add_f32_e32 v34, v34, v35
	v_mul_f32_e32 v35, v28, v33
	v_fmac_f32_e32 v35, v29, v32
	v_add_f32_e32 v42, v34, v35
	ds_read2_b64 v[34:37], v102 offset0:85 offset1:86
	v_mul_f32_e32 v3, v19, v23
	v_fma_f32 v3, v18, v22, -v3
	v_add_f32_e32 v2, v2, v3
	v_mul_f32_e32 v3, v21, v25
	s_waitcnt vmcnt(13) lgkmcnt(0)
	v_mul_f32_e32 v43, v34, v39
	v_fmac_f32_e32 v43, v35, v38
	v_add_f32_e32 v42, v42, v43
	v_mul_f32_e32 v43, v36, v41
	v_fmac_f32_e32 v43, v37, v40
	v_add_f32_e32 v50, v42, v43
	ds_read2_b64 v[42:45], v102 offset0:87 offset1:88
	v_fma_f32 v3, v20, v24, -v3
	v_add_f32_e32 v2, v2, v3
	v_mul_f32_e32 v3, v27, v31
	v_fma_f32 v3, v26, v30, -v3
	s_waitcnt vmcnt(12) lgkmcnt(0)
	v_mul_f32_e32 v51, v42, v47
	v_fmac_f32_e32 v51, v43, v46
	v_add_f32_e32 v50, v50, v51
	v_mul_f32_e32 v51, v44, v49
	v_fmac_f32_e32 v51, v45, v48
	v_add_f32_e32 v58, v50, v51
	ds_read2_b64 v[50:53], v102 offset0:89 offset1:90
	v_add_f32_e32 v2, v2, v3
	v_mul_f32_e32 v3, v29, v33
	v_fma_f32 v3, v28, v32, -v3
	v_add_f32_e32 v2, v2, v3
	s_waitcnt vmcnt(11) lgkmcnt(0)
	v_mul_f32_e32 v59, v50, v55
	v_fmac_f32_e32 v59, v51, v54
	v_add_f32_e32 v58, v58, v59
	v_mul_f32_e32 v59, v52, v57
	v_fmac_f32_e32 v59, v53, v56
	v_add_f32_e32 v66, v58, v59
	ds_read2_b64 v[58:61], v102 offset0:91 offset1:92
	v_mul_f32_e32 v3, v35, v39
	v_fma_f32 v3, v34, v38, -v3
	v_add_f32_e32 v2, v2, v3
	v_mul_f32_e32 v3, v37, v41
	;; [unrolled: 36-line block ×5, first 2 shown]
	s_waitcnt vmcnt(1) lgkmcnt(0)
	v_mul_f32_e32 v140, v132, v137
	v_fmac_f32_e32 v140, v133, v136
	v_add_f32_e32 v149, v103, v140
	ds_read2_b64 v[140:143], v102 offset0:111 offset1:112
	scratch_load_dwordx4 v[164:167], off, off offset:424
	scratch_load_dwordx4 v[168:171], off, off offset:440
	;; [unrolled: 1-line block ×3, first 2 shown]
	scratch_load_dwordx2 v[180:181], off, off offset:472
	v_fma_f32 v3, v84, v88, -v3
	v_add_f32_e32 v2, v2, v3
	v_mul_f32_e32 v3, v91, v95
	v_fma_f32 v3, v90, v94, -v3
	v_add_f32_e32 v2, v2, v3
	v_mul_f32_e32 v3, v93, v97
	;; [unrolled: 3-line block ×12, first 2 shown]
	v_mul_f32_e32 v177, v134, v139
	v_fma_f32 v176, v134, v138, -v2
	s_waitcnt vmcnt(4) lgkmcnt(0)
	v_mul_f32_e32 v2, v141, v145
	v_mov_b32_e32 v18, v147
	v_fmac_f32_e32 v177, v135, v138
	v_mul_f32_e32 v179, v140, v145
	v_fma_f32 v178, v140, v144, -v2
	ds_read2_b64 v[2:5], v102 offset0:113 offset1:114
	ds_read2_b64 v[6:9], v102 offset0:115 offset1:116
	;; [unrolled: 1-line block ×3, first 2 shown]
	ds_read_b64 v[14:15], v102 offset:952
	v_pk_mul_f32 v[18:19], v[142:143], v[18:19] op_sel:[1,0] op_sel_hi:[0,0]
	v_fmac_f32_e32 v179, v141, v144
	v_pk_add_f32 v[16:17], v[148:149], v[176:177]
	v_pk_fma_f32 v[20:21], v[142:143], v[146:147], v[18:19] neg_lo:[0,0,1] neg_hi:[0,0,1]
	v_pk_fma_f32 v[18:19], v[142:143], v[146:147], v[18:19] op_sel_hi:[1,0,1]
	v_pk_add_f32 v[16:17], v[16:17], v[178:179]
	v_mov_b32_e32 v21, v19
	v_pk_add_f32 v[16:17], v[16:17], v[20:21]
	s_waitcnt vmcnt(3) lgkmcnt(3)
	v_pk_mul_f32 v[18:19], v[2:3], v[164:165] op_sel:[1,1] op_sel_hi:[0,1]
	v_pk_fma_f32 v[20:21], v[2:3], v[164:165], v[18:19] neg_lo:[0,0,1] neg_hi:[0,0,1]
	v_pk_fma_f32 v[2:3], v[2:3], v[164:165], v[18:19] op_sel_hi:[1,0,1]
	s_nop 0
	v_mov_b32_e32 v21, v3
	v_pk_add_f32 v[2:3], v[16:17], v[20:21]
	v_mov_b32_e32 v16, v167
	v_pk_mul_f32 v[16:17], v[4:5], v[16:17] op_sel:[1,0] op_sel_hi:[0,0]
	v_pk_fma_f32 v[18:19], v[4:5], v[166:167], v[16:17] neg_lo:[0,0,1] neg_hi:[0,0,1]
	v_pk_fma_f32 v[4:5], v[4:5], v[166:167], v[16:17] op_sel_hi:[1,0,1]
	s_nop 0
	v_mov_b32_e32 v19, v5
	s_waitcnt vmcnt(2) lgkmcnt(2)
	v_pk_mul_f32 v[4:5], v[6:7], v[168:169] op_sel:[1,1] op_sel_hi:[0,1]
	v_pk_fma_f32 v[16:17], v[6:7], v[168:169], v[4:5] neg_lo:[0,0,1] neg_hi:[0,0,1]
	v_pk_fma_f32 v[4:5], v[6:7], v[168:169], v[4:5] op_sel_hi:[1,0,1]
	v_pk_add_f32 v[2:3], v[2:3], v[18:19]
	v_mov_b32_e32 v4, v171
	v_mov_b32_e32 v17, v5
	v_pk_mul_f32 v[4:5], v[8:9], v[4:5] op_sel:[1,0] op_sel_hi:[0,0]
	v_pk_fma_f32 v[6:7], v[8:9], v[170:171], v[4:5] neg_lo:[0,0,1] neg_hi:[0,0,1]
	v_pk_fma_f32 v[4:5], v[8:9], v[170:171], v[4:5] op_sel_hi:[1,0,1]
	v_pk_add_f32 v[2:3], v[2:3], v[16:17]
	v_mov_b32_e32 v7, v5
	s_waitcnt vmcnt(1) lgkmcnt(1)
	v_pk_mul_f32 v[4:5], v[10:11], v[172:173] op_sel:[1,1] op_sel_hi:[0,1]
	v_pk_add_f32 v[2:3], v[2:3], v[6:7]
	v_pk_fma_f32 v[6:7], v[10:11], v[172:173], v[4:5] neg_lo:[0,0,1] neg_hi:[0,0,1]
	v_pk_fma_f32 v[4:5], v[10:11], v[172:173], v[4:5] op_sel_hi:[1,0,1]
	s_nop 0
	v_mov_b32_e32 v4, v175
	v_mov_b32_e32 v7, v5
	v_pk_mul_f32 v[4:5], v[12:13], v[4:5] op_sel:[1,0] op_sel_hi:[0,0]
	v_pk_add_f32 v[2:3], v[2:3], v[6:7]
	v_pk_fma_f32 v[6:7], v[12:13], v[174:175], v[4:5] neg_lo:[0,0,1] neg_hi:[0,0,1]
	v_pk_fma_f32 v[4:5], v[12:13], v[174:175], v[4:5] op_sel_hi:[1,0,1]
	s_nop 0
	v_mov_b32_e32 v7, v5
	s_waitcnt vmcnt(0) lgkmcnt(0)
	v_pk_mul_f32 v[4:5], v[14:15], v[180:181] op_sel:[1,1] op_sel_hi:[0,1]
	v_pk_add_f32 v[2:3], v[2:3], v[6:7]
	v_pk_fma_f32 v[6:7], v[14:15], v[180:181], v[4:5] neg_lo:[0,0,1] neg_hi:[0,0,1]
	v_pk_fma_f32 v[4:5], v[14:15], v[180:181], v[4:5] op_sel_hi:[1,0,1]
	s_nop 0
	v_mov_b32_e32 v7, v5
	scratch_load_dwordx2 v[4:5], off, off offset:128
	v_pk_add_f32 v[2:3], v[2:3], v[6:7]
	s_waitcnt vmcnt(0)
	v_pk_add_f32 v[2:3], v[4:5], v[2:3] neg_lo:[0,1] neg_hi:[0,1]
	scratch_store_dwordx2 off, v[2:3], off offset:128
	s_and_saveexec_b64 s[0:1], vcc
	s_cbranch_execz .LBB59_343
; %bb.342:
	scratch_load_dwordx2 v[2:3], off, off offset:120
	v_mov_b32_e32 v103, v102
	scratch_store_dwordx2 off, v[102:103], off offset:120
	s_waitcnt vmcnt(1)
	ds_write_b64 v1, v[2:3]
.LBB59_343:
	s_or_b64 exec, exec, s[0:1]
	s_waitcnt lgkmcnt(0)
	; wave barrier
	ds_read_b128 v[14:17], v102 offset:608
	ds_read_b128 v[10:13], v102 offset:624
	;; [unrolled: 1-line block ×4, first 2 shown]
	scratch_load_dwordx4 v[18:21], off, off offset:128
	scratch_load_dwordx4 v[38:41], off, off offset:192
	;; [unrolled: 1-line block ×12, first 2 shown]
	v_cmp_lt_u32_e32 vcc, 14, v0
	scratch_load_dwordx4 v[46:49], off, off offset:208
	scratch_load_dwordx4 v[54:57], off, off offset:224
	;; [unrolled: 1-line block ×3, first 2 shown]
	s_waitcnt vmcnt(14) lgkmcnt(3)
	v_mul_f32_e32 v22, v14, v19
	v_fmac_f32_e32 v22, v15, v18
	v_mul_f32_e32 v23, v16, v21
	v_add_f32_e32 v22, 0, v22
	v_fmac_f32_e32 v23, v17, v20
	v_add_f32_e32 v26, v22, v23
	scratch_load_dwordx4 v[22:25], off, off offset:144
	v_mul_f32_e32 v15, v15, v19
	v_fma_f32 v14, v14, v18, -v15
	v_mul_f32_e32 v15, v17, v21
	v_add_f32_e32 v14, 0, v14
	v_fma_f32 v15, v16, v20, -v15
	v_add_f32_e32 v14, v14, v15
	s_waitcnt vmcnt(0) lgkmcnt(2)
	v_mul_f32_e32 v27, v10, v23
	v_fmac_f32_e32 v27, v11, v22
	v_add_f32_e32 v26, v26, v27
	v_mul_f32_e32 v27, v12, v25
	v_fmac_f32_e32 v27, v13, v24
	v_add_f32_e32 v30, v26, v27
	scratch_load_dwordx4 v[26:29], off, off offset:160
	v_mul_f32_e32 v11, v11, v23
	v_fma_f32 v10, v10, v22, -v11
	v_mul_f32_e32 v11, v13, v25
	v_add_f32_e32 v10, v14, v10
	v_fma_f32 v11, v12, v24, -v11
	v_add_f32_e32 v10, v10, v11
	s_waitcnt vmcnt(0) lgkmcnt(1)
	v_mul_f32_e32 v31, v6, v27
	v_fmac_f32_e32 v31, v7, v26
	v_add_f32_e32 v30, v30, v31
	v_mul_f32_e32 v31, v8, v29
	;; [unrolled: 14-line block ×3, first 2 shown]
	v_fmac_f32_e32 v35, v5, v32
	v_add_f32_e32 v42, v34, v35
	ds_read_b128 v[34:37], v102 offset:672
	v_mul_f32_e32 v3, v3, v31
	v_fma_f32 v2, v2, v30, -v3
	v_mul_f32_e32 v3, v5, v33
	v_add_f32_e32 v2, v6, v2
	s_waitcnt lgkmcnt(0)
	v_mul_f32_e32 v43, v34, v39
	v_fmac_f32_e32 v43, v35, v38
	v_add_f32_e32 v42, v42, v43
	v_mul_f32_e32 v43, v36, v41
	v_fmac_f32_e32 v43, v37, v40
	v_add_f32_e32 v50, v42, v43
	ds_read_b128 v[42:45], v102 offset:688
	v_fma_f32 v3, v4, v32, -v3
	v_add_f32_e32 v2, v2, v3
	v_mul_f32_e32 v3, v35, v39
	v_fma_f32 v3, v34, v38, -v3
	s_waitcnt lgkmcnt(0)
	v_mul_f32_e32 v51, v42, v47
	v_fmac_f32_e32 v51, v43, v46
	v_add_f32_e32 v50, v50, v51
	v_mul_f32_e32 v51, v44, v49
	v_fmac_f32_e32 v51, v45, v48
	v_add_f32_e32 v58, v50, v51
	ds_read_b128 v[50:53], v102 offset:704
	v_add_f32_e32 v2, v2, v3
	v_mul_f32_e32 v3, v37, v41
	v_fma_f32 v3, v36, v40, -v3
	v_add_f32_e32 v2, v2, v3
	s_waitcnt lgkmcnt(0)
	v_mul_f32_e32 v59, v50, v55
	v_fmac_f32_e32 v59, v51, v54
	v_add_f32_e32 v58, v58, v59
	v_mul_f32_e32 v59, v52, v57
	v_fmac_f32_e32 v59, v53, v56
	v_add_f32_e32 v66, v58, v59
	ds_read_b128 v[58:61], v102 offset:720
	v_mul_f32_e32 v3, v43, v47
	v_fma_f32 v3, v42, v46, -v3
	v_add_f32_e32 v2, v2, v3
	v_mul_f32_e32 v3, v45, v49
	s_waitcnt lgkmcnt(0)
	v_mul_f32_e32 v67, v58, v63
	v_fmac_f32_e32 v67, v59, v62
	v_add_f32_e32 v66, v66, v67
	v_mul_f32_e32 v67, v60, v65
	v_fmac_f32_e32 v67, v61, v64
	v_add_f32_e32 v74, v66, v67
	ds_read_b128 v[66:69], v102 offset:736
	v_fma_f32 v3, v44, v48, -v3
	v_add_f32_e32 v2, v2, v3
	v_mul_f32_e32 v3, v51, v55
	v_fma_f32 v3, v50, v54, -v3
	s_waitcnt lgkmcnt(0)
	v_mul_f32_e32 v75, v66, v71
	v_fmac_f32_e32 v75, v67, v70
	v_add_f32_e32 v74, v74, v75
	v_mul_f32_e32 v75, v68, v73
	v_fmac_f32_e32 v75, v69, v72
	v_add_f32_e32 v82, v74, v75
	ds_read_b128 v[74:77], v102 offset:752
	v_add_f32_e32 v2, v2, v3
	v_mul_f32_e32 v3, v53, v57
	v_fma_f32 v3, v52, v56, -v3
	v_add_f32_e32 v2, v2, v3
	s_waitcnt lgkmcnt(0)
	v_mul_f32_e32 v83, v74, v79
	v_fmac_f32_e32 v83, v75, v78
	v_add_f32_e32 v82, v82, v83
	v_mul_f32_e32 v83, v76, v81
	v_fmac_f32_e32 v83, v77, v80
	v_add_f32_e32 v90, v82, v83
	ds_read_b128 v[82:85], v102 offset:768
	v_mul_f32_e32 v3, v59, v63
	v_fma_f32 v3, v58, v62, -v3
	v_add_f32_e32 v2, v2, v3
	v_mul_f32_e32 v3, v61, v65
	;; [unrolled: 36-line block ×4, first 2 shown]
	s_waitcnt lgkmcnt(0)
	v_mul_f32_e32 v140, v132, v137
	v_fmac_f32_e32 v140, v133, v136
	v_add_f32_e32 v103, v103, v140
	v_mul_f32_e32 v140, v134, v139
	v_fmac_f32_e32 v140, v135, v138
	v_add_f32_e32 v149, v103, v140
	ds_read_b128 v[140:143], v102 offset:880
	scratch_load_dwordx4 v[164:167], off, off offset:416
	scratch_load_dwordx4 v[168:171], off, off offset:432
	;; [unrolled: 1-line block ×4, first 2 shown]
	v_fma_f32 v3, v92, v96, -v3
	v_add_f32_e32 v2, v2, v3
	v_mul_f32_e32 v3, v99, v105
	v_fma_f32 v3, v98, v104, -v3
	v_add_f32_e32 v2, v2, v3
	v_mul_f32_e32 v3, v101, v107
	v_fma_f32 v3, v100, v106, -v3
	v_add_f32_e32 v2, v2, v3
	v_mul_f32_e32 v3, v109, v113
	v_fma_f32 v3, v108, v112, -v3
	v_add_f32_e32 v2, v2, v3
	v_mul_f32_e32 v3, v111, v115
	v_fma_f32 v3, v110, v114, -v3
	v_add_f32_e32 v2, v2, v3
	v_mul_f32_e32 v3, v117, v121
	v_fma_f32 v3, v116, v120, -v3
	v_add_f32_e32 v2, v2, v3
	v_mul_f32_e32 v3, v119, v123
	v_fma_f32 v3, v118, v122, -v3
	v_add_f32_e32 v2, v2, v3
	v_mul_f32_e32 v3, v125, v129
	v_fma_f32 v3, v124, v128, -v3
	v_add_f32_e32 v2, v2, v3
	v_mul_f32_e32 v3, v127, v131
	v_fma_f32 v3, v126, v130, -v3
	v_add_f32_e32 v2, v2, v3
	v_mul_f32_e32 v3, v133, v137
	v_fma_f32 v3, v132, v136, -v3
	v_add_f32_e32 v2, v2, v3
	v_mul_f32_e32 v3, v135, v139
	v_fma_f32 v3, v134, v138, -v3
	v_add_f32_e32 v148, v2, v3
	s_waitcnt lgkmcnt(0)
	v_mul_f32_e32 v2, v141, v145
	v_fma_f32 v180, v140, v144, -v2
	v_mul_f32_e32 v2, v143, v147
	v_fma_f32 v182, v142, v146, -v2
	ds_read_b128 v[2:5], v102 offset:896
	ds_read_b128 v[6:9], v102 offset:912
	;; [unrolled: 1-line block ×4, first 2 shown]
	v_mul_f32_e32 v181, v140, v145
	v_fmac_f32_e32 v181, v141, v144
	v_mul_f32_e32 v183, v142, v147
	v_fmac_f32_e32 v183, v143, v146
	v_pk_add_f32 v[18:19], v[148:149], v[180:181]
	s_waitcnt vmcnt(3) lgkmcnt(3)
	v_pk_mul_f32 v[20:21], v[2:3], v[164:165] op_sel:[1,1] op_sel_hi:[0,1]
	v_pk_fma_f32 v[22:23], v[2:3], v[164:165], v[20:21] neg_lo:[0,0,1] neg_hi:[0,0,1]
	v_pk_fma_f32 v[2:3], v[2:3], v[164:165], v[20:21] op_sel_hi:[1,0,1]
	v_pk_add_f32 v[18:19], v[18:19], v[182:183]
	v_mov_b32_e32 v23, v3
	v_pk_add_f32 v[2:3], v[18:19], v[22:23]
	v_mov_b32_e32 v18, v167
	v_pk_mul_f32 v[18:19], v[4:5], v[18:19] op_sel:[1,0] op_sel_hi:[0,0]
	v_pk_fma_f32 v[20:21], v[4:5], v[166:167], v[18:19] neg_lo:[0,0,1] neg_hi:[0,0,1]
	v_pk_fma_f32 v[4:5], v[4:5], v[166:167], v[18:19] op_sel_hi:[1,0,1]
	s_nop 0
	v_mov_b32_e32 v21, v5
	s_waitcnt vmcnt(2) lgkmcnt(2)
	v_pk_mul_f32 v[4:5], v[6:7], v[168:169] op_sel:[1,1] op_sel_hi:[0,1]
	v_pk_fma_f32 v[18:19], v[6:7], v[168:169], v[4:5] neg_lo:[0,0,1] neg_hi:[0,0,1]
	v_pk_fma_f32 v[4:5], v[6:7], v[168:169], v[4:5] op_sel_hi:[1,0,1]
	v_pk_add_f32 v[2:3], v[2:3], v[20:21]
	v_mov_b32_e32 v4, v171
	v_mov_b32_e32 v19, v5
	v_pk_mul_f32 v[4:5], v[8:9], v[4:5] op_sel:[1,0] op_sel_hi:[0,0]
	v_pk_fma_f32 v[6:7], v[8:9], v[170:171], v[4:5] neg_lo:[0,0,1] neg_hi:[0,0,1]
	v_pk_fma_f32 v[4:5], v[8:9], v[170:171], v[4:5] op_sel_hi:[1,0,1]
	v_pk_add_f32 v[2:3], v[2:3], v[18:19]
	v_mov_b32_e32 v7, v5
	s_waitcnt vmcnt(1) lgkmcnt(1)
	v_pk_mul_f32 v[4:5], v[10:11], v[172:173] op_sel:[1,1] op_sel_hi:[0,1]
	v_pk_add_f32 v[2:3], v[2:3], v[6:7]
	v_pk_fma_f32 v[6:7], v[10:11], v[172:173], v[4:5] neg_lo:[0,0,1] neg_hi:[0,0,1]
	v_pk_fma_f32 v[4:5], v[10:11], v[172:173], v[4:5] op_sel_hi:[1,0,1]
	s_nop 0
	v_mov_b32_e32 v4, v175
	v_mov_b32_e32 v7, v5
	v_pk_mul_f32 v[4:5], v[12:13], v[4:5] op_sel:[1,0] op_sel_hi:[0,0]
	v_pk_add_f32 v[2:3], v[2:3], v[6:7]
	v_pk_fma_f32 v[6:7], v[12:13], v[174:175], v[4:5] neg_lo:[0,0,1] neg_hi:[0,0,1]
	v_pk_fma_f32 v[4:5], v[12:13], v[174:175], v[4:5] op_sel_hi:[1,0,1]
	s_nop 0
	v_mov_b32_e32 v7, v5
	s_waitcnt vmcnt(0) lgkmcnt(0)
	v_pk_mul_f32 v[4:5], v[14:15], v[176:177] op_sel:[1,1] op_sel_hi:[0,1]
	v_pk_add_f32 v[2:3], v[2:3], v[6:7]
	v_pk_fma_f32 v[6:7], v[14:15], v[176:177], v[4:5] neg_lo:[0,0,1] neg_hi:[0,0,1]
	v_pk_fma_f32 v[4:5], v[14:15], v[176:177], v[4:5] op_sel_hi:[1,0,1]
	s_nop 0
	v_mov_b32_e32 v4, v179
	v_mov_b32_e32 v7, v5
	v_pk_mul_f32 v[4:5], v[16:17], v[4:5] op_sel:[1,0] op_sel_hi:[0,0]
	v_pk_add_f32 v[2:3], v[2:3], v[6:7]
	v_pk_fma_f32 v[6:7], v[16:17], v[178:179], v[4:5] neg_lo:[0,0,1] neg_hi:[0,0,1]
	v_pk_fma_f32 v[4:5], v[16:17], v[178:179], v[4:5] op_sel_hi:[1,0,1]
	s_nop 0
	v_mov_b32_e32 v7, v5
	scratch_load_dwordx2 v[4:5], off, off offset:120
	v_pk_add_f32 v[2:3], v[2:3], v[6:7]
	s_waitcnt vmcnt(0)
	v_pk_add_f32 v[2:3], v[4:5], v[2:3] neg_lo:[0,1] neg_hi:[0,1]
	scratch_store_dwordx2 off, v[2:3], off offset:120
	s_and_saveexec_b64 s[0:1], vcc
	s_cbranch_execz .LBB59_345
; %bb.344:
	scratch_load_dwordx2 v[2:3], off, off offset:112
	v_mov_b32_e32 v4, 0
	v_mov_b32_e32 v5, v4
	scratch_store_dwordx2 off, v[4:5], off offset:112
	s_waitcnt vmcnt(1)
	ds_write_b64 v1, v[2:3]
.LBB59_345:
	s_or_b64 exec, exec, s[0:1]
	s_waitcnt lgkmcnt(0)
	; wave barrier
	scratch_load_dwordx4 v[6:9], off, off offset:120
	scratch_load_dwordx4 v[14:17], off, off offset:136
	;; [unrolled: 1-line block ×10, first 2 shown]
	v_mov_b32_e32 v110, 0
	ds_read2_b64 v[2:5], v110 offset0:75 offset1:76
	ds_read2_b64 v[164:167], v110 offset0:111 offset1:112
	scratch_load_dwordx4 v[86:89], off, off offset:280
	scratch_load_dwordx4 v[94:97], off, off offset:296
	;; [unrolled: 1-line block ×9, first 2 shown]
	v_cmp_lt_u32_e32 vcc, 13, v0
	s_waitcnt vmcnt(18) lgkmcnt(1)
	v_mul_f32_e32 v10, v2, v7
	v_fmac_f32_e32 v10, v3, v6
	v_mul_f32_e32 v11, v4, v9
	v_add_f32_e32 v10, 0, v10
	v_fmac_f32_e32 v11, v5, v8
	v_add_f32_e32 v18, v10, v11
	ds_read2_b64 v[10:13], v110 offset0:77 offset1:78
	v_mul_f32_e32 v3, v3, v7
	v_fma_f32 v2, v2, v6, -v3
	v_mul_f32_e32 v3, v5, v9
	v_add_f32_e32 v2, 0, v2
	s_waitcnt vmcnt(17) lgkmcnt(0)
	v_mul_f32_e32 v19, v10, v15
	v_fmac_f32_e32 v19, v11, v14
	v_add_f32_e32 v18, v18, v19
	v_mul_f32_e32 v19, v12, v17
	v_fmac_f32_e32 v19, v13, v16
	v_add_f32_e32 v26, v18, v19
	ds_read2_b64 v[18:21], v110 offset0:79 offset1:80
	v_fma_f32 v3, v4, v8, -v3
	v_add_f32_e32 v2, v2, v3
	v_mul_f32_e32 v3, v11, v15
	v_fma_f32 v3, v10, v14, -v3
	s_waitcnt vmcnt(16) lgkmcnt(0)
	v_mul_f32_e32 v27, v18, v23
	v_fmac_f32_e32 v27, v19, v22
	v_add_f32_e32 v26, v26, v27
	v_mul_f32_e32 v27, v20, v25
	v_fmac_f32_e32 v27, v21, v24
	v_add_f32_e32 v34, v26, v27
	ds_read2_b64 v[26:29], v110 offset0:81 offset1:82
	v_add_f32_e32 v2, v2, v3
	v_mul_f32_e32 v3, v13, v17
	v_fma_f32 v3, v12, v16, -v3
	v_add_f32_e32 v2, v2, v3
	s_waitcnt vmcnt(15) lgkmcnt(0)
	v_mul_f32_e32 v35, v26, v31
	v_fmac_f32_e32 v35, v27, v30
	v_add_f32_e32 v34, v34, v35
	v_mul_f32_e32 v35, v28, v33
	v_fmac_f32_e32 v35, v29, v32
	v_add_f32_e32 v42, v34, v35
	ds_read2_b64 v[34:37], v110 offset0:83 offset1:84
	v_mul_f32_e32 v3, v19, v23
	v_fma_f32 v3, v18, v22, -v3
	v_add_f32_e32 v2, v2, v3
	v_mul_f32_e32 v3, v21, v25
	s_waitcnt vmcnt(14) lgkmcnt(0)
	v_mul_f32_e32 v43, v34, v39
	v_fmac_f32_e32 v43, v35, v38
	v_add_f32_e32 v42, v42, v43
	v_mul_f32_e32 v43, v36, v41
	v_fmac_f32_e32 v43, v37, v40
	v_add_f32_e32 v50, v42, v43
	ds_read2_b64 v[42:45], v110 offset0:85 offset1:86
	v_fma_f32 v3, v20, v24, -v3
	v_add_f32_e32 v2, v2, v3
	v_mul_f32_e32 v3, v27, v31
	v_fma_f32 v3, v26, v30, -v3
	s_waitcnt vmcnt(13) lgkmcnt(0)
	v_mul_f32_e32 v51, v42, v47
	v_fmac_f32_e32 v51, v43, v46
	v_add_f32_e32 v50, v50, v51
	v_mul_f32_e32 v51, v44, v49
	v_fmac_f32_e32 v51, v45, v48
	v_add_f32_e32 v58, v50, v51
	ds_read2_b64 v[50:53], v110 offset0:87 offset1:88
	v_add_f32_e32 v2, v2, v3
	v_mul_f32_e32 v3, v29, v33
	v_fma_f32 v3, v28, v32, -v3
	v_add_f32_e32 v2, v2, v3
	s_waitcnt vmcnt(12) lgkmcnt(0)
	v_mul_f32_e32 v59, v50, v55
	v_fmac_f32_e32 v59, v51, v54
	v_add_f32_e32 v58, v58, v59
	v_mul_f32_e32 v59, v52, v57
	v_fmac_f32_e32 v59, v53, v56
	v_add_f32_e32 v66, v58, v59
	ds_read2_b64 v[58:61], v110 offset0:89 offset1:90
	v_mul_f32_e32 v3, v35, v39
	v_fma_f32 v3, v34, v38, -v3
	v_add_f32_e32 v2, v2, v3
	v_mul_f32_e32 v3, v37, v41
	;; [unrolled: 36-line block ×5, first 2 shown]
	s_waitcnt vmcnt(2) lgkmcnt(0)
	v_mul_f32_e32 v140, v132, v137
	v_fmac_f32_e32 v140, v133, v136
	v_add_f32_e32 v111, v111, v140
	v_mul_f32_e32 v140, v134, v139
	v_fmac_f32_e32 v140, v135, v138
	v_add_f32_e32 v111, v111, v140
	ds_read2_b64 v[140:143], v110 offset0:109 offset1:110
	scratch_load_dwordx4 v[172:175], off, off offset:424
	scratch_load_dwordx4 v[176:179], off, off offset:440
	;; [unrolled: 1-line block ×3, first 2 shown]
	scratch_load_dwordx2 v[188:189], off, off offset:472
	v_fma_f32 v3, v84, v88, -v3
	v_add_f32_e32 v2, v2, v3
	v_mul_f32_e32 v3, v91, v95
	v_fma_f32 v3, v90, v94, -v3
	v_add_f32_e32 v2, v2, v3
	v_mul_f32_e32 v3, v93, v97
	;; [unrolled: 3-line block ×12, first 2 shown]
	v_fma_f32 v3, v134, v138, -v3
	s_waitcnt vmcnt(5) lgkmcnt(0)
	v_mul_f32_e32 v148, v140, v145
	v_add_f32_e32 v2, v2, v3
	v_mul_f32_e32 v3, v141, v145
	v_fmac_f32_e32 v148, v141, v144
	v_fma_f32 v3, v140, v144, -v3
	v_add_f32_e32 v149, v111, v148
	v_add_f32_e32 v148, v2, v3
	v_mul_f32_e32 v2, v143, v147
	v_mul_f32_e32 v185, v142, v147
	v_fma_f32 v184, v142, v146, -v2
	s_waitcnt vmcnt(4)
	v_mul_f32_e32 v2, v165, v169
	v_mov_b32_e32 v18, v171
	v_fmac_f32_e32 v185, v143, v146
	v_mul_f32_e32 v187, v164, v169
	v_fma_f32 v186, v164, v168, -v2
	ds_read2_b64 v[2:5], v110 offset0:113 offset1:114
	ds_read2_b64 v[6:9], v110 offset0:115 offset1:116
	;; [unrolled: 1-line block ×3, first 2 shown]
	ds_read_b64 v[14:15], v110 offset:952
	v_pk_mul_f32 v[18:19], v[166:167], v[18:19] op_sel:[1,0] op_sel_hi:[0,0]
	v_fmac_f32_e32 v187, v165, v168
	v_pk_add_f32 v[16:17], v[148:149], v[184:185]
	v_pk_fma_f32 v[20:21], v[166:167], v[170:171], v[18:19] neg_lo:[0,0,1] neg_hi:[0,0,1]
	v_pk_fma_f32 v[18:19], v[166:167], v[170:171], v[18:19] op_sel_hi:[1,0,1]
	v_pk_add_f32 v[16:17], v[16:17], v[186:187]
	v_mov_b32_e32 v21, v19
	v_pk_add_f32 v[16:17], v[16:17], v[20:21]
	s_waitcnt vmcnt(3) lgkmcnt(3)
	v_pk_mul_f32 v[18:19], v[2:3], v[172:173] op_sel:[1,1] op_sel_hi:[0,1]
	v_pk_fma_f32 v[20:21], v[2:3], v[172:173], v[18:19] neg_lo:[0,0,1] neg_hi:[0,0,1]
	v_pk_fma_f32 v[2:3], v[2:3], v[172:173], v[18:19] op_sel_hi:[1,0,1]
	s_nop 0
	v_mov_b32_e32 v21, v3
	v_pk_add_f32 v[2:3], v[16:17], v[20:21]
	v_mov_b32_e32 v16, v175
	v_pk_mul_f32 v[16:17], v[4:5], v[16:17] op_sel:[1,0] op_sel_hi:[0,0]
	v_pk_fma_f32 v[18:19], v[4:5], v[174:175], v[16:17] neg_lo:[0,0,1] neg_hi:[0,0,1]
	v_pk_fma_f32 v[4:5], v[4:5], v[174:175], v[16:17] op_sel_hi:[1,0,1]
	s_nop 0
	v_mov_b32_e32 v19, v5
	s_waitcnt vmcnt(2) lgkmcnt(2)
	v_pk_mul_f32 v[4:5], v[6:7], v[176:177] op_sel:[1,1] op_sel_hi:[0,1]
	v_pk_fma_f32 v[16:17], v[6:7], v[176:177], v[4:5] neg_lo:[0,0,1] neg_hi:[0,0,1]
	v_pk_fma_f32 v[4:5], v[6:7], v[176:177], v[4:5] op_sel_hi:[1,0,1]
	v_pk_add_f32 v[2:3], v[2:3], v[18:19]
	v_mov_b32_e32 v4, v179
	v_mov_b32_e32 v17, v5
	v_pk_mul_f32 v[4:5], v[8:9], v[4:5] op_sel:[1,0] op_sel_hi:[0,0]
	v_pk_fma_f32 v[6:7], v[8:9], v[178:179], v[4:5] neg_lo:[0,0,1] neg_hi:[0,0,1]
	v_pk_fma_f32 v[4:5], v[8:9], v[178:179], v[4:5] op_sel_hi:[1,0,1]
	v_pk_add_f32 v[2:3], v[2:3], v[16:17]
	v_mov_b32_e32 v7, v5
	s_waitcnt vmcnt(1) lgkmcnt(1)
	v_pk_mul_f32 v[4:5], v[10:11], v[180:181] op_sel:[1,1] op_sel_hi:[0,1]
	v_pk_add_f32 v[2:3], v[2:3], v[6:7]
	v_pk_fma_f32 v[6:7], v[10:11], v[180:181], v[4:5] neg_lo:[0,0,1] neg_hi:[0,0,1]
	v_pk_fma_f32 v[4:5], v[10:11], v[180:181], v[4:5] op_sel_hi:[1,0,1]
	s_nop 0
	v_mov_b32_e32 v4, v183
	v_mov_b32_e32 v7, v5
	v_pk_mul_f32 v[4:5], v[12:13], v[4:5] op_sel:[1,0] op_sel_hi:[0,0]
	v_pk_add_f32 v[2:3], v[2:3], v[6:7]
	v_pk_fma_f32 v[6:7], v[12:13], v[182:183], v[4:5] neg_lo:[0,0,1] neg_hi:[0,0,1]
	v_pk_fma_f32 v[4:5], v[12:13], v[182:183], v[4:5] op_sel_hi:[1,0,1]
	s_nop 0
	v_mov_b32_e32 v7, v5
	s_waitcnt vmcnt(0) lgkmcnt(0)
	v_pk_mul_f32 v[4:5], v[14:15], v[188:189] op_sel:[1,1] op_sel_hi:[0,1]
	v_pk_add_f32 v[2:3], v[2:3], v[6:7]
	v_pk_fma_f32 v[6:7], v[14:15], v[188:189], v[4:5] neg_lo:[0,0,1] neg_hi:[0,0,1]
	v_pk_fma_f32 v[4:5], v[14:15], v[188:189], v[4:5] op_sel_hi:[1,0,1]
	s_nop 0
	v_mov_b32_e32 v7, v5
	scratch_load_dwordx2 v[4:5], off, off offset:112
	v_pk_add_f32 v[2:3], v[2:3], v[6:7]
	s_waitcnt vmcnt(0)
	v_pk_add_f32 v[2:3], v[4:5], v[2:3] neg_lo:[0,1] neg_hi:[0,1]
	scratch_store_dwordx2 off, v[2:3], off offset:112
	s_and_saveexec_b64 s[0:1], vcc
	s_cbranch_execz .LBB59_347
; %bb.346:
	scratch_load_dwordx2 v[2:3], off, off offset:104
	v_mov_b32_e32 v111, v110
	scratch_store_dwordx2 off, v[110:111], off offset:104
	s_waitcnt vmcnt(1)
	ds_write_b64 v1, v[2:3]
.LBB59_347:
	s_or_b64 exec, exec, s[0:1]
	s_waitcnt lgkmcnt(0)
	; wave barrier
	ds_read_b128 v[14:17], v110 offset:592
	ds_read_b128 v[10:13], v110 offset:608
	;; [unrolled: 1-line block ×4, first 2 shown]
	scratch_load_dwordx4 v[18:21], off, off offset:112
	scratch_load_dwordx4 v[38:41], off, off offset:176
	;; [unrolled: 1-line block ×13, first 2 shown]
	v_cmp_lt_u32_e32 vcc, 12, v0
	scratch_load_dwordx4 v[46:49], off, off offset:192
	scratch_load_dwordx4 v[54:57], off, off offset:208
	;; [unrolled: 1-line block ×3, first 2 shown]
	ds_read_b128 v[164:167], v110 offset:880
	s_waitcnt vmcnt(15) lgkmcnt(4)
	v_mul_f32_e32 v22, v14, v19
	v_fmac_f32_e32 v22, v15, v18
	v_mul_f32_e32 v23, v16, v21
	v_add_f32_e32 v22, 0, v22
	v_fmac_f32_e32 v23, v17, v20
	v_add_f32_e32 v26, v22, v23
	scratch_load_dwordx4 v[22:25], off, off offset:128
	v_mul_f32_e32 v15, v15, v19
	v_fma_f32 v14, v14, v18, -v15
	v_mul_f32_e32 v15, v17, v21
	v_add_f32_e32 v14, 0, v14
	v_fma_f32 v15, v16, v20, -v15
	v_add_f32_e32 v14, v14, v15
	s_waitcnt vmcnt(4) lgkmcnt(0)
	v_mul_f32_e32 v189, v164, v169
	v_mul_f32_e32 v191, v166, v171
	v_fmac_f32_e32 v189, v165, v168
	v_fmac_f32_e32 v191, v167, v170
	s_waitcnt vmcnt(0)
	v_mul_f32_e32 v27, v10, v23
	v_fmac_f32_e32 v27, v11, v22
	v_add_f32_e32 v26, v26, v27
	v_mul_f32_e32 v27, v12, v25
	v_fmac_f32_e32 v27, v13, v24
	v_add_f32_e32 v30, v26, v27
	scratch_load_dwordx4 v[26:29], off, off offset:144
	v_mul_f32_e32 v11, v11, v23
	v_fma_f32 v10, v10, v22, -v11
	v_mul_f32_e32 v11, v13, v25
	v_add_f32_e32 v10, v14, v10
	v_fma_f32 v11, v12, v24, -v11
	v_add_f32_e32 v10, v10, v11
	s_waitcnt vmcnt(0)
	v_mul_f32_e32 v31, v6, v27
	v_fmac_f32_e32 v31, v7, v26
	v_add_f32_e32 v30, v30, v31
	v_mul_f32_e32 v31, v8, v29
	v_fmac_f32_e32 v31, v9, v28
	v_add_f32_e32 v34, v30, v31
	scratch_load_dwordx4 v[30:33], off, off offset:160
	v_mul_f32_e32 v7, v7, v27
	v_fma_f32 v6, v6, v26, -v7
	v_mul_f32_e32 v7, v9, v29
	v_add_f32_e32 v6, v10, v6
	v_fma_f32 v7, v8, v28, -v7
	v_add_f32_e32 v6, v6, v7
	s_waitcnt vmcnt(0)
	v_mul_f32_e32 v35, v2, v31
	v_fmac_f32_e32 v35, v3, v30
	v_add_f32_e32 v34, v34, v35
	v_mul_f32_e32 v35, v4, v33
	v_fmac_f32_e32 v35, v5, v32
	v_add_f32_e32 v42, v34, v35
	ds_read_b128 v[34:37], v110 offset:656
	v_mul_f32_e32 v3, v3, v31
	v_fma_f32 v2, v2, v30, -v3
	v_mul_f32_e32 v3, v5, v33
	v_add_f32_e32 v2, v6, v2
	s_waitcnt lgkmcnt(0)
	v_mul_f32_e32 v43, v34, v39
	v_fmac_f32_e32 v43, v35, v38
	v_add_f32_e32 v42, v42, v43
	v_mul_f32_e32 v43, v36, v41
	v_fmac_f32_e32 v43, v37, v40
	v_add_f32_e32 v50, v42, v43
	ds_read_b128 v[42:45], v110 offset:672
	v_fma_f32 v3, v4, v32, -v3
	v_add_f32_e32 v2, v2, v3
	v_mul_f32_e32 v3, v35, v39
	v_fma_f32 v3, v34, v38, -v3
	s_waitcnt lgkmcnt(0)
	v_mul_f32_e32 v51, v42, v47
	v_fmac_f32_e32 v51, v43, v46
	v_add_f32_e32 v50, v50, v51
	v_mul_f32_e32 v51, v44, v49
	v_fmac_f32_e32 v51, v45, v48
	v_add_f32_e32 v58, v50, v51
	ds_read_b128 v[50:53], v110 offset:688
	v_add_f32_e32 v2, v2, v3
	v_mul_f32_e32 v3, v37, v41
	v_fma_f32 v3, v36, v40, -v3
	v_add_f32_e32 v2, v2, v3
	s_waitcnt lgkmcnt(0)
	v_mul_f32_e32 v59, v50, v55
	v_fmac_f32_e32 v59, v51, v54
	v_add_f32_e32 v58, v58, v59
	v_mul_f32_e32 v59, v52, v57
	v_fmac_f32_e32 v59, v53, v56
	v_add_f32_e32 v66, v58, v59
	ds_read_b128 v[58:61], v110 offset:704
	v_mul_f32_e32 v3, v43, v47
	v_fma_f32 v3, v42, v46, -v3
	v_add_f32_e32 v2, v2, v3
	v_mul_f32_e32 v3, v45, v49
	s_waitcnt lgkmcnt(0)
	v_mul_f32_e32 v67, v58, v63
	v_fmac_f32_e32 v67, v59, v62
	v_add_f32_e32 v66, v66, v67
	v_mul_f32_e32 v67, v60, v65
	v_fmac_f32_e32 v67, v61, v64
	v_add_f32_e32 v74, v66, v67
	ds_read_b128 v[66:69], v110 offset:720
	v_fma_f32 v3, v44, v48, -v3
	v_add_f32_e32 v2, v2, v3
	v_mul_f32_e32 v3, v51, v55
	v_fma_f32 v3, v50, v54, -v3
	s_waitcnt lgkmcnt(0)
	v_mul_f32_e32 v75, v66, v71
	v_fmac_f32_e32 v75, v67, v70
	v_add_f32_e32 v74, v74, v75
	v_mul_f32_e32 v75, v68, v73
	v_fmac_f32_e32 v75, v69, v72
	v_add_f32_e32 v82, v74, v75
	ds_read_b128 v[74:77], v110 offset:736
	v_add_f32_e32 v2, v2, v3
	v_mul_f32_e32 v3, v53, v57
	v_fma_f32 v3, v52, v56, -v3
	v_add_f32_e32 v2, v2, v3
	s_waitcnt lgkmcnt(0)
	v_mul_f32_e32 v83, v74, v79
	v_fmac_f32_e32 v83, v75, v78
	v_add_f32_e32 v82, v82, v83
	v_mul_f32_e32 v83, v76, v81
	v_fmac_f32_e32 v83, v77, v80
	v_add_f32_e32 v90, v82, v83
	ds_read_b128 v[82:85], v110 offset:752
	v_mul_f32_e32 v3, v59, v63
	v_fma_f32 v3, v58, v62, -v3
	v_add_f32_e32 v2, v2, v3
	v_mul_f32_e32 v3, v61, v65
	;; [unrolled: 36-line block ×4, first 2 shown]
	s_waitcnt lgkmcnt(0)
	v_mul_f32_e32 v140, v132, v137
	v_fmac_f32_e32 v140, v133, v136
	v_add_f32_e32 v111, v111, v140
	v_mul_f32_e32 v140, v134, v139
	v_fmac_f32_e32 v140, v135, v138
	v_add_f32_e32 v111, v111, v140
	ds_read_b128 v[140:143], v110 offset:864
	scratch_load_dwordx4 v[172:175], off, off offset:416
	scratch_load_dwordx4 v[176:179], off, off offset:432
	;; [unrolled: 1-line block ×4, first 2 shown]
	v_fma_f32 v3, v92, v96, -v3
	v_add_f32_e32 v2, v2, v3
	v_mul_f32_e32 v3, v99, v103
	v_fma_f32 v3, v98, v102, -v3
	v_add_f32_e32 v2, v2, v3
	v_mul_f32_e32 v3, v101, v105
	;; [unrolled: 3-line block ×10, first 2 shown]
	v_fma_f32 v3, v134, v138, -v3
	s_waitcnt lgkmcnt(0)
	v_mul_f32_e32 v148, v140, v145
	v_add_f32_e32 v2, v2, v3
	v_mul_f32_e32 v3, v141, v145
	v_fmac_f32_e32 v148, v141, v144
	v_fma_f32 v3, v140, v144, -v3
	v_add_f32_e32 v111, v111, v148
	v_mul_f32_e32 v148, v142, v147
	v_add_f32_e32 v2, v2, v3
	v_mul_f32_e32 v3, v143, v147
	v_fmac_f32_e32 v148, v143, v146
	v_fma_f32 v3, v142, v146, -v3
	v_add_f32_e32 v149, v111, v148
	v_add_f32_e32 v148, v2, v3
	v_mul_f32_e32 v2, v165, v169
	v_fma_f32 v188, v164, v168, -v2
	v_mul_f32_e32 v2, v167, v171
	v_fma_f32 v190, v166, v170, -v2
	ds_read_b128 v[2:5], v110 offset:896
	ds_read_b128 v[6:9], v110 offset:912
	;; [unrolled: 1-line block ×4, first 2 shown]
	v_pk_add_f32 v[18:19], v[148:149], v[188:189]
	s_waitcnt vmcnt(3) lgkmcnt(3)
	v_pk_mul_f32 v[20:21], v[2:3], v[172:173] op_sel:[1,1] op_sel_hi:[0,1]
	v_pk_fma_f32 v[22:23], v[2:3], v[172:173], v[20:21] neg_lo:[0,0,1] neg_hi:[0,0,1]
	v_pk_fma_f32 v[2:3], v[2:3], v[172:173], v[20:21] op_sel_hi:[1,0,1]
	v_pk_add_f32 v[18:19], v[18:19], v[190:191]
	v_mov_b32_e32 v23, v3
	v_pk_add_f32 v[2:3], v[18:19], v[22:23]
	v_mov_b32_e32 v18, v175
	v_pk_mul_f32 v[18:19], v[4:5], v[18:19] op_sel:[1,0] op_sel_hi:[0,0]
	v_pk_fma_f32 v[20:21], v[4:5], v[174:175], v[18:19] neg_lo:[0,0,1] neg_hi:[0,0,1]
	v_pk_fma_f32 v[4:5], v[4:5], v[174:175], v[18:19] op_sel_hi:[1,0,1]
	s_nop 0
	v_mov_b32_e32 v21, v5
	s_waitcnt vmcnt(2) lgkmcnt(2)
	v_pk_mul_f32 v[4:5], v[6:7], v[176:177] op_sel:[1,1] op_sel_hi:[0,1]
	v_pk_fma_f32 v[18:19], v[6:7], v[176:177], v[4:5] neg_lo:[0,0,1] neg_hi:[0,0,1]
	v_pk_fma_f32 v[4:5], v[6:7], v[176:177], v[4:5] op_sel_hi:[1,0,1]
	v_pk_add_f32 v[2:3], v[2:3], v[20:21]
	v_mov_b32_e32 v4, v179
	v_mov_b32_e32 v19, v5
	v_pk_mul_f32 v[4:5], v[8:9], v[4:5] op_sel:[1,0] op_sel_hi:[0,0]
	v_pk_fma_f32 v[6:7], v[8:9], v[178:179], v[4:5] neg_lo:[0,0,1] neg_hi:[0,0,1]
	v_pk_fma_f32 v[4:5], v[8:9], v[178:179], v[4:5] op_sel_hi:[1,0,1]
	v_pk_add_f32 v[2:3], v[2:3], v[18:19]
	v_mov_b32_e32 v7, v5
	s_waitcnt vmcnt(1) lgkmcnt(1)
	v_pk_mul_f32 v[4:5], v[10:11], v[180:181] op_sel:[1,1] op_sel_hi:[0,1]
	v_pk_add_f32 v[2:3], v[2:3], v[6:7]
	v_pk_fma_f32 v[6:7], v[10:11], v[180:181], v[4:5] neg_lo:[0,0,1] neg_hi:[0,0,1]
	v_pk_fma_f32 v[4:5], v[10:11], v[180:181], v[4:5] op_sel_hi:[1,0,1]
	s_nop 0
	v_mov_b32_e32 v4, v183
	v_mov_b32_e32 v7, v5
	v_pk_mul_f32 v[4:5], v[12:13], v[4:5] op_sel:[1,0] op_sel_hi:[0,0]
	v_pk_add_f32 v[2:3], v[2:3], v[6:7]
	v_pk_fma_f32 v[6:7], v[12:13], v[182:183], v[4:5] neg_lo:[0,0,1] neg_hi:[0,0,1]
	v_pk_fma_f32 v[4:5], v[12:13], v[182:183], v[4:5] op_sel_hi:[1,0,1]
	s_nop 0
	v_mov_b32_e32 v7, v5
	s_waitcnt vmcnt(0) lgkmcnt(0)
	v_pk_mul_f32 v[4:5], v[14:15], v[184:185] op_sel:[1,1] op_sel_hi:[0,1]
	v_pk_add_f32 v[2:3], v[2:3], v[6:7]
	v_pk_fma_f32 v[6:7], v[14:15], v[184:185], v[4:5] neg_lo:[0,0,1] neg_hi:[0,0,1]
	v_pk_fma_f32 v[4:5], v[14:15], v[184:185], v[4:5] op_sel_hi:[1,0,1]
	s_nop 0
	v_mov_b32_e32 v4, v187
	v_mov_b32_e32 v7, v5
	v_pk_mul_f32 v[4:5], v[16:17], v[4:5] op_sel:[1,0] op_sel_hi:[0,0]
	v_pk_add_f32 v[2:3], v[2:3], v[6:7]
	v_pk_fma_f32 v[6:7], v[16:17], v[186:187], v[4:5] neg_lo:[0,0,1] neg_hi:[0,0,1]
	v_pk_fma_f32 v[4:5], v[16:17], v[186:187], v[4:5] op_sel_hi:[1,0,1]
	s_nop 0
	v_mov_b32_e32 v7, v5
	scratch_load_dwordx2 v[4:5], off, off offset:104
	v_pk_add_f32 v[2:3], v[2:3], v[6:7]
	s_waitcnt vmcnt(0)
	v_pk_add_f32 v[2:3], v[4:5], v[2:3] neg_lo:[0,1] neg_hi:[0,1]
	scratch_store_dwordx2 off, v[2:3], off offset:104
	s_and_saveexec_b64 s[0:1], vcc
	s_cbranch_execz .LBB59_349
; %bb.348:
	scratch_load_dwordx2 v[2:3], off, off offset:96
	v_mov_b32_e32 v4, 0
	v_mov_b32_e32 v5, v4
	scratch_store_dwordx2 off, v[4:5], off offset:96
	s_waitcnt vmcnt(1)
	ds_write_b64 v1, v[2:3]
.LBB59_349:
	s_or_b64 exec, exec, s[0:1]
	s_waitcnt lgkmcnt(0)
	; wave barrier
	scratch_load_dwordx4 v[6:9], off, off offset:104
	scratch_load_dwordx4 v[14:17], off, off offset:120
	;; [unrolled: 1-line block ×10, first 2 shown]
	v_mov_b32_e32 v118, 0
	ds_read2_b64 v[2:5], v118 offset0:73 offset1:74
	ds_read2_b64 v[164:167], v118 offset0:109 offset1:110
	scratch_load_dwordx4 v[86:89], off, off offset:264
	scratch_load_dwordx4 v[94:97], off, off offset:280
	;; [unrolled: 1-line block ×10, first 2 shown]
	v_cmp_lt_u32_e32 vcc, 11, v0
	ds_read2_b64 v[172:175], v118 offset0:111 offset1:112
	s_waitcnt vmcnt(19) lgkmcnt(2)
	v_mul_f32_e32 v10, v2, v7
	v_fmac_f32_e32 v10, v3, v6
	v_mul_f32_e32 v11, v4, v9
	v_add_f32_e32 v10, 0, v10
	v_fmac_f32_e32 v11, v5, v8
	v_add_f32_e32 v18, v10, v11
	ds_read2_b64 v[10:13], v118 offset0:75 offset1:76
	v_mul_f32_e32 v3, v3, v7
	v_fma_f32 v2, v2, v6, -v3
	v_mul_f32_e32 v3, v5, v9
	v_add_f32_e32 v2, 0, v2
	s_waitcnt vmcnt(18) lgkmcnt(0)
	v_mul_f32_e32 v19, v10, v15
	v_fmac_f32_e32 v19, v11, v14
	v_add_f32_e32 v18, v18, v19
	v_mul_f32_e32 v19, v12, v17
	v_fmac_f32_e32 v19, v13, v16
	v_add_f32_e32 v26, v18, v19
	ds_read2_b64 v[18:21], v118 offset0:77 offset1:78
	v_fma_f32 v3, v4, v8, -v3
	v_add_f32_e32 v2, v2, v3
	v_mul_f32_e32 v3, v11, v15
	v_fma_f32 v3, v10, v14, -v3
	s_waitcnt vmcnt(17) lgkmcnt(0)
	v_mul_f32_e32 v27, v18, v23
	v_fmac_f32_e32 v27, v19, v22
	v_add_f32_e32 v26, v26, v27
	v_mul_f32_e32 v27, v20, v25
	v_fmac_f32_e32 v27, v21, v24
	v_add_f32_e32 v34, v26, v27
	ds_read2_b64 v[26:29], v118 offset0:79 offset1:80
	v_add_f32_e32 v2, v2, v3
	v_mul_f32_e32 v3, v13, v17
	v_fma_f32 v3, v12, v16, -v3
	v_add_f32_e32 v2, v2, v3
	s_waitcnt vmcnt(16) lgkmcnt(0)
	v_mul_f32_e32 v35, v26, v31
	v_fmac_f32_e32 v35, v27, v30
	v_add_f32_e32 v34, v34, v35
	v_mul_f32_e32 v35, v28, v33
	v_fmac_f32_e32 v35, v29, v32
	v_add_f32_e32 v42, v34, v35
	ds_read2_b64 v[34:37], v118 offset0:81 offset1:82
	v_mul_f32_e32 v3, v19, v23
	v_fma_f32 v3, v18, v22, -v3
	v_add_f32_e32 v2, v2, v3
	v_mul_f32_e32 v3, v21, v25
	s_waitcnt vmcnt(15) lgkmcnt(0)
	v_mul_f32_e32 v43, v34, v39
	v_fmac_f32_e32 v43, v35, v38
	v_add_f32_e32 v42, v42, v43
	v_mul_f32_e32 v43, v36, v41
	v_fmac_f32_e32 v43, v37, v40
	v_add_f32_e32 v50, v42, v43
	ds_read2_b64 v[42:45], v118 offset0:83 offset1:84
	v_fma_f32 v3, v20, v24, -v3
	v_add_f32_e32 v2, v2, v3
	v_mul_f32_e32 v3, v27, v31
	v_fma_f32 v3, v26, v30, -v3
	s_waitcnt vmcnt(14) lgkmcnt(0)
	v_mul_f32_e32 v51, v42, v47
	v_fmac_f32_e32 v51, v43, v46
	v_add_f32_e32 v50, v50, v51
	v_mul_f32_e32 v51, v44, v49
	v_fmac_f32_e32 v51, v45, v48
	v_add_f32_e32 v58, v50, v51
	ds_read2_b64 v[50:53], v118 offset0:85 offset1:86
	v_add_f32_e32 v2, v2, v3
	v_mul_f32_e32 v3, v29, v33
	v_fma_f32 v3, v28, v32, -v3
	v_add_f32_e32 v2, v2, v3
	s_waitcnt vmcnt(13) lgkmcnt(0)
	v_mul_f32_e32 v59, v50, v55
	v_fmac_f32_e32 v59, v51, v54
	v_add_f32_e32 v58, v58, v59
	v_mul_f32_e32 v59, v52, v57
	v_fmac_f32_e32 v59, v53, v56
	v_add_f32_e32 v66, v58, v59
	ds_read2_b64 v[58:61], v118 offset0:87 offset1:88
	v_mul_f32_e32 v3, v35, v39
	v_fma_f32 v3, v34, v38, -v3
	v_add_f32_e32 v2, v2, v3
	v_mul_f32_e32 v3, v37, v41
	;; [unrolled: 36-line block ×5, first 2 shown]
	s_waitcnt vmcnt(3) lgkmcnt(0)
	v_mul_f32_e32 v140, v132, v137
	v_fmac_f32_e32 v140, v133, v136
	v_add_f32_e32 v119, v119, v140
	v_mul_f32_e32 v140, v134, v139
	v_fmac_f32_e32 v140, v135, v138
	v_add_f32_e32 v119, v119, v140
	ds_read2_b64 v[140:143], v118 offset0:107 offset1:108
	scratch_load_dwordx4 v[180:183], off, off offset:424
	scratch_load_dwordx4 v[184:187], off, off offset:440
	;; [unrolled: 1-line block ×3, first 2 shown]
	scratch_load_dwordx2 v[196:197], off, off offset:472
	v_fma_f32 v3, v84, v88, -v3
	v_add_f32_e32 v2, v2, v3
	v_mul_f32_e32 v3, v91, v95
	v_fma_f32 v3, v90, v94, -v3
	v_add_f32_e32 v2, v2, v3
	v_mul_f32_e32 v3, v93, v97
	;; [unrolled: 3-line block ×12, first 2 shown]
	v_fma_f32 v3, v134, v138, -v3
	s_waitcnt vmcnt(6) lgkmcnt(0)
	v_mul_f32_e32 v148, v140, v145
	v_add_f32_e32 v2, v2, v3
	v_mul_f32_e32 v3, v141, v145
	v_fmac_f32_e32 v148, v141, v144
	v_fma_f32 v3, v140, v144, -v3
	v_add_f32_e32 v119, v119, v148
	v_mul_f32_e32 v148, v142, v147
	v_add_f32_e32 v2, v2, v3
	v_mul_f32_e32 v3, v143, v147
	v_fmac_f32_e32 v148, v143, v146
	v_fma_f32 v3, v142, v146, -v3
	v_add_f32_e32 v119, v119, v148
	s_waitcnt vmcnt(5)
	v_mul_f32_e32 v148, v164, v169
	v_add_f32_e32 v2, v2, v3
	v_mul_f32_e32 v3, v165, v169
	v_fmac_f32_e32 v148, v165, v168
	v_fma_f32 v3, v164, v168, -v3
	v_add_f32_e32 v149, v119, v148
	v_add_f32_e32 v148, v2, v3
	v_mul_f32_e32 v2, v167, v171
	v_mul_f32_e32 v193, v166, v171
	v_fma_f32 v192, v166, v170, -v2
	s_waitcnt vmcnt(4)
	v_mul_f32_e32 v2, v173, v177
	v_mov_b32_e32 v18, v179
	v_fmac_f32_e32 v193, v167, v170
	v_mul_f32_e32 v195, v172, v177
	v_fma_f32 v194, v172, v176, -v2
	ds_read2_b64 v[2:5], v118 offset0:113 offset1:114
	ds_read2_b64 v[6:9], v118 offset0:115 offset1:116
	;; [unrolled: 1-line block ×3, first 2 shown]
	ds_read_b64 v[14:15], v118 offset:952
	v_pk_mul_f32 v[18:19], v[174:175], v[18:19] op_sel:[1,0] op_sel_hi:[0,0]
	v_fmac_f32_e32 v195, v173, v176
	v_pk_add_f32 v[16:17], v[148:149], v[192:193]
	v_pk_fma_f32 v[20:21], v[174:175], v[178:179], v[18:19] neg_lo:[0,0,1] neg_hi:[0,0,1]
	v_pk_fma_f32 v[18:19], v[174:175], v[178:179], v[18:19] op_sel_hi:[1,0,1]
	v_pk_add_f32 v[16:17], v[16:17], v[194:195]
	v_mov_b32_e32 v21, v19
	v_pk_add_f32 v[16:17], v[16:17], v[20:21]
	s_waitcnt vmcnt(3) lgkmcnt(3)
	v_pk_mul_f32 v[18:19], v[2:3], v[180:181] op_sel:[1,1] op_sel_hi:[0,1]
	v_pk_fma_f32 v[20:21], v[2:3], v[180:181], v[18:19] neg_lo:[0,0,1] neg_hi:[0,0,1]
	v_pk_fma_f32 v[2:3], v[2:3], v[180:181], v[18:19] op_sel_hi:[1,0,1]
	s_nop 0
	v_mov_b32_e32 v21, v3
	v_pk_add_f32 v[2:3], v[16:17], v[20:21]
	v_mov_b32_e32 v16, v183
	v_pk_mul_f32 v[16:17], v[4:5], v[16:17] op_sel:[1,0] op_sel_hi:[0,0]
	v_pk_fma_f32 v[18:19], v[4:5], v[182:183], v[16:17] neg_lo:[0,0,1] neg_hi:[0,0,1]
	v_pk_fma_f32 v[4:5], v[4:5], v[182:183], v[16:17] op_sel_hi:[1,0,1]
	s_nop 0
	v_mov_b32_e32 v19, v5
	s_waitcnt vmcnt(2) lgkmcnt(2)
	v_pk_mul_f32 v[4:5], v[6:7], v[184:185] op_sel:[1,1] op_sel_hi:[0,1]
	v_pk_fma_f32 v[16:17], v[6:7], v[184:185], v[4:5] neg_lo:[0,0,1] neg_hi:[0,0,1]
	v_pk_fma_f32 v[4:5], v[6:7], v[184:185], v[4:5] op_sel_hi:[1,0,1]
	v_pk_add_f32 v[2:3], v[2:3], v[18:19]
	v_mov_b32_e32 v4, v187
	v_mov_b32_e32 v17, v5
	v_pk_mul_f32 v[4:5], v[8:9], v[4:5] op_sel:[1,0] op_sel_hi:[0,0]
	v_pk_fma_f32 v[6:7], v[8:9], v[186:187], v[4:5] neg_lo:[0,0,1] neg_hi:[0,0,1]
	v_pk_fma_f32 v[4:5], v[8:9], v[186:187], v[4:5] op_sel_hi:[1,0,1]
	v_pk_add_f32 v[2:3], v[2:3], v[16:17]
	v_mov_b32_e32 v7, v5
	s_waitcnt vmcnt(1) lgkmcnt(1)
	v_pk_mul_f32 v[4:5], v[10:11], v[188:189] op_sel:[1,1] op_sel_hi:[0,1]
	v_pk_add_f32 v[2:3], v[2:3], v[6:7]
	v_pk_fma_f32 v[6:7], v[10:11], v[188:189], v[4:5] neg_lo:[0,0,1] neg_hi:[0,0,1]
	v_pk_fma_f32 v[4:5], v[10:11], v[188:189], v[4:5] op_sel_hi:[1,0,1]
	s_nop 0
	v_mov_b32_e32 v4, v191
	v_mov_b32_e32 v7, v5
	v_pk_mul_f32 v[4:5], v[12:13], v[4:5] op_sel:[1,0] op_sel_hi:[0,0]
	v_pk_add_f32 v[2:3], v[2:3], v[6:7]
	v_pk_fma_f32 v[6:7], v[12:13], v[190:191], v[4:5] neg_lo:[0,0,1] neg_hi:[0,0,1]
	v_pk_fma_f32 v[4:5], v[12:13], v[190:191], v[4:5] op_sel_hi:[1,0,1]
	s_nop 0
	v_mov_b32_e32 v7, v5
	s_waitcnt vmcnt(0) lgkmcnt(0)
	v_pk_mul_f32 v[4:5], v[14:15], v[196:197] op_sel:[1,1] op_sel_hi:[0,1]
	v_pk_add_f32 v[2:3], v[2:3], v[6:7]
	v_pk_fma_f32 v[6:7], v[14:15], v[196:197], v[4:5] neg_lo:[0,0,1] neg_hi:[0,0,1]
	v_pk_fma_f32 v[4:5], v[14:15], v[196:197], v[4:5] op_sel_hi:[1,0,1]
	s_nop 0
	v_mov_b32_e32 v7, v5
	scratch_load_dwordx2 v[4:5], off, off offset:96
	v_pk_add_f32 v[2:3], v[2:3], v[6:7]
	s_waitcnt vmcnt(0)
	v_pk_add_f32 v[2:3], v[4:5], v[2:3] neg_lo:[0,1] neg_hi:[0,1]
	scratch_store_dwordx2 off, v[2:3], off offset:96
	s_and_saveexec_b64 s[0:1], vcc
	s_cbranch_execz .LBB59_351
; %bb.350:
	scratch_load_dwordx2 v[2:3], off, off offset:88
	v_mov_b32_e32 v119, v118
	scratch_store_dwordx2 off, v[118:119], off offset:88
	s_waitcnt vmcnt(1)
	ds_write_b64 v1, v[2:3]
.LBB59_351:
	s_or_b64 exec, exec, s[0:1]
	s_waitcnt lgkmcnt(0)
	; wave barrier
	ds_read_b128 v[14:17], v118 offset:576
	ds_read_b128 v[10:13], v118 offset:592
	;; [unrolled: 1-line block ×4, first 2 shown]
	scratch_load_dwordx4 v[18:21], off, off offset:96
	scratch_load_dwordx4 v[38:41], off, off offset:160
	;; [unrolled: 1-line block ×14, first 2 shown]
	v_cmp_lt_u32_e32 vcc, 10, v0
	scratch_load_dwordx4 v[46:49], off, off offset:176
	scratch_load_dwordx4 v[54:57], off, off offset:192
	;; [unrolled: 1-line block ×3, first 2 shown]
	ds_read_b128 v[164:167], v118 offset:864
	ds_read_b128 v[172:175], v118 offset:880
	s_waitcnt vmcnt(16) lgkmcnt(5)
	v_mul_f32_e32 v22, v14, v19
	v_fmac_f32_e32 v22, v15, v18
	v_mul_f32_e32 v23, v16, v21
	v_add_f32_e32 v22, 0, v22
	v_fmac_f32_e32 v23, v17, v20
	v_add_f32_e32 v26, v22, v23
	scratch_load_dwordx4 v[22:25], off, off offset:112
	v_mul_f32_e32 v15, v15, v19
	v_fma_f32 v14, v14, v18, -v15
	v_mul_f32_e32 v15, v17, v21
	v_add_f32_e32 v14, 0, v14
	v_fma_f32 v15, v16, v20, -v15
	v_add_f32_e32 v14, v14, v15
	s_waitcnt vmcnt(4) lgkmcnt(0)
	v_mul_f32_e32 v197, v172, v177
	v_mul_f32_e32 v199, v174, v179
	v_fmac_f32_e32 v197, v173, v176
	v_fmac_f32_e32 v199, v175, v178
	s_waitcnt vmcnt(0)
	v_mul_f32_e32 v27, v10, v23
	v_fmac_f32_e32 v27, v11, v22
	v_add_f32_e32 v26, v26, v27
	v_mul_f32_e32 v27, v12, v25
	v_fmac_f32_e32 v27, v13, v24
	v_add_f32_e32 v30, v26, v27
	scratch_load_dwordx4 v[26:29], off, off offset:128
	v_mul_f32_e32 v11, v11, v23
	v_fma_f32 v10, v10, v22, -v11
	v_mul_f32_e32 v11, v13, v25
	v_add_f32_e32 v10, v14, v10
	v_fma_f32 v11, v12, v24, -v11
	v_add_f32_e32 v10, v10, v11
	s_waitcnt vmcnt(0)
	v_mul_f32_e32 v31, v6, v27
	v_fmac_f32_e32 v31, v7, v26
	v_add_f32_e32 v30, v30, v31
	v_mul_f32_e32 v31, v8, v29
	v_fmac_f32_e32 v31, v9, v28
	v_add_f32_e32 v34, v30, v31
	scratch_load_dwordx4 v[30:33], off, off offset:144
	v_mul_f32_e32 v7, v7, v27
	v_fma_f32 v6, v6, v26, -v7
	v_mul_f32_e32 v7, v9, v29
	v_add_f32_e32 v6, v10, v6
	v_fma_f32 v7, v8, v28, -v7
	v_add_f32_e32 v6, v6, v7
	s_waitcnt vmcnt(0)
	v_mul_f32_e32 v35, v2, v31
	v_fmac_f32_e32 v35, v3, v30
	v_add_f32_e32 v34, v34, v35
	v_mul_f32_e32 v35, v4, v33
	v_fmac_f32_e32 v35, v5, v32
	v_add_f32_e32 v42, v34, v35
	ds_read_b128 v[34:37], v118 offset:640
	v_mul_f32_e32 v3, v3, v31
	v_fma_f32 v2, v2, v30, -v3
	v_mul_f32_e32 v3, v5, v33
	v_add_f32_e32 v2, v6, v2
	s_waitcnt lgkmcnt(0)
	v_mul_f32_e32 v43, v34, v39
	v_fmac_f32_e32 v43, v35, v38
	v_add_f32_e32 v42, v42, v43
	v_mul_f32_e32 v43, v36, v41
	v_fmac_f32_e32 v43, v37, v40
	v_add_f32_e32 v50, v42, v43
	ds_read_b128 v[42:45], v118 offset:656
	v_fma_f32 v3, v4, v32, -v3
	v_add_f32_e32 v2, v2, v3
	v_mul_f32_e32 v3, v35, v39
	v_fma_f32 v3, v34, v38, -v3
	s_waitcnt lgkmcnt(0)
	v_mul_f32_e32 v51, v42, v47
	v_fmac_f32_e32 v51, v43, v46
	v_add_f32_e32 v50, v50, v51
	v_mul_f32_e32 v51, v44, v49
	v_fmac_f32_e32 v51, v45, v48
	v_add_f32_e32 v58, v50, v51
	ds_read_b128 v[50:53], v118 offset:672
	v_add_f32_e32 v2, v2, v3
	v_mul_f32_e32 v3, v37, v41
	v_fma_f32 v3, v36, v40, -v3
	v_add_f32_e32 v2, v2, v3
	s_waitcnt lgkmcnt(0)
	v_mul_f32_e32 v59, v50, v55
	v_fmac_f32_e32 v59, v51, v54
	v_add_f32_e32 v58, v58, v59
	v_mul_f32_e32 v59, v52, v57
	v_fmac_f32_e32 v59, v53, v56
	v_add_f32_e32 v66, v58, v59
	ds_read_b128 v[58:61], v118 offset:688
	v_mul_f32_e32 v3, v43, v47
	v_fma_f32 v3, v42, v46, -v3
	v_add_f32_e32 v2, v2, v3
	v_mul_f32_e32 v3, v45, v49
	s_waitcnt lgkmcnt(0)
	v_mul_f32_e32 v67, v58, v63
	v_fmac_f32_e32 v67, v59, v62
	v_add_f32_e32 v66, v66, v67
	v_mul_f32_e32 v67, v60, v65
	v_fmac_f32_e32 v67, v61, v64
	v_add_f32_e32 v74, v66, v67
	ds_read_b128 v[66:69], v118 offset:704
	v_fma_f32 v3, v44, v48, -v3
	v_add_f32_e32 v2, v2, v3
	v_mul_f32_e32 v3, v51, v55
	v_fma_f32 v3, v50, v54, -v3
	s_waitcnt lgkmcnt(0)
	v_mul_f32_e32 v75, v66, v71
	v_fmac_f32_e32 v75, v67, v70
	v_add_f32_e32 v74, v74, v75
	v_mul_f32_e32 v75, v68, v73
	v_fmac_f32_e32 v75, v69, v72
	v_add_f32_e32 v82, v74, v75
	ds_read_b128 v[74:77], v118 offset:720
	v_add_f32_e32 v2, v2, v3
	v_mul_f32_e32 v3, v53, v57
	v_fma_f32 v3, v52, v56, -v3
	v_add_f32_e32 v2, v2, v3
	s_waitcnt lgkmcnt(0)
	v_mul_f32_e32 v83, v74, v79
	v_fmac_f32_e32 v83, v75, v78
	v_add_f32_e32 v82, v82, v83
	v_mul_f32_e32 v83, v76, v81
	v_fmac_f32_e32 v83, v77, v80
	v_add_f32_e32 v90, v82, v83
	ds_read_b128 v[82:85], v118 offset:736
	v_mul_f32_e32 v3, v59, v63
	v_fma_f32 v3, v58, v62, -v3
	v_add_f32_e32 v2, v2, v3
	v_mul_f32_e32 v3, v61, v65
	;; [unrolled: 36-line block ×4, first 2 shown]
	s_waitcnt lgkmcnt(0)
	v_mul_f32_e32 v140, v132, v137
	v_fmac_f32_e32 v140, v133, v136
	v_add_f32_e32 v119, v119, v140
	v_mul_f32_e32 v140, v134, v139
	v_fmac_f32_e32 v140, v135, v138
	v_add_f32_e32 v119, v119, v140
	ds_read_b128 v[140:143], v118 offset:848
	scratch_load_dwordx4 v[180:183], off, off offset:416
	scratch_load_dwordx4 v[184:187], off, off offset:432
	;; [unrolled: 1-line block ×4, first 2 shown]
	v_fma_f32 v3, v92, v96, -v3
	v_add_f32_e32 v2, v2, v3
	v_mul_f32_e32 v3, v99, v103
	v_fma_f32 v3, v98, v102, -v3
	v_add_f32_e32 v2, v2, v3
	v_mul_f32_e32 v3, v101, v105
	;; [unrolled: 3-line block ×10, first 2 shown]
	v_fma_f32 v3, v134, v138, -v3
	s_waitcnt lgkmcnt(0)
	v_mul_f32_e32 v148, v140, v145
	v_add_f32_e32 v2, v2, v3
	v_mul_f32_e32 v3, v141, v145
	v_fmac_f32_e32 v148, v141, v144
	v_fma_f32 v3, v140, v144, -v3
	v_add_f32_e32 v119, v119, v148
	v_mul_f32_e32 v148, v142, v147
	v_add_f32_e32 v2, v2, v3
	v_mul_f32_e32 v3, v143, v147
	v_fmac_f32_e32 v148, v143, v146
	v_fma_f32 v3, v142, v146, -v3
	v_add_f32_e32 v119, v119, v148
	;; [unrolled: 6-line block ×4, first 2 shown]
	v_add_f32_e32 v148, v2, v3
	v_mul_f32_e32 v2, v173, v177
	v_fma_f32 v196, v172, v176, -v2
	v_mul_f32_e32 v2, v175, v179
	v_fma_f32 v198, v174, v178, -v2
	ds_read_b128 v[2:5], v118 offset:896
	ds_read_b128 v[6:9], v118 offset:912
	;; [unrolled: 1-line block ×4, first 2 shown]
	v_pk_add_f32 v[18:19], v[148:149], v[196:197]
	s_waitcnt vmcnt(3) lgkmcnt(3)
	v_pk_mul_f32 v[20:21], v[2:3], v[180:181] op_sel:[1,1] op_sel_hi:[0,1]
	v_pk_fma_f32 v[22:23], v[2:3], v[180:181], v[20:21] neg_lo:[0,0,1] neg_hi:[0,0,1]
	v_pk_fma_f32 v[2:3], v[2:3], v[180:181], v[20:21] op_sel_hi:[1,0,1]
	v_pk_add_f32 v[18:19], v[18:19], v[198:199]
	v_mov_b32_e32 v23, v3
	v_pk_add_f32 v[2:3], v[18:19], v[22:23]
	v_mov_b32_e32 v18, v183
	v_pk_mul_f32 v[18:19], v[4:5], v[18:19] op_sel:[1,0] op_sel_hi:[0,0]
	v_pk_fma_f32 v[20:21], v[4:5], v[182:183], v[18:19] neg_lo:[0,0,1] neg_hi:[0,0,1]
	v_pk_fma_f32 v[4:5], v[4:5], v[182:183], v[18:19] op_sel_hi:[1,0,1]
	s_nop 0
	v_mov_b32_e32 v21, v5
	s_waitcnt vmcnt(2) lgkmcnt(2)
	v_pk_mul_f32 v[4:5], v[6:7], v[184:185] op_sel:[1,1] op_sel_hi:[0,1]
	v_pk_fma_f32 v[18:19], v[6:7], v[184:185], v[4:5] neg_lo:[0,0,1] neg_hi:[0,0,1]
	v_pk_fma_f32 v[4:5], v[6:7], v[184:185], v[4:5] op_sel_hi:[1,0,1]
	v_pk_add_f32 v[2:3], v[2:3], v[20:21]
	v_mov_b32_e32 v4, v187
	v_mov_b32_e32 v19, v5
	v_pk_mul_f32 v[4:5], v[8:9], v[4:5] op_sel:[1,0] op_sel_hi:[0,0]
	v_pk_fma_f32 v[6:7], v[8:9], v[186:187], v[4:5] neg_lo:[0,0,1] neg_hi:[0,0,1]
	v_pk_fma_f32 v[4:5], v[8:9], v[186:187], v[4:5] op_sel_hi:[1,0,1]
	v_pk_add_f32 v[2:3], v[2:3], v[18:19]
	v_mov_b32_e32 v7, v5
	s_waitcnt vmcnt(1) lgkmcnt(1)
	v_pk_mul_f32 v[4:5], v[10:11], v[188:189] op_sel:[1,1] op_sel_hi:[0,1]
	v_pk_add_f32 v[2:3], v[2:3], v[6:7]
	v_pk_fma_f32 v[6:7], v[10:11], v[188:189], v[4:5] neg_lo:[0,0,1] neg_hi:[0,0,1]
	v_pk_fma_f32 v[4:5], v[10:11], v[188:189], v[4:5] op_sel_hi:[1,0,1]
	s_nop 0
	v_mov_b32_e32 v4, v191
	v_mov_b32_e32 v7, v5
	v_pk_mul_f32 v[4:5], v[12:13], v[4:5] op_sel:[1,0] op_sel_hi:[0,0]
	v_pk_add_f32 v[2:3], v[2:3], v[6:7]
	v_pk_fma_f32 v[6:7], v[12:13], v[190:191], v[4:5] neg_lo:[0,0,1] neg_hi:[0,0,1]
	v_pk_fma_f32 v[4:5], v[12:13], v[190:191], v[4:5] op_sel_hi:[1,0,1]
	s_nop 0
	v_mov_b32_e32 v7, v5
	s_waitcnt vmcnt(0) lgkmcnt(0)
	v_pk_mul_f32 v[4:5], v[14:15], v[192:193] op_sel:[1,1] op_sel_hi:[0,1]
	v_pk_add_f32 v[2:3], v[2:3], v[6:7]
	v_pk_fma_f32 v[6:7], v[14:15], v[192:193], v[4:5] neg_lo:[0,0,1] neg_hi:[0,0,1]
	v_pk_fma_f32 v[4:5], v[14:15], v[192:193], v[4:5] op_sel_hi:[1,0,1]
	s_nop 0
	v_mov_b32_e32 v4, v195
	v_mov_b32_e32 v7, v5
	v_pk_mul_f32 v[4:5], v[16:17], v[4:5] op_sel:[1,0] op_sel_hi:[0,0]
	v_pk_add_f32 v[2:3], v[2:3], v[6:7]
	v_pk_fma_f32 v[6:7], v[16:17], v[194:195], v[4:5] neg_lo:[0,0,1] neg_hi:[0,0,1]
	v_pk_fma_f32 v[4:5], v[16:17], v[194:195], v[4:5] op_sel_hi:[1,0,1]
	s_nop 0
	v_mov_b32_e32 v7, v5
	scratch_load_dwordx2 v[4:5], off, off offset:88
	v_pk_add_f32 v[2:3], v[2:3], v[6:7]
	s_waitcnt vmcnt(0)
	v_pk_add_f32 v[2:3], v[4:5], v[2:3] neg_lo:[0,1] neg_hi:[0,1]
	scratch_store_dwordx2 off, v[2:3], off offset:88
	s_and_saveexec_b64 s[0:1], vcc
	s_cbranch_execz .LBB59_353
; %bb.352:
	scratch_load_dwordx2 v[2:3], off, off offset:80
	v_mov_b32_e32 v4, 0
	v_mov_b32_e32 v5, v4
	scratch_store_dwordx2 off, v[4:5], off offset:80
	s_waitcnt vmcnt(1)
	ds_write_b64 v1, v[2:3]
.LBB59_353:
	s_or_b64 exec, exec, s[0:1]
	s_waitcnt lgkmcnt(0)
	; wave barrier
	scratch_load_dwordx4 v[6:9], off, off offset:88
	scratch_load_dwordx4 v[14:17], off, off offset:104
	;; [unrolled: 1-line block ×10, first 2 shown]
	v_mov_b32_e32 v134, 0
	ds_read2_b64 v[2:5], v134 offset0:71 offset1:72
	ds_read2_b64 v[164:167], v134 offset0:107 offset1:108
	scratch_load_dwordx4 v[86:89], off, off offset:248
	scratch_load_dwordx4 v[94:97], off, off offset:264
	;; [unrolled: 1-line block ×11, first 2 shown]
	v_cmp_lt_u32_e32 vcc, 9, v0
	ds_read2_b64 v[172:175], v134 offset0:109 offset1:110
	ds_read2_b64 v[180:183], v134 offset0:111 offset1:112
	s_waitcnt vmcnt(20) lgkmcnt(3)
	v_mul_f32_e32 v10, v2, v7
	v_fmac_f32_e32 v10, v3, v6
	v_mul_f32_e32 v11, v4, v9
	v_add_f32_e32 v10, 0, v10
	v_fmac_f32_e32 v11, v5, v8
	v_add_f32_e32 v18, v10, v11
	ds_read2_b64 v[10:13], v134 offset0:73 offset1:74
	v_mul_f32_e32 v3, v3, v7
	v_fma_f32 v2, v2, v6, -v3
	v_mul_f32_e32 v3, v5, v9
	v_add_f32_e32 v2, 0, v2
	s_waitcnt vmcnt(19) lgkmcnt(0)
	v_mul_f32_e32 v19, v10, v15
	v_fmac_f32_e32 v19, v11, v14
	v_add_f32_e32 v18, v18, v19
	v_mul_f32_e32 v19, v12, v17
	v_fmac_f32_e32 v19, v13, v16
	v_add_f32_e32 v26, v18, v19
	ds_read2_b64 v[18:21], v134 offset0:75 offset1:76
	v_fma_f32 v3, v4, v8, -v3
	v_add_f32_e32 v2, v2, v3
	v_mul_f32_e32 v3, v11, v15
	v_fma_f32 v3, v10, v14, -v3
	s_waitcnt vmcnt(18) lgkmcnt(0)
	v_mul_f32_e32 v27, v18, v23
	v_fmac_f32_e32 v27, v19, v22
	v_add_f32_e32 v26, v26, v27
	v_mul_f32_e32 v27, v20, v25
	v_fmac_f32_e32 v27, v21, v24
	v_add_f32_e32 v34, v26, v27
	ds_read2_b64 v[26:29], v134 offset0:77 offset1:78
	v_add_f32_e32 v2, v2, v3
	v_mul_f32_e32 v3, v13, v17
	v_fma_f32 v3, v12, v16, -v3
	v_add_f32_e32 v2, v2, v3
	s_waitcnt vmcnt(17) lgkmcnt(0)
	v_mul_f32_e32 v35, v26, v31
	v_fmac_f32_e32 v35, v27, v30
	v_add_f32_e32 v34, v34, v35
	v_mul_f32_e32 v35, v28, v33
	v_fmac_f32_e32 v35, v29, v32
	v_add_f32_e32 v42, v34, v35
	ds_read2_b64 v[34:37], v134 offset0:79 offset1:80
	v_mul_f32_e32 v3, v19, v23
	v_fma_f32 v3, v18, v22, -v3
	v_add_f32_e32 v2, v2, v3
	v_mul_f32_e32 v3, v21, v25
	s_waitcnt vmcnt(16) lgkmcnt(0)
	v_mul_f32_e32 v43, v34, v39
	v_fmac_f32_e32 v43, v35, v38
	v_add_f32_e32 v42, v42, v43
	v_mul_f32_e32 v43, v36, v41
	v_fmac_f32_e32 v43, v37, v40
	v_add_f32_e32 v50, v42, v43
	ds_read2_b64 v[42:45], v134 offset0:81 offset1:82
	v_fma_f32 v3, v20, v24, -v3
	v_add_f32_e32 v2, v2, v3
	v_mul_f32_e32 v3, v27, v31
	v_fma_f32 v3, v26, v30, -v3
	s_waitcnt vmcnt(15) lgkmcnt(0)
	v_mul_f32_e32 v51, v42, v47
	v_fmac_f32_e32 v51, v43, v46
	v_add_f32_e32 v50, v50, v51
	v_mul_f32_e32 v51, v44, v49
	v_fmac_f32_e32 v51, v45, v48
	v_add_f32_e32 v58, v50, v51
	ds_read2_b64 v[50:53], v134 offset0:83 offset1:84
	v_add_f32_e32 v2, v2, v3
	v_mul_f32_e32 v3, v29, v33
	v_fma_f32 v3, v28, v32, -v3
	v_add_f32_e32 v2, v2, v3
	s_waitcnt vmcnt(14) lgkmcnt(0)
	v_mul_f32_e32 v59, v50, v55
	v_fmac_f32_e32 v59, v51, v54
	v_add_f32_e32 v58, v58, v59
	v_mul_f32_e32 v59, v52, v57
	v_fmac_f32_e32 v59, v53, v56
	v_add_f32_e32 v66, v58, v59
	ds_read2_b64 v[58:61], v134 offset0:85 offset1:86
	v_mul_f32_e32 v3, v35, v39
	v_fma_f32 v3, v34, v38, -v3
	v_add_f32_e32 v2, v2, v3
	v_mul_f32_e32 v3, v37, v41
	;; [unrolled: 36-line block ×5, first 2 shown]
	s_waitcnt vmcnt(4) lgkmcnt(0)
	v_mul_f32_e32 v140, v130, v137
	v_fmac_f32_e32 v140, v131, v136
	v_add_f32_e32 v135, v135, v140
	v_mul_f32_e32 v140, v132, v139
	v_fmac_f32_e32 v140, v133, v138
	v_add_f32_e32 v135, v135, v140
	ds_read2_b64 v[140:143], v134 offset0:105 offset1:106
	scratch_load_dwordx4 v[188:191], off, off offset:424
	scratch_load_dwordx4 v[192:195], off, off offset:440
	;; [unrolled: 1-line block ×3, first 2 shown]
	scratch_load_dwordx2 v[204:205], off, off offset:472
	v_fma_f32 v3, v84, v88, -v3
	v_add_f32_e32 v2, v2, v3
	v_mul_f32_e32 v3, v91, v95
	v_fma_f32 v3, v90, v94, -v3
	v_add_f32_e32 v2, v2, v3
	v_mul_f32_e32 v3, v93, v97
	;; [unrolled: 3-line block ×12, first 2 shown]
	v_fma_f32 v3, v132, v138, -v3
	s_waitcnt vmcnt(7) lgkmcnt(0)
	v_mul_f32_e32 v148, v140, v145
	v_add_f32_e32 v2, v2, v3
	v_mul_f32_e32 v3, v141, v145
	v_fmac_f32_e32 v148, v141, v144
	v_fma_f32 v3, v140, v144, -v3
	v_add_f32_e32 v135, v135, v148
	v_mul_f32_e32 v148, v142, v147
	v_add_f32_e32 v2, v2, v3
	v_mul_f32_e32 v3, v143, v147
	v_fmac_f32_e32 v148, v143, v146
	v_fma_f32 v3, v142, v146, -v3
	v_add_f32_e32 v135, v135, v148
	s_waitcnt vmcnt(6)
	v_mul_f32_e32 v148, v164, v169
	v_add_f32_e32 v2, v2, v3
	v_mul_f32_e32 v3, v165, v169
	v_fmac_f32_e32 v148, v165, v168
	v_fma_f32 v3, v164, v168, -v3
	v_add_f32_e32 v135, v135, v148
	v_mul_f32_e32 v148, v166, v171
	v_add_f32_e32 v2, v2, v3
	v_mul_f32_e32 v3, v167, v171
	v_fmac_f32_e32 v148, v167, v170
	v_fma_f32 v3, v166, v170, -v3
	v_add_f32_e32 v135, v135, v148
	s_waitcnt vmcnt(5)
	v_mul_f32_e32 v148, v172, v177
	v_add_f32_e32 v2, v2, v3
	v_mul_f32_e32 v3, v173, v177
	v_fmac_f32_e32 v148, v173, v176
	v_fma_f32 v3, v172, v176, -v3
	v_add_f32_e32 v149, v135, v148
	v_add_f32_e32 v148, v2, v3
	v_mul_f32_e32 v2, v175, v179
	v_mul_f32_e32 v201, v174, v179
	v_fma_f32 v200, v174, v178, -v2
	s_waitcnt vmcnt(4)
	v_mul_f32_e32 v2, v181, v185
	v_mov_b32_e32 v18, v187
	v_fmac_f32_e32 v201, v175, v178
	v_mul_f32_e32 v203, v180, v185
	v_fma_f32 v202, v180, v184, -v2
	ds_read2_b64 v[2:5], v134 offset0:113 offset1:114
	ds_read2_b64 v[6:9], v134 offset0:115 offset1:116
	;; [unrolled: 1-line block ×3, first 2 shown]
	ds_read_b64 v[14:15], v134 offset:952
	v_pk_mul_f32 v[18:19], v[182:183], v[18:19] op_sel:[1,0] op_sel_hi:[0,0]
	v_fmac_f32_e32 v203, v181, v184
	v_pk_add_f32 v[16:17], v[148:149], v[200:201]
	v_pk_fma_f32 v[20:21], v[182:183], v[186:187], v[18:19] neg_lo:[0,0,1] neg_hi:[0,0,1]
	v_pk_fma_f32 v[18:19], v[182:183], v[186:187], v[18:19] op_sel_hi:[1,0,1]
	v_pk_add_f32 v[16:17], v[16:17], v[202:203]
	v_mov_b32_e32 v21, v19
	s_waitcnt vmcnt(3) lgkmcnt(3)
	v_pk_mul_f32 v[18:19], v[2:3], v[188:189] op_sel:[1,1] op_sel_hi:[0,1]
	v_pk_add_f32 v[16:17], v[16:17], v[20:21]
	v_pk_fma_f32 v[20:21], v[2:3], v[188:189], v[18:19] neg_lo:[0,0,1] neg_hi:[0,0,1]
	v_pk_fma_f32 v[2:3], v[2:3], v[188:189], v[18:19] op_sel_hi:[1,0,1]
	s_nop 0
	v_mov_b32_e32 v21, v3
	v_pk_add_f32 v[2:3], v[16:17], v[20:21]
	v_mov_b32_e32 v16, v191
	v_pk_mul_f32 v[16:17], v[4:5], v[16:17] op_sel:[1,0] op_sel_hi:[0,0]
	v_pk_fma_f32 v[18:19], v[4:5], v[190:191], v[16:17] neg_lo:[0,0,1] neg_hi:[0,0,1]
	v_pk_fma_f32 v[4:5], v[4:5], v[190:191], v[16:17] op_sel_hi:[1,0,1]
	s_nop 0
	v_mov_b32_e32 v19, v5
	s_waitcnt vmcnt(2) lgkmcnt(2)
	v_pk_mul_f32 v[4:5], v[6:7], v[192:193] op_sel:[1,1] op_sel_hi:[0,1]
	v_pk_fma_f32 v[16:17], v[6:7], v[192:193], v[4:5] neg_lo:[0,0,1] neg_hi:[0,0,1]
	v_pk_fma_f32 v[4:5], v[6:7], v[192:193], v[4:5] op_sel_hi:[1,0,1]
	v_pk_add_f32 v[2:3], v[2:3], v[18:19]
	v_mov_b32_e32 v4, v195
	v_mov_b32_e32 v17, v5
	v_pk_mul_f32 v[4:5], v[8:9], v[4:5] op_sel:[1,0] op_sel_hi:[0,0]
	v_pk_fma_f32 v[6:7], v[8:9], v[194:195], v[4:5] neg_lo:[0,0,1] neg_hi:[0,0,1]
	v_pk_fma_f32 v[4:5], v[8:9], v[194:195], v[4:5] op_sel_hi:[1,0,1]
	v_pk_add_f32 v[2:3], v[2:3], v[16:17]
	v_mov_b32_e32 v7, v5
	s_waitcnt vmcnt(1) lgkmcnt(1)
	v_pk_mul_f32 v[4:5], v[10:11], v[196:197] op_sel:[1,1] op_sel_hi:[0,1]
	v_pk_add_f32 v[2:3], v[2:3], v[6:7]
	v_pk_fma_f32 v[6:7], v[10:11], v[196:197], v[4:5] neg_lo:[0,0,1] neg_hi:[0,0,1]
	v_pk_fma_f32 v[4:5], v[10:11], v[196:197], v[4:5] op_sel_hi:[1,0,1]
	s_nop 0
	v_mov_b32_e32 v4, v199
	v_mov_b32_e32 v7, v5
	v_pk_mul_f32 v[4:5], v[12:13], v[4:5] op_sel:[1,0] op_sel_hi:[0,0]
	v_pk_add_f32 v[2:3], v[2:3], v[6:7]
	v_pk_fma_f32 v[6:7], v[12:13], v[198:199], v[4:5] neg_lo:[0,0,1] neg_hi:[0,0,1]
	v_pk_fma_f32 v[4:5], v[12:13], v[198:199], v[4:5] op_sel_hi:[1,0,1]
	s_nop 0
	v_mov_b32_e32 v7, v5
	s_waitcnt vmcnt(0) lgkmcnt(0)
	v_pk_mul_f32 v[4:5], v[14:15], v[204:205] op_sel:[1,1] op_sel_hi:[0,1]
	v_pk_add_f32 v[2:3], v[2:3], v[6:7]
	v_pk_fma_f32 v[6:7], v[14:15], v[204:205], v[4:5] neg_lo:[0,0,1] neg_hi:[0,0,1]
	v_pk_fma_f32 v[4:5], v[14:15], v[204:205], v[4:5] op_sel_hi:[1,0,1]
	s_nop 0
	v_mov_b32_e32 v7, v5
	scratch_load_dwordx2 v[4:5], off, off offset:80
	v_pk_add_f32 v[2:3], v[2:3], v[6:7]
	s_waitcnt vmcnt(0)
	v_pk_add_f32 v[2:3], v[4:5], v[2:3] neg_lo:[0,1] neg_hi:[0,1]
	scratch_store_dwordx2 off, v[2:3], off offset:80
	s_and_saveexec_b64 s[0:1], vcc
	s_cbranch_execz .LBB59_355
; %bb.354:
	scratch_load_dwordx2 v[2:3], off, off offset:72
	v_mov_b32_e32 v135, v134
	scratch_store_dwordx2 off, v[134:135], off offset:72
	s_waitcnt vmcnt(1)
	ds_write_b64 v1, v[2:3]
.LBB59_355:
	s_or_b64 exec, exec, s[0:1]
	s_waitcnt lgkmcnt(0)
	; wave barrier
	ds_read_b128 v[14:17], v134 offset:560
	ds_read_b128 v[10:13], v134 offset:576
	;; [unrolled: 1-line block ×4, first 2 shown]
	scratch_load_dwordx4 v[18:21], off, off offset:80
	scratch_load_dwordx4 v[38:41], off, off offset:144
	;; [unrolled: 1-line block ×15, first 2 shown]
	v_cmp_lt_u32_e32 vcc, 8, v0
	scratch_load_dwordx4 v[46:49], off, off offset:160
	scratch_load_dwordx4 v[54:57], off, off offset:176
	scratch_load_dwordx4 v[62:65], off, off offset:192
	ds_read_b128 v[164:167], v134 offset:848
	ds_read_b128 v[172:175], v134 offset:864
	;; [unrolled: 1-line block ×3, first 2 shown]
	s_waitcnt vmcnt(17) lgkmcnt(6)
	v_mul_f32_e32 v22, v14, v19
	v_fmac_f32_e32 v22, v15, v18
	v_mul_f32_e32 v23, v16, v21
	v_add_f32_e32 v22, 0, v22
	v_fmac_f32_e32 v23, v17, v20
	v_add_f32_e32 v26, v22, v23
	scratch_load_dwordx4 v[22:25], off, off offset:96
	v_mul_f32_e32 v15, v15, v19
	v_fma_f32 v14, v14, v18, -v15
	v_mul_f32_e32 v15, v17, v21
	v_add_f32_e32 v14, 0, v14
	v_fma_f32 v15, v16, v20, -v15
	v_add_f32_e32 v14, v14, v15
	s_waitcnt vmcnt(4) lgkmcnt(0)
	v_mul_f32_e32 v205, v180, v185
	v_mul_f32_e32 v207, v182, v187
	v_fmac_f32_e32 v205, v181, v184
	v_fmac_f32_e32 v207, v183, v186
	s_waitcnt vmcnt(0)
	v_mul_f32_e32 v27, v10, v23
	v_fmac_f32_e32 v27, v11, v22
	v_add_f32_e32 v26, v26, v27
	v_mul_f32_e32 v27, v12, v25
	v_fmac_f32_e32 v27, v13, v24
	v_add_f32_e32 v30, v26, v27
	scratch_load_dwordx4 v[26:29], off, off offset:112
	v_mul_f32_e32 v11, v11, v23
	v_fma_f32 v10, v10, v22, -v11
	v_mul_f32_e32 v11, v13, v25
	v_add_f32_e32 v10, v14, v10
	v_fma_f32 v11, v12, v24, -v11
	v_add_f32_e32 v10, v10, v11
	s_waitcnt vmcnt(0)
	v_mul_f32_e32 v31, v6, v27
	v_fmac_f32_e32 v31, v7, v26
	v_add_f32_e32 v30, v30, v31
	v_mul_f32_e32 v31, v8, v29
	v_fmac_f32_e32 v31, v9, v28
	v_add_f32_e32 v34, v30, v31
	scratch_load_dwordx4 v[30:33], off, off offset:128
	v_mul_f32_e32 v7, v7, v27
	v_fma_f32 v6, v6, v26, -v7
	v_mul_f32_e32 v7, v9, v29
	v_add_f32_e32 v6, v10, v6
	v_fma_f32 v7, v8, v28, -v7
	v_add_f32_e32 v6, v6, v7
	s_waitcnt vmcnt(0)
	v_mul_f32_e32 v35, v2, v31
	v_fmac_f32_e32 v35, v3, v30
	v_add_f32_e32 v34, v34, v35
	v_mul_f32_e32 v35, v4, v33
	v_fmac_f32_e32 v35, v5, v32
	v_add_f32_e32 v42, v34, v35
	ds_read_b128 v[34:37], v134 offset:624
	v_mul_f32_e32 v3, v3, v31
	v_fma_f32 v2, v2, v30, -v3
	v_mul_f32_e32 v3, v5, v33
	v_add_f32_e32 v2, v6, v2
	s_waitcnt lgkmcnt(0)
	v_mul_f32_e32 v43, v34, v39
	v_fmac_f32_e32 v43, v35, v38
	v_add_f32_e32 v42, v42, v43
	v_mul_f32_e32 v43, v36, v41
	v_fmac_f32_e32 v43, v37, v40
	v_add_f32_e32 v50, v42, v43
	ds_read_b128 v[42:45], v134 offset:640
	v_fma_f32 v3, v4, v32, -v3
	v_add_f32_e32 v2, v2, v3
	v_mul_f32_e32 v3, v35, v39
	v_fma_f32 v3, v34, v38, -v3
	s_waitcnt lgkmcnt(0)
	v_mul_f32_e32 v51, v42, v47
	v_fmac_f32_e32 v51, v43, v46
	v_add_f32_e32 v50, v50, v51
	v_mul_f32_e32 v51, v44, v49
	v_fmac_f32_e32 v51, v45, v48
	v_add_f32_e32 v58, v50, v51
	ds_read_b128 v[50:53], v134 offset:656
	v_add_f32_e32 v2, v2, v3
	v_mul_f32_e32 v3, v37, v41
	v_fma_f32 v3, v36, v40, -v3
	v_add_f32_e32 v2, v2, v3
	s_waitcnt lgkmcnt(0)
	v_mul_f32_e32 v59, v50, v55
	v_fmac_f32_e32 v59, v51, v54
	v_add_f32_e32 v58, v58, v59
	v_mul_f32_e32 v59, v52, v57
	v_fmac_f32_e32 v59, v53, v56
	v_add_f32_e32 v66, v58, v59
	ds_read_b128 v[58:61], v134 offset:672
	v_mul_f32_e32 v3, v43, v47
	v_fma_f32 v3, v42, v46, -v3
	v_add_f32_e32 v2, v2, v3
	v_mul_f32_e32 v3, v45, v49
	s_waitcnt lgkmcnt(0)
	v_mul_f32_e32 v67, v58, v63
	v_fmac_f32_e32 v67, v59, v62
	v_add_f32_e32 v66, v66, v67
	v_mul_f32_e32 v67, v60, v65
	v_fmac_f32_e32 v67, v61, v64
	v_add_f32_e32 v74, v66, v67
	ds_read_b128 v[66:69], v134 offset:688
	v_fma_f32 v3, v44, v48, -v3
	v_add_f32_e32 v2, v2, v3
	v_mul_f32_e32 v3, v51, v55
	v_fma_f32 v3, v50, v54, -v3
	s_waitcnt lgkmcnt(0)
	v_mul_f32_e32 v75, v66, v71
	v_fmac_f32_e32 v75, v67, v70
	v_add_f32_e32 v74, v74, v75
	v_mul_f32_e32 v75, v68, v73
	v_fmac_f32_e32 v75, v69, v72
	v_add_f32_e32 v82, v74, v75
	ds_read_b128 v[74:77], v134 offset:704
	v_add_f32_e32 v2, v2, v3
	v_mul_f32_e32 v3, v53, v57
	v_fma_f32 v3, v52, v56, -v3
	v_add_f32_e32 v2, v2, v3
	s_waitcnt lgkmcnt(0)
	v_mul_f32_e32 v83, v74, v79
	v_fmac_f32_e32 v83, v75, v78
	v_add_f32_e32 v82, v82, v83
	v_mul_f32_e32 v83, v76, v81
	v_fmac_f32_e32 v83, v77, v80
	v_add_f32_e32 v90, v82, v83
	ds_read_b128 v[82:85], v134 offset:720
	v_mul_f32_e32 v3, v59, v63
	v_fma_f32 v3, v58, v62, -v3
	v_add_f32_e32 v2, v2, v3
	v_mul_f32_e32 v3, v61, v65
	;; [unrolled: 36-line block ×4, first 2 shown]
	s_waitcnt lgkmcnt(0)
	v_mul_f32_e32 v140, v130, v137
	v_fmac_f32_e32 v140, v131, v136
	v_add_f32_e32 v135, v135, v140
	v_mul_f32_e32 v140, v132, v139
	v_fmac_f32_e32 v140, v133, v138
	v_add_f32_e32 v135, v135, v140
	ds_read_b128 v[140:143], v134 offset:832
	scratch_load_dwordx4 v[188:191], off, off offset:416
	scratch_load_dwordx4 v[192:195], off, off offset:432
	;; [unrolled: 1-line block ×4, first 2 shown]
	v_fma_f32 v3, v92, v96, -v3
	v_add_f32_e32 v2, v2, v3
	v_mul_f32_e32 v3, v99, v103
	v_fma_f32 v3, v98, v102, -v3
	v_add_f32_e32 v2, v2, v3
	v_mul_f32_e32 v3, v101, v105
	;; [unrolled: 3-line block ×10, first 2 shown]
	v_fma_f32 v3, v132, v138, -v3
	s_waitcnt lgkmcnt(0)
	v_mul_f32_e32 v148, v140, v145
	v_add_f32_e32 v2, v2, v3
	v_mul_f32_e32 v3, v141, v145
	v_fmac_f32_e32 v148, v141, v144
	v_fma_f32 v3, v140, v144, -v3
	v_add_f32_e32 v135, v135, v148
	v_mul_f32_e32 v148, v142, v147
	v_add_f32_e32 v2, v2, v3
	v_mul_f32_e32 v3, v143, v147
	v_fmac_f32_e32 v148, v143, v146
	v_fma_f32 v3, v142, v146, -v3
	v_add_f32_e32 v135, v135, v148
	;; [unrolled: 6-line block ×6, first 2 shown]
	v_add_f32_e32 v148, v2, v3
	v_mul_f32_e32 v2, v181, v185
	v_fma_f32 v204, v180, v184, -v2
	v_mul_f32_e32 v2, v183, v187
	v_fma_f32 v206, v182, v186, -v2
	ds_read_b128 v[2:5], v134 offset:896
	ds_read_b128 v[6:9], v134 offset:912
	;; [unrolled: 1-line block ×4, first 2 shown]
	v_pk_add_f32 v[18:19], v[148:149], v[204:205]
	s_waitcnt vmcnt(3) lgkmcnt(3)
	v_pk_mul_f32 v[20:21], v[2:3], v[188:189] op_sel:[1,1] op_sel_hi:[0,1]
	v_pk_fma_f32 v[22:23], v[2:3], v[188:189], v[20:21] neg_lo:[0,0,1] neg_hi:[0,0,1]
	v_pk_fma_f32 v[2:3], v[2:3], v[188:189], v[20:21] op_sel_hi:[1,0,1]
	v_pk_add_f32 v[18:19], v[18:19], v[206:207]
	v_mov_b32_e32 v23, v3
	v_pk_add_f32 v[2:3], v[18:19], v[22:23]
	v_mov_b32_e32 v18, v191
	v_pk_mul_f32 v[18:19], v[4:5], v[18:19] op_sel:[1,0] op_sel_hi:[0,0]
	v_pk_fma_f32 v[20:21], v[4:5], v[190:191], v[18:19] neg_lo:[0,0,1] neg_hi:[0,0,1]
	v_pk_fma_f32 v[4:5], v[4:5], v[190:191], v[18:19] op_sel_hi:[1,0,1]
	s_nop 0
	v_mov_b32_e32 v21, v5
	s_waitcnt vmcnt(2) lgkmcnt(2)
	v_pk_mul_f32 v[4:5], v[6:7], v[192:193] op_sel:[1,1] op_sel_hi:[0,1]
	v_pk_fma_f32 v[18:19], v[6:7], v[192:193], v[4:5] neg_lo:[0,0,1] neg_hi:[0,0,1]
	v_pk_fma_f32 v[4:5], v[6:7], v[192:193], v[4:5] op_sel_hi:[1,0,1]
	v_pk_add_f32 v[2:3], v[2:3], v[20:21]
	v_mov_b32_e32 v4, v195
	v_mov_b32_e32 v19, v5
	v_pk_mul_f32 v[4:5], v[8:9], v[4:5] op_sel:[1,0] op_sel_hi:[0,0]
	v_pk_fma_f32 v[6:7], v[8:9], v[194:195], v[4:5] neg_lo:[0,0,1] neg_hi:[0,0,1]
	v_pk_fma_f32 v[4:5], v[8:9], v[194:195], v[4:5] op_sel_hi:[1,0,1]
	v_pk_add_f32 v[2:3], v[2:3], v[18:19]
	v_mov_b32_e32 v7, v5
	s_waitcnt vmcnt(1) lgkmcnt(1)
	v_pk_mul_f32 v[4:5], v[10:11], v[196:197] op_sel:[1,1] op_sel_hi:[0,1]
	v_pk_add_f32 v[2:3], v[2:3], v[6:7]
	v_pk_fma_f32 v[6:7], v[10:11], v[196:197], v[4:5] neg_lo:[0,0,1] neg_hi:[0,0,1]
	v_pk_fma_f32 v[4:5], v[10:11], v[196:197], v[4:5] op_sel_hi:[1,0,1]
	s_nop 0
	v_mov_b32_e32 v4, v199
	v_mov_b32_e32 v7, v5
	v_pk_mul_f32 v[4:5], v[12:13], v[4:5] op_sel:[1,0] op_sel_hi:[0,0]
	v_pk_add_f32 v[2:3], v[2:3], v[6:7]
	v_pk_fma_f32 v[6:7], v[12:13], v[198:199], v[4:5] neg_lo:[0,0,1] neg_hi:[0,0,1]
	v_pk_fma_f32 v[4:5], v[12:13], v[198:199], v[4:5] op_sel_hi:[1,0,1]
	s_nop 0
	v_mov_b32_e32 v7, v5
	s_waitcnt vmcnt(0) lgkmcnt(0)
	v_pk_mul_f32 v[4:5], v[14:15], v[200:201] op_sel:[1,1] op_sel_hi:[0,1]
	v_pk_add_f32 v[2:3], v[2:3], v[6:7]
	v_pk_fma_f32 v[6:7], v[14:15], v[200:201], v[4:5] neg_lo:[0,0,1] neg_hi:[0,0,1]
	v_pk_fma_f32 v[4:5], v[14:15], v[200:201], v[4:5] op_sel_hi:[1,0,1]
	s_nop 0
	v_mov_b32_e32 v4, v203
	v_mov_b32_e32 v7, v5
	v_pk_mul_f32 v[4:5], v[16:17], v[4:5] op_sel:[1,0] op_sel_hi:[0,0]
	v_pk_add_f32 v[2:3], v[2:3], v[6:7]
	v_pk_fma_f32 v[6:7], v[16:17], v[202:203], v[4:5] neg_lo:[0,0,1] neg_hi:[0,0,1]
	v_pk_fma_f32 v[4:5], v[16:17], v[202:203], v[4:5] op_sel_hi:[1,0,1]
	s_nop 0
	v_mov_b32_e32 v7, v5
	scratch_load_dwordx2 v[4:5], off, off offset:72
	v_pk_add_f32 v[2:3], v[2:3], v[6:7]
	s_waitcnt vmcnt(0)
	v_pk_add_f32 v[2:3], v[4:5], v[2:3] neg_lo:[0,1] neg_hi:[0,1]
	scratch_store_dwordx2 off, v[2:3], off offset:72
	s_and_saveexec_b64 s[0:1], vcc
	s_cbranch_execz .LBB59_357
; %bb.356:
	scratch_load_dwordx2 v[2:3], off, off offset:64
	v_mov_b32_e32 v4, 0
	v_mov_b32_e32 v5, v4
	scratch_store_dwordx2 off, v[4:5], off offset:64
	s_waitcnt vmcnt(1)
	ds_write_b64 v1, v[2:3]
.LBB59_357:
	s_or_b64 exec, exec, s[0:1]
	s_waitcnt lgkmcnt(0)
	; wave barrier
	scratch_load_dwordx4 v[6:9], off, off offset:72
	scratch_load_dwordx4 v[14:17], off, off offset:88
	;; [unrolled: 1-line block ×10, first 2 shown]
	v_mov_b32_e32 v142, 0
	ds_read2_b64 v[2:5], v142 offset0:69 offset1:70
	ds_read2_b64 v[164:167], v142 offset0:105 offset1:106
	scratch_load_dwordx4 v[86:89], off, off offset:232
	scratch_load_dwordx4 v[94:97], off, off offset:248
	;; [unrolled: 1-line block ×12, first 2 shown]
	v_cmp_lt_u32_e32 vcc, 7, v0
	ds_read2_b64 v[172:175], v142 offset0:107 offset1:108
	ds_read2_b64 v[180:183], v142 offset0:109 offset1:110
	;; [unrolled: 1-line block ×3, first 2 shown]
	s_waitcnt vmcnt(21) lgkmcnt(4)
	v_mul_f32_e32 v10, v2, v7
	v_fmac_f32_e32 v10, v3, v6
	v_mul_f32_e32 v11, v4, v9
	v_add_f32_e32 v10, 0, v10
	v_fmac_f32_e32 v11, v5, v8
	v_add_f32_e32 v18, v10, v11
	ds_read2_b64 v[10:13], v142 offset0:71 offset1:72
	v_mul_f32_e32 v3, v3, v7
	v_fma_f32 v2, v2, v6, -v3
	v_mul_f32_e32 v3, v5, v9
	v_add_f32_e32 v2, 0, v2
	s_waitcnt vmcnt(20) lgkmcnt(0)
	v_mul_f32_e32 v19, v10, v15
	v_fmac_f32_e32 v19, v11, v14
	v_add_f32_e32 v18, v18, v19
	v_mul_f32_e32 v19, v12, v17
	v_fmac_f32_e32 v19, v13, v16
	v_add_f32_e32 v26, v18, v19
	ds_read2_b64 v[18:21], v142 offset0:73 offset1:74
	v_fma_f32 v3, v4, v8, -v3
	v_add_f32_e32 v2, v2, v3
	v_mul_f32_e32 v3, v11, v15
	v_fma_f32 v3, v10, v14, -v3
	s_waitcnt vmcnt(19) lgkmcnt(0)
	v_mul_f32_e32 v27, v18, v23
	v_fmac_f32_e32 v27, v19, v22
	v_add_f32_e32 v26, v26, v27
	v_mul_f32_e32 v27, v20, v25
	v_fmac_f32_e32 v27, v21, v24
	v_add_f32_e32 v34, v26, v27
	ds_read2_b64 v[26:29], v142 offset0:75 offset1:76
	v_add_f32_e32 v2, v2, v3
	v_mul_f32_e32 v3, v13, v17
	v_fma_f32 v3, v12, v16, -v3
	v_add_f32_e32 v2, v2, v3
	s_waitcnt vmcnt(18) lgkmcnt(0)
	v_mul_f32_e32 v35, v26, v31
	v_fmac_f32_e32 v35, v27, v30
	v_add_f32_e32 v34, v34, v35
	v_mul_f32_e32 v35, v28, v33
	v_fmac_f32_e32 v35, v29, v32
	v_add_f32_e32 v42, v34, v35
	ds_read2_b64 v[34:37], v142 offset0:77 offset1:78
	v_mul_f32_e32 v3, v19, v23
	v_fma_f32 v3, v18, v22, -v3
	v_add_f32_e32 v2, v2, v3
	v_mul_f32_e32 v3, v21, v25
	s_waitcnt vmcnt(17) lgkmcnt(0)
	v_mul_f32_e32 v43, v34, v39
	v_fmac_f32_e32 v43, v35, v38
	v_add_f32_e32 v42, v42, v43
	v_mul_f32_e32 v43, v36, v41
	v_fmac_f32_e32 v43, v37, v40
	v_add_f32_e32 v50, v42, v43
	ds_read2_b64 v[42:45], v142 offset0:79 offset1:80
	v_fma_f32 v3, v20, v24, -v3
	v_add_f32_e32 v2, v2, v3
	v_mul_f32_e32 v3, v27, v31
	v_fma_f32 v3, v26, v30, -v3
	s_waitcnt vmcnt(16) lgkmcnt(0)
	v_mul_f32_e32 v51, v42, v47
	v_fmac_f32_e32 v51, v43, v46
	v_add_f32_e32 v50, v50, v51
	v_mul_f32_e32 v51, v44, v49
	v_fmac_f32_e32 v51, v45, v48
	v_add_f32_e32 v58, v50, v51
	ds_read2_b64 v[50:53], v142 offset0:81 offset1:82
	v_add_f32_e32 v2, v2, v3
	v_mul_f32_e32 v3, v29, v33
	v_fma_f32 v3, v28, v32, -v3
	v_add_f32_e32 v2, v2, v3
	s_waitcnt vmcnt(15) lgkmcnt(0)
	v_mul_f32_e32 v59, v50, v55
	v_fmac_f32_e32 v59, v51, v54
	v_add_f32_e32 v58, v58, v59
	v_mul_f32_e32 v59, v52, v57
	v_fmac_f32_e32 v59, v53, v56
	v_add_f32_e32 v66, v58, v59
	ds_read2_b64 v[58:61], v142 offset0:83 offset1:84
	v_mul_f32_e32 v3, v35, v39
	v_fma_f32 v3, v34, v38, -v3
	v_add_f32_e32 v2, v2, v3
	v_mul_f32_e32 v3, v37, v41
	;; [unrolled: 36-line block ×5, first 2 shown]
	s_waitcnt vmcnt(5) lgkmcnt(0)
	v_mul_f32_e32 v139, v130, v135
	v_fmac_f32_e32 v139, v131, v134
	v_add_f32_e32 v138, v138, v139
	v_mul_f32_e32 v139, v132, v137
	v_fmac_f32_e32 v139, v133, v136
	v_add_f32_e32 v143, v138, v139
	ds_read2_b64 v[138:141], v142 offset0:103 offset1:104
	scratch_load_dwordx4 v[196:199], off, off offset:424
	scratch_load_dwordx4 v[200:203], off, off offset:440
	;; [unrolled: 1-line block ×3, first 2 shown]
	scratch_load_dwordx2 v[212:213], off, off offset:472
	v_fma_f32 v3, v84, v88, -v3
	v_add_f32_e32 v2, v2, v3
	v_mul_f32_e32 v3, v91, v95
	v_fma_f32 v3, v90, v94, -v3
	v_add_f32_e32 v2, v2, v3
	v_mul_f32_e32 v3, v93, v97
	;; [unrolled: 3-line block ×12, first 2 shown]
	v_fma_f32 v3, v132, v136, -v3
	s_waitcnt vmcnt(8) lgkmcnt(0)
	v_mul_f32_e32 v148, v138, v145
	v_add_f32_e32 v2, v2, v3
	v_mul_f32_e32 v3, v139, v145
	v_fmac_f32_e32 v148, v139, v144
	v_fma_f32 v3, v138, v144, -v3
	v_add_f32_e32 v143, v143, v148
	v_mul_f32_e32 v148, v140, v147
	v_add_f32_e32 v2, v2, v3
	v_mul_f32_e32 v3, v141, v147
	v_fmac_f32_e32 v148, v141, v146
	v_fma_f32 v3, v140, v146, -v3
	v_add_f32_e32 v143, v143, v148
	s_waitcnt vmcnt(7)
	v_mul_f32_e32 v148, v164, v169
	v_add_f32_e32 v2, v2, v3
	v_mul_f32_e32 v3, v165, v169
	v_fmac_f32_e32 v148, v165, v168
	v_fma_f32 v3, v164, v168, -v3
	v_add_f32_e32 v143, v143, v148
	v_mul_f32_e32 v148, v166, v171
	v_add_f32_e32 v2, v2, v3
	v_mul_f32_e32 v3, v167, v171
	v_fmac_f32_e32 v148, v167, v170
	v_fma_f32 v3, v166, v170, -v3
	v_add_f32_e32 v143, v143, v148
	s_waitcnt vmcnt(6)
	;; [unrolled: 13-line block ×3, first 2 shown]
	v_mul_f32_e32 v148, v180, v185
	v_add_f32_e32 v2, v2, v3
	v_mul_f32_e32 v3, v181, v185
	v_fmac_f32_e32 v148, v181, v184
	v_fma_f32 v3, v180, v184, -v3
	v_add_f32_e32 v149, v143, v148
	v_add_f32_e32 v148, v2, v3
	v_mul_f32_e32 v2, v183, v187
	v_mul_f32_e32 v209, v182, v187
	v_fma_f32 v208, v182, v186, -v2
	s_waitcnt vmcnt(4)
	v_mul_f32_e32 v2, v189, v193
	v_mov_b32_e32 v18, v195
	v_fmac_f32_e32 v209, v183, v186
	v_mul_f32_e32 v211, v188, v193
	v_fma_f32 v210, v188, v192, -v2
	ds_read2_b64 v[2:5], v142 offset0:113 offset1:114
	ds_read2_b64 v[6:9], v142 offset0:115 offset1:116
	;; [unrolled: 1-line block ×3, first 2 shown]
	ds_read_b64 v[14:15], v142 offset:952
	v_pk_mul_f32 v[18:19], v[190:191], v[18:19] op_sel:[1,0] op_sel_hi:[0,0]
	v_fmac_f32_e32 v211, v189, v192
	v_pk_add_f32 v[16:17], v[148:149], v[208:209]
	v_pk_fma_f32 v[20:21], v[190:191], v[194:195], v[18:19] neg_lo:[0,0,1] neg_hi:[0,0,1]
	v_pk_fma_f32 v[18:19], v[190:191], v[194:195], v[18:19] op_sel_hi:[1,0,1]
	v_pk_add_f32 v[16:17], v[16:17], v[210:211]
	v_mov_b32_e32 v21, v19
	s_waitcnt vmcnt(3) lgkmcnt(3)
	v_pk_mul_f32 v[18:19], v[2:3], v[196:197] op_sel:[1,1] op_sel_hi:[0,1]
	v_pk_add_f32 v[16:17], v[16:17], v[20:21]
	v_pk_fma_f32 v[20:21], v[2:3], v[196:197], v[18:19] neg_lo:[0,0,1] neg_hi:[0,0,1]
	v_pk_fma_f32 v[2:3], v[2:3], v[196:197], v[18:19] op_sel_hi:[1,0,1]
	s_nop 0
	v_mov_b32_e32 v21, v3
	v_pk_add_f32 v[2:3], v[16:17], v[20:21]
	v_mov_b32_e32 v16, v199
	v_pk_mul_f32 v[16:17], v[4:5], v[16:17] op_sel:[1,0] op_sel_hi:[0,0]
	v_pk_fma_f32 v[18:19], v[4:5], v[198:199], v[16:17] neg_lo:[0,0,1] neg_hi:[0,0,1]
	v_pk_fma_f32 v[4:5], v[4:5], v[198:199], v[16:17] op_sel_hi:[1,0,1]
	s_nop 0
	v_mov_b32_e32 v19, v5
	s_waitcnt vmcnt(2) lgkmcnt(2)
	v_pk_mul_f32 v[4:5], v[6:7], v[200:201] op_sel:[1,1] op_sel_hi:[0,1]
	v_pk_fma_f32 v[16:17], v[6:7], v[200:201], v[4:5] neg_lo:[0,0,1] neg_hi:[0,0,1]
	v_pk_fma_f32 v[4:5], v[6:7], v[200:201], v[4:5] op_sel_hi:[1,0,1]
	v_pk_add_f32 v[2:3], v[2:3], v[18:19]
	v_mov_b32_e32 v4, v203
	v_mov_b32_e32 v17, v5
	v_pk_mul_f32 v[4:5], v[8:9], v[4:5] op_sel:[1,0] op_sel_hi:[0,0]
	v_pk_fma_f32 v[6:7], v[8:9], v[202:203], v[4:5] neg_lo:[0,0,1] neg_hi:[0,0,1]
	v_pk_fma_f32 v[4:5], v[8:9], v[202:203], v[4:5] op_sel_hi:[1,0,1]
	v_pk_add_f32 v[2:3], v[2:3], v[16:17]
	v_mov_b32_e32 v7, v5
	s_waitcnt vmcnt(1) lgkmcnt(1)
	v_pk_mul_f32 v[4:5], v[10:11], v[204:205] op_sel:[1,1] op_sel_hi:[0,1]
	v_pk_add_f32 v[2:3], v[2:3], v[6:7]
	v_pk_fma_f32 v[6:7], v[10:11], v[204:205], v[4:5] neg_lo:[0,0,1] neg_hi:[0,0,1]
	v_pk_fma_f32 v[4:5], v[10:11], v[204:205], v[4:5] op_sel_hi:[1,0,1]
	s_nop 0
	v_mov_b32_e32 v4, v207
	v_mov_b32_e32 v7, v5
	v_pk_mul_f32 v[4:5], v[12:13], v[4:5] op_sel:[1,0] op_sel_hi:[0,0]
	v_pk_add_f32 v[2:3], v[2:3], v[6:7]
	v_pk_fma_f32 v[6:7], v[12:13], v[206:207], v[4:5] neg_lo:[0,0,1] neg_hi:[0,0,1]
	v_pk_fma_f32 v[4:5], v[12:13], v[206:207], v[4:5] op_sel_hi:[1,0,1]
	s_nop 0
	v_mov_b32_e32 v7, v5
	s_waitcnt vmcnt(0) lgkmcnt(0)
	v_pk_mul_f32 v[4:5], v[14:15], v[212:213] op_sel:[1,1] op_sel_hi:[0,1]
	v_pk_add_f32 v[2:3], v[2:3], v[6:7]
	v_pk_fma_f32 v[6:7], v[14:15], v[212:213], v[4:5] neg_lo:[0,0,1] neg_hi:[0,0,1]
	v_pk_fma_f32 v[4:5], v[14:15], v[212:213], v[4:5] op_sel_hi:[1,0,1]
	s_nop 0
	v_mov_b32_e32 v7, v5
	scratch_load_dwordx2 v[4:5], off, off offset:64
	v_pk_add_f32 v[2:3], v[2:3], v[6:7]
	s_waitcnt vmcnt(0)
	v_pk_add_f32 v[2:3], v[4:5], v[2:3] neg_lo:[0,1] neg_hi:[0,1]
	scratch_store_dwordx2 off, v[2:3], off offset:64
	s_and_saveexec_b64 s[0:1], vcc
	s_cbranch_execz .LBB59_359
; %bb.358:
	scratch_load_dwordx2 v[2:3], off, off offset:56
	v_mov_b32_e32 v143, v142
	scratch_store_dwordx2 off, v[142:143], off offset:56
	s_waitcnt vmcnt(1)
	ds_write_b64 v1, v[2:3]
.LBB59_359:
	s_or_b64 exec, exec, s[0:1]
	s_waitcnt lgkmcnt(0)
	; wave barrier
	ds_read_b128 v[14:17], v142 offset:544
	ds_read_b128 v[10:13], v142 offset:560
	;; [unrolled: 1-line block ×4, first 2 shown]
	scratch_load_dwordx4 v[18:21], off, off offset:64
	scratch_load_dwordx4 v[38:41], off, off offset:128
	;; [unrolled: 1-line block ×16, first 2 shown]
	v_cmp_lt_u32_e32 vcc, 6, v0
	scratch_load_dwordx4 v[46:49], off, off offset:144
	scratch_load_dwordx4 v[54:57], off, off offset:160
	;; [unrolled: 1-line block ×3, first 2 shown]
	ds_read_b128 v[164:167], v142 offset:832
	ds_read_b128 v[172:175], v142 offset:848
	;; [unrolled: 1-line block ×4, first 2 shown]
	s_waitcnt vmcnt(18) lgkmcnt(7)
	v_mul_f32_e32 v22, v14, v19
	v_fmac_f32_e32 v22, v15, v18
	v_mul_f32_e32 v23, v16, v21
	v_add_f32_e32 v22, 0, v22
	v_fmac_f32_e32 v23, v17, v20
	v_add_f32_e32 v26, v22, v23
	scratch_load_dwordx4 v[22:25], off, off offset:80
	v_mul_f32_e32 v15, v15, v19
	v_fma_f32 v14, v14, v18, -v15
	v_mul_f32_e32 v15, v17, v21
	v_add_f32_e32 v14, 0, v14
	v_fma_f32 v15, v16, v20, -v15
	v_add_f32_e32 v14, v14, v15
	s_waitcnt vmcnt(4) lgkmcnt(0)
	v_mul_f32_e32 v213, v188, v193
	v_mul_f32_e32 v215, v190, v195
	v_fmac_f32_e32 v213, v189, v192
	v_fmac_f32_e32 v215, v191, v194
	s_waitcnt vmcnt(0)
	v_mul_f32_e32 v27, v10, v23
	v_fmac_f32_e32 v27, v11, v22
	v_add_f32_e32 v26, v26, v27
	v_mul_f32_e32 v27, v12, v25
	v_fmac_f32_e32 v27, v13, v24
	v_add_f32_e32 v30, v26, v27
	scratch_load_dwordx4 v[26:29], off, off offset:96
	v_mul_f32_e32 v11, v11, v23
	v_fma_f32 v10, v10, v22, -v11
	v_mul_f32_e32 v11, v13, v25
	v_add_f32_e32 v10, v14, v10
	v_fma_f32 v11, v12, v24, -v11
	v_add_f32_e32 v10, v10, v11
	s_waitcnt vmcnt(0)
	v_mul_f32_e32 v31, v6, v27
	v_fmac_f32_e32 v31, v7, v26
	v_add_f32_e32 v30, v30, v31
	v_mul_f32_e32 v31, v8, v29
	v_fmac_f32_e32 v31, v9, v28
	v_add_f32_e32 v34, v30, v31
	scratch_load_dwordx4 v[30:33], off, off offset:112
	v_mul_f32_e32 v7, v7, v27
	v_fma_f32 v6, v6, v26, -v7
	v_mul_f32_e32 v7, v9, v29
	v_add_f32_e32 v6, v10, v6
	v_fma_f32 v7, v8, v28, -v7
	v_add_f32_e32 v6, v6, v7
	s_waitcnt vmcnt(0)
	v_mul_f32_e32 v35, v2, v31
	v_fmac_f32_e32 v35, v3, v30
	v_add_f32_e32 v34, v34, v35
	v_mul_f32_e32 v35, v4, v33
	v_fmac_f32_e32 v35, v5, v32
	v_add_f32_e32 v42, v34, v35
	ds_read_b128 v[34:37], v142 offset:608
	v_mul_f32_e32 v3, v3, v31
	v_fma_f32 v2, v2, v30, -v3
	v_mul_f32_e32 v3, v5, v33
	v_add_f32_e32 v2, v6, v2
	s_waitcnt lgkmcnt(0)
	v_mul_f32_e32 v43, v34, v39
	v_fmac_f32_e32 v43, v35, v38
	v_add_f32_e32 v42, v42, v43
	v_mul_f32_e32 v43, v36, v41
	v_fmac_f32_e32 v43, v37, v40
	v_add_f32_e32 v50, v42, v43
	ds_read_b128 v[42:45], v142 offset:624
	v_fma_f32 v3, v4, v32, -v3
	v_add_f32_e32 v2, v2, v3
	v_mul_f32_e32 v3, v35, v39
	v_fma_f32 v3, v34, v38, -v3
	s_waitcnt lgkmcnt(0)
	v_mul_f32_e32 v51, v42, v47
	v_fmac_f32_e32 v51, v43, v46
	v_add_f32_e32 v50, v50, v51
	v_mul_f32_e32 v51, v44, v49
	v_fmac_f32_e32 v51, v45, v48
	v_add_f32_e32 v58, v50, v51
	ds_read_b128 v[50:53], v142 offset:640
	v_add_f32_e32 v2, v2, v3
	v_mul_f32_e32 v3, v37, v41
	v_fma_f32 v3, v36, v40, -v3
	v_add_f32_e32 v2, v2, v3
	s_waitcnt lgkmcnt(0)
	v_mul_f32_e32 v59, v50, v55
	v_fmac_f32_e32 v59, v51, v54
	v_add_f32_e32 v58, v58, v59
	v_mul_f32_e32 v59, v52, v57
	v_fmac_f32_e32 v59, v53, v56
	v_add_f32_e32 v66, v58, v59
	ds_read_b128 v[58:61], v142 offset:656
	v_mul_f32_e32 v3, v43, v47
	v_fma_f32 v3, v42, v46, -v3
	v_add_f32_e32 v2, v2, v3
	v_mul_f32_e32 v3, v45, v49
	s_waitcnt lgkmcnt(0)
	v_mul_f32_e32 v67, v58, v63
	v_fmac_f32_e32 v67, v59, v62
	v_add_f32_e32 v66, v66, v67
	v_mul_f32_e32 v67, v60, v65
	v_fmac_f32_e32 v67, v61, v64
	v_add_f32_e32 v74, v66, v67
	ds_read_b128 v[66:69], v142 offset:672
	v_fma_f32 v3, v44, v48, -v3
	v_add_f32_e32 v2, v2, v3
	v_mul_f32_e32 v3, v51, v55
	v_fma_f32 v3, v50, v54, -v3
	s_waitcnt lgkmcnt(0)
	v_mul_f32_e32 v75, v66, v71
	v_fmac_f32_e32 v75, v67, v70
	v_add_f32_e32 v74, v74, v75
	v_mul_f32_e32 v75, v68, v73
	v_fmac_f32_e32 v75, v69, v72
	v_add_f32_e32 v82, v74, v75
	ds_read_b128 v[74:77], v142 offset:688
	v_add_f32_e32 v2, v2, v3
	v_mul_f32_e32 v3, v53, v57
	v_fma_f32 v3, v52, v56, -v3
	v_add_f32_e32 v2, v2, v3
	s_waitcnt lgkmcnt(0)
	v_mul_f32_e32 v83, v74, v79
	v_fmac_f32_e32 v83, v75, v78
	v_add_f32_e32 v82, v82, v83
	v_mul_f32_e32 v83, v76, v81
	v_fmac_f32_e32 v83, v77, v80
	v_add_f32_e32 v90, v82, v83
	ds_read_b128 v[82:85], v142 offset:704
	v_mul_f32_e32 v3, v59, v63
	v_fma_f32 v3, v58, v62, -v3
	v_add_f32_e32 v2, v2, v3
	v_mul_f32_e32 v3, v61, v65
	;; [unrolled: 36-line block ×4, first 2 shown]
	s_waitcnt lgkmcnt(0)
	v_mul_f32_e32 v139, v130, v135
	v_fmac_f32_e32 v139, v131, v134
	v_add_f32_e32 v138, v138, v139
	v_mul_f32_e32 v139, v132, v137
	v_fmac_f32_e32 v139, v133, v136
	v_add_f32_e32 v143, v138, v139
	ds_read_b128 v[138:141], v142 offset:816
	scratch_load_dwordx4 v[196:199], off, off offset:416
	scratch_load_dwordx4 v[200:203], off, off offset:432
	;; [unrolled: 1-line block ×4, first 2 shown]
	v_fma_f32 v3, v92, v96, -v3
	v_add_f32_e32 v2, v2, v3
	v_mul_f32_e32 v3, v99, v103
	v_fma_f32 v3, v98, v102, -v3
	v_add_f32_e32 v2, v2, v3
	v_mul_f32_e32 v3, v101, v105
	;; [unrolled: 3-line block ×10, first 2 shown]
	v_fma_f32 v3, v132, v136, -v3
	s_waitcnt lgkmcnt(0)
	v_mul_f32_e32 v148, v138, v145
	v_add_f32_e32 v2, v2, v3
	v_mul_f32_e32 v3, v139, v145
	v_fmac_f32_e32 v148, v139, v144
	v_fma_f32 v3, v138, v144, -v3
	v_add_f32_e32 v143, v143, v148
	v_mul_f32_e32 v148, v140, v147
	v_add_f32_e32 v2, v2, v3
	v_mul_f32_e32 v3, v141, v147
	v_fmac_f32_e32 v148, v141, v146
	v_fma_f32 v3, v140, v146, -v3
	v_add_f32_e32 v143, v143, v148
	;; [unrolled: 6-line block ×8, first 2 shown]
	v_add_f32_e32 v148, v2, v3
	v_mul_f32_e32 v2, v189, v193
	v_fma_f32 v212, v188, v192, -v2
	v_mul_f32_e32 v2, v191, v195
	v_fma_f32 v214, v190, v194, -v2
	ds_read_b128 v[2:5], v142 offset:896
	ds_read_b128 v[6:9], v142 offset:912
	;; [unrolled: 1-line block ×4, first 2 shown]
	v_pk_add_f32 v[18:19], v[148:149], v[212:213]
	s_waitcnt vmcnt(3) lgkmcnt(3)
	v_pk_mul_f32 v[20:21], v[2:3], v[196:197] op_sel:[1,1] op_sel_hi:[0,1]
	v_pk_fma_f32 v[22:23], v[2:3], v[196:197], v[20:21] neg_lo:[0,0,1] neg_hi:[0,0,1]
	v_pk_fma_f32 v[2:3], v[2:3], v[196:197], v[20:21] op_sel_hi:[1,0,1]
	v_pk_add_f32 v[18:19], v[18:19], v[214:215]
	v_mov_b32_e32 v23, v3
	v_pk_add_f32 v[2:3], v[18:19], v[22:23]
	v_mov_b32_e32 v18, v199
	v_pk_mul_f32 v[18:19], v[4:5], v[18:19] op_sel:[1,0] op_sel_hi:[0,0]
	v_pk_fma_f32 v[20:21], v[4:5], v[198:199], v[18:19] neg_lo:[0,0,1] neg_hi:[0,0,1]
	v_pk_fma_f32 v[4:5], v[4:5], v[198:199], v[18:19] op_sel_hi:[1,0,1]
	s_nop 0
	v_mov_b32_e32 v21, v5
	s_waitcnt vmcnt(2) lgkmcnt(2)
	v_pk_mul_f32 v[4:5], v[6:7], v[200:201] op_sel:[1,1] op_sel_hi:[0,1]
	v_pk_fma_f32 v[18:19], v[6:7], v[200:201], v[4:5] neg_lo:[0,0,1] neg_hi:[0,0,1]
	v_pk_fma_f32 v[4:5], v[6:7], v[200:201], v[4:5] op_sel_hi:[1,0,1]
	v_pk_add_f32 v[2:3], v[2:3], v[20:21]
	v_mov_b32_e32 v4, v203
	v_mov_b32_e32 v19, v5
	v_pk_mul_f32 v[4:5], v[8:9], v[4:5] op_sel:[1,0] op_sel_hi:[0,0]
	v_pk_fma_f32 v[6:7], v[8:9], v[202:203], v[4:5] neg_lo:[0,0,1] neg_hi:[0,0,1]
	v_pk_fma_f32 v[4:5], v[8:9], v[202:203], v[4:5] op_sel_hi:[1,0,1]
	v_pk_add_f32 v[2:3], v[2:3], v[18:19]
	v_mov_b32_e32 v7, v5
	s_waitcnt vmcnt(1) lgkmcnt(1)
	v_pk_mul_f32 v[4:5], v[10:11], v[204:205] op_sel:[1,1] op_sel_hi:[0,1]
	v_pk_add_f32 v[2:3], v[2:3], v[6:7]
	v_pk_fma_f32 v[6:7], v[10:11], v[204:205], v[4:5] neg_lo:[0,0,1] neg_hi:[0,0,1]
	v_pk_fma_f32 v[4:5], v[10:11], v[204:205], v[4:5] op_sel_hi:[1,0,1]
	s_nop 0
	v_mov_b32_e32 v4, v207
	v_mov_b32_e32 v7, v5
	v_pk_mul_f32 v[4:5], v[12:13], v[4:5] op_sel:[1,0] op_sel_hi:[0,0]
	v_pk_add_f32 v[2:3], v[2:3], v[6:7]
	v_pk_fma_f32 v[6:7], v[12:13], v[206:207], v[4:5] neg_lo:[0,0,1] neg_hi:[0,0,1]
	v_pk_fma_f32 v[4:5], v[12:13], v[206:207], v[4:5] op_sel_hi:[1,0,1]
	s_nop 0
	v_mov_b32_e32 v7, v5
	s_waitcnt vmcnt(0) lgkmcnt(0)
	v_pk_mul_f32 v[4:5], v[14:15], v[208:209] op_sel:[1,1] op_sel_hi:[0,1]
	v_pk_add_f32 v[2:3], v[2:3], v[6:7]
	v_pk_fma_f32 v[6:7], v[14:15], v[208:209], v[4:5] neg_lo:[0,0,1] neg_hi:[0,0,1]
	v_pk_fma_f32 v[4:5], v[14:15], v[208:209], v[4:5] op_sel_hi:[1,0,1]
	s_nop 0
	v_mov_b32_e32 v4, v211
	v_mov_b32_e32 v7, v5
	v_pk_mul_f32 v[4:5], v[16:17], v[4:5] op_sel:[1,0] op_sel_hi:[0,0]
	v_pk_add_f32 v[2:3], v[2:3], v[6:7]
	v_pk_fma_f32 v[6:7], v[16:17], v[210:211], v[4:5] neg_lo:[0,0,1] neg_hi:[0,0,1]
	v_pk_fma_f32 v[4:5], v[16:17], v[210:211], v[4:5] op_sel_hi:[1,0,1]
	s_nop 0
	v_mov_b32_e32 v7, v5
	scratch_load_dwordx2 v[4:5], off, off offset:56
	v_pk_add_f32 v[2:3], v[2:3], v[6:7]
	s_waitcnt vmcnt(0)
	v_pk_add_f32 v[2:3], v[4:5], v[2:3] neg_lo:[0,1] neg_hi:[0,1]
	scratch_store_dwordx2 off, v[2:3], off offset:56
	s_and_saveexec_b64 s[0:1], vcc
	s_cbranch_execz .LBB59_361
; %bb.360:
	scratch_load_dwordx2 v[2:3], off, off offset:48
	v_mov_b32_e32 v4, 0
	v_mov_b32_e32 v5, v4
	scratch_store_dwordx2 off, v[4:5], off offset:48
	s_waitcnt vmcnt(1)
	ds_write_b64 v1, v[2:3]
.LBB59_361:
	s_or_b64 exec, exec, s[0:1]
	s_waitcnt lgkmcnt(0)
	; wave barrier
	scratch_load_dwordx4 v[6:9], off, off offset:56
	scratch_load_dwordx4 v[14:17], off, off offset:72
	;; [unrolled: 1-line block ×10, first 2 shown]
	v_mov_b32_e32 v164, 0
	ds_read2_b64 v[2:5], v164 offset0:67 offset1:68
	scratch_load_dwordx4 v[86:89], off, off offset:216
	scratch_load_dwordx4 v[94:97], off, off offset:232
	;; [unrolled: 1-line block ×13, first 2 shown]
	v_cmp_lt_u32_e32 vcc, 5, v0
	s_waitcnt vmcnt(22) lgkmcnt(0)
	v_mul_f32_e32 v10, v2, v7
	v_fmac_f32_e32 v10, v3, v6
	v_mul_f32_e32 v11, v4, v9
	v_add_f32_e32 v10, 0, v10
	v_fmac_f32_e32 v11, v5, v8
	v_add_f32_e32 v18, v10, v11
	ds_read2_b64 v[10:13], v164 offset0:69 offset1:70
	v_mul_f32_e32 v3, v3, v7
	v_fma_f32 v2, v2, v6, -v3
	v_mul_f32_e32 v3, v5, v9
	v_add_f32_e32 v2, 0, v2
	s_waitcnt vmcnt(21) lgkmcnt(0)
	v_mul_f32_e32 v19, v10, v15
	v_fmac_f32_e32 v19, v11, v14
	v_add_f32_e32 v18, v18, v19
	v_mul_f32_e32 v19, v12, v17
	v_fmac_f32_e32 v19, v13, v16
	v_add_f32_e32 v26, v18, v19
	ds_read2_b64 v[18:21], v164 offset0:71 offset1:72
	v_fma_f32 v3, v4, v8, -v3
	v_add_f32_e32 v2, v2, v3
	v_mul_f32_e32 v3, v11, v15
	v_fma_f32 v3, v10, v14, -v3
	s_waitcnt vmcnt(20) lgkmcnt(0)
	v_mul_f32_e32 v27, v18, v23
	v_fmac_f32_e32 v27, v19, v22
	v_add_f32_e32 v26, v26, v27
	v_mul_f32_e32 v27, v20, v25
	v_fmac_f32_e32 v27, v21, v24
	v_add_f32_e32 v34, v26, v27
	ds_read2_b64 v[26:29], v164 offset0:73 offset1:74
	v_add_f32_e32 v2, v2, v3
	v_mul_f32_e32 v3, v13, v17
	v_fma_f32 v3, v12, v16, -v3
	v_add_f32_e32 v2, v2, v3
	s_waitcnt vmcnt(19) lgkmcnt(0)
	v_mul_f32_e32 v35, v26, v31
	v_fmac_f32_e32 v35, v27, v30
	v_add_f32_e32 v34, v34, v35
	v_mul_f32_e32 v35, v28, v33
	v_fmac_f32_e32 v35, v29, v32
	v_add_f32_e32 v42, v34, v35
	ds_read2_b64 v[34:37], v164 offset0:75 offset1:76
	v_mul_f32_e32 v3, v19, v23
	v_fma_f32 v3, v18, v22, -v3
	v_add_f32_e32 v2, v2, v3
	v_mul_f32_e32 v3, v21, v25
	s_waitcnt vmcnt(18) lgkmcnt(0)
	v_mul_f32_e32 v43, v34, v39
	v_fmac_f32_e32 v43, v35, v38
	v_add_f32_e32 v42, v42, v43
	v_mul_f32_e32 v43, v36, v41
	v_fmac_f32_e32 v43, v37, v40
	v_add_f32_e32 v50, v42, v43
	ds_read2_b64 v[42:45], v164 offset0:77 offset1:78
	v_fma_f32 v3, v20, v24, -v3
	v_add_f32_e32 v2, v2, v3
	v_mul_f32_e32 v3, v27, v31
	v_fma_f32 v3, v26, v30, -v3
	s_waitcnt vmcnt(17) lgkmcnt(0)
	v_mul_f32_e32 v51, v42, v47
	v_fmac_f32_e32 v51, v43, v46
	v_add_f32_e32 v50, v50, v51
	v_mul_f32_e32 v51, v44, v49
	v_fmac_f32_e32 v51, v45, v48
	v_add_f32_e32 v58, v50, v51
	ds_read2_b64 v[50:53], v164 offset0:79 offset1:80
	v_add_f32_e32 v2, v2, v3
	v_mul_f32_e32 v3, v29, v33
	v_fma_f32 v3, v28, v32, -v3
	v_add_f32_e32 v2, v2, v3
	s_waitcnt vmcnt(16) lgkmcnt(0)
	v_mul_f32_e32 v59, v50, v55
	v_fmac_f32_e32 v59, v51, v54
	v_add_f32_e32 v58, v58, v59
	v_mul_f32_e32 v59, v52, v57
	v_fmac_f32_e32 v59, v53, v56
	v_add_f32_e32 v66, v58, v59
	ds_read2_b64 v[58:61], v164 offset0:81 offset1:82
	v_mul_f32_e32 v3, v35, v39
	v_fma_f32 v3, v34, v38, -v3
	v_add_f32_e32 v2, v2, v3
	v_mul_f32_e32 v3, v37, v41
	;; [unrolled: 36-line block ×6, first 2 shown]
	s_waitcnt vmcnt(3) lgkmcnt(0)
	v_mul_f32_e32 v178, v170, v175
	v_fmac_f32_e32 v178, v171, v174
	v_add_f32_e32 v165, v165, v178
	v_mul_f32_e32 v178, v172, v177
	v_fmac_f32_e32 v178, v173, v176
	v_add_f32_e32 v165, v165, v178
	ds_read2_b64 v[178:181], v164 offset0:107 offset1:108
	v_fma_f32 v3, v100, v104, -v3
	v_add_f32_e32 v2, v2, v3
	v_mul_f32_e32 v3, v107, v111
	v_fma_f32 v3, v106, v110, -v3
	s_waitcnt vmcnt(2) lgkmcnt(0)
	v_mul_f32_e32 v186, v178, v183
	v_fmac_f32_e32 v186, v179, v182
	v_add_f32_e32 v165, v165, v186
	v_mul_f32_e32 v186, v180, v185
	v_fmac_f32_e32 v186, v181, v184
	v_add_f32_e32 v165, v165, v186
	ds_read2_b64 v[186:189], v164 offset0:109 offset1:110
	v_add_f32_e32 v2, v2, v3
	v_mul_f32_e32 v3, v109, v113
	v_fma_f32 v3, v108, v112, -v3
	v_add_f32_e32 v2, v2, v3
	s_waitcnt vmcnt(1) lgkmcnt(0)
	v_mul_f32_e32 v194, v186, v191
	v_fmac_f32_e32 v194, v187, v190
	v_add_f32_e32 v215, v165, v194
	ds_read2_b64 v[194:197], v164 offset0:111 offset1:112
	scratch_load_dwordx4 v[202:205], off, off offset:424
	scratch_load_dwordx4 v[206:209], off, off offset:440
	;; [unrolled: 1-line block ×3, first 2 shown]
	scratch_load_dwordx2 v[220:221], off, off offset:472
	v_mul_f32_e32 v3, v115, v119
	v_fma_f32 v3, v114, v118, -v3
	v_add_f32_e32 v2, v2, v3
	v_mul_f32_e32 v3, v117, v121
	v_fma_f32 v3, v116, v120, -v3
	v_add_f32_e32 v2, v2, v3
	;; [unrolled: 3-line block ×15, first 2 shown]
	v_mul_f32_e32 v2, v189, v193
	v_mul_f32_e32 v217, v188, v193
	v_fma_f32 v216, v188, v192, -v2
	s_waitcnt vmcnt(4) lgkmcnt(0)
	v_mul_f32_e32 v2, v195, v199
	v_mov_b32_e32 v18, v201
	v_fmac_f32_e32 v217, v189, v192
	v_mul_f32_e32 v219, v194, v199
	v_fma_f32 v218, v194, v198, -v2
	ds_read2_b64 v[2:5], v164 offset0:113 offset1:114
	ds_read2_b64 v[6:9], v164 offset0:115 offset1:116
	;; [unrolled: 1-line block ×3, first 2 shown]
	ds_read_b64 v[14:15], v164 offset:952
	v_pk_mul_f32 v[18:19], v[196:197], v[18:19] op_sel:[1,0] op_sel_hi:[0,0]
	v_fmac_f32_e32 v219, v195, v198
	v_pk_add_f32 v[16:17], v[214:215], v[216:217]
	v_pk_fma_f32 v[20:21], v[196:197], v[200:201], v[18:19] neg_lo:[0,0,1] neg_hi:[0,0,1]
	v_pk_fma_f32 v[18:19], v[196:197], v[200:201], v[18:19] op_sel_hi:[1,0,1]
	v_pk_add_f32 v[16:17], v[16:17], v[218:219]
	v_mov_b32_e32 v21, v19
	v_pk_add_f32 v[16:17], v[16:17], v[20:21]
	s_waitcnt vmcnt(3) lgkmcnt(3)
	v_pk_mul_f32 v[18:19], v[2:3], v[202:203] op_sel:[1,1] op_sel_hi:[0,1]
	v_pk_fma_f32 v[20:21], v[2:3], v[202:203], v[18:19] neg_lo:[0,0,1] neg_hi:[0,0,1]
	v_pk_fma_f32 v[2:3], v[2:3], v[202:203], v[18:19] op_sel_hi:[1,0,1]
	s_nop 0
	v_mov_b32_e32 v21, v3
	v_pk_add_f32 v[2:3], v[16:17], v[20:21]
	v_mov_b32_e32 v16, v205
	v_pk_mul_f32 v[16:17], v[4:5], v[16:17] op_sel:[1,0] op_sel_hi:[0,0]
	v_pk_fma_f32 v[18:19], v[4:5], v[204:205], v[16:17] neg_lo:[0,0,1] neg_hi:[0,0,1]
	v_pk_fma_f32 v[4:5], v[4:5], v[204:205], v[16:17] op_sel_hi:[1,0,1]
	s_nop 0
	v_mov_b32_e32 v19, v5
	s_waitcnt vmcnt(2) lgkmcnt(2)
	v_pk_mul_f32 v[4:5], v[6:7], v[206:207] op_sel:[1,1] op_sel_hi:[0,1]
	v_pk_fma_f32 v[16:17], v[6:7], v[206:207], v[4:5] neg_lo:[0,0,1] neg_hi:[0,0,1]
	v_pk_fma_f32 v[4:5], v[6:7], v[206:207], v[4:5] op_sel_hi:[1,0,1]
	v_pk_add_f32 v[2:3], v[2:3], v[18:19]
	v_mov_b32_e32 v4, v209
	v_mov_b32_e32 v17, v5
	v_pk_mul_f32 v[4:5], v[8:9], v[4:5] op_sel:[1,0] op_sel_hi:[0,0]
	v_pk_fma_f32 v[6:7], v[8:9], v[208:209], v[4:5] neg_lo:[0,0,1] neg_hi:[0,0,1]
	v_pk_fma_f32 v[4:5], v[8:9], v[208:209], v[4:5] op_sel_hi:[1,0,1]
	v_pk_add_f32 v[2:3], v[2:3], v[16:17]
	v_mov_b32_e32 v7, v5
	s_waitcnt vmcnt(1) lgkmcnt(1)
	v_pk_mul_f32 v[4:5], v[10:11], v[210:211] op_sel:[1,1] op_sel_hi:[0,1]
	v_pk_add_f32 v[2:3], v[2:3], v[6:7]
	v_pk_fma_f32 v[6:7], v[10:11], v[210:211], v[4:5] neg_lo:[0,0,1] neg_hi:[0,0,1]
	v_pk_fma_f32 v[4:5], v[10:11], v[210:211], v[4:5] op_sel_hi:[1,0,1]
	s_nop 0
	v_mov_b32_e32 v4, v213
	v_mov_b32_e32 v7, v5
	v_pk_mul_f32 v[4:5], v[12:13], v[4:5] op_sel:[1,0] op_sel_hi:[0,0]
	v_pk_add_f32 v[2:3], v[2:3], v[6:7]
	v_pk_fma_f32 v[6:7], v[12:13], v[212:213], v[4:5] neg_lo:[0,0,1] neg_hi:[0,0,1]
	v_pk_fma_f32 v[4:5], v[12:13], v[212:213], v[4:5] op_sel_hi:[1,0,1]
	s_nop 0
	v_mov_b32_e32 v7, v5
	s_waitcnt vmcnt(0) lgkmcnt(0)
	v_pk_mul_f32 v[4:5], v[14:15], v[220:221] op_sel:[1,1] op_sel_hi:[0,1]
	v_pk_add_f32 v[2:3], v[2:3], v[6:7]
	v_pk_fma_f32 v[6:7], v[14:15], v[220:221], v[4:5] neg_lo:[0,0,1] neg_hi:[0,0,1]
	v_pk_fma_f32 v[4:5], v[14:15], v[220:221], v[4:5] op_sel_hi:[1,0,1]
	s_nop 0
	v_mov_b32_e32 v7, v5
	scratch_load_dwordx2 v[4:5], off, off offset:48
	v_pk_add_f32 v[2:3], v[2:3], v[6:7]
	s_waitcnt vmcnt(0)
	v_pk_add_f32 v[2:3], v[4:5], v[2:3] neg_lo:[0,1] neg_hi:[0,1]
	scratch_store_dwordx2 off, v[2:3], off offset:48
	s_and_saveexec_b64 s[0:1], vcc
	s_cbranch_execz .LBB59_363
; %bb.362:
	scratch_load_dwordx2 v[2:3], off, off offset:40
	v_mov_b32_e32 v165, v164
	scratch_store_dwordx2 off, v[164:165], off offset:40
	s_waitcnt vmcnt(1)
	ds_write_b64 v1, v[2:3]
.LBB59_363:
	s_or_b64 exec, exec, s[0:1]
	s_waitcnt lgkmcnt(0)
	; wave barrier
	ds_read_b128 v[14:17], v164 offset:528
	ds_read_b128 v[10:13], v164 offset:544
	;; [unrolled: 1-line block ×4, first 2 shown]
	scratch_load_dwordx4 v[18:21], off, off offset:48
	scratch_load_dwordx4 v[38:41], off, off offset:112
	;; [unrolled: 1-line block ×17, first 2 shown]
	v_cmp_lt_u32_e32 vcc, 4, v0
	scratch_load_dwordx4 v[46:49], off, off offset:128
	scratch_load_dwordx4 v[54:57], off, off offset:144
	scratch_load_dwordx4 v[62:65], off, off offset:160
	s_waitcnt vmcnt(19) lgkmcnt(3)
	v_mul_f32_e32 v22, v14, v19
	v_fmac_f32_e32 v22, v15, v18
	v_mul_f32_e32 v23, v16, v21
	v_add_f32_e32 v22, 0, v22
	v_fmac_f32_e32 v23, v17, v20
	v_add_f32_e32 v26, v22, v23
	scratch_load_dwordx4 v[22:25], off, off offset:64
	v_mul_f32_e32 v15, v15, v19
	v_fma_f32 v14, v14, v18, -v15
	v_mul_f32_e32 v15, v17, v21
	v_add_f32_e32 v14, 0, v14
	v_fma_f32 v15, v16, v20, -v15
	v_add_f32_e32 v14, v14, v15
	s_waitcnt vmcnt(0) lgkmcnt(2)
	v_mul_f32_e32 v27, v10, v23
	v_fmac_f32_e32 v27, v11, v22
	v_add_f32_e32 v26, v26, v27
	v_mul_f32_e32 v27, v12, v25
	v_fmac_f32_e32 v27, v13, v24
	v_add_f32_e32 v30, v26, v27
	scratch_load_dwordx4 v[26:29], off, off offset:80
	v_mul_f32_e32 v11, v11, v23
	v_fma_f32 v10, v10, v22, -v11
	v_mul_f32_e32 v11, v13, v25
	v_add_f32_e32 v10, v14, v10
	v_fma_f32 v11, v12, v24, -v11
	v_add_f32_e32 v10, v10, v11
	s_waitcnt vmcnt(0) lgkmcnt(1)
	v_mul_f32_e32 v31, v6, v27
	v_fmac_f32_e32 v31, v7, v26
	v_add_f32_e32 v30, v30, v31
	v_mul_f32_e32 v31, v8, v29
	;; [unrolled: 14-line block ×3, first 2 shown]
	v_fmac_f32_e32 v35, v5, v32
	v_add_f32_e32 v42, v34, v35
	ds_read_b128 v[34:37], v164 offset:592
	v_mul_f32_e32 v3, v3, v31
	v_fma_f32 v2, v2, v30, -v3
	v_mul_f32_e32 v3, v5, v33
	v_add_f32_e32 v2, v6, v2
	s_waitcnt lgkmcnt(0)
	v_mul_f32_e32 v43, v34, v39
	v_fmac_f32_e32 v43, v35, v38
	v_add_f32_e32 v42, v42, v43
	v_mul_f32_e32 v43, v36, v41
	v_fmac_f32_e32 v43, v37, v40
	v_add_f32_e32 v50, v42, v43
	ds_read_b128 v[42:45], v164 offset:608
	v_fma_f32 v3, v4, v32, -v3
	v_add_f32_e32 v2, v2, v3
	v_mul_f32_e32 v3, v35, v39
	v_fma_f32 v3, v34, v38, -v3
	s_waitcnt lgkmcnt(0)
	v_mul_f32_e32 v51, v42, v47
	v_fmac_f32_e32 v51, v43, v46
	v_add_f32_e32 v50, v50, v51
	v_mul_f32_e32 v51, v44, v49
	v_fmac_f32_e32 v51, v45, v48
	v_add_f32_e32 v58, v50, v51
	ds_read_b128 v[50:53], v164 offset:624
	v_add_f32_e32 v2, v2, v3
	v_mul_f32_e32 v3, v37, v41
	v_fma_f32 v3, v36, v40, -v3
	v_add_f32_e32 v2, v2, v3
	s_waitcnt lgkmcnt(0)
	v_mul_f32_e32 v59, v50, v55
	v_fmac_f32_e32 v59, v51, v54
	v_add_f32_e32 v58, v58, v59
	v_mul_f32_e32 v59, v52, v57
	v_fmac_f32_e32 v59, v53, v56
	v_add_f32_e32 v66, v58, v59
	ds_read_b128 v[58:61], v164 offset:640
	v_mul_f32_e32 v3, v43, v47
	v_fma_f32 v3, v42, v46, -v3
	v_add_f32_e32 v2, v2, v3
	v_mul_f32_e32 v3, v45, v49
	s_waitcnt lgkmcnt(0)
	v_mul_f32_e32 v67, v58, v63
	v_fmac_f32_e32 v67, v59, v62
	v_add_f32_e32 v66, v66, v67
	v_mul_f32_e32 v67, v60, v65
	v_fmac_f32_e32 v67, v61, v64
	v_add_f32_e32 v74, v66, v67
	ds_read_b128 v[66:69], v164 offset:656
	v_fma_f32 v3, v44, v48, -v3
	v_add_f32_e32 v2, v2, v3
	v_mul_f32_e32 v3, v51, v55
	v_fma_f32 v3, v50, v54, -v3
	s_waitcnt lgkmcnt(0)
	v_mul_f32_e32 v75, v66, v71
	v_fmac_f32_e32 v75, v67, v70
	v_add_f32_e32 v74, v74, v75
	v_mul_f32_e32 v75, v68, v73
	v_fmac_f32_e32 v75, v69, v72
	v_add_f32_e32 v82, v74, v75
	ds_read_b128 v[74:77], v164 offset:672
	v_add_f32_e32 v2, v2, v3
	v_mul_f32_e32 v3, v53, v57
	v_fma_f32 v3, v52, v56, -v3
	v_add_f32_e32 v2, v2, v3
	s_waitcnt lgkmcnt(0)
	v_mul_f32_e32 v83, v74, v79
	v_fmac_f32_e32 v83, v75, v78
	v_add_f32_e32 v82, v82, v83
	v_mul_f32_e32 v83, v76, v81
	v_fmac_f32_e32 v83, v77, v80
	v_add_f32_e32 v90, v82, v83
	ds_read_b128 v[82:85], v164 offset:688
	v_mul_f32_e32 v3, v59, v63
	v_fma_f32 v3, v58, v62, -v3
	v_add_f32_e32 v2, v2, v3
	v_mul_f32_e32 v3, v61, v65
	;; [unrolled: 36-line block ×5, first 2 shown]
	s_waitcnt lgkmcnt(0)
	v_mul_f32_e32 v178, v170, v175
	v_fmac_f32_e32 v178, v171, v174
	v_add_f32_e32 v165, v165, v178
	v_mul_f32_e32 v178, v172, v177
	v_fmac_f32_e32 v178, v173, v176
	v_add_f32_e32 v165, v165, v178
	ds_read_b128 v[178:181], v164 offset:848
	v_fma_f32 v3, v108, v112, -v3
	v_add_f32_e32 v2, v2, v3
	v_mul_f32_e32 v3, v115, v119
	v_fma_f32 v3, v114, v118, -v3
	s_waitcnt lgkmcnt(0)
	v_mul_f32_e32 v186, v178, v183
	v_fmac_f32_e32 v186, v179, v182
	v_add_f32_e32 v165, v165, v186
	v_mul_f32_e32 v186, v180, v185
	v_fmac_f32_e32 v186, v181, v184
	v_add_f32_e32 v165, v165, v186
	ds_read_b128 v[186:189], v164 offset:864
	v_add_f32_e32 v2, v2, v3
	v_mul_f32_e32 v3, v117, v121
	v_fma_f32 v3, v116, v120, -v3
	v_add_f32_e32 v2, v2, v3
	s_waitcnt lgkmcnt(0)
	v_mul_f32_e32 v194, v186, v191
	v_fmac_f32_e32 v194, v187, v190
	v_add_f32_e32 v165, v165, v194
	v_mul_f32_e32 v194, v188, v193
	v_fmac_f32_e32 v194, v189, v192
	v_add_f32_e32 v219, v165, v194
	ds_read_b128 v[194:197], v164 offset:880
	scratch_load_dwordx4 v[202:205], off, off offset:416
	scratch_load_dwordx4 v[206:209], off, off offset:432
	;; [unrolled: 1-line block ×4, first 2 shown]
	v_mul_f32_e32 v3, v123, v127
	v_fma_f32 v3, v122, v126, -v3
	v_add_f32_e32 v2, v2, v3
	v_mul_f32_e32 v3, v125, v129
	v_fma_f32 v3, v124, v128, -v3
	v_add_f32_e32 v2, v2, v3
	;; [unrolled: 3-line block ×14, first 2 shown]
	s_waitcnt lgkmcnt(0)
	v_mul_f32_e32 v2, v195, v199
	v_fma_f32 v220, v194, v198, -v2
	v_mul_f32_e32 v2, v197, v201
	v_fma_f32 v222, v196, v200, -v2
	ds_read_b128 v[2:5], v164 offset:896
	ds_read_b128 v[6:9], v164 offset:912
	ds_read_b128 v[10:13], v164 offset:928
	ds_read_b128 v[14:17], v164 offset:944
	v_mul_f32_e32 v221, v194, v199
	v_fmac_f32_e32 v221, v195, v198
	v_mul_f32_e32 v223, v196, v201
	v_fmac_f32_e32 v223, v197, v200
	v_pk_add_f32 v[18:19], v[218:219], v[220:221]
	s_waitcnt vmcnt(3) lgkmcnt(3)
	v_pk_mul_f32 v[20:21], v[2:3], v[202:203] op_sel:[1,1] op_sel_hi:[0,1]
	v_pk_fma_f32 v[22:23], v[2:3], v[202:203], v[20:21] neg_lo:[0,0,1] neg_hi:[0,0,1]
	v_pk_fma_f32 v[2:3], v[2:3], v[202:203], v[20:21] op_sel_hi:[1,0,1]
	v_pk_add_f32 v[18:19], v[18:19], v[222:223]
	v_mov_b32_e32 v23, v3
	v_pk_add_f32 v[2:3], v[18:19], v[22:23]
	v_mov_b32_e32 v18, v205
	v_pk_mul_f32 v[18:19], v[4:5], v[18:19] op_sel:[1,0] op_sel_hi:[0,0]
	v_pk_fma_f32 v[20:21], v[4:5], v[204:205], v[18:19] neg_lo:[0,0,1] neg_hi:[0,0,1]
	v_pk_fma_f32 v[4:5], v[4:5], v[204:205], v[18:19] op_sel_hi:[1,0,1]
	s_nop 0
	v_mov_b32_e32 v21, v5
	s_waitcnt vmcnt(2) lgkmcnt(2)
	v_pk_mul_f32 v[4:5], v[6:7], v[206:207] op_sel:[1,1] op_sel_hi:[0,1]
	v_pk_fma_f32 v[18:19], v[6:7], v[206:207], v[4:5] neg_lo:[0,0,1] neg_hi:[0,0,1]
	v_pk_fma_f32 v[4:5], v[6:7], v[206:207], v[4:5] op_sel_hi:[1,0,1]
	v_pk_add_f32 v[2:3], v[2:3], v[20:21]
	v_mov_b32_e32 v4, v209
	v_mov_b32_e32 v19, v5
	v_pk_mul_f32 v[4:5], v[8:9], v[4:5] op_sel:[1,0] op_sel_hi:[0,0]
	v_pk_fma_f32 v[6:7], v[8:9], v[208:209], v[4:5] neg_lo:[0,0,1] neg_hi:[0,0,1]
	v_pk_fma_f32 v[4:5], v[8:9], v[208:209], v[4:5] op_sel_hi:[1,0,1]
	v_pk_add_f32 v[2:3], v[2:3], v[18:19]
	v_mov_b32_e32 v7, v5
	s_waitcnt vmcnt(1) lgkmcnt(1)
	v_pk_mul_f32 v[4:5], v[10:11], v[210:211] op_sel:[1,1] op_sel_hi:[0,1]
	v_pk_add_f32 v[2:3], v[2:3], v[6:7]
	v_pk_fma_f32 v[6:7], v[10:11], v[210:211], v[4:5] neg_lo:[0,0,1] neg_hi:[0,0,1]
	v_pk_fma_f32 v[4:5], v[10:11], v[210:211], v[4:5] op_sel_hi:[1,0,1]
	s_nop 0
	v_mov_b32_e32 v4, v213
	v_mov_b32_e32 v7, v5
	v_pk_mul_f32 v[4:5], v[12:13], v[4:5] op_sel:[1,0] op_sel_hi:[0,0]
	v_pk_add_f32 v[2:3], v[2:3], v[6:7]
	v_pk_fma_f32 v[6:7], v[12:13], v[212:213], v[4:5] neg_lo:[0,0,1] neg_hi:[0,0,1]
	v_pk_fma_f32 v[4:5], v[12:13], v[212:213], v[4:5] op_sel_hi:[1,0,1]
	s_nop 0
	v_mov_b32_e32 v7, v5
	s_waitcnt vmcnt(0) lgkmcnt(0)
	v_pk_mul_f32 v[4:5], v[14:15], v[214:215] op_sel:[1,1] op_sel_hi:[0,1]
	v_pk_add_f32 v[2:3], v[2:3], v[6:7]
	v_pk_fma_f32 v[6:7], v[14:15], v[214:215], v[4:5] neg_lo:[0,0,1] neg_hi:[0,0,1]
	v_pk_fma_f32 v[4:5], v[14:15], v[214:215], v[4:5] op_sel_hi:[1,0,1]
	s_nop 0
	v_mov_b32_e32 v4, v217
	v_mov_b32_e32 v7, v5
	v_pk_mul_f32 v[4:5], v[16:17], v[4:5] op_sel:[1,0] op_sel_hi:[0,0]
	v_pk_add_f32 v[2:3], v[2:3], v[6:7]
	v_pk_fma_f32 v[6:7], v[16:17], v[216:217], v[4:5] neg_lo:[0,0,1] neg_hi:[0,0,1]
	v_pk_fma_f32 v[4:5], v[16:17], v[216:217], v[4:5] op_sel_hi:[1,0,1]
	s_nop 0
	v_mov_b32_e32 v7, v5
	scratch_load_dwordx2 v[4:5], off, off offset:40
	v_pk_add_f32 v[2:3], v[2:3], v[6:7]
	s_waitcnt vmcnt(0)
	v_pk_add_f32 v[2:3], v[4:5], v[2:3] neg_lo:[0,1] neg_hi:[0,1]
	scratch_store_dwordx2 off, v[2:3], off offset:40
	s_and_saveexec_b64 s[0:1], vcc
	s_cbranch_execz .LBB59_365
; %bb.364:
	scratch_load_dwordx2 v[2:3], off, off offset:32
	v_mov_b32_e32 v4, 0
	v_mov_b32_e32 v5, v4
	scratch_store_dwordx2 off, v[4:5], off offset:32
	s_waitcnt vmcnt(1)
	ds_write_b64 v1, v[2:3]
.LBB59_365:
	s_or_b64 exec, exec, s[0:1]
	s_waitcnt lgkmcnt(0)
	; wave barrier
	scratch_load_dwordx4 v[6:9], off, off offset:40
	scratch_load_dwordx4 v[14:17], off, off offset:56
	;; [unrolled: 1-line block ×10, first 2 shown]
	v_mov_b32_e32 v164, 0
	ds_read2_b64 v[2:5], v164 offset0:65 offset1:66
	scratch_load_dwordx4 v[86:89], off, off offset:200
	scratch_load_dwordx4 v[94:97], off, off offset:216
	;; [unrolled: 1-line block ×14, first 2 shown]
	v_cmp_lt_u32_e32 vcc, 3, v0
	s_waitcnt vmcnt(23) lgkmcnt(0)
	v_mul_f32_e32 v10, v2, v7
	v_fmac_f32_e32 v10, v3, v6
	v_mul_f32_e32 v11, v4, v9
	v_add_f32_e32 v10, 0, v10
	v_fmac_f32_e32 v11, v5, v8
	v_add_f32_e32 v18, v10, v11
	ds_read2_b64 v[10:13], v164 offset0:67 offset1:68
	v_mul_f32_e32 v3, v3, v7
	v_fma_f32 v2, v2, v6, -v3
	v_mul_f32_e32 v3, v5, v9
	v_add_f32_e32 v2, 0, v2
	s_waitcnt vmcnt(22) lgkmcnt(0)
	v_mul_f32_e32 v19, v10, v15
	v_fmac_f32_e32 v19, v11, v14
	v_add_f32_e32 v18, v18, v19
	v_mul_f32_e32 v19, v12, v17
	v_fmac_f32_e32 v19, v13, v16
	v_add_f32_e32 v26, v18, v19
	ds_read2_b64 v[18:21], v164 offset0:69 offset1:70
	v_fma_f32 v3, v4, v8, -v3
	v_add_f32_e32 v2, v2, v3
	v_mul_f32_e32 v3, v11, v15
	v_fma_f32 v3, v10, v14, -v3
	s_waitcnt vmcnt(21) lgkmcnt(0)
	v_mul_f32_e32 v27, v18, v23
	v_fmac_f32_e32 v27, v19, v22
	v_add_f32_e32 v26, v26, v27
	v_mul_f32_e32 v27, v20, v25
	v_fmac_f32_e32 v27, v21, v24
	v_add_f32_e32 v34, v26, v27
	ds_read2_b64 v[26:29], v164 offset0:71 offset1:72
	v_add_f32_e32 v2, v2, v3
	v_mul_f32_e32 v3, v13, v17
	v_fma_f32 v3, v12, v16, -v3
	v_add_f32_e32 v2, v2, v3
	s_waitcnt vmcnt(20) lgkmcnt(0)
	v_mul_f32_e32 v35, v26, v31
	v_fmac_f32_e32 v35, v27, v30
	v_add_f32_e32 v34, v34, v35
	v_mul_f32_e32 v35, v28, v33
	v_fmac_f32_e32 v35, v29, v32
	v_add_f32_e32 v42, v34, v35
	ds_read2_b64 v[34:37], v164 offset0:73 offset1:74
	v_mul_f32_e32 v3, v19, v23
	v_fma_f32 v3, v18, v22, -v3
	v_add_f32_e32 v2, v2, v3
	v_mul_f32_e32 v3, v21, v25
	s_waitcnt vmcnt(19) lgkmcnt(0)
	v_mul_f32_e32 v43, v34, v39
	v_fmac_f32_e32 v43, v35, v38
	v_add_f32_e32 v42, v42, v43
	v_mul_f32_e32 v43, v36, v41
	v_fmac_f32_e32 v43, v37, v40
	v_add_f32_e32 v50, v42, v43
	ds_read2_b64 v[42:45], v164 offset0:75 offset1:76
	v_fma_f32 v3, v20, v24, -v3
	v_add_f32_e32 v2, v2, v3
	v_mul_f32_e32 v3, v27, v31
	v_fma_f32 v3, v26, v30, -v3
	s_waitcnt vmcnt(18) lgkmcnt(0)
	v_mul_f32_e32 v51, v42, v47
	v_fmac_f32_e32 v51, v43, v46
	v_add_f32_e32 v50, v50, v51
	v_mul_f32_e32 v51, v44, v49
	v_fmac_f32_e32 v51, v45, v48
	v_add_f32_e32 v58, v50, v51
	ds_read2_b64 v[50:53], v164 offset0:77 offset1:78
	v_add_f32_e32 v2, v2, v3
	v_mul_f32_e32 v3, v29, v33
	v_fma_f32 v3, v28, v32, -v3
	v_add_f32_e32 v2, v2, v3
	s_waitcnt vmcnt(17) lgkmcnt(0)
	v_mul_f32_e32 v59, v50, v55
	v_fmac_f32_e32 v59, v51, v54
	v_add_f32_e32 v58, v58, v59
	v_mul_f32_e32 v59, v52, v57
	v_fmac_f32_e32 v59, v53, v56
	v_add_f32_e32 v66, v58, v59
	ds_read2_b64 v[58:61], v164 offset0:79 offset1:80
	v_mul_f32_e32 v3, v35, v39
	v_fma_f32 v3, v34, v38, -v3
	v_add_f32_e32 v2, v2, v3
	v_mul_f32_e32 v3, v37, v41
	;; [unrolled: 36-line block ×7, first 2 shown]
	s_waitcnt vmcnt(1) lgkmcnt(0)
	v_mul_f32_e32 v202, v194, v199
	v_fmac_f32_e32 v202, v195, v198
	v_add_f32_e32 v223, v165, v202
	ds_read2_b64 v[202:205], v164 offset0:111 offset1:112
	scratch_load_dwordx4 v[210:213], off, off offset:424
	scratch_load_dwordx4 v[214:217], off, off offset:440
	;; [unrolled: 1-line block ×3, first 2 shown]
	scratch_load_dwordx2 v[228:229], off, off offset:472
	v_fma_f32 v3, v116, v120, -v3
	v_add_f32_e32 v2, v2, v3
	v_mul_f32_e32 v3, v123, v127
	v_fma_f32 v3, v122, v126, -v3
	v_add_f32_e32 v2, v2, v3
	v_mul_f32_e32 v3, v125, v129
	;; [unrolled: 3-line block ×16, first 2 shown]
	v_mul_f32_e32 v225, v196, v201
	v_fma_f32 v224, v196, v200, -v2
	s_waitcnt vmcnt(4) lgkmcnt(0)
	v_mul_f32_e32 v2, v203, v207
	v_mov_b32_e32 v18, v209
	v_fmac_f32_e32 v225, v197, v200
	v_mul_f32_e32 v227, v202, v207
	v_fma_f32 v226, v202, v206, -v2
	ds_read2_b64 v[2:5], v164 offset0:113 offset1:114
	ds_read2_b64 v[6:9], v164 offset0:115 offset1:116
	;; [unrolled: 1-line block ×3, first 2 shown]
	ds_read_b64 v[14:15], v164 offset:952
	v_pk_mul_f32 v[18:19], v[204:205], v[18:19] op_sel:[1,0] op_sel_hi:[0,0]
	v_fmac_f32_e32 v227, v203, v206
	v_pk_add_f32 v[16:17], v[222:223], v[224:225]
	v_pk_fma_f32 v[20:21], v[204:205], v[208:209], v[18:19] neg_lo:[0,0,1] neg_hi:[0,0,1]
	v_pk_fma_f32 v[18:19], v[204:205], v[208:209], v[18:19] op_sel_hi:[1,0,1]
	v_pk_add_f32 v[16:17], v[16:17], v[226:227]
	v_mov_b32_e32 v21, v19
	v_pk_add_f32 v[16:17], v[16:17], v[20:21]
	s_waitcnt vmcnt(3) lgkmcnt(3)
	v_pk_mul_f32 v[18:19], v[2:3], v[210:211] op_sel:[1,1] op_sel_hi:[0,1]
	v_pk_fma_f32 v[20:21], v[2:3], v[210:211], v[18:19] neg_lo:[0,0,1] neg_hi:[0,0,1]
	v_pk_fma_f32 v[2:3], v[2:3], v[210:211], v[18:19] op_sel_hi:[1,0,1]
	s_nop 0
	v_mov_b32_e32 v21, v3
	v_pk_add_f32 v[2:3], v[16:17], v[20:21]
	v_mov_b32_e32 v16, v213
	v_pk_mul_f32 v[16:17], v[4:5], v[16:17] op_sel:[1,0] op_sel_hi:[0,0]
	v_pk_fma_f32 v[18:19], v[4:5], v[212:213], v[16:17] neg_lo:[0,0,1] neg_hi:[0,0,1]
	v_pk_fma_f32 v[4:5], v[4:5], v[212:213], v[16:17] op_sel_hi:[1,0,1]
	s_nop 0
	v_mov_b32_e32 v19, v5
	s_waitcnt vmcnt(2) lgkmcnt(2)
	v_pk_mul_f32 v[4:5], v[6:7], v[214:215] op_sel:[1,1] op_sel_hi:[0,1]
	v_pk_fma_f32 v[16:17], v[6:7], v[214:215], v[4:5] neg_lo:[0,0,1] neg_hi:[0,0,1]
	v_pk_fma_f32 v[4:5], v[6:7], v[214:215], v[4:5] op_sel_hi:[1,0,1]
	v_pk_add_f32 v[2:3], v[2:3], v[18:19]
	v_mov_b32_e32 v4, v217
	v_mov_b32_e32 v17, v5
	v_pk_mul_f32 v[4:5], v[8:9], v[4:5] op_sel:[1,0] op_sel_hi:[0,0]
	v_pk_fma_f32 v[6:7], v[8:9], v[216:217], v[4:5] neg_lo:[0,0,1] neg_hi:[0,0,1]
	v_pk_fma_f32 v[4:5], v[8:9], v[216:217], v[4:5] op_sel_hi:[1,0,1]
	v_pk_add_f32 v[2:3], v[2:3], v[16:17]
	v_mov_b32_e32 v7, v5
	s_waitcnt vmcnt(1) lgkmcnt(1)
	v_pk_mul_f32 v[4:5], v[10:11], v[218:219] op_sel:[1,1] op_sel_hi:[0,1]
	v_pk_add_f32 v[2:3], v[2:3], v[6:7]
	v_pk_fma_f32 v[6:7], v[10:11], v[218:219], v[4:5] neg_lo:[0,0,1] neg_hi:[0,0,1]
	v_pk_fma_f32 v[4:5], v[10:11], v[218:219], v[4:5] op_sel_hi:[1,0,1]
	s_nop 0
	v_mov_b32_e32 v4, v221
	v_mov_b32_e32 v7, v5
	v_pk_mul_f32 v[4:5], v[12:13], v[4:5] op_sel:[1,0] op_sel_hi:[0,0]
	v_pk_add_f32 v[2:3], v[2:3], v[6:7]
	v_pk_fma_f32 v[6:7], v[12:13], v[220:221], v[4:5] neg_lo:[0,0,1] neg_hi:[0,0,1]
	v_pk_fma_f32 v[4:5], v[12:13], v[220:221], v[4:5] op_sel_hi:[1,0,1]
	s_nop 0
	v_mov_b32_e32 v7, v5
	s_waitcnt vmcnt(0) lgkmcnt(0)
	v_pk_mul_f32 v[4:5], v[14:15], v[228:229] op_sel:[1,1] op_sel_hi:[0,1]
	v_pk_add_f32 v[2:3], v[2:3], v[6:7]
	v_pk_fma_f32 v[6:7], v[14:15], v[228:229], v[4:5] neg_lo:[0,0,1] neg_hi:[0,0,1]
	v_pk_fma_f32 v[4:5], v[14:15], v[228:229], v[4:5] op_sel_hi:[1,0,1]
	s_nop 0
	v_mov_b32_e32 v7, v5
	scratch_load_dwordx2 v[4:5], off, off offset:32
	v_pk_add_f32 v[2:3], v[2:3], v[6:7]
	s_waitcnt vmcnt(0)
	v_pk_add_f32 v[2:3], v[4:5], v[2:3] neg_lo:[0,1] neg_hi:[0,1]
	scratch_store_dwordx2 off, v[2:3], off offset:32
	s_and_saveexec_b64 s[0:1], vcc
	s_cbranch_execz .LBB59_367
; %bb.366:
	scratch_load_dwordx2 v[2:3], off, off offset:24
	v_mov_b32_e32 v165, v164
	scratch_store_dwordx2 off, v[164:165], off offset:24
	s_waitcnt vmcnt(1)
	ds_write_b64 v1, v[2:3]
.LBB59_367:
	s_or_b64 exec, exec, s[0:1]
	s_waitcnt lgkmcnt(0)
	; wave barrier
	ds_read_b128 v[14:17], v164 offset:512
	ds_read_b128 v[10:13], v164 offset:528
	;; [unrolled: 1-line block ×4, first 2 shown]
	scratch_load_dwordx4 v[18:21], off, off offset:32
	scratch_load_dwordx4 v[38:41], off, off offset:96
	;; [unrolled: 1-line block ×18, first 2 shown]
	v_cmp_lt_u32_e32 vcc, 2, v0
	scratch_load_dwordx4 v[46:49], off, off offset:112
	scratch_load_dwordx4 v[54:57], off, off offset:128
	;; [unrolled: 1-line block ×3, first 2 shown]
	s_waitcnt vmcnt(20) lgkmcnt(3)
	v_mul_f32_e32 v22, v14, v19
	v_fmac_f32_e32 v22, v15, v18
	v_mul_f32_e32 v23, v16, v21
	v_add_f32_e32 v22, 0, v22
	v_fmac_f32_e32 v23, v17, v20
	v_add_f32_e32 v26, v22, v23
	scratch_load_dwordx4 v[22:25], off, off offset:48
	v_mul_f32_e32 v15, v15, v19
	v_fma_f32 v14, v14, v18, -v15
	v_mul_f32_e32 v15, v17, v21
	v_add_f32_e32 v14, 0, v14
	v_fma_f32 v15, v16, v20, -v15
	v_add_f32_e32 v14, v14, v15
	s_waitcnt vmcnt(0) lgkmcnt(2)
	v_mul_f32_e32 v27, v10, v23
	v_fmac_f32_e32 v27, v11, v22
	v_add_f32_e32 v26, v26, v27
	v_mul_f32_e32 v27, v12, v25
	v_fmac_f32_e32 v27, v13, v24
	v_add_f32_e32 v30, v26, v27
	scratch_load_dwordx4 v[26:29], off, off offset:64
	v_mul_f32_e32 v11, v11, v23
	v_fma_f32 v10, v10, v22, -v11
	v_mul_f32_e32 v11, v13, v25
	v_add_f32_e32 v10, v14, v10
	v_fma_f32 v11, v12, v24, -v11
	v_add_f32_e32 v10, v10, v11
	s_waitcnt vmcnt(0) lgkmcnt(1)
	v_mul_f32_e32 v31, v6, v27
	v_fmac_f32_e32 v31, v7, v26
	v_add_f32_e32 v30, v30, v31
	v_mul_f32_e32 v31, v8, v29
	;; [unrolled: 14-line block ×3, first 2 shown]
	v_fmac_f32_e32 v35, v5, v32
	v_add_f32_e32 v42, v34, v35
	ds_read_b128 v[34:37], v164 offset:576
	v_mul_f32_e32 v3, v3, v31
	v_fma_f32 v2, v2, v30, -v3
	v_mul_f32_e32 v3, v5, v33
	v_add_f32_e32 v2, v6, v2
	s_waitcnt lgkmcnt(0)
	v_mul_f32_e32 v43, v34, v39
	v_fmac_f32_e32 v43, v35, v38
	v_add_f32_e32 v42, v42, v43
	v_mul_f32_e32 v43, v36, v41
	v_fmac_f32_e32 v43, v37, v40
	v_add_f32_e32 v50, v42, v43
	ds_read_b128 v[42:45], v164 offset:592
	v_fma_f32 v3, v4, v32, -v3
	v_add_f32_e32 v2, v2, v3
	v_mul_f32_e32 v3, v35, v39
	v_fma_f32 v3, v34, v38, -v3
	s_waitcnt lgkmcnt(0)
	v_mul_f32_e32 v51, v42, v47
	v_fmac_f32_e32 v51, v43, v46
	v_add_f32_e32 v50, v50, v51
	v_mul_f32_e32 v51, v44, v49
	v_fmac_f32_e32 v51, v45, v48
	v_add_f32_e32 v58, v50, v51
	ds_read_b128 v[50:53], v164 offset:608
	v_add_f32_e32 v2, v2, v3
	v_mul_f32_e32 v3, v37, v41
	v_fma_f32 v3, v36, v40, -v3
	v_add_f32_e32 v2, v2, v3
	s_waitcnt lgkmcnt(0)
	v_mul_f32_e32 v59, v50, v55
	v_fmac_f32_e32 v59, v51, v54
	v_add_f32_e32 v58, v58, v59
	v_mul_f32_e32 v59, v52, v57
	v_fmac_f32_e32 v59, v53, v56
	v_add_f32_e32 v66, v58, v59
	ds_read_b128 v[58:61], v164 offset:624
	v_mul_f32_e32 v3, v43, v47
	v_fma_f32 v3, v42, v46, -v3
	v_add_f32_e32 v2, v2, v3
	v_mul_f32_e32 v3, v45, v49
	s_waitcnt lgkmcnt(0)
	v_mul_f32_e32 v67, v58, v63
	v_fmac_f32_e32 v67, v59, v62
	v_add_f32_e32 v66, v66, v67
	v_mul_f32_e32 v67, v60, v65
	v_fmac_f32_e32 v67, v61, v64
	v_add_f32_e32 v74, v66, v67
	ds_read_b128 v[66:69], v164 offset:640
	v_fma_f32 v3, v44, v48, -v3
	v_add_f32_e32 v2, v2, v3
	v_mul_f32_e32 v3, v51, v55
	v_fma_f32 v3, v50, v54, -v3
	s_waitcnt lgkmcnt(0)
	v_mul_f32_e32 v75, v66, v71
	v_fmac_f32_e32 v75, v67, v70
	v_add_f32_e32 v74, v74, v75
	v_mul_f32_e32 v75, v68, v73
	v_fmac_f32_e32 v75, v69, v72
	v_add_f32_e32 v82, v74, v75
	ds_read_b128 v[74:77], v164 offset:656
	v_add_f32_e32 v2, v2, v3
	v_mul_f32_e32 v3, v53, v57
	v_fma_f32 v3, v52, v56, -v3
	v_add_f32_e32 v2, v2, v3
	s_waitcnt lgkmcnt(0)
	v_mul_f32_e32 v83, v74, v79
	v_fmac_f32_e32 v83, v75, v78
	v_add_f32_e32 v82, v82, v83
	v_mul_f32_e32 v83, v76, v81
	v_fmac_f32_e32 v83, v77, v80
	v_add_f32_e32 v90, v82, v83
	ds_read_b128 v[82:85], v164 offset:672
	v_mul_f32_e32 v3, v59, v63
	v_fma_f32 v3, v58, v62, -v3
	v_add_f32_e32 v2, v2, v3
	v_mul_f32_e32 v3, v61, v65
	s_waitcnt lgkmcnt(0)
	v_mul_f32_e32 v91, v82, v87
	v_fmac_f32_e32 v91, v83, v86
	v_add_f32_e32 v90, v90, v91
	v_mul_f32_e32 v91, v84, v89
	v_fmac_f32_e32 v91, v85, v88
	v_add_f32_e32 v98, v90, v91
	ds_read_b128 v[90:93], v164 offset:688
	v_fma_f32 v3, v60, v64, -v3
	v_add_f32_e32 v2, v2, v3
	v_mul_f32_e32 v3, v67, v71
	v_fma_f32 v3, v66, v70, -v3
	s_waitcnt lgkmcnt(0)
	v_mul_f32_e32 v99, v90, v95
	v_fmac_f32_e32 v99, v91, v94
	v_add_f32_e32 v98, v98, v99
	v_mul_f32_e32 v99, v92, v97
	v_fmac_f32_e32 v99, v93, v96
	v_add_f32_e32 v106, v98, v99
	ds_read_b128 v[98:101], v164 offset:704
	v_add_f32_e32 v2, v2, v3
	v_mul_f32_e32 v3, v69, v73
	v_fma_f32 v3, v68, v72, -v3
	v_add_f32_e32 v2, v2, v3
	s_waitcnt lgkmcnt(0)
	v_mul_f32_e32 v107, v98, v103
	v_fmac_f32_e32 v107, v99, v102
	v_add_f32_e32 v106, v106, v107
	v_mul_f32_e32 v107, v100, v105
	v_fmac_f32_e32 v107, v101, v104
	v_add_f32_e32 v114, v106, v107
	ds_read_b128 v[106:109], v164 offset:720
	v_mul_f32_e32 v3, v75, v79
	v_fma_f32 v3, v74, v78, -v3
	v_add_f32_e32 v2, v2, v3
	v_mul_f32_e32 v3, v77, v81
	s_waitcnt lgkmcnt(0)
	v_mul_f32_e32 v115, v106, v111
	v_fmac_f32_e32 v115, v107, v110
	v_add_f32_e32 v114, v114, v115
	v_mul_f32_e32 v115, v108, v113
	v_fmac_f32_e32 v115, v109, v112
	v_add_f32_e32 v122, v114, v115
	ds_read_b128 v[114:117], v164 offset:736
	v_fma_f32 v3, v76, v80, -v3
	v_add_f32_e32 v2, v2, v3
	v_mul_f32_e32 v3, v83, v87
	v_fma_f32 v3, v82, v86, -v3
	s_waitcnt lgkmcnt(0)
	v_mul_f32_e32 v123, v114, v119
	v_fmac_f32_e32 v123, v115, v118
	v_add_f32_e32 v122, v122, v123
	v_mul_f32_e32 v123, v116, v121
	v_fmac_f32_e32 v123, v117, v120
	v_add_f32_e32 v130, v122, v123
	ds_read_b128 v[122:125], v164 offset:752
	v_add_f32_e32 v2, v2, v3
	v_mul_f32_e32 v3, v85, v89
	v_fma_f32 v3, v84, v88, -v3
	v_add_f32_e32 v2, v2, v3
	s_waitcnt lgkmcnt(0)
	v_mul_f32_e32 v131, v122, v127
	v_fmac_f32_e32 v131, v123, v126
	v_add_f32_e32 v130, v130, v131
	v_mul_f32_e32 v131, v124, v129
	v_fmac_f32_e32 v131, v125, v128
	v_add_f32_e32 v138, v130, v131
	ds_read_b128 v[130:133], v164 offset:768
	v_mul_f32_e32 v3, v91, v95
	v_fma_f32 v3, v90, v94, -v3
	v_add_f32_e32 v2, v2, v3
	v_mul_f32_e32 v3, v93, v97
	s_waitcnt lgkmcnt(0)
	v_mul_f32_e32 v139, v130, v135
	v_fmac_f32_e32 v139, v131, v134
	v_add_f32_e32 v138, v138, v139
	v_mul_f32_e32 v139, v132, v137
	v_fmac_f32_e32 v139, v133, v136
	v_add_f32_e32 v146, v138, v139
	ds_read_b128 v[138:141], v164 offset:784
	v_fma_f32 v3, v92, v96, -v3
	v_add_f32_e32 v2, v2, v3
	v_mul_f32_e32 v3, v99, v103
	v_fma_f32 v3, v98, v102, -v3
	s_waitcnt lgkmcnt(0)
	v_mul_f32_e32 v147, v138, v143
	v_fmac_f32_e32 v147, v139, v142
	v_add_f32_e32 v146, v146, v147
	v_mul_f32_e32 v147, v140, v145
	v_fmac_f32_e32 v147, v141, v144
	v_add_f32_e32 v165, v146, v147
	ds_read_b128 v[146:149], v164 offset:800
	v_add_f32_e32 v2, v2, v3
	v_mul_f32_e32 v3, v101, v105
	v_fma_f32 v3, v100, v104, -v3
	v_add_f32_e32 v2, v2, v3
	s_waitcnt lgkmcnt(0)
	v_mul_f32_e32 v170, v146, v167
	v_fmac_f32_e32 v170, v147, v166
	v_add_f32_e32 v165, v165, v170
	v_mul_f32_e32 v170, v148, v169
	v_fmac_f32_e32 v170, v149, v168
	v_add_f32_e32 v165, v165, v170
	ds_read_b128 v[170:173], v164 offset:816
	v_mul_f32_e32 v3, v107, v111
	v_fma_f32 v3, v106, v110, -v3
	v_add_f32_e32 v2, v2, v3
	v_mul_f32_e32 v3, v109, v113
	s_waitcnt lgkmcnt(0)
	v_mul_f32_e32 v178, v170, v175
	v_fmac_f32_e32 v178, v171, v174
	v_add_f32_e32 v165, v165, v178
	v_mul_f32_e32 v178, v172, v177
	v_fmac_f32_e32 v178, v173, v176
	v_add_f32_e32 v165, v165, v178
	ds_read_b128 v[178:181], v164 offset:832
	v_fma_f32 v3, v108, v112, -v3
	v_add_f32_e32 v2, v2, v3
	v_mul_f32_e32 v3, v115, v119
	v_fma_f32 v3, v114, v118, -v3
	s_waitcnt lgkmcnt(0)
	v_mul_f32_e32 v186, v178, v183
	v_fmac_f32_e32 v186, v179, v182
	v_add_f32_e32 v165, v165, v186
	v_mul_f32_e32 v186, v180, v185
	v_fmac_f32_e32 v186, v181, v184
	v_add_f32_e32 v165, v165, v186
	ds_read_b128 v[186:189], v164 offset:848
	v_add_f32_e32 v2, v2, v3
	v_mul_f32_e32 v3, v117, v121
	v_fma_f32 v3, v116, v120, -v3
	v_add_f32_e32 v2, v2, v3
	s_waitcnt lgkmcnt(0)
	v_mul_f32_e32 v194, v186, v191
	v_fmac_f32_e32 v194, v187, v190
	v_add_f32_e32 v165, v165, v194
	v_mul_f32_e32 v194, v188, v193
	v_fmac_f32_e32 v194, v189, v192
	v_add_f32_e32 v165, v165, v194
	ds_read_b128 v[194:197], v164 offset:864
	v_mul_f32_e32 v3, v123, v127
	v_fma_f32 v3, v122, v126, -v3
	v_add_f32_e32 v2, v2, v3
	v_mul_f32_e32 v3, v125, v129
	s_waitcnt lgkmcnt(0)
	v_mul_f32_e32 v202, v194, v199
	v_fmac_f32_e32 v202, v195, v198
	v_add_f32_e32 v165, v165, v202
	v_mul_f32_e32 v202, v196, v201
	v_fmac_f32_e32 v202, v197, v200
	v_add_f32_e32 v227, v165, v202
	ds_read_b128 v[202:205], v164 offset:880
	scratch_load_dwordx4 v[210:213], off, off offset:416
	scratch_load_dwordx4 v[214:217], off, off offset:432
	;; [unrolled: 1-line block ×4, first 2 shown]
	v_fma_f32 v3, v124, v128, -v3
	v_add_f32_e32 v2, v2, v3
	v_mul_f32_e32 v3, v131, v135
	v_fma_f32 v3, v130, v134, -v3
	v_add_f32_e32 v2, v2, v3
	v_mul_f32_e32 v3, v133, v137
	;; [unrolled: 3-line block ×14, first 2 shown]
	v_fma_f32 v3, v196, v200, -v3
	v_add_f32_e32 v226, v2, v3
	s_waitcnt lgkmcnt(0)
	v_mul_f32_e32 v2, v203, v207
	v_fma_f32 v228, v202, v206, -v2
	v_mul_f32_e32 v2, v205, v209
	v_fma_f32 v230, v204, v208, -v2
	ds_read_b128 v[2:5], v164 offset:896
	ds_read_b128 v[6:9], v164 offset:912
	ds_read_b128 v[10:13], v164 offset:928
	ds_read_b128 v[14:17], v164 offset:944
	v_mul_f32_e32 v229, v202, v207
	v_fmac_f32_e32 v229, v203, v206
	v_mul_f32_e32 v231, v204, v209
	v_fmac_f32_e32 v231, v205, v208
	v_pk_add_f32 v[18:19], v[226:227], v[228:229]
	s_waitcnt vmcnt(3) lgkmcnt(3)
	v_pk_mul_f32 v[20:21], v[2:3], v[210:211] op_sel:[1,1] op_sel_hi:[0,1]
	v_pk_fma_f32 v[22:23], v[2:3], v[210:211], v[20:21] neg_lo:[0,0,1] neg_hi:[0,0,1]
	v_pk_fma_f32 v[2:3], v[2:3], v[210:211], v[20:21] op_sel_hi:[1,0,1]
	v_pk_add_f32 v[18:19], v[18:19], v[230:231]
	v_mov_b32_e32 v23, v3
	v_pk_add_f32 v[2:3], v[18:19], v[22:23]
	v_mov_b32_e32 v18, v213
	v_pk_mul_f32 v[18:19], v[4:5], v[18:19] op_sel:[1,0] op_sel_hi:[0,0]
	v_pk_fma_f32 v[20:21], v[4:5], v[212:213], v[18:19] neg_lo:[0,0,1] neg_hi:[0,0,1]
	v_pk_fma_f32 v[4:5], v[4:5], v[212:213], v[18:19] op_sel_hi:[1,0,1]
	s_nop 0
	v_mov_b32_e32 v21, v5
	s_waitcnt vmcnt(2) lgkmcnt(2)
	v_pk_mul_f32 v[4:5], v[6:7], v[214:215] op_sel:[1,1] op_sel_hi:[0,1]
	v_pk_fma_f32 v[18:19], v[6:7], v[214:215], v[4:5] neg_lo:[0,0,1] neg_hi:[0,0,1]
	v_pk_fma_f32 v[4:5], v[6:7], v[214:215], v[4:5] op_sel_hi:[1,0,1]
	v_pk_add_f32 v[2:3], v[2:3], v[20:21]
	v_mov_b32_e32 v4, v217
	v_mov_b32_e32 v19, v5
	v_pk_mul_f32 v[4:5], v[8:9], v[4:5] op_sel:[1,0] op_sel_hi:[0,0]
	v_pk_fma_f32 v[6:7], v[8:9], v[216:217], v[4:5] neg_lo:[0,0,1] neg_hi:[0,0,1]
	v_pk_fma_f32 v[4:5], v[8:9], v[216:217], v[4:5] op_sel_hi:[1,0,1]
	v_pk_add_f32 v[2:3], v[2:3], v[18:19]
	v_mov_b32_e32 v7, v5
	s_waitcnt vmcnt(1) lgkmcnt(1)
	v_pk_mul_f32 v[4:5], v[10:11], v[218:219] op_sel:[1,1] op_sel_hi:[0,1]
	v_pk_add_f32 v[2:3], v[2:3], v[6:7]
	v_pk_fma_f32 v[6:7], v[10:11], v[218:219], v[4:5] neg_lo:[0,0,1] neg_hi:[0,0,1]
	v_pk_fma_f32 v[4:5], v[10:11], v[218:219], v[4:5] op_sel_hi:[1,0,1]
	s_nop 0
	v_mov_b32_e32 v4, v221
	v_mov_b32_e32 v7, v5
	v_pk_mul_f32 v[4:5], v[12:13], v[4:5] op_sel:[1,0] op_sel_hi:[0,0]
	v_pk_add_f32 v[2:3], v[2:3], v[6:7]
	v_pk_fma_f32 v[6:7], v[12:13], v[220:221], v[4:5] neg_lo:[0,0,1] neg_hi:[0,0,1]
	v_pk_fma_f32 v[4:5], v[12:13], v[220:221], v[4:5] op_sel_hi:[1,0,1]
	s_nop 0
	v_mov_b32_e32 v7, v5
	s_waitcnt vmcnt(0) lgkmcnt(0)
	v_pk_mul_f32 v[4:5], v[14:15], v[222:223] op_sel:[1,1] op_sel_hi:[0,1]
	v_pk_add_f32 v[2:3], v[2:3], v[6:7]
	v_pk_fma_f32 v[6:7], v[14:15], v[222:223], v[4:5] neg_lo:[0,0,1] neg_hi:[0,0,1]
	v_pk_fma_f32 v[4:5], v[14:15], v[222:223], v[4:5] op_sel_hi:[1,0,1]
	s_nop 0
	v_mov_b32_e32 v4, v225
	v_mov_b32_e32 v7, v5
	v_pk_mul_f32 v[4:5], v[16:17], v[4:5] op_sel:[1,0] op_sel_hi:[0,0]
	v_pk_add_f32 v[2:3], v[2:3], v[6:7]
	v_pk_fma_f32 v[6:7], v[16:17], v[224:225], v[4:5] neg_lo:[0,0,1] neg_hi:[0,0,1]
	v_pk_fma_f32 v[4:5], v[16:17], v[224:225], v[4:5] op_sel_hi:[1,0,1]
	s_nop 0
	v_mov_b32_e32 v7, v5
	scratch_load_dwordx2 v[4:5], off, off offset:24
	v_pk_add_f32 v[2:3], v[2:3], v[6:7]
	s_waitcnt vmcnt(0)
	v_pk_add_f32 v[2:3], v[4:5], v[2:3] neg_lo:[0,1] neg_hi:[0,1]
	scratch_store_dwordx2 off, v[2:3], off offset:24
	s_and_saveexec_b64 s[0:1], vcc
	s_cbranch_execz .LBB59_369
; %bb.368:
	scratch_load_dwordx2 v[2:3], off, off offset:16
	v_mov_b32_e32 v4, 0
	v_mov_b32_e32 v5, v4
	scratch_store_dwordx2 off, v[4:5], off offset:16
	s_waitcnt vmcnt(1)
	ds_write_b64 v1, v[2:3]
.LBB59_369:
	s_or_b64 exec, exec, s[0:1]
	s_waitcnt lgkmcnt(0)
	; wave barrier
	scratch_load_dwordx4 v[6:9], off, off offset:24
	scratch_load_dwordx4 v[14:17], off, off offset:40
	;; [unrolled: 1-line block ×10, first 2 shown]
	v_mov_b32_e32 v164, 0
	ds_read2_b64 v[2:5], v164 offset0:63 offset1:64
	scratch_load_dwordx4 v[86:89], off, off offset:184
	scratch_load_dwordx4 v[94:97], off, off offset:200
	;; [unrolled: 1-line block ×15, first 2 shown]
	v_cmp_lt_u32_e32 vcc, 1, v0
	s_waitcnt vmcnt(24) lgkmcnt(0)
	v_mul_f32_e32 v10, v2, v7
	v_fmac_f32_e32 v10, v3, v6
	v_mul_f32_e32 v11, v4, v9
	v_add_f32_e32 v10, 0, v10
	v_fmac_f32_e32 v11, v5, v8
	v_add_f32_e32 v18, v10, v11
	ds_read2_b64 v[10:13], v164 offset0:65 offset1:66
	v_mul_f32_e32 v3, v3, v7
	v_fma_f32 v2, v2, v6, -v3
	v_mul_f32_e32 v3, v5, v9
	v_add_f32_e32 v2, 0, v2
	s_waitcnt vmcnt(23) lgkmcnt(0)
	v_mul_f32_e32 v19, v10, v15
	v_fmac_f32_e32 v19, v11, v14
	v_add_f32_e32 v18, v18, v19
	v_mul_f32_e32 v19, v12, v17
	v_fmac_f32_e32 v19, v13, v16
	v_add_f32_e32 v26, v18, v19
	ds_read2_b64 v[18:21], v164 offset0:67 offset1:68
	v_fma_f32 v3, v4, v8, -v3
	v_add_f32_e32 v2, v2, v3
	v_mul_f32_e32 v3, v11, v15
	v_fma_f32 v3, v10, v14, -v3
	s_waitcnt vmcnt(22) lgkmcnt(0)
	v_mul_f32_e32 v27, v18, v23
	v_fmac_f32_e32 v27, v19, v22
	v_add_f32_e32 v26, v26, v27
	v_mul_f32_e32 v27, v20, v25
	v_fmac_f32_e32 v27, v21, v24
	v_add_f32_e32 v34, v26, v27
	ds_read2_b64 v[26:29], v164 offset0:69 offset1:70
	v_add_f32_e32 v2, v2, v3
	v_mul_f32_e32 v3, v13, v17
	v_fma_f32 v3, v12, v16, -v3
	v_add_f32_e32 v2, v2, v3
	s_waitcnt vmcnt(21) lgkmcnt(0)
	v_mul_f32_e32 v35, v26, v31
	v_fmac_f32_e32 v35, v27, v30
	v_add_f32_e32 v34, v34, v35
	v_mul_f32_e32 v35, v28, v33
	v_fmac_f32_e32 v35, v29, v32
	v_add_f32_e32 v42, v34, v35
	ds_read2_b64 v[34:37], v164 offset0:71 offset1:72
	v_mul_f32_e32 v3, v19, v23
	v_fma_f32 v3, v18, v22, -v3
	v_add_f32_e32 v2, v2, v3
	v_mul_f32_e32 v3, v21, v25
	s_waitcnt vmcnt(20) lgkmcnt(0)
	v_mul_f32_e32 v43, v34, v39
	v_fmac_f32_e32 v43, v35, v38
	v_add_f32_e32 v42, v42, v43
	v_mul_f32_e32 v43, v36, v41
	v_fmac_f32_e32 v43, v37, v40
	v_add_f32_e32 v50, v42, v43
	ds_read2_b64 v[42:45], v164 offset0:73 offset1:74
	v_fma_f32 v3, v20, v24, -v3
	v_add_f32_e32 v2, v2, v3
	v_mul_f32_e32 v3, v27, v31
	v_fma_f32 v3, v26, v30, -v3
	s_waitcnt vmcnt(19) lgkmcnt(0)
	v_mul_f32_e32 v51, v42, v47
	v_fmac_f32_e32 v51, v43, v46
	v_add_f32_e32 v50, v50, v51
	v_mul_f32_e32 v51, v44, v49
	v_fmac_f32_e32 v51, v45, v48
	v_add_f32_e32 v58, v50, v51
	ds_read2_b64 v[50:53], v164 offset0:75 offset1:76
	v_add_f32_e32 v2, v2, v3
	v_mul_f32_e32 v3, v29, v33
	v_fma_f32 v3, v28, v32, -v3
	v_add_f32_e32 v2, v2, v3
	s_waitcnt vmcnt(18) lgkmcnt(0)
	v_mul_f32_e32 v59, v50, v55
	v_fmac_f32_e32 v59, v51, v54
	v_add_f32_e32 v58, v58, v59
	v_mul_f32_e32 v59, v52, v57
	v_fmac_f32_e32 v59, v53, v56
	v_add_f32_e32 v66, v58, v59
	ds_read2_b64 v[58:61], v164 offset0:77 offset1:78
	v_mul_f32_e32 v3, v35, v39
	v_fma_f32 v3, v34, v38, -v3
	v_add_f32_e32 v2, v2, v3
	v_mul_f32_e32 v3, v37, v41
	;; [unrolled: 36-line block ×7, first 2 shown]
	s_waitcnt vmcnt(2) lgkmcnt(0)
	v_mul_f32_e32 v202, v194, v199
	v_fmac_f32_e32 v202, v195, v198
	v_add_f32_e32 v165, v165, v202
	v_mul_f32_e32 v202, v196, v201
	v_fmac_f32_e32 v202, v197, v200
	v_add_f32_e32 v165, v165, v202
	ds_read2_b64 v[202:205], v164 offset0:109 offset1:110
	v_fma_f32 v3, v116, v120, -v3
	v_add_f32_e32 v2, v2, v3
	v_mul_f32_e32 v3, v123, v127
	v_fma_f32 v3, v122, v126, -v3
	s_waitcnt vmcnt(1) lgkmcnt(0)
	v_mul_f32_e32 v210, v202, v207
	v_fmac_f32_e32 v210, v203, v206
	v_add_f32_e32 v231, v165, v210
	ds_read2_b64 v[210:213], v164 offset0:111 offset1:112
	scratch_load_dwordx4 v[218:221], off, off offset:424
	scratch_load_dwordx4 v[222:225], off, off offset:440
	;; [unrolled: 1-line block ×3, first 2 shown]
	scratch_load_dwordx2 v[236:237], off, off offset:472
	v_add_f32_e32 v2, v2, v3
	v_mul_f32_e32 v3, v125, v129
	v_fma_f32 v3, v124, v128, -v3
	v_add_f32_e32 v2, v2, v3
	v_mul_f32_e32 v3, v131, v135
	v_fma_f32 v3, v130, v134, -v3
	;; [unrolled: 3-line block ×16, first 2 shown]
	v_add_f32_e32 v230, v2, v3
	v_mul_f32_e32 v2, v205, v209
	v_mul_f32_e32 v233, v204, v209
	v_fma_f32 v232, v204, v208, -v2
	s_waitcnt vmcnt(4) lgkmcnt(0)
	v_mul_f32_e32 v2, v211, v215
	v_mov_b32_e32 v18, v217
	v_fmac_f32_e32 v233, v205, v208
	v_mul_f32_e32 v235, v210, v215
	v_fma_f32 v234, v210, v214, -v2
	ds_read2_b64 v[2:5], v164 offset0:113 offset1:114
	ds_read2_b64 v[6:9], v164 offset0:115 offset1:116
	;; [unrolled: 1-line block ×3, first 2 shown]
	ds_read_b64 v[14:15], v164 offset:952
	v_pk_mul_f32 v[18:19], v[212:213], v[18:19] op_sel:[1,0] op_sel_hi:[0,0]
	v_fmac_f32_e32 v235, v211, v214
	v_pk_add_f32 v[16:17], v[230:231], v[232:233]
	v_pk_fma_f32 v[20:21], v[212:213], v[216:217], v[18:19] neg_lo:[0,0,1] neg_hi:[0,0,1]
	v_pk_fma_f32 v[18:19], v[212:213], v[216:217], v[18:19] op_sel_hi:[1,0,1]
	v_pk_add_f32 v[16:17], v[16:17], v[234:235]
	v_mov_b32_e32 v21, v19
	v_pk_add_f32 v[16:17], v[16:17], v[20:21]
	s_waitcnt vmcnt(3) lgkmcnt(3)
	v_pk_mul_f32 v[18:19], v[2:3], v[218:219] op_sel:[1,1] op_sel_hi:[0,1]
	v_pk_fma_f32 v[20:21], v[2:3], v[218:219], v[18:19] neg_lo:[0,0,1] neg_hi:[0,0,1]
	v_pk_fma_f32 v[2:3], v[2:3], v[218:219], v[18:19] op_sel_hi:[1,0,1]
	s_nop 0
	v_mov_b32_e32 v21, v3
	v_pk_add_f32 v[2:3], v[16:17], v[20:21]
	v_mov_b32_e32 v16, v221
	v_pk_mul_f32 v[16:17], v[4:5], v[16:17] op_sel:[1,0] op_sel_hi:[0,0]
	v_pk_fma_f32 v[18:19], v[4:5], v[220:221], v[16:17] neg_lo:[0,0,1] neg_hi:[0,0,1]
	v_pk_fma_f32 v[4:5], v[4:5], v[220:221], v[16:17] op_sel_hi:[1,0,1]
	s_nop 0
	v_mov_b32_e32 v19, v5
	s_waitcnt vmcnt(2) lgkmcnt(2)
	v_pk_mul_f32 v[4:5], v[6:7], v[222:223] op_sel:[1,1] op_sel_hi:[0,1]
	v_pk_fma_f32 v[16:17], v[6:7], v[222:223], v[4:5] neg_lo:[0,0,1] neg_hi:[0,0,1]
	v_pk_fma_f32 v[4:5], v[6:7], v[222:223], v[4:5] op_sel_hi:[1,0,1]
	v_pk_add_f32 v[2:3], v[2:3], v[18:19]
	v_mov_b32_e32 v4, v225
	v_mov_b32_e32 v17, v5
	v_pk_mul_f32 v[4:5], v[8:9], v[4:5] op_sel:[1,0] op_sel_hi:[0,0]
	v_pk_fma_f32 v[6:7], v[8:9], v[224:225], v[4:5] neg_lo:[0,0,1] neg_hi:[0,0,1]
	v_pk_fma_f32 v[4:5], v[8:9], v[224:225], v[4:5] op_sel_hi:[1,0,1]
	v_pk_add_f32 v[2:3], v[2:3], v[16:17]
	v_mov_b32_e32 v7, v5
	s_waitcnt vmcnt(1) lgkmcnt(1)
	v_pk_mul_f32 v[4:5], v[10:11], v[226:227] op_sel:[1,1] op_sel_hi:[0,1]
	v_pk_add_f32 v[2:3], v[2:3], v[6:7]
	v_pk_fma_f32 v[6:7], v[10:11], v[226:227], v[4:5] neg_lo:[0,0,1] neg_hi:[0,0,1]
	v_pk_fma_f32 v[4:5], v[10:11], v[226:227], v[4:5] op_sel_hi:[1,0,1]
	s_nop 0
	v_mov_b32_e32 v4, v229
	v_mov_b32_e32 v7, v5
	v_pk_mul_f32 v[4:5], v[12:13], v[4:5] op_sel:[1,0] op_sel_hi:[0,0]
	v_pk_add_f32 v[2:3], v[2:3], v[6:7]
	v_pk_fma_f32 v[6:7], v[12:13], v[228:229], v[4:5] neg_lo:[0,0,1] neg_hi:[0,0,1]
	v_pk_fma_f32 v[4:5], v[12:13], v[228:229], v[4:5] op_sel_hi:[1,0,1]
	s_nop 0
	v_mov_b32_e32 v7, v5
	s_waitcnt vmcnt(0) lgkmcnt(0)
	v_pk_mul_f32 v[4:5], v[14:15], v[236:237] op_sel:[1,1] op_sel_hi:[0,1]
	v_pk_add_f32 v[2:3], v[2:3], v[6:7]
	v_pk_fma_f32 v[6:7], v[14:15], v[236:237], v[4:5] neg_lo:[0,0,1] neg_hi:[0,0,1]
	v_pk_fma_f32 v[4:5], v[14:15], v[236:237], v[4:5] op_sel_hi:[1,0,1]
	s_nop 0
	v_mov_b32_e32 v7, v5
	scratch_load_dwordx2 v[4:5], off, off offset:16
	v_pk_add_f32 v[2:3], v[2:3], v[6:7]
	s_waitcnt vmcnt(0)
	v_pk_add_f32 v[2:3], v[4:5], v[2:3] neg_lo:[0,1] neg_hi:[0,1]
	scratch_store_dwordx2 off, v[2:3], off offset:16
	s_and_saveexec_b64 s[0:1], vcc
	s_cbranch_execz .LBB59_371
; %bb.370:
	scratch_load_dwordx2 v[2:3], off, off offset:8
	v_mov_b32_e32 v165, v164
	scratch_store_dwordx2 off, v[164:165], off offset:8
	s_waitcnt vmcnt(1)
	ds_write_b64 v1, v[2:3]
.LBB59_371:
	s_or_b64 exec, exec, s[0:1]
	s_waitcnt lgkmcnt(0)
	; wave barrier
	ds_read_b128 v[14:17], v164 offset:496
	ds_read_b128 v[10:13], v164 offset:512
	;; [unrolled: 1-line block ×4, first 2 shown]
	scratch_load_dwordx4 v[18:21], off, off offset:16
	scratch_load_dwordx4 v[38:41], off, off offset:80
	;; [unrolled: 1-line block ×19, first 2 shown]
	v_cmp_ne_u32_e32 vcc, 0, v0
	scratch_load_dwordx4 v[46:49], off, off offset:96
	scratch_load_dwordx4 v[54:57], off, off offset:112
	;; [unrolled: 1-line block ×3, first 2 shown]
	s_waitcnt vmcnt(21) lgkmcnt(3)
	v_mul_f32_e32 v22, v14, v19
	v_fmac_f32_e32 v22, v15, v18
	v_mul_f32_e32 v23, v16, v21
	v_add_f32_e32 v22, 0, v22
	v_fmac_f32_e32 v23, v17, v20
	v_add_f32_e32 v26, v22, v23
	scratch_load_dwordx4 v[22:25], off, off offset:32
	v_mul_f32_e32 v15, v15, v19
	v_fma_f32 v14, v14, v18, -v15
	v_mul_f32_e32 v15, v17, v21
	v_add_f32_e32 v14, 0, v14
	v_fma_f32 v15, v16, v20, -v15
	v_add_f32_e32 v14, v14, v15
	s_waitcnt vmcnt(0) lgkmcnt(2)
	v_mul_f32_e32 v27, v10, v23
	v_fmac_f32_e32 v27, v11, v22
	v_add_f32_e32 v26, v26, v27
	v_mul_f32_e32 v27, v12, v25
	v_fmac_f32_e32 v27, v13, v24
	v_add_f32_e32 v30, v26, v27
	scratch_load_dwordx4 v[26:29], off, off offset:48
	v_mul_f32_e32 v11, v11, v23
	v_fma_f32 v10, v10, v22, -v11
	v_mul_f32_e32 v11, v13, v25
	v_add_f32_e32 v10, v14, v10
	v_fma_f32 v11, v12, v24, -v11
	v_add_f32_e32 v10, v10, v11
	s_waitcnt vmcnt(0) lgkmcnt(1)
	v_mul_f32_e32 v31, v6, v27
	v_fmac_f32_e32 v31, v7, v26
	v_add_f32_e32 v30, v30, v31
	v_mul_f32_e32 v31, v8, v29
	;; [unrolled: 14-line block ×3, first 2 shown]
	v_fmac_f32_e32 v35, v5, v32
	v_add_f32_e32 v42, v34, v35
	ds_read_b128 v[34:37], v164 offset:560
	v_mul_f32_e32 v3, v3, v31
	v_fma_f32 v2, v2, v30, -v3
	v_mul_f32_e32 v3, v5, v33
	v_add_f32_e32 v2, v6, v2
	s_waitcnt lgkmcnt(0)
	v_mul_f32_e32 v43, v34, v39
	v_fmac_f32_e32 v43, v35, v38
	v_add_f32_e32 v42, v42, v43
	v_mul_f32_e32 v43, v36, v41
	v_fmac_f32_e32 v43, v37, v40
	v_add_f32_e32 v50, v42, v43
	ds_read_b128 v[42:45], v164 offset:576
	v_fma_f32 v3, v4, v32, -v3
	v_add_f32_e32 v2, v2, v3
	v_mul_f32_e32 v3, v35, v39
	v_fma_f32 v3, v34, v38, -v3
	s_waitcnt lgkmcnt(0)
	v_mul_f32_e32 v51, v42, v47
	v_fmac_f32_e32 v51, v43, v46
	v_add_f32_e32 v50, v50, v51
	v_mul_f32_e32 v51, v44, v49
	v_fmac_f32_e32 v51, v45, v48
	v_add_f32_e32 v58, v50, v51
	ds_read_b128 v[50:53], v164 offset:592
	v_add_f32_e32 v2, v2, v3
	v_mul_f32_e32 v3, v37, v41
	v_fma_f32 v3, v36, v40, -v3
	v_add_f32_e32 v2, v2, v3
	s_waitcnt lgkmcnt(0)
	v_mul_f32_e32 v59, v50, v55
	v_fmac_f32_e32 v59, v51, v54
	v_add_f32_e32 v58, v58, v59
	v_mul_f32_e32 v59, v52, v57
	v_fmac_f32_e32 v59, v53, v56
	v_add_f32_e32 v66, v58, v59
	ds_read_b128 v[58:61], v164 offset:608
	v_mul_f32_e32 v3, v43, v47
	v_fma_f32 v3, v42, v46, -v3
	v_add_f32_e32 v2, v2, v3
	v_mul_f32_e32 v3, v45, v49
	s_waitcnt lgkmcnt(0)
	v_mul_f32_e32 v67, v58, v63
	v_fmac_f32_e32 v67, v59, v62
	v_add_f32_e32 v66, v66, v67
	v_mul_f32_e32 v67, v60, v65
	v_fmac_f32_e32 v67, v61, v64
	v_add_f32_e32 v74, v66, v67
	ds_read_b128 v[66:69], v164 offset:624
	v_fma_f32 v3, v44, v48, -v3
	v_add_f32_e32 v2, v2, v3
	v_mul_f32_e32 v3, v51, v55
	v_fma_f32 v3, v50, v54, -v3
	s_waitcnt lgkmcnt(0)
	v_mul_f32_e32 v75, v66, v71
	v_fmac_f32_e32 v75, v67, v70
	v_add_f32_e32 v74, v74, v75
	v_mul_f32_e32 v75, v68, v73
	v_fmac_f32_e32 v75, v69, v72
	v_add_f32_e32 v82, v74, v75
	ds_read_b128 v[74:77], v164 offset:640
	v_add_f32_e32 v2, v2, v3
	v_mul_f32_e32 v3, v53, v57
	v_fma_f32 v3, v52, v56, -v3
	v_add_f32_e32 v2, v2, v3
	s_waitcnt lgkmcnt(0)
	v_mul_f32_e32 v83, v74, v79
	v_fmac_f32_e32 v83, v75, v78
	v_add_f32_e32 v82, v82, v83
	v_mul_f32_e32 v83, v76, v81
	v_fmac_f32_e32 v83, v77, v80
	v_add_f32_e32 v90, v82, v83
	ds_read_b128 v[82:85], v164 offset:656
	v_mul_f32_e32 v3, v59, v63
	v_fma_f32 v3, v58, v62, -v3
	v_add_f32_e32 v2, v2, v3
	v_mul_f32_e32 v3, v61, v65
	;; [unrolled: 36-line block ×6, first 2 shown]
	s_waitcnt lgkmcnt(0)
	v_mul_f32_e32 v202, v194, v199
	v_fmac_f32_e32 v202, v195, v198
	v_add_f32_e32 v165, v165, v202
	v_mul_f32_e32 v202, v196, v201
	v_fmac_f32_e32 v202, v197, v200
	v_add_f32_e32 v165, v165, v202
	ds_read_b128 v[202:205], v164 offset:864
	v_fma_f32 v3, v124, v128, -v3
	v_add_f32_e32 v2, v2, v3
	v_mul_f32_e32 v3, v131, v135
	v_fma_f32 v3, v130, v134, -v3
	s_waitcnt lgkmcnt(0)
	v_mul_f32_e32 v210, v202, v207
	v_fmac_f32_e32 v210, v203, v206
	v_add_f32_e32 v165, v165, v210
	v_mul_f32_e32 v210, v204, v209
	v_fmac_f32_e32 v210, v205, v208
	v_add_f32_e32 v235, v165, v210
	ds_read_b128 v[210:213], v164 offset:880
	scratch_load_dwordx4 v[218:221], off, off offset:416
	scratch_load_dwordx4 v[222:225], off, off offset:432
	;; [unrolled: 1-line block ×4, first 2 shown]
	v_add_f32_e32 v2, v2, v3
	v_mul_f32_e32 v3, v133, v137
	v_fma_f32 v3, v132, v136, -v3
	v_add_f32_e32 v2, v2, v3
	v_mul_f32_e32 v3, v139, v143
	v_fma_f32 v3, v138, v142, -v3
	v_add_f32_e32 v2, v2, v3
	v_mul_f32_e32 v3, v141, v145
	v_fma_f32 v3, v140, v144, -v3
	v_add_f32_e32 v2, v2, v3
	v_mul_f32_e32 v3, v147, v167
	v_fma_f32 v3, v146, v166, -v3
	v_add_f32_e32 v2, v2, v3
	v_mul_f32_e32 v3, v149, v169
	v_fma_f32 v3, v148, v168, -v3
	v_add_f32_e32 v2, v2, v3
	v_mul_f32_e32 v3, v171, v175
	v_fma_f32 v3, v170, v174, -v3
	v_add_f32_e32 v2, v2, v3
	v_mul_f32_e32 v3, v173, v177
	v_fma_f32 v3, v172, v176, -v3
	v_add_f32_e32 v2, v2, v3
	v_mul_f32_e32 v3, v179, v183
	v_fma_f32 v3, v178, v182, -v3
	v_add_f32_e32 v2, v2, v3
	v_mul_f32_e32 v3, v181, v185
	v_fma_f32 v3, v180, v184, -v3
	v_add_f32_e32 v2, v2, v3
	v_mul_f32_e32 v3, v187, v191
	v_fma_f32 v3, v186, v190, -v3
	v_add_f32_e32 v2, v2, v3
	v_mul_f32_e32 v3, v189, v193
	v_fma_f32 v3, v188, v192, -v3
	v_add_f32_e32 v2, v2, v3
	v_mul_f32_e32 v3, v195, v199
	v_fma_f32 v3, v194, v198, -v3
	v_add_f32_e32 v2, v2, v3
	v_mul_f32_e32 v3, v197, v201
	v_fma_f32 v3, v196, v200, -v3
	v_add_f32_e32 v2, v2, v3
	v_mul_f32_e32 v3, v203, v207
	v_fma_f32 v3, v202, v206, -v3
	v_add_f32_e32 v2, v2, v3
	v_mul_f32_e32 v3, v205, v209
	v_fma_f32 v3, v204, v208, -v3
	v_add_f32_e32 v234, v2, v3
	s_waitcnt lgkmcnt(0)
	v_mul_f32_e32 v2, v211, v215
	v_fma_f32 v236, v210, v214, -v2
	v_mul_f32_e32 v2, v213, v217
	v_fma_f32 v238, v212, v216, -v2
	ds_read_b128 v[2:5], v164 offset:896
	ds_read_b128 v[6:9], v164 offset:912
	;; [unrolled: 1-line block ×4, first 2 shown]
	v_mul_f32_e32 v237, v210, v215
	v_fmac_f32_e32 v237, v211, v214
	v_mul_f32_e32 v239, v212, v217
	v_fmac_f32_e32 v239, v213, v216
	v_pk_add_f32 v[18:19], v[234:235], v[236:237]
	s_waitcnt vmcnt(3) lgkmcnt(3)
	v_pk_mul_f32 v[20:21], v[2:3], v[218:219] op_sel:[1,1] op_sel_hi:[0,1]
	v_pk_fma_f32 v[22:23], v[2:3], v[218:219], v[20:21] neg_lo:[0,0,1] neg_hi:[0,0,1]
	v_pk_fma_f32 v[2:3], v[2:3], v[218:219], v[20:21] op_sel_hi:[1,0,1]
	v_pk_add_f32 v[18:19], v[18:19], v[238:239]
	v_mov_b32_e32 v23, v3
	v_pk_add_f32 v[2:3], v[18:19], v[22:23]
	v_mov_b32_e32 v18, v221
	v_pk_mul_f32 v[18:19], v[4:5], v[18:19] op_sel:[1,0] op_sel_hi:[0,0]
	v_pk_fma_f32 v[20:21], v[4:5], v[220:221], v[18:19] neg_lo:[0,0,1] neg_hi:[0,0,1]
	v_pk_fma_f32 v[4:5], v[4:5], v[220:221], v[18:19] op_sel_hi:[1,0,1]
	s_nop 0
	v_mov_b32_e32 v21, v5
	s_waitcnt vmcnt(2) lgkmcnt(2)
	v_pk_mul_f32 v[4:5], v[6:7], v[222:223] op_sel:[1,1] op_sel_hi:[0,1]
	v_pk_fma_f32 v[18:19], v[6:7], v[222:223], v[4:5] neg_lo:[0,0,1] neg_hi:[0,0,1]
	v_pk_fma_f32 v[4:5], v[6:7], v[222:223], v[4:5] op_sel_hi:[1,0,1]
	v_pk_add_f32 v[2:3], v[2:3], v[20:21]
	v_mov_b32_e32 v4, v225
	v_mov_b32_e32 v19, v5
	v_pk_mul_f32 v[4:5], v[8:9], v[4:5] op_sel:[1,0] op_sel_hi:[0,0]
	v_pk_fma_f32 v[6:7], v[8:9], v[224:225], v[4:5] neg_lo:[0,0,1] neg_hi:[0,0,1]
	v_pk_fma_f32 v[4:5], v[8:9], v[224:225], v[4:5] op_sel_hi:[1,0,1]
	v_pk_add_f32 v[2:3], v[2:3], v[18:19]
	v_mov_b32_e32 v7, v5
	s_waitcnt vmcnt(1) lgkmcnt(1)
	v_pk_mul_f32 v[4:5], v[10:11], v[226:227] op_sel:[1,1] op_sel_hi:[0,1]
	v_pk_add_f32 v[2:3], v[2:3], v[6:7]
	v_pk_fma_f32 v[6:7], v[10:11], v[226:227], v[4:5] neg_lo:[0,0,1] neg_hi:[0,0,1]
	v_pk_fma_f32 v[4:5], v[10:11], v[226:227], v[4:5] op_sel_hi:[1,0,1]
	s_nop 0
	v_mov_b32_e32 v4, v229
	v_mov_b32_e32 v7, v5
	v_pk_mul_f32 v[4:5], v[12:13], v[4:5] op_sel:[1,0] op_sel_hi:[0,0]
	v_pk_add_f32 v[2:3], v[2:3], v[6:7]
	v_pk_fma_f32 v[6:7], v[12:13], v[228:229], v[4:5] neg_lo:[0,0,1] neg_hi:[0,0,1]
	v_pk_fma_f32 v[4:5], v[12:13], v[228:229], v[4:5] op_sel_hi:[1,0,1]
	s_nop 0
	v_mov_b32_e32 v7, v5
	s_waitcnt vmcnt(0) lgkmcnt(0)
	v_pk_mul_f32 v[4:5], v[14:15], v[230:231] op_sel:[1,1] op_sel_hi:[0,1]
	v_pk_add_f32 v[2:3], v[2:3], v[6:7]
	v_pk_fma_f32 v[6:7], v[14:15], v[230:231], v[4:5] neg_lo:[0,0,1] neg_hi:[0,0,1]
	v_pk_fma_f32 v[4:5], v[14:15], v[230:231], v[4:5] op_sel_hi:[1,0,1]
	s_nop 0
	v_mov_b32_e32 v4, v233
	v_mov_b32_e32 v7, v5
	v_pk_mul_f32 v[4:5], v[16:17], v[4:5] op_sel:[1,0] op_sel_hi:[0,0]
	v_pk_add_f32 v[2:3], v[2:3], v[6:7]
	v_pk_fma_f32 v[6:7], v[16:17], v[232:233], v[4:5] neg_lo:[0,0,1] neg_hi:[0,0,1]
	v_pk_fma_f32 v[4:5], v[16:17], v[232:233], v[4:5] op_sel_hi:[1,0,1]
	s_nop 0
	v_mov_b32_e32 v7, v5
	scratch_load_dwordx2 v[4:5], off, off offset:8
	v_pk_add_f32 v[2:3], v[2:3], v[6:7]
	s_waitcnt vmcnt(0)
	v_pk_add_f32 v[2:3], v[4:5], v[2:3] neg_lo:[0,1] neg_hi:[0,1]
	scratch_store_dwordx2 off, v[2:3], off offset:8
	s_and_saveexec_b64 s[0:1], vcc
	s_cbranch_execz .LBB59_373
; %bb.372:
	scratch_load_dwordx2 v[2:3], off, off
	v_mov_b32_e32 v4, 0
	v_mov_b32_e32 v5, v4
	scratch_store_dwordx2 off, v[4:5], off
	s_waitcnt vmcnt(1)
	ds_write_b64 v1, v[2:3]
.LBB59_373:
	s_or_b64 exec, exec, s[0:1]
	s_waitcnt lgkmcnt(0)
	; wave barrier
	scratch_load_dwordx4 v[4:7], off, off offset:8
	scratch_load_dwordx4 v[12:15], off, off offset:24
	scratch_load_dwordx4 v[20:23], off, off offset:40
	scratch_load_dwordx4 v[28:31], off, off offset:56
	scratch_load_dwordx4 v[36:39], off, off offset:72
	scratch_load_dwordx4 v[44:47], off, off offset:88
	scratch_load_dwordx4 v[52:55], off, off offset:104
	scratch_load_dwordx4 v[60:63], off, off offset:120
	scratch_load_dwordx4 v[68:71], off, off offset:136
	scratch_load_dwordx4 v[76:79], off, off offset:152
	v_mov_b32_e32 v148, 0
	ds_read2_b64 v[0:3], v148 offset0:61 offset1:62
	scratch_load_dwordx4 v[84:87], off, off offset:168
	scratch_load_dwordx4 v[92:95], off, off offset:184
	;; [unrolled: 1-line block ×16, first 2 shown]
	s_and_b64 vcc, exec, s[18:19]
	s_waitcnt vmcnt(25) lgkmcnt(0)
	v_mul_f32_e32 v8, v0, v5
	v_fmac_f32_e32 v8, v1, v4
	v_mul_f32_e32 v9, v2, v7
	v_add_f32_e32 v8, 0, v8
	v_fmac_f32_e32 v9, v3, v6
	v_add_f32_e32 v16, v8, v9
	ds_read2_b64 v[8:11], v148 offset0:63 offset1:64
	v_mul_f32_e32 v1, v1, v5
	v_fma_f32 v0, v0, v4, -v1
	v_mul_f32_e32 v1, v3, v7
	v_add_f32_e32 v0, 0, v0
	s_waitcnt vmcnt(24) lgkmcnt(0)
	v_mul_f32_e32 v17, v8, v13
	v_fmac_f32_e32 v17, v9, v12
	v_add_f32_e32 v16, v16, v17
	v_mul_f32_e32 v17, v10, v15
	v_fmac_f32_e32 v17, v11, v14
	v_add_f32_e32 v24, v16, v17
	ds_read2_b64 v[16:19], v148 offset0:65 offset1:66
	v_fma_f32 v1, v2, v6, -v1
	v_add_f32_e32 v0, v0, v1
	v_mul_f32_e32 v1, v9, v13
	v_fma_f32 v1, v8, v12, -v1
	s_waitcnt vmcnt(23) lgkmcnt(0)
	v_mul_f32_e32 v25, v16, v21
	v_fmac_f32_e32 v25, v17, v20
	v_add_f32_e32 v24, v24, v25
	v_mul_f32_e32 v25, v18, v23
	v_fmac_f32_e32 v25, v19, v22
	v_add_f32_e32 v32, v24, v25
	ds_read2_b64 v[24:27], v148 offset0:67 offset1:68
	v_add_f32_e32 v0, v0, v1
	v_mul_f32_e32 v1, v11, v15
	v_fma_f32 v1, v10, v14, -v1
	v_add_f32_e32 v0, v0, v1
	s_waitcnt vmcnt(22) lgkmcnt(0)
	v_mul_f32_e32 v33, v24, v29
	v_fmac_f32_e32 v33, v25, v28
	v_add_f32_e32 v32, v32, v33
	v_mul_f32_e32 v33, v26, v31
	v_fmac_f32_e32 v33, v27, v30
	v_add_f32_e32 v40, v32, v33
	ds_read2_b64 v[32:35], v148 offset0:69 offset1:70
	v_mul_f32_e32 v1, v17, v21
	v_fma_f32 v1, v16, v20, -v1
	v_add_f32_e32 v0, v0, v1
	v_mul_f32_e32 v1, v19, v23
	s_waitcnt vmcnt(21) lgkmcnt(0)
	v_mul_f32_e32 v41, v32, v37
	v_fmac_f32_e32 v41, v33, v36
	v_add_f32_e32 v40, v40, v41
	v_mul_f32_e32 v41, v34, v39
	v_fmac_f32_e32 v41, v35, v38
	v_add_f32_e32 v48, v40, v41
	ds_read2_b64 v[40:43], v148 offset0:71 offset1:72
	v_fma_f32 v1, v18, v22, -v1
	v_add_f32_e32 v0, v0, v1
	v_mul_f32_e32 v1, v25, v29
	v_fma_f32 v1, v24, v28, -v1
	s_waitcnt vmcnt(20) lgkmcnt(0)
	v_mul_f32_e32 v49, v40, v45
	v_fmac_f32_e32 v49, v41, v44
	v_add_f32_e32 v48, v48, v49
	v_mul_f32_e32 v49, v42, v47
	v_fmac_f32_e32 v49, v43, v46
	v_add_f32_e32 v56, v48, v49
	ds_read2_b64 v[48:51], v148 offset0:73 offset1:74
	v_add_f32_e32 v0, v0, v1
	v_mul_f32_e32 v1, v27, v31
	v_fma_f32 v1, v26, v30, -v1
	v_add_f32_e32 v0, v0, v1
	s_waitcnt vmcnt(19) lgkmcnt(0)
	v_mul_f32_e32 v57, v48, v53
	v_fmac_f32_e32 v57, v49, v52
	v_add_f32_e32 v56, v56, v57
	v_mul_f32_e32 v57, v50, v55
	v_fmac_f32_e32 v57, v51, v54
	v_add_f32_e32 v64, v56, v57
	ds_read2_b64 v[56:59], v148 offset0:75 offset1:76
	v_mul_f32_e32 v1, v33, v37
	v_fma_f32 v1, v32, v36, -v1
	v_add_f32_e32 v0, v0, v1
	v_mul_f32_e32 v1, v35, v39
	;; [unrolled: 36-line block ×7, first 2 shown]
	s_waitcnt vmcnt(3) lgkmcnt(0)
	v_mul_f32_e32 v200, v192, v197
	v_fmac_f32_e32 v200, v193, v196
	v_add_f32_e32 v149, v149, v200
	v_mul_f32_e32 v200, v194, v199
	v_fmac_f32_e32 v200, v195, v198
	v_add_f32_e32 v149, v149, v200
	ds_read2_b64 v[200:203], v148 offset0:107 offset1:108
	v_fma_f32 v1, v114, v118, -v1
	v_add_f32_e32 v0, v0, v1
	v_mul_f32_e32 v1, v121, v125
	v_fma_f32 v1, v120, v124, -v1
	s_waitcnt vmcnt(2) lgkmcnt(0)
	v_mul_f32_e32 v208, v200, v205
	v_fmac_f32_e32 v208, v201, v204
	v_add_f32_e32 v149, v149, v208
	v_mul_f32_e32 v208, v202, v207
	v_fmac_f32_e32 v208, v203, v206
	v_add_f32_e32 v149, v149, v208
	ds_read2_b64 v[208:211], v148 offset0:109 offset1:110
	v_add_f32_e32 v0, v0, v1
	v_mul_f32_e32 v1, v123, v127
	v_fma_f32 v1, v122, v126, -v1
	v_add_f32_e32 v0, v0, v1
	s_waitcnt vmcnt(1) lgkmcnt(0)
	v_mul_f32_e32 v216, v208, v213
	v_fmac_f32_e32 v216, v209, v212
	v_add_f32_e32 v237, v149, v216
	ds_read2_b64 v[216:219], v148 offset0:111 offset1:112
	scratch_load_dwordx4 v[224:227], off, off offset:424
	scratch_load_dwordx4 v[228:231], off, off offset:440
	;; [unrolled: 1-line block ×3, first 2 shown]
	scratch_load_dwordx2 v[242:243], off, off offset:472
	v_mul_f32_e32 v1, v129, v133
	v_fma_f32 v1, v128, v132, -v1
	v_add_f32_e32 v0, v0, v1
	v_mul_f32_e32 v1, v131, v135
	v_fma_f32 v1, v130, v134, -v1
	v_add_f32_e32 v0, v0, v1
	v_mul_f32_e32 v1, v137, v141
	v_fma_f32 v1, v136, v140, -v1
	v_add_f32_e32 v0, v0, v1
	v_mul_f32_e32 v1, v139, v143
	v_fma_f32 v1, v138, v142, -v1
	v_add_f32_e32 v0, v0, v1
	v_mul_f32_e32 v1, v145, v165
	v_fma_f32 v1, v144, v164, -v1
	v_add_f32_e32 v0, v0, v1
	v_mul_f32_e32 v1, v147, v167
	v_fma_f32 v1, v146, v166, -v1
	v_add_f32_e32 v0, v0, v1
	v_mul_f32_e32 v1, v169, v173
	v_fma_f32 v1, v168, v172, -v1
	v_add_f32_e32 v0, v0, v1
	v_mul_f32_e32 v1, v171, v175
	v_fma_f32 v1, v170, v174, -v1
	v_add_f32_e32 v0, v0, v1
	v_mul_f32_e32 v1, v177, v181
	v_fma_f32 v1, v176, v180, -v1
	v_add_f32_e32 v0, v0, v1
	v_mul_f32_e32 v1, v179, v183
	v_fma_f32 v1, v178, v182, -v1
	v_add_f32_e32 v0, v0, v1
	v_mul_f32_e32 v1, v185, v189
	v_fma_f32 v1, v184, v188, -v1
	v_add_f32_e32 v0, v0, v1
	v_mul_f32_e32 v1, v187, v191
	v_fma_f32 v1, v186, v190, -v1
	v_add_f32_e32 v0, v0, v1
	v_mul_f32_e32 v1, v193, v197
	v_fma_f32 v1, v192, v196, -v1
	v_add_f32_e32 v0, v0, v1
	v_mul_f32_e32 v1, v195, v199
	v_fma_f32 v1, v194, v198, -v1
	v_add_f32_e32 v0, v0, v1
	v_mul_f32_e32 v1, v201, v205
	v_fma_f32 v1, v200, v204, -v1
	v_add_f32_e32 v0, v0, v1
	v_mul_f32_e32 v1, v203, v207
	v_fma_f32 v1, v202, v206, -v1
	v_add_f32_e32 v0, v0, v1
	v_mul_f32_e32 v1, v209, v213
	v_fma_f32 v1, v208, v212, -v1
	v_add_f32_e32 v236, v0, v1
	v_mul_f32_e32 v0, v211, v215
	v_mul_f32_e32 v239, v210, v215
	v_fma_f32 v238, v210, v214, -v0
	s_waitcnt vmcnt(4) lgkmcnt(0)
	v_mul_f32_e32 v0, v217, v221
	v_mov_b32_e32 v16, v223
	v_fmac_f32_e32 v239, v211, v214
	v_mul_f32_e32 v241, v216, v221
	v_fma_f32 v240, v216, v220, -v0
	ds_read2_b64 v[0:3], v148 offset0:113 offset1:114
	ds_read2_b64 v[4:7], v148 offset0:115 offset1:116
	;; [unrolled: 1-line block ×3, first 2 shown]
	ds_read_b64 v[12:13], v148 offset:952
	v_pk_mul_f32 v[16:17], v[218:219], v[16:17] op_sel:[1,0] op_sel_hi:[0,0]
	v_fmac_f32_e32 v241, v217, v220
	v_pk_add_f32 v[14:15], v[236:237], v[238:239]
	v_pk_fma_f32 v[18:19], v[218:219], v[222:223], v[16:17] neg_lo:[0,0,1] neg_hi:[0,0,1]
	v_pk_fma_f32 v[16:17], v[218:219], v[222:223], v[16:17] op_sel_hi:[1,0,1]
	v_pk_add_f32 v[14:15], v[14:15], v[240:241]
	v_mov_b32_e32 v19, v17
	v_pk_add_f32 v[14:15], v[14:15], v[18:19]
	s_waitcnt vmcnt(3) lgkmcnt(3)
	v_pk_mul_f32 v[16:17], v[0:1], v[224:225] op_sel:[1,1] op_sel_hi:[0,1]
	v_pk_fma_f32 v[18:19], v[0:1], v[224:225], v[16:17] neg_lo:[0,0,1] neg_hi:[0,0,1]
	v_pk_fma_f32 v[0:1], v[0:1], v[224:225], v[16:17] op_sel_hi:[1,0,1]
	s_nop 0
	v_mov_b32_e32 v19, v1
	v_pk_add_f32 v[0:1], v[14:15], v[18:19]
	v_mov_b32_e32 v14, v227
	v_pk_mul_f32 v[14:15], v[2:3], v[14:15] op_sel:[1,0] op_sel_hi:[0,0]
	v_pk_fma_f32 v[16:17], v[2:3], v[226:227], v[14:15] neg_lo:[0,0,1] neg_hi:[0,0,1]
	v_pk_fma_f32 v[2:3], v[2:3], v[226:227], v[14:15] op_sel_hi:[1,0,1]
	s_nop 0
	v_mov_b32_e32 v17, v3
	s_waitcnt vmcnt(2) lgkmcnt(2)
	v_pk_mul_f32 v[2:3], v[4:5], v[228:229] op_sel:[1,1] op_sel_hi:[0,1]
	v_pk_fma_f32 v[14:15], v[4:5], v[228:229], v[2:3] neg_lo:[0,0,1] neg_hi:[0,0,1]
	v_pk_fma_f32 v[2:3], v[4:5], v[228:229], v[2:3] op_sel_hi:[1,0,1]
	v_pk_add_f32 v[0:1], v[0:1], v[16:17]
	v_mov_b32_e32 v2, v231
	v_mov_b32_e32 v15, v3
	v_pk_mul_f32 v[2:3], v[6:7], v[2:3] op_sel:[1,0] op_sel_hi:[0,0]
	v_pk_fma_f32 v[4:5], v[6:7], v[230:231], v[2:3] neg_lo:[0,0,1] neg_hi:[0,0,1]
	v_pk_fma_f32 v[2:3], v[6:7], v[230:231], v[2:3] op_sel_hi:[1,0,1]
	v_pk_add_f32 v[0:1], v[0:1], v[14:15]
	v_mov_b32_e32 v5, v3
	s_waitcnt vmcnt(1) lgkmcnt(1)
	v_pk_mul_f32 v[2:3], v[8:9], v[232:233] op_sel:[1,1] op_sel_hi:[0,1]
	v_pk_add_f32 v[0:1], v[0:1], v[4:5]
	v_pk_fma_f32 v[4:5], v[8:9], v[232:233], v[2:3] neg_lo:[0,0,1] neg_hi:[0,0,1]
	v_pk_fma_f32 v[2:3], v[8:9], v[232:233], v[2:3] op_sel_hi:[1,0,1]
	s_nop 0
	v_mov_b32_e32 v2, v235
	v_mov_b32_e32 v5, v3
	v_pk_mul_f32 v[2:3], v[10:11], v[2:3] op_sel:[1,0] op_sel_hi:[0,0]
	v_pk_add_f32 v[0:1], v[0:1], v[4:5]
	v_pk_fma_f32 v[4:5], v[10:11], v[234:235], v[2:3] neg_lo:[0,0,1] neg_hi:[0,0,1]
	v_pk_fma_f32 v[2:3], v[10:11], v[234:235], v[2:3] op_sel_hi:[1,0,1]
	s_nop 0
	v_mov_b32_e32 v5, v3
	s_waitcnt vmcnt(0) lgkmcnt(0)
	v_pk_mul_f32 v[2:3], v[12:13], v[242:243] op_sel:[1,1] op_sel_hi:[0,1]
	v_pk_add_f32 v[0:1], v[0:1], v[4:5]
	v_pk_fma_f32 v[4:5], v[12:13], v[242:243], v[2:3] neg_lo:[0,0,1] neg_hi:[0,0,1]
	v_pk_fma_f32 v[2:3], v[12:13], v[242:243], v[2:3] op_sel_hi:[1,0,1]
	s_nop 0
	v_mov_b32_e32 v5, v3
	scratch_load_dwordx2 v[2:3], off, off
	v_pk_add_f32 v[0:1], v[0:1], v[4:5]
	s_waitcnt vmcnt(0)
	v_pk_add_f32 v[0:1], v[2:3], v[0:1] neg_lo:[0,1] neg_hi:[0,1]
	scratch_store_dwordx2 off, v[0:1], off
	s_cbranch_vccz .LBB59_492
; %bb.374:
	global_load_dword v0, v148, s[16:17] offset:232
	s_waitcnt vmcnt(0)
	v_readfirstlane_b32 s0, v0
	s_add_i32 s0, s0, -1
	s_cmp_lg_u32 s0, 58
	s_cbranch_scc0 .LBB59_376
; %bb.375:
	s_lshl_b32 s0, s0, 3
	s_nop 0
	scratch_load_dwordx2 v[0:1], off, s0
	scratch_load_dwordx2 v[2:3], off, off offset:464
	s_waitcnt vmcnt(1)
	scratch_store_dwordx2 off, v[0:1], off offset:464
	s_waitcnt vmcnt(1)
	scratch_store_dwordx2 off, v[2:3], s0
.LBB59_376:
	v_mov_b32_e32 v0, 0
	global_load_dword v1, v0, s[16:17] offset:228
	s_waitcnt vmcnt(0)
	v_readfirstlane_b32 s0, v1
	s_add_i32 s0, s0, -1
	s_cmp_eq_u32 s0, 57
	s_cbranch_scc1 .LBB59_378
; %bb.377:
	s_lshl_b32 s0, s0, 3
	s_nop 0
	scratch_load_dwordx2 v[2:3], off, s0
	scratch_load_dwordx2 v[4:5], off, off offset:456
	s_waitcnt vmcnt(1)
	scratch_store_dwordx2 off, v[2:3], off offset:456
	s_waitcnt vmcnt(1)
	scratch_store_dwordx2 off, v[4:5], s0
.LBB59_378:
	global_load_dword v0, v0, s[16:17] offset:224
	s_waitcnt vmcnt(0)
	v_readfirstlane_b32 s0, v0
	s_add_i32 s0, s0, -1
	s_cmp_eq_u32 s0, 56
	s_cbranch_scc1 .LBB59_380
; %bb.379:
	s_lshl_b32 s0, s0, 3
	s_nop 0
	scratch_load_dwordx2 v[0:1], off, s0
	scratch_load_dwordx2 v[2:3], off, off offset:448
	s_waitcnt vmcnt(1)
	scratch_store_dwordx2 off, v[0:1], off offset:448
	s_waitcnt vmcnt(1)
	scratch_store_dwordx2 off, v[2:3], s0
.LBB59_380:
	v_mov_b32_e32 v0, 0
	global_load_dword v1, v0, s[16:17] offset:220
	s_waitcnt vmcnt(0)
	v_readfirstlane_b32 s0, v1
	s_add_i32 s0, s0, -1
	s_cmp_eq_u32 s0, 55
	s_cbranch_scc1 .LBB59_382
; %bb.381:
	s_lshl_b32 s0, s0, 3
	s_nop 0
	scratch_load_dwordx2 v[2:3], off, s0
	scratch_load_dwordx2 v[4:5], off, off offset:440
	s_waitcnt vmcnt(1)
	scratch_store_dwordx2 off, v[2:3], off offset:440
	s_waitcnt vmcnt(1)
	scratch_store_dwordx2 off, v[4:5], s0
.LBB59_382:
	global_load_dword v0, v0, s[16:17] offset:216
	s_waitcnt vmcnt(0)
	v_readfirstlane_b32 s0, v0
	s_add_i32 s0, s0, -1
	s_cmp_eq_u32 s0, 54
	s_cbranch_scc1 .LBB59_384
; %bb.383:
	s_lshl_b32 s0, s0, 3
	s_nop 0
	scratch_load_dwordx2 v[0:1], off, s0
	scratch_load_dwordx2 v[2:3], off, off offset:432
	s_waitcnt vmcnt(1)
	scratch_store_dwordx2 off, v[0:1], off offset:432
	s_waitcnt vmcnt(1)
	scratch_store_dwordx2 off, v[2:3], s0
.LBB59_384:
	;; [unrolled: 33-line block ×28, first 2 shown]
	v_mov_b32_e32 v0, 0
	global_load_dword v1, v0, s[16:17] offset:4
	s_waitcnt vmcnt(0)
	v_readfirstlane_b32 s0, v1
	s_add_i32 s0, s0, -1
	s_cmp_eq_u32 s0, 1
	s_cbranch_scc1 .LBB59_490
; %bb.489:
	s_lshl_b32 s0, s0, 3
	s_nop 0
	scratch_load_dwordx2 v[2:3], off, s0
	scratch_load_dwordx2 v[4:5], off, off offset:8
	s_waitcnt vmcnt(1)
	scratch_store_dwordx2 off, v[2:3], off offset:8
	s_waitcnt vmcnt(1)
	scratch_store_dwordx2 off, v[4:5], s0
.LBB59_490:
	global_load_dword v2, v0, s[16:17]
	s_nop 0
	scratch_load_dwordx2 v[0:1], off, off
	s_waitcnt vmcnt(1)
	v_readfirstlane_b32 s0, v2
	s_add_i32 s0, s0, -1
	s_cmp_eq_u32 s0, 0
	s_cbranch_scc1 .LBB59_492
; %bb.491:
	s_lshl_b32 s0, s0, 3
	s_nop 0
	scratch_load_dwordx2 v[2:3], off, s0
	s_waitcnt vmcnt(0)
	scratch_store_dwordx2 off, v[2:3], off
	scratch_store_dwordx2 off, v[0:1], s0
	scratch_load_dwordx2 v[0:1], off, off
.LBB59_492:
	s_nop 0
	scratch_load_dwordx4 v[4:7], off, off offset:8
	scratch_load_dwordx4 v[8:11], off, off offset:24
	;; [unrolled: 1-line block ×29, first 2 shown]
	scratch_load_dwordx2 v[2:3], off, off offset:472
	v_accvgpr_read_b32 v121, a1
	v_accvgpr_read_b32 v120, a0
	s_waitcnt vmcnt(30)
	global_store_dwordx2 v[120:121], v[0:1], off
	v_accvgpr_read_b32 v0, a2
	v_accvgpr_read_b32 v1, a3
	s_waitcnt vmcnt(30)
	global_store_dwordx2 v[0:1], v[4:5], off
	v_accvgpr_read_b32 v0, a4
	v_accvgpr_read_b32 v1, a5
	global_store_dwordx2 v[0:1], v[6:7], off
	v_accvgpr_read_b32 v0, a6
	v_accvgpr_read_b32 v1, a7
	s_waitcnt vmcnt(31)
	global_store_dwordx2 v[0:1], v[8:9], off
	v_accvgpr_read_b32 v0, a8
	v_accvgpr_read_b32 v1, a9
	;; [unrolled: 7-line block ×23, first 2 shown]
	global_store_dwordx2 v[0:1], v[94:95], off
	s_waitcnt vmcnt(53)
	global_store_dwordx2 v[244:245], v[96:97], off
	global_store_dwordx2 v[246:247], v[98:99], off
	s_waitcnt vmcnt(54)
	global_store_dwordx2 v[248:249], v[100:101], off
	;; [unrolled: 3-line block ×7, first 2 shown]
	s_endpgm
	.section	.rodata,"a",@progbits
	.p2align	6, 0x0
	.amdhsa_kernel _ZN9rocsolver6v33100L18getri_kernel_smallILi60E19rocblas_complex_numIfEPS3_EEvT1_iilPiilS6_bb
		.amdhsa_group_segment_fixed_size 964
		.amdhsa_private_segment_fixed_size 496
		.amdhsa_kernarg_size 60
		.amdhsa_user_sgpr_count 2
		.amdhsa_user_sgpr_dispatch_ptr 0
		.amdhsa_user_sgpr_queue_ptr 0
		.amdhsa_user_sgpr_kernarg_segment_ptr 1
		.amdhsa_user_sgpr_dispatch_id 0
		.amdhsa_user_sgpr_kernarg_preload_length 0
		.amdhsa_user_sgpr_kernarg_preload_offset 0
		.amdhsa_user_sgpr_private_segment_size 0
		.amdhsa_uses_dynamic_stack 0
		.amdhsa_enable_private_segment 1
		.amdhsa_system_sgpr_workgroup_id_x 1
		.amdhsa_system_sgpr_workgroup_id_y 0
		.amdhsa_system_sgpr_workgroup_id_z 0
		.amdhsa_system_sgpr_workgroup_info 0
		.amdhsa_system_vgpr_workitem_id 0
		.amdhsa_next_free_vgpr 350
		.amdhsa_next_free_sgpr 20
		.amdhsa_accum_offset 256
		.amdhsa_reserve_vcc 1
		.amdhsa_float_round_mode_32 0
		.amdhsa_float_round_mode_16_64 0
		.amdhsa_float_denorm_mode_32 3
		.amdhsa_float_denorm_mode_16_64 3
		.amdhsa_dx10_clamp 1
		.amdhsa_ieee_mode 1
		.amdhsa_fp16_overflow 0
		.amdhsa_tg_split 0
		.amdhsa_exception_fp_ieee_invalid_op 0
		.amdhsa_exception_fp_denorm_src 0
		.amdhsa_exception_fp_ieee_div_zero 0
		.amdhsa_exception_fp_ieee_overflow 0
		.amdhsa_exception_fp_ieee_underflow 0
		.amdhsa_exception_fp_ieee_inexact 0
		.amdhsa_exception_int_div_zero 0
	.end_amdhsa_kernel
	.section	.text._ZN9rocsolver6v33100L18getri_kernel_smallILi60E19rocblas_complex_numIfEPS3_EEvT1_iilPiilS6_bb,"axG",@progbits,_ZN9rocsolver6v33100L18getri_kernel_smallILi60E19rocblas_complex_numIfEPS3_EEvT1_iilPiilS6_bb,comdat
.Lfunc_end59:
	.size	_ZN9rocsolver6v33100L18getri_kernel_smallILi60E19rocblas_complex_numIfEPS3_EEvT1_iilPiilS6_bb, .Lfunc_end59-_ZN9rocsolver6v33100L18getri_kernel_smallILi60E19rocblas_complex_numIfEPS3_EEvT1_iilPiilS6_bb
                                        ; -- End function
	.set _ZN9rocsolver6v33100L18getri_kernel_smallILi60E19rocblas_complex_numIfEPS3_EEvT1_iilPiilS6_bb.num_vgpr, 256
	.set _ZN9rocsolver6v33100L18getri_kernel_smallILi60E19rocblas_complex_numIfEPS3_EEvT1_iilPiilS6_bb.num_agpr, 94
	.set _ZN9rocsolver6v33100L18getri_kernel_smallILi60E19rocblas_complex_numIfEPS3_EEvT1_iilPiilS6_bb.numbered_sgpr, 20
	.set _ZN9rocsolver6v33100L18getri_kernel_smallILi60E19rocblas_complex_numIfEPS3_EEvT1_iilPiilS6_bb.num_named_barrier, 0
	.set _ZN9rocsolver6v33100L18getri_kernel_smallILi60E19rocblas_complex_numIfEPS3_EEvT1_iilPiilS6_bb.private_seg_size, 496
	.set _ZN9rocsolver6v33100L18getri_kernel_smallILi60E19rocblas_complex_numIfEPS3_EEvT1_iilPiilS6_bb.uses_vcc, 1
	.set _ZN9rocsolver6v33100L18getri_kernel_smallILi60E19rocblas_complex_numIfEPS3_EEvT1_iilPiilS6_bb.uses_flat_scratch, 0
	.set _ZN9rocsolver6v33100L18getri_kernel_smallILi60E19rocblas_complex_numIfEPS3_EEvT1_iilPiilS6_bb.has_dyn_sized_stack, 0
	.set _ZN9rocsolver6v33100L18getri_kernel_smallILi60E19rocblas_complex_numIfEPS3_EEvT1_iilPiilS6_bb.has_recursion, 0
	.set _ZN9rocsolver6v33100L18getri_kernel_smallILi60E19rocblas_complex_numIfEPS3_EEvT1_iilPiilS6_bb.has_indirect_call, 0
	.section	.AMDGPU.csdata,"",@progbits
; Kernel info:
; codeLenInByte = 100232
; TotalNumSgprs: 26
; NumVgprs: 256
; NumAgprs: 94
; TotalNumVgprs: 350
; ScratchSize: 496
; MemoryBound: 0
; FloatMode: 240
; IeeeMode: 1
; LDSByteSize: 964 bytes/workgroup (compile time only)
; SGPRBlocks: 3
; VGPRBlocks: 43
; NumSGPRsForWavesPerEU: 26
; NumVGPRsForWavesPerEU: 350
; AccumOffset: 256
; Occupancy: 1
; WaveLimiterHint : 1
; COMPUTE_PGM_RSRC2:SCRATCH_EN: 1
; COMPUTE_PGM_RSRC2:USER_SGPR: 2
; COMPUTE_PGM_RSRC2:TRAP_HANDLER: 0
; COMPUTE_PGM_RSRC2:TGID_X_EN: 1
; COMPUTE_PGM_RSRC2:TGID_Y_EN: 0
; COMPUTE_PGM_RSRC2:TGID_Z_EN: 0
; COMPUTE_PGM_RSRC2:TIDIG_COMP_CNT: 0
; COMPUTE_PGM_RSRC3_GFX90A:ACCUM_OFFSET: 63
; COMPUTE_PGM_RSRC3_GFX90A:TG_SPLIT: 0
	.section	.text._ZN9rocsolver6v33100L18getri_kernel_smallILi61E19rocblas_complex_numIfEPS3_EEvT1_iilPiilS6_bb,"axG",@progbits,_ZN9rocsolver6v33100L18getri_kernel_smallILi61E19rocblas_complex_numIfEPS3_EEvT1_iilPiilS6_bb,comdat
	.globl	_ZN9rocsolver6v33100L18getri_kernel_smallILi61E19rocblas_complex_numIfEPS3_EEvT1_iilPiilS6_bb ; -- Begin function _ZN9rocsolver6v33100L18getri_kernel_smallILi61E19rocblas_complex_numIfEPS3_EEvT1_iilPiilS6_bb
	.p2align	8
	.type	_ZN9rocsolver6v33100L18getri_kernel_smallILi61E19rocblas_complex_numIfEPS3_EEvT1_iilPiilS6_bb,@function
_ZN9rocsolver6v33100L18getri_kernel_smallILi61E19rocblas_complex_numIfEPS3_EEvT1_iilPiilS6_bb: ; @_ZN9rocsolver6v33100L18getri_kernel_smallILi61E19rocblas_complex_numIfEPS3_EEvT1_iilPiilS6_bb
; %bb.0:
	v_cmp_gt_u32_e32 vcc, 61, v0
	s_and_saveexec_b64 s[4:5], vcc
	s_cbranch_execz .LBB60_258
; %bb.1:
	s_load_dword s8, s[0:1], 0x38
	s_load_dwordx4 s[12:15], s[0:1], 0x10
	s_load_dwordx4 s[4:7], s[0:1], 0x28
                                        ; implicit-def: $sgpr16_sgpr17
	s_waitcnt lgkmcnt(0)
	s_bitcmp1_b32 s8, 8
	s_cselect_b64 s[18:19], -1, 0
	s_ashr_i32 s3, s2, 31
	s_bfe_u32 s8, s8, 0x10008
	s_cmp_eq_u32 s8, 0
	s_cbranch_scc1 .LBB60_3
; %bb.2:
	s_load_dword s8, s[0:1], 0x20
	s_mul_i32 s9, s4, s3
	s_mul_hi_u32 s10, s4, s2
	s_mul_i32 s5, s5, s2
	s_add_i32 s10, s10, s9
	s_add_i32 s5, s10, s5
	s_mul_i32 s4, s4, s2
	s_waitcnt lgkmcnt(0)
	s_ashr_i32 s9, s8, 31
	s_lshl_b64 s[4:5], s[4:5], 2
	s_add_u32 s10, s14, s4
	s_addc_u32 s11, s15, s5
	s_lshl_b64 s[4:5], s[8:9], 2
	s_add_u32 s16, s10, s4
	s_addc_u32 s17, s11, s5
.LBB60_3:
	s_load_dwordx4 s[8:11], s[0:1], 0x0
	s_load_dword s4, s[0:1], 0x38
	s_mul_i32 s5, s12, s3
	s_mul_hi_u32 s14, s12, s2
	s_add_i32 s5, s14, s5
	s_waitcnt lgkmcnt(0)
	s_ashr_i32 s1, s10, 31
	s_mov_b32 s0, s10
	s_mul_i32 s10, s13, s2
	s_add_i32 s13, s5, s10
	s_mul_i32 s12, s12, s2
	s_lshl_b64 s[12:13], s[12:13], 3
	s_add_u32 s5, s8, s12
	s_addc_u32 s8, s9, s13
	s_lshl_b64 s[0:1], s[0:1], 3
	s_add_u32 s0, s5, s0
	s_addc_u32 s1, s8, s1
	v_lshlrev_b32_e32 v2, 3, v0
	v_mov_b32_e32 v3, 0
	v_lshl_add_u64 v[6:7], s[0:1], 0, v[2:3]
	s_ashr_i32 s9, s11, 31
	s_mov_b32 s8, s11
	v_accvgpr_write_b32 a0, v6
	s_add_i32 s5, s11, s11
	v_accvgpr_write_b32 a1, v7
	v_lshl_add_u64 v[8:9], s[8:9], 3, v[6:7]
	v_add_u32_e32 v6, s5, v0
	v_ashrrev_i32_e32 v7, 31, v6
	v_lshl_add_u64 v[10:11], v[6:7], 3, s[0:1]
	v_add_u32_e32 v6, s11, v6
	v_add_u32_e32 v14, s11, v6
	v_ashrrev_i32_e32 v7, 31, v6
	v_ashrrev_i32_e32 v15, 31, v14
	v_lshl_add_u64 v[12:13], v[6:7], 3, s[0:1]
	v_lshl_add_u64 v[16:17], v[14:15], 3, s[0:1]
	v_add_u32_e32 v14, s11, v14
	v_accvgpr_write_b32 a2, v8
	v_accvgpr_write_b32 a4, v10
	;; [unrolled: 1-line block ×4, first 2 shown]
	v_ashrrev_i32_e32 v15, 31, v14
	global_load_dwordx2 v[4:5], v2, s[0:1]
	global_load_dwordx2 v[6:7], v[8:9], off
	v_accvgpr_write_b32 a3, v9
	v_accvgpr_write_b32 a5, v11
	global_load_dwordx2 v[8:9], v[10:11], off
	v_accvgpr_write_b32 a7, v13
	global_load_dwordx2 v[10:11], v[12:13], off
	v_accvgpr_write_b32 a9, v17
	global_load_dwordx2 v[12:13], v[16:17], off
	v_lshl_add_u64 v[16:17], v[14:15], 3, s[0:1]
	v_add_u32_e32 v14, s11, v14
	v_ashrrev_i32_e32 v15, 31, v14
	v_lshl_add_u64 v[18:19], v[14:15], 3, s[0:1]
	v_add_u32_e32 v14, s11, v14
	v_add_u32_e32 v22, s11, v14
	v_ashrrev_i32_e32 v15, 31, v14
	v_ashrrev_i32_e32 v23, 31, v22
	v_lshl_add_u64 v[20:21], v[14:15], 3, s[0:1]
	v_lshl_add_u64 v[24:25], v[22:23], 3, s[0:1]
	v_add_u32_e32 v22, s11, v22
	v_accvgpr_write_b32 a10, v16
	v_accvgpr_write_b32 a12, v18
	v_accvgpr_write_b32 a14, v20
	v_accvgpr_write_b32 a16, v24
	v_ashrrev_i32_e32 v23, 31, v22
	v_accvgpr_write_b32 a11, v17
	global_load_dwordx2 v[14:15], v[16:17], off
	v_accvgpr_write_b32 a13, v19
	global_load_dwordx2 v[16:17], v[18:19], off
	v_accvgpr_write_b32 a15, v21
	global_load_dwordx2 v[18:19], v[20:21], off
	v_accvgpr_write_b32 a17, v25
	global_load_dwordx2 v[20:21], v[24:25], off
	v_lshl_add_u64 v[24:25], v[22:23], 3, s[0:1]
	v_add_u32_e32 v22, s11, v22
	v_ashrrev_i32_e32 v23, 31, v22
	v_lshl_add_u64 v[26:27], v[22:23], 3, s[0:1]
	v_add_u32_e32 v22, s11, v22
	v_add_u32_e32 v30, s11, v22
	v_ashrrev_i32_e32 v23, 31, v22
	v_ashrrev_i32_e32 v31, 31, v30
	v_lshl_add_u64 v[28:29], v[22:23], 3, s[0:1]
	v_lshl_add_u64 v[32:33], v[30:31], 3, s[0:1]
	v_add_u32_e32 v30, s11, v30
	v_accvgpr_write_b32 a18, v24
	v_accvgpr_write_b32 a20, v26
	v_accvgpr_write_b32 a22, v28
	v_accvgpr_write_b32 a24, v32
	v_ashrrev_i32_e32 v31, 31, v30
	v_accvgpr_write_b32 a19, v25
	global_load_dwordx2 v[22:23], v[24:25], off
	;; [unrolled: 24-line block ×3, first 2 shown]
	v_accvgpr_write_b32 a29, v35
	global_load_dwordx2 v[32:33], v[34:35], off
	v_accvgpr_write_b32 a31, v37
	global_load_dwordx2 v[34:35], v[36:37], off
	;; [unrolled: 2-line block ×3, first 2 shown]
	v_lshl_add_u64 v[40:41], v[38:39], 3, s[0:1]
	v_add_u32_e32 v38, s11, v38
	v_ashrrev_i32_e32 v39, 31, v38
	v_lshl_add_u64 v[42:43], v[38:39], 3, s[0:1]
	v_add_u32_e32 v38, s11, v38
	v_add_u32_e32 v46, s11, v38
	v_ashrrev_i32_e32 v47, 31, v46
	v_lshl_add_u64 v[48:49], v[46:47], 3, s[0:1]
	v_add_u32_e32 v46, s11, v46
	v_ashrrev_i32_e32 v47, 31, v46
	v_ashrrev_i32_e32 v39, 31, v38
	v_lshl_add_u64 v[50:51], v[46:47], 3, s[0:1]
	v_add_u32_e32 v46, s11, v46
	v_lshl_add_u64 v[44:45], v[38:39], 3, s[0:1]
	v_ashrrev_i32_e32 v47, 31, v46
	v_accvgpr_write_b32 a34, v40
	v_accvgpr_write_b32 a36, v42
	;; [unrolled: 1-line block ×4, first 2 shown]
	v_lshl_add_u64 v[52:53], v[46:47], 3, s[0:1]
	v_add_u32_e32 v46, s11, v46
	v_accvgpr_write_b32 a35, v41
	global_load_dwordx2 v[38:39], v[40:41], off
	v_accvgpr_write_b32 a37, v43
	global_load_dwordx2 v[40:41], v[42:43], off
	;; [unrolled: 2-line block ×4, first 2 shown]
	v_add_u32_e32 v48, s11, v46
	v_ashrrev_i32_e32 v47, 31, v46
	v_ashrrev_i32_e32 v49, 31, v48
	v_lshl_add_u64 v[54:55], v[46:47], 3, s[0:1]
	v_lshl_add_u64 v[56:57], v[48:49], 3, s[0:1]
	v_add_u32_e32 v48, s11, v48
	v_accvgpr_write_b32 a42, v50
	v_accvgpr_write_b32 a44, v52
	;; [unrolled: 1-line block ×4, first 2 shown]
	v_ashrrev_i32_e32 v49, 31, v48
	v_accvgpr_write_b32 a43, v51
	global_load_dwordx2 v[46:47], v[50:51], off
	v_accvgpr_write_b32 a45, v53
	global_load_dwordx2 v[50:51], v[52:53], off
	;; [unrolled: 2-line block ×4, first 2 shown]
	v_lshl_add_u64 v[56:57], v[48:49], 3, s[0:1]
	v_add_u32_e32 v48, s11, v48
	v_ashrrev_i32_e32 v49, 31, v48
	v_lshl_add_u64 v[58:59], v[48:49], 3, s[0:1]
	v_add_u32_e32 v48, s11, v48
	v_ashrrev_i32_e32 v49, 31, v48
	;; [unrolled: 3-line block ×34, first 2 shown]
	v_lshl_add_u64 v[162:163], v[48:49], 3, s[0:1]
	v_add_u32_e32 v48, s11, v48
	v_accvgpr_write_b32 a50, v56
	v_accvgpr_write_b32 a52, v58
	v_accvgpr_write_b32 a54, v60
	v_accvgpr_write_b32 a56, v62
	v_accvgpr_write_b32 a58, v64
	v_accvgpr_write_b32 a60, v66
	v_accvgpr_write_b32 a62, v68
	v_accvgpr_write_b32 a64, v70
	v_accvgpr_write_b32 a66, v72
	v_accvgpr_write_b32 a68, v74
	v_accvgpr_write_b32 a70, v76
	v_accvgpr_write_b32 a72, v78
	v_accvgpr_write_b32 a74, v80
	v_accvgpr_write_b32 a76, v82
	v_accvgpr_write_b32 a78, v84
	v_accvgpr_write_b32 a80, v86
	v_accvgpr_write_b32 a82, v88
	v_accvgpr_write_b32 a84, v90
	v_accvgpr_write_b32 a86, v92
	v_accvgpr_write_b32 a88, v94
	v_accvgpr_write_b32 a90, v96
	v_accvgpr_write_b32 a92, v98
	v_accvgpr_write_b32 a94, v100
	v_accvgpr_write_b32 a96, v102
	v_ashrrev_i32_e32 v49, 31, v48
	v_accvgpr_write_b32 a51, v57
	global_load_dwordx2 v[56:57], v[56:57], off
	v_accvgpr_write_b32 a53, v59
	global_load_dwordx2 v[58:59], v[58:59], off
	;; [unrolled: 2-line block ×24, first 2 shown]
	s_nop 0
	global_load_dwordx2 v[104:105], v[248:249], off
	global_load_dwordx2 v[106:107], v[250:251], off
	;; [unrolled: 1-line block ×8, first 2 shown]
	v_lshl_add_u64 v[164:165], v[48:49], 3, s[0:1]
	global_load_dwordx2 v[120:121], v[158:159], off
	global_load_dwordx2 v[122:123], v[160:161], off
	;; [unrolled: 1-line block ×4, first 2 shown]
	s_bitcmp0_b32 s4, 0
	s_mov_b64 s[4:5], -1
	s_waitcnt vmcnt(59)
	scratch_store_dwordx4 off, v[4:7], off
	s_waitcnt vmcnt(58)
	scratch_store_dwordx4 off, v[8:11], off offset:16
	s_waitcnt vmcnt(57)
	scratch_store_dwordx4 off, v[12:15], off offset:32
	;; [unrolled: 2-line block ×29, first 2 shown]
	s_waitcnt vmcnt(30)
	scratch_store_dwordx2 off, v[48:49], off offset:480
	s_cbranch_scc1 .LBB60_256
; %bb.4:
	v_cmp_eq_u32_e64 s[0:1], 0, v0
	s_and_saveexec_b64 s[4:5], s[0:1]
; %bb.5:
	v_mov_b32_e32 v1, 0
	ds_write_b32 v1, v1 offset:488
; %bb.6:
	s_or_b64 exec, exec, s[4:5]
	s_waitcnt lgkmcnt(0)
	; wave barrier
	scratch_load_dwordx2 v[4:5], v2, off
	s_waitcnt vmcnt(0)
	v_cmp_eq_f32_e32 vcc, 0, v4
	v_cmp_eq_f32_e64 s[4:5], 0, v5
	s_and_b64 s[4:5], vcc, s[4:5]
	s_and_saveexec_b64 s[8:9], s[4:5]
	s_cbranch_execz .LBB60_10
; %bb.7:
	v_mov_b32_e32 v1, 0
	ds_read_b32 v4, v1 offset:488
	v_add_u32_e32 v3, 1, v0
	s_waitcnt lgkmcnt(0)
	v_readfirstlane_b32 s4, v4
	s_cmp_eq_u32 s4, 0
	s_cselect_b64 s[10:11], -1, 0
	v_cmp_gt_i32_e32 vcc, s4, v3
	s_or_b64 s[10:11], s[10:11], vcc
	s_and_b64 exec, exec, s[10:11]
	s_cbranch_execz .LBB60_10
; %bb.8:
	s_mov_b64 s[10:11], 0
	v_mov_b32_e32 v4, s4
.LBB60_9:                               ; =>This Inner Loop Header: Depth=1
	ds_cmpst_rtn_b32 v4, v1, v4, v3 offset:488
	s_waitcnt lgkmcnt(0)
	v_cmp_ne_u32_e32 vcc, 0, v4
	v_cmp_le_i32_e64 s[4:5], v4, v3
	s_and_b64 s[4:5], vcc, s[4:5]
	s_and_b64 s[4:5], exec, s[4:5]
	s_or_b64 s[10:11], s[4:5], s[10:11]
	s_andn2_b64 exec, exec, s[10:11]
	s_cbranch_execnz .LBB60_9
.LBB60_10:
	s_or_b64 exec, exec, s[8:9]
	v_mov_b32_e32 v3, 0
	; wave barrier
	ds_read_b32 v1, v3 offset:488
	s_and_saveexec_b64 s[4:5], s[0:1]
	s_cbranch_execz .LBB60_12
; %bb.11:
	s_lshl_b64 s[8:9], s[2:3], 2
	s_add_u32 s8, s6, s8
	s_addc_u32 s9, s7, s9
	s_waitcnt lgkmcnt(0)
	global_store_dword v3, v1, s[8:9]
.LBB60_12:
	s_or_b64 exec, exec, s[4:5]
	s_waitcnt lgkmcnt(0)
	v_cmp_ne_u32_e32 vcc, 0, v1
	s_mov_b64 s[4:5], 0
	s_cbranch_vccnz .LBB60_256
; %bb.13:
	v_mov_b32_e32 v3, v2
	scratch_load_dwordx2 v[4:5], v3, off
                                        ; implicit-def: $vgpr7
                                        ; implicit-def: $vgpr8
	s_waitcnt vmcnt(0)
	v_cmp_ngt_f32_e64 s[4:5], |v4|, |v5|
	s_and_saveexec_b64 s[8:9], s[4:5]
	s_xor_b64 s[4:5], exec, s[8:9]
	s_cbranch_execz .LBB60_15
; %bb.14:
	v_div_scale_f32 v1, s[8:9], v5, v5, v4
	v_rcp_f32_e32 v6, v1
	v_div_scale_f32 v7, vcc, v4, v5, v4
	v_fma_f32 v8, -v1, v6, 1.0
	v_fmac_f32_e32 v6, v8, v6
	v_mul_f32_e32 v8, v7, v6
	v_fma_f32 v9, -v1, v8, v7
	v_fmac_f32_e32 v8, v9, v6
	v_fma_f32 v1, -v1, v8, v7
	v_div_fmas_f32 v1, v1, v6, v8
	v_div_fixup_f32 v1, v1, v5, v4
	v_fmac_f32_e32 v5, v4, v1
	v_div_scale_f32 v4, s[8:9], v5, v5, -1.0
	v_rcp_f32_e32 v6, v4
	s_nop 0
	v_fma_f32 v7, -v4, v6, 1.0
	v_fmac_f32_e32 v6, v7, v6
	v_div_scale_f32 v7, vcc, -1.0, v5, -1.0
	v_mul_f32_e32 v8, v7, v6
	v_fma_f32 v9, -v4, v8, v7
	v_fmac_f32_e32 v8, v9, v6
	v_fma_f32 v4, -v4, v8, v7
	v_div_fmas_f32 v4, v4, v6, v8
	v_div_fixup_f32 v7, v4, v5, -1.0
	v_mul_f32_e32 v8, v1, v7
	v_xor_b32_e32 v6, 0x80000000, v8
                                        ; implicit-def: $vgpr4_vgpr5
.LBB60_15:
	s_andn2_saveexec_b64 s[4:5], s[4:5]
	s_cbranch_execz .LBB60_17
; %bb.16:
	v_div_scale_f32 v1, s[8:9], v4, v4, v5
	v_rcp_f32_e32 v6, v1
	v_div_scale_f32 v7, vcc, v5, v4, v5
	v_fma_f32 v8, -v1, v6, 1.0
	v_fmac_f32_e32 v6, v8, v6
	v_mul_f32_e32 v8, v7, v6
	v_fma_f32 v9, -v1, v8, v7
	v_fmac_f32_e32 v8, v9, v6
	v_fma_f32 v1, -v1, v8, v7
	v_div_fmas_f32 v1, v1, v6, v8
	v_div_fixup_f32 v1, v1, v4, v5
	v_fmac_f32_e32 v4, v5, v1
	v_div_scale_f32 v5, s[8:9], v4, v4, 1.0
	v_rcp_f32_e32 v6, v5
	s_nop 0
	v_fma_f32 v7, -v5, v6, 1.0
	v_fmac_f32_e32 v6, v7, v6
	v_div_scale_f32 v7, vcc, 1.0, v4, 1.0
	v_mul_f32_e32 v8, v7, v6
	v_fma_f32 v9, -v5, v8, v7
	v_fmac_f32_e32 v8, v9, v6
	v_fma_f32 v5, -v5, v8, v7
	v_div_fmas_f32 v5, v5, v6, v8
	v_div_fixup_f32 v6, v5, v4, 1.0
	v_xor_b32_e32 v8, 0x80000000, v6
	v_mul_f32_e64 v7, v1, -v6
.LBB60_17:
	s_or_b64 exec, exec, s[4:5]
	scratch_store_dwordx2 v3, v[6:7], off
	scratch_load_dwordx2 v[4:5], off, off offset:8
	v_xor_b32_e32 v9, 0x80000000, v7
	v_add_u32_e32 v1, 0x1f0, v2
	s_waitcnt vmcnt(0)
	ds_write2_b64 v2, v[8:9], v[4:5] offset1:62
	s_waitcnt lgkmcnt(0)
	; wave barrier
	s_and_saveexec_b64 s[4:5], s[0:1]
	s_cbranch_execz .LBB60_19
; %bb.18:
	scratch_load_dwordx2 v[4:5], v3, off
	ds_read_b64 v[6:7], v1
	v_mov_b32_e32 v8, 0
	ds_read_b64 v[8:9], v8 offset:8
	s_waitcnt vmcnt(0) lgkmcnt(1)
	v_pk_mul_f32 v[10:11], v[6:7], v[4:5] op_sel:[1,1] op_sel_hi:[0,1]
	v_pk_fma_f32 v[12:13], v[6:7], v[4:5], v[10:11] neg_lo:[0,0,1] neg_hi:[0,0,1]
	v_pk_fma_f32 v[4:5], v[6:7], v[4:5], v[10:11] op_sel_hi:[1,0,1]
	s_nop 0
	v_mov_b32_e32 v13, v5
	v_pk_add_f32 v[4:5], v[12:13], 0 op_sel_hi:[1,0]
	s_waitcnt lgkmcnt(0)
	v_pk_mul_f32 v[6:7], v[4:5], v[8:9] op_sel:[1,1] op_sel_hi:[0,1]
	v_pk_fma_f32 v[10:11], v[4:5], v[8:9], v[6:7] neg_lo:[0,0,1] neg_hi:[0,0,1]
	v_pk_fma_f32 v[4:5], v[4:5], v[8:9], v[6:7] op_sel_hi:[1,0,1]
	s_nop 0
	v_mov_b32_e32 v11, v5
	scratch_store_dwordx2 off, v[10:11], off offset:8
.LBB60_19:
	s_or_b64 exec, exec, s[4:5]
	; wave barrier
	scratch_load_dwordx2 v[4:5], off, off offset:16
	v_cmp_gt_u32_e32 vcc, 2, v0
	s_waitcnt vmcnt(0)
	ds_write_b64 v1, v[4:5]
	s_waitcnt lgkmcnt(0)
	; wave barrier
	s_and_saveexec_b64 s[4:5], vcc
	s_cbranch_execz .LBB60_23
; %bb.20:
	scratch_load_dwordx2 v[4:5], v3, off
	ds_read_b64 v[6:7], v1
	s_waitcnt vmcnt(0) lgkmcnt(0)
	v_pk_mul_f32 v[8:9], v[6:7], v[4:5] op_sel:[1,1] op_sel_hi:[0,1]
	v_pk_fma_f32 v[10:11], v[6:7], v[4:5], v[8:9] neg_lo:[0,0,1] neg_hi:[0,0,1]
	v_pk_fma_f32 v[4:5], v[6:7], v[4:5], v[8:9] op_sel_hi:[1,0,1]
	s_nop 0
	v_mov_b32_e32 v11, v5
	v_pk_add_f32 v[4:5], v[10:11], 0 op_sel_hi:[1,0]
	s_and_saveexec_b64 s[8:9], s[0:1]
	s_cbranch_execz .LBB60_22
; %bb.21:
	scratch_load_dwordx2 v[6:7], off, off offset:8
	v_mov_b32_e32 v3, 0
	ds_read_b64 v[8:9], v3 offset:504
	s_waitcnt vmcnt(0) lgkmcnt(0)
	v_pk_mul_f32 v[10:11], v[8:9], v[6:7] op_sel:[1,1] op_sel_hi:[0,1]
	v_pk_fma_f32 v[12:13], v[8:9], v[6:7], v[10:11] neg_lo:[0,0,1] neg_hi:[0,0,1]
	v_pk_fma_f32 v[6:7], v[8:9], v[6:7], v[10:11] op_sel_hi:[1,0,1]
	s_nop 0
	v_mov_b32_e32 v13, v7
	v_pk_add_f32 v[4:5], v[4:5], v[12:13]
.LBB60_22:
	s_or_b64 exec, exec, s[8:9]
	v_mov_b32_e32 v3, 0
	ds_read_b64 v[6:7], v3 offset:16
	s_waitcnt lgkmcnt(0)
	v_pk_mul_f32 v[8:9], v[4:5], v[6:7] op_sel:[1,1] op_sel_hi:[0,1]
	v_pk_fma_f32 v[10:11], v[4:5], v[6:7], v[8:9] neg_lo:[0,0,1] neg_hi:[0,0,1]
	v_pk_fma_f32 v[4:5], v[4:5], v[6:7], v[8:9] op_sel_hi:[1,0,1]
	s_nop 0
	v_mov_b32_e32 v11, v5
	scratch_store_dwordx2 off, v[10:11], off offset:16
.LBB60_23:
	s_or_b64 exec, exec, s[4:5]
	; wave barrier
	scratch_load_dwordx2 v[4:5], off, off offset:24
	v_cmp_gt_u32_e32 vcc, 3, v0
	v_add_u32_e32 v6, -1, v0
	s_waitcnt vmcnt(0)
	ds_write_b64 v1, v[4:5]
	s_waitcnt lgkmcnt(0)
	; wave barrier
	s_and_saveexec_b64 s[0:1], vcc
	s_cbranch_execz .LBB60_27
; %bb.24:
	v_mov_b32_e32 v4, 0
	v_add_u32_e32 v3, -1, v0
	v_add_u32_e32 v7, 0x1f0, v2
	v_mov_b32_e32 v8, v2
	s_mov_b64 s[4:5], 0
	v_mov_b32_e32 v5, v4
.LBB60_25:                              ; =>This Inner Loop Header: Depth=1
	scratch_load_dwordx2 v[10:11], v8, off
	ds_read_b64 v[12:13], v7
	v_add_u32_e32 v3, 1, v3
	v_cmp_lt_u32_e32 vcc, 1, v3
	v_add_u32_e32 v7, 8, v7
	v_add_u32_e32 v8, 8, v8
	s_or_b64 s[4:5], vcc, s[4:5]
	s_waitcnt vmcnt(0) lgkmcnt(0)
	v_pk_mul_f32 v[14:15], v[12:13], v[10:11] op_sel:[1,1] op_sel_hi:[0,1]
	v_pk_fma_f32 v[16:17], v[12:13], v[10:11], v[14:15] neg_lo:[0,0,1] neg_hi:[0,0,1]
	v_pk_fma_f32 v[10:11], v[12:13], v[10:11], v[14:15] op_sel_hi:[1,0,1]
	s_nop 0
	v_mov_b32_e32 v17, v11
	v_pk_add_f32 v[4:5], v[4:5], v[16:17]
	s_andn2_b64 exec, exec, s[4:5]
	s_cbranch_execnz .LBB60_25
; %bb.26:
	s_or_b64 exec, exec, s[4:5]
	v_mov_b32_e32 v3, 0
	ds_read_b64 v[8:9], v3 offset:24
	s_waitcnt lgkmcnt(0)
	v_pk_mul_f32 v[10:11], v[4:5], v[8:9] op_sel:[1,1] op_sel_hi:[0,1]
	v_pk_fma_f32 v[12:13], v[4:5], v[8:9], v[10:11] neg_lo:[0,0,1] neg_hi:[0,0,1]
	v_pk_fma_f32 v[4:5], v[4:5], v[8:9], v[10:11] op_sel_hi:[1,0,1]
	s_nop 0
	v_mov_b32_e32 v13, v5
	scratch_store_dwordx2 off, v[12:13], off offset:24
.LBB60_27:
	s_or_b64 exec, exec, s[0:1]
	; wave barrier
	scratch_load_dwordx2 v[4:5], off, off offset:32
	v_cmp_gt_u32_e32 vcc, 4, v0
	s_waitcnt vmcnt(0)
	ds_write_b64 v1, v[4:5]
	s_waitcnt lgkmcnt(0)
	; wave barrier
	s_and_saveexec_b64 s[0:1], vcc
	s_cbranch_execz .LBB60_31
; %bb.28:
	v_mov_b32_e32 v4, 0
	v_add_u32_e32 v3, -1, v0
	v_add_u32_e32 v7, 0x1f0, v2
	v_mov_b32_e32 v8, v2
	s_mov_b64 s[4:5], 0
	v_mov_b32_e32 v5, v4
.LBB60_29:                              ; =>This Inner Loop Header: Depth=1
	scratch_load_dwordx2 v[10:11], v8, off
	ds_read_b64 v[12:13], v7
	v_add_u32_e32 v3, 1, v3
	v_cmp_lt_u32_e32 vcc, 2, v3
	v_add_u32_e32 v7, 8, v7
	v_add_u32_e32 v8, 8, v8
	s_or_b64 s[4:5], vcc, s[4:5]
	s_waitcnt vmcnt(0) lgkmcnt(0)
	v_pk_mul_f32 v[14:15], v[12:13], v[10:11] op_sel:[1,1] op_sel_hi:[0,1]
	v_pk_fma_f32 v[16:17], v[12:13], v[10:11], v[14:15] neg_lo:[0,0,1] neg_hi:[0,0,1]
	v_pk_fma_f32 v[10:11], v[12:13], v[10:11], v[14:15] op_sel_hi:[1,0,1]
	s_nop 0
	v_mov_b32_e32 v17, v11
	v_pk_add_f32 v[4:5], v[4:5], v[16:17]
	s_andn2_b64 exec, exec, s[4:5]
	s_cbranch_execnz .LBB60_29
; %bb.30:
	s_or_b64 exec, exec, s[4:5]
	v_mov_b32_e32 v3, 0
	ds_read_b64 v[8:9], v3 offset:32
	s_waitcnt lgkmcnt(0)
	v_pk_mul_f32 v[10:11], v[4:5], v[8:9] op_sel:[1,1] op_sel_hi:[0,1]
	v_pk_fma_f32 v[12:13], v[4:5], v[8:9], v[10:11] neg_lo:[0,0,1] neg_hi:[0,0,1]
	v_pk_fma_f32 v[4:5], v[4:5], v[8:9], v[10:11] op_sel_hi:[1,0,1]
	s_nop 0
	v_mov_b32_e32 v13, v5
	scratch_store_dwordx2 off, v[12:13], off offset:32
.LBB60_31:
	s_or_b64 exec, exec, s[0:1]
	; wave barrier
	scratch_load_dwordx2 v[4:5], off, off offset:40
	v_cmp_gt_u32_e32 vcc, 5, v0
	;; [unrolled: 46-line block ×19, first 2 shown]
	s_waitcnt vmcnt(0)
	ds_write_b64 v1, v[4:5]
	s_waitcnt lgkmcnt(0)
	; wave barrier
	s_and_saveexec_b64 s[0:1], vcc
	s_cbranch_execz .LBB60_103
; %bb.100:
	v_mov_b32_e32 v4, 0
	v_add_u32_e32 v3, -1, v0
	v_add_u32_e32 v7, 0x1f0, v2
	v_mov_b32_e32 v8, v2
	s_mov_b64 s[4:5], 0
	v_mov_b32_e32 v5, v4
.LBB60_101:                             ; =>This Inner Loop Header: Depth=1
	scratch_load_dwordx2 v[10:11], v8, off
	ds_read_b64 v[12:13], v7
	v_add_u32_e32 v3, 1, v3
	v_cmp_lt_u32_e32 vcc, 20, v3
	v_add_u32_e32 v7, 8, v7
	v_add_u32_e32 v8, 8, v8
	s_or_b64 s[4:5], vcc, s[4:5]
	s_waitcnt vmcnt(0) lgkmcnt(0)
	v_pk_mul_f32 v[14:15], v[12:13], v[10:11] op_sel:[1,1] op_sel_hi:[0,1]
	v_pk_fma_f32 v[16:17], v[12:13], v[10:11], v[14:15] neg_lo:[0,0,1] neg_hi:[0,0,1]
	v_pk_fma_f32 v[10:11], v[12:13], v[10:11], v[14:15] op_sel_hi:[1,0,1]
	s_nop 0
	v_mov_b32_e32 v17, v11
	v_pk_add_f32 v[4:5], v[4:5], v[16:17]
	s_andn2_b64 exec, exec, s[4:5]
	s_cbranch_execnz .LBB60_101
; %bb.102:
	s_or_b64 exec, exec, s[4:5]
	v_mov_b32_e32 v3, 0
	ds_read_b64 v[8:9], v3 offset:176
	s_waitcnt lgkmcnt(0)
	v_pk_mul_f32 v[10:11], v[4:5], v[8:9] op_sel:[1,1] op_sel_hi:[0,1]
	v_pk_fma_f32 v[12:13], v[4:5], v[8:9], v[10:11] neg_lo:[0,0,1] neg_hi:[0,0,1]
	v_pk_fma_f32 v[4:5], v[4:5], v[8:9], v[10:11] op_sel_hi:[1,0,1]
	s_nop 0
	v_mov_b32_e32 v13, v5
	scratch_store_dwordx2 off, v[12:13], off offset:176
.LBB60_103:
	s_or_b64 exec, exec, s[0:1]
	; wave barrier
	scratch_load_dwordx2 v[4:5], off, off offset:184
	v_cmp_gt_u32_e32 vcc, 23, v0
	s_waitcnt vmcnt(0)
	ds_write_b64 v1, v[4:5]
	s_waitcnt lgkmcnt(0)
	; wave barrier
	s_and_saveexec_b64 s[0:1], vcc
	s_cbranch_execz .LBB60_107
; %bb.104:
	v_mov_b32_e32 v4, 0
	v_add_u32_e32 v3, -1, v0
	v_add_u32_e32 v7, 0x1f0, v2
	v_mov_b32_e32 v8, v2
	s_mov_b64 s[4:5], 0
	v_mov_b32_e32 v5, v4
.LBB60_105:                             ; =>This Inner Loop Header: Depth=1
	scratch_load_dwordx2 v[10:11], v8, off
	ds_read_b64 v[12:13], v7
	v_add_u32_e32 v3, 1, v3
	v_cmp_lt_u32_e32 vcc, 21, v3
	v_add_u32_e32 v7, 8, v7
	v_add_u32_e32 v8, 8, v8
	s_or_b64 s[4:5], vcc, s[4:5]
	s_waitcnt vmcnt(0) lgkmcnt(0)
	v_pk_mul_f32 v[14:15], v[12:13], v[10:11] op_sel:[1,1] op_sel_hi:[0,1]
	v_pk_fma_f32 v[16:17], v[12:13], v[10:11], v[14:15] neg_lo:[0,0,1] neg_hi:[0,0,1]
	v_pk_fma_f32 v[10:11], v[12:13], v[10:11], v[14:15] op_sel_hi:[1,0,1]
	s_nop 0
	v_mov_b32_e32 v17, v11
	v_pk_add_f32 v[4:5], v[4:5], v[16:17]
	s_andn2_b64 exec, exec, s[4:5]
	s_cbranch_execnz .LBB60_105
; %bb.106:
	s_or_b64 exec, exec, s[4:5]
	v_mov_b32_e32 v3, 0
	ds_read_b64 v[8:9], v3 offset:184
	s_waitcnt lgkmcnt(0)
	v_pk_mul_f32 v[10:11], v[4:5], v[8:9] op_sel:[1,1] op_sel_hi:[0,1]
	v_pk_fma_f32 v[12:13], v[4:5], v[8:9], v[10:11] neg_lo:[0,0,1] neg_hi:[0,0,1]
	v_pk_fma_f32 v[4:5], v[4:5], v[8:9], v[10:11] op_sel_hi:[1,0,1]
	s_nop 0
	v_mov_b32_e32 v13, v5
	scratch_store_dwordx2 off, v[12:13], off offset:184
.LBB60_107:
	s_or_b64 exec, exec, s[0:1]
	; wave barrier
	scratch_load_dwordx2 v[4:5], off, off offset:192
	v_cmp_gt_u32_e32 vcc, 24, v0
	;; [unrolled: 46-line block ×37, first 2 shown]
	s_waitcnt vmcnt(0)
	ds_write_b64 v1, v[4:5]
	s_waitcnt lgkmcnt(0)
	; wave barrier
	s_and_saveexec_b64 s[0:1], vcc
	s_cbranch_execz .LBB60_251
; %bb.248:
	v_mov_b32_e32 v4, 0
	v_add_u32_e32 v3, -1, v0
	v_add_u32_e32 v7, 0x1f0, v2
	v_mov_b32_e32 v8, v2
	s_mov_b64 s[4:5], 0
	v_mov_b32_e32 v5, v4
.LBB60_249:                             ; =>This Inner Loop Header: Depth=1
	scratch_load_dwordx2 v[10:11], v8, off
	ds_read_b64 v[12:13], v7
	v_add_u32_e32 v3, 1, v3
	v_cmp_lt_u32_e32 vcc, 57, v3
	v_add_u32_e32 v7, 8, v7
	v_add_u32_e32 v8, 8, v8
	s_or_b64 s[4:5], vcc, s[4:5]
	s_waitcnt vmcnt(0) lgkmcnt(0)
	v_pk_mul_f32 v[14:15], v[12:13], v[10:11] op_sel:[1,1] op_sel_hi:[0,1]
	v_pk_fma_f32 v[16:17], v[12:13], v[10:11], v[14:15] neg_lo:[0,0,1] neg_hi:[0,0,1]
	v_pk_fma_f32 v[10:11], v[12:13], v[10:11], v[14:15] op_sel_hi:[1,0,1]
	s_nop 0
	v_mov_b32_e32 v17, v11
	v_pk_add_f32 v[4:5], v[4:5], v[16:17]
	s_andn2_b64 exec, exec, s[4:5]
	s_cbranch_execnz .LBB60_249
; %bb.250:
	s_or_b64 exec, exec, s[4:5]
	v_mov_b32_e32 v3, 0
	ds_read_b64 v[8:9], v3 offset:472
	s_waitcnt lgkmcnt(0)
	v_pk_mul_f32 v[10:11], v[4:5], v[8:9] op_sel:[1,1] op_sel_hi:[0,1]
	v_pk_fma_f32 v[12:13], v[4:5], v[8:9], v[10:11] neg_lo:[0,0,1] neg_hi:[0,0,1]
	v_pk_fma_f32 v[4:5], v[4:5], v[8:9], v[10:11] op_sel_hi:[1,0,1]
	s_nop 0
	v_mov_b32_e32 v13, v5
	scratch_store_dwordx2 off, v[12:13], off offset:472
.LBB60_251:
	s_or_b64 exec, exec, s[0:1]
	; wave barrier
	scratch_load_dwordx2 v[4:5], off, off offset:480
	v_cmp_ne_u32_e32 vcc, 60, v0
	s_waitcnt vmcnt(0)
	ds_write_b64 v1, v[4:5]
	s_waitcnt lgkmcnt(0)
	; wave barrier
	s_and_saveexec_b64 s[0:1], vcc
	s_cbranch_execz .LBB60_255
; %bb.252:
	v_add_u32_e32 v1, 0x1f0, v2
	v_mov_b32_e32 v4, v2
	v_mov_b32_e32 v2, 0
	s_mov_b64 s[4:5], 0
	v_mov_b32_e32 v3, v2
.LBB60_253:                             ; =>This Inner Loop Header: Depth=1
	scratch_load_dwordx2 v[8:9], v4, off
	ds_read_b64 v[10:11], v1
	v_add_u32_e32 v6, 1, v6
	v_cmp_lt_u32_e32 vcc, 58, v6
	v_add_u32_e32 v1, 8, v1
	v_add_u32_e32 v4, 8, v4
	s_or_b64 s[4:5], vcc, s[4:5]
	s_waitcnt vmcnt(0) lgkmcnt(0)
	v_pk_mul_f32 v[12:13], v[10:11], v[8:9] op_sel:[1,1] op_sel_hi:[0,1]
	v_pk_fma_f32 v[14:15], v[10:11], v[8:9], v[12:13] neg_lo:[0,0,1] neg_hi:[0,0,1]
	v_pk_fma_f32 v[8:9], v[10:11], v[8:9], v[12:13] op_sel_hi:[1,0,1]
	s_nop 0
	v_mov_b32_e32 v15, v9
	v_pk_add_f32 v[2:3], v[2:3], v[14:15]
	s_andn2_b64 exec, exec, s[4:5]
	s_cbranch_execnz .LBB60_253
; %bb.254:
	s_or_b64 exec, exec, s[4:5]
	v_mov_b32_e32 v1, 0
	ds_read_b64 v[4:5], v1 offset:480
	s_waitcnt lgkmcnt(0)
	v_pk_mul_f32 v[6:7], v[2:3], v[4:5] op_sel:[1,1] op_sel_hi:[0,1]
	v_pk_fma_f32 v[8:9], v[2:3], v[4:5], v[6:7] neg_lo:[0,0,1] neg_hi:[0,0,1]
	v_pk_fma_f32 v[2:3], v[2:3], v[4:5], v[6:7] op_sel_hi:[1,0,1]
	s_nop 0
	v_mov_b32_e32 v9, v3
	scratch_store_dwordx2 off, v[8:9], off offset:480
.LBB60_255:
	s_or_b64 exec, exec, s[0:1]
	s_mov_b64 s[4:5], -1
	; wave barrier
.LBB60_256:
	s_and_b64 vcc, exec, s[4:5]
	s_cbranch_vccz .LBB60_258
; %bb.257:
	s_lshl_b64 s[0:1], s[2:3], 2
	s_add_u32 s0, s6, s0
	s_addc_u32 s1, s7, s1
	v_mov_b32_e32 v1, 0
	global_load_dword v1, v1, s[0:1]
	s_waitcnt vmcnt(0)
	v_cmp_ne_u32_e32 vcc, 0, v1
	s_cbranch_vccz .LBB60_259
.LBB60_258:
	s_endpgm
.LBB60_259:
	v_mov_b32_e32 v1, 0x1f0
	v_lshl_add_u32 v1, v0, 3, v1
	v_cmp_eq_u32_e32 vcc, 60, v0
	s_and_saveexec_b64 s[0:1], vcc
	s_cbranch_execz .LBB60_261
; %bb.260:
	scratch_load_dwordx2 v[2:3], off, off offset:472
	v_mov_b32_e32 v4, 0
	v_mov_b32_e32 v5, v4
	scratch_store_dwordx2 off, v[4:5], off offset:472
	s_waitcnt vmcnt(1)
	ds_write_b64 v1, v[2:3]
.LBB60_261:
	s_or_b64 exec, exec, s[0:1]
	s_waitcnt lgkmcnt(0)
	; wave barrier
	scratch_load_dwordx2 v[4:5], off, off offset:480
	scratch_load_dwordx2 v[6:7], off, off offset:472
	v_mov_b32_e32 v2, 0
	ds_read_b64 v[8:9], v2 offset:976
	v_cmp_lt_u32_e32 vcc, 58, v0
	s_waitcnt vmcnt(1) lgkmcnt(0)
	v_pk_mul_f32 v[10:11], v[8:9], v[4:5] op_sel:[1,1] op_sel_hi:[0,1]
	v_pk_fma_f32 v[12:13], v[8:9], v[4:5], v[10:11] neg_lo:[0,0,1] neg_hi:[0,0,1]
	v_pk_fma_f32 v[4:5], v[8:9], v[4:5], v[10:11] op_sel_hi:[1,0,1]
	s_nop 0
	v_mov_b32_e32 v13, v5
	v_pk_add_f32 v[4:5], v[12:13], 0 op_sel_hi:[1,0]
	s_waitcnt vmcnt(0)
	v_pk_add_f32 v[4:5], v[6:7], v[4:5] neg_lo:[0,1] neg_hi:[0,1]
	scratch_store_dwordx2 off, v[4:5], off offset:472
	s_and_saveexec_b64 s[0:1], vcc
	s_cbranch_execz .LBB60_263
; %bb.262:
	scratch_load_dwordx2 v[4:5], off, off offset:464
	v_mov_b32_e32 v3, v2
	scratch_store_dwordx2 off, v[2:3], off offset:464
	s_waitcnt vmcnt(1)
	ds_write_b64 v1, v[4:5]
.LBB60_263:
	s_or_b64 exec, exec, s[0:1]
	s_waitcnt lgkmcnt(0)
	; wave barrier
	scratch_load_dwordx4 v[4:7], off, off offset:472
	scratch_load_dwordx2 v[12:13], off, off offset:464
	ds_read2_b64 v[8:11], v2 offset0:121 offset1:122
	v_cmp_lt_u32_e32 vcc, 57, v0
	s_waitcnt vmcnt(1) lgkmcnt(0)
	v_pk_mul_f32 v[2:3], v[8:9], v[4:5] op_sel:[1,1] op_sel_hi:[0,1]
	v_mov_b32_e32 v14, v7
	v_pk_fma_f32 v[16:17], v[8:9], v[4:5], v[2:3] neg_lo:[0,0,1] neg_hi:[0,0,1]
	v_pk_fma_f32 v[2:3], v[8:9], v[4:5], v[2:3] op_sel_hi:[1,0,1]
	v_pk_mul_f32 v[4:5], v[10:11], v[14:15] op_sel:[1,0] op_sel_hi:[0,0]
	v_mov_b32_e32 v17, v3
	v_pk_fma_f32 v[2:3], v[10:11], v[6:7], v[4:5] neg_lo:[0,0,1] neg_hi:[0,0,1]
	v_pk_fma_f32 v[4:5], v[10:11], v[6:7], v[4:5] op_sel_hi:[1,0,1]
	v_pk_add_f32 v[6:7], v[16:17], 0 op_sel_hi:[1,0]
	v_mov_b32_e32 v3, v5
	v_pk_add_f32 v[2:3], v[6:7], v[2:3]
	s_waitcnt vmcnt(0)
	v_pk_add_f32 v[2:3], v[12:13], v[2:3] neg_lo:[0,1] neg_hi:[0,1]
	scratch_store_dwordx2 off, v[2:3], off offset:464
	s_and_saveexec_b64 s[0:1], vcc
	s_cbranch_execz .LBB60_265
; %bb.264:
	scratch_load_dwordx2 v[2:3], off, off offset:456
	v_mov_b32_e32 v4, 0
	v_mov_b32_e32 v5, v4
	scratch_store_dwordx2 off, v[4:5], off offset:456
	s_waitcnt vmcnt(1)
	ds_write_b64 v1, v[2:3]
.LBB60_265:
	s_or_b64 exec, exec, s[0:1]
	s_waitcnt lgkmcnt(0)
	; wave barrier
	scratch_load_dwordx4 v[4:7], off, off offset:464
	scratch_load_dwordx2 v[12:13], off, off offset:480
	scratch_load_dwordx2 v[14:15], off, off offset:456
	v_mov_b32_e32 v2, 0
	ds_read_b128 v[8:11], v2 offset:960
	ds_read_b64 v[16:17], v2 offset:976
	v_cmp_lt_u32_e32 vcc, 56, v0
	s_waitcnt vmcnt(2) lgkmcnt(1)
	v_pk_mul_f32 v[18:19], v[8:9], v[4:5] op_sel:[1,1] op_sel_hi:[0,1]
	v_mov_b32_e32 v20, v7
	v_pk_fma_f32 v[24:25], v[8:9], v[4:5], v[18:19] neg_lo:[0,0,1] neg_hi:[0,0,1]
	v_pk_fma_f32 v[4:5], v[8:9], v[4:5], v[18:19] op_sel_hi:[1,0,1]
	v_pk_mul_f32 v[8:9], v[10:11], v[20:21] op_sel:[1,0] op_sel_hi:[0,0]
	s_waitcnt vmcnt(1) lgkmcnt(0)
	v_pk_mul_f32 v[22:23], v[16:17], v[12:13] op_sel:[1,1] op_sel_hi:[0,1]
	v_mov_b32_e32 v25, v5
	v_pk_fma_f32 v[4:5], v[10:11], v[6:7], v[8:9] neg_lo:[0,0,1] neg_hi:[0,0,1]
	v_pk_fma_f32 v[6:7], v[10:11], v[6:7], v[8:9] op_sel_hi:[1,0,1]
	v_pk_fma_f32 v[18:19], v[16:17], v[12:13], v[22:23] neg_lo:[0,0,1] neg_hi:[0,0,1]
	v_pk_fma_f32 v[12:13], v[16:17], v[12:13], v[22:23] op_sel_hi:[1,0,1]
	v_pk_add_f32 v[8:9], v[24:25], 0 op_sel_hi:[1,0]
	v_mov_b32_e32 v5, v7
	v_mov_b32_e32 v19, v13
	v_pk_add_f32 v[4:5], v[8:9], v[4:5]
	s_nop 0
	v_pk_add_f32 v[4:5], v[4:5], v[18:19]
	s_waitcnt vmcnt(0)
	v_pk_add_f32 v[4:5], v[14:15], v[4:5] neg_lo:[0,1] neg_hi:[0,1]
	scratch_store_dwordx2 off, v[4:5], off offset:456
	s_and_saveexec_b64 s[0:1], vcc
	s_cbranch_execz .LBB60_267
; %bb.266:
	scratch_load_dwordx2 v[4:5], off, off offset:448
	v_mov_b32_e32 v3, v2
	scratch_store_dwordx2 off, v[2:3], off offset:448
	s_waitcnt vmcnt(1)
	ds_write_b64 v1, v[4:5]
.LBB60_267:
	s_or_b64 exec, exec, s[0:1]
	s_waitcnt lgkmcnt(0)
	; wave barrier
	scratch_load_dwordx4 v[4:7], off, off offset:456
	scratch_load_dwordx4 v[8:11], off, off offset:472
	scratch_load_dwordx2 v[20:21], off, off offset:448
	ds_read2_b64 v[12:15], v2 offset0:119 offset1:120
	ds_read2_b64 v[16:19], v2 offset0:121 offset1:122
	v_cmp_lt_u32_e32 vcc, 55, v0
	s_waitcnt vmcnt(2) lgkmcnt(1)
	v_pk_mul_f32 v[2:3], v[12:13], v[4:5] op_sel:[1,1] op_sel_hi:[0,1]
	v_mov_b32_e32 v22, v7
	s_waitcnt vmcnt(1) lgkmcnt(0)
	v_pk_mul_f32 v[24:25], v[16:17], v[8:9] op_sel:[1,1] op_sel_hi:[0,1]
	v_mov_b32_e32 v26, v11
	v_pk_fma_f32 v[28:29], v[12:13], v[4:5], v[2:3] neg_lo:[0,0,1] neg_hi:[0,0,1]
	v_pk_fma_f32 v[2:3], v[12:13], v[4:5], v[2:3] op_sel_hi:[1,0,1]
	v_pk_mul_f32 v[4:5], v[14:15], v[22:23] op_sel:[1,0] op_sel_hi:[0,0]
	v_pk_fma_f32 v[12:13], v[16:17], v[8:9], v[24:25] neg_lo:[0,0,1] neg_hi:[0,0,1]
	v_pk_fma_f32 v[8:9], v[16:17], v[8:9], v[24:25] op_sel_hi:[1,0,1]
	v_pk_mul_f32 v[16:17], v[18:19], v[26:27] op_sel:[1,0] op_sel_hi:[0,0]
	v_mov_b32_e32 v29, v3
	v_pk_fma_f32 v[2:3], v[14:15], v[6:7], v[4:5] neg_lo:[0,0,1] neg_hi:[0,0,1]
	v_pk_fma_f32 v[4:5], v[14:15], v[6:7], v[4:5] op_sel_hi:[1,0,1]
	v_mov_b32_e32 v13, v9
	v_pk_fma_f32 v[6:7], v[18:19], v[10:11], v[16:17] neg_lo:[0,0,1] neg_hi:[0,0,1]
	v_pk_fma_f32 v[8:9], v[18:19], v[10:11], v[16:17] op_sel_hi:[1,0,1]
	v_pk_add_f32 v[10:11], v[28:29], 0 op_sel_hi:[1,0]
	v_mov_b32_e32 v3, v5
	v_pk_add_f32 v[2:3], v[10:11], v[2:3]
	v_mov_b32_e32 v7, v9
	v_pk_add_f32 v[2:3], v[2:3], v[12:13]
	s_nop 0
	v_pk_add_f32 v[2:3], v[2:3], v[6:7]
	s_waitcnt vmcnt(0)
	v_pk_add_f32 v[2:3], v[20:21], v[2:3] neg_lo:[0,1] neg_hi:[0,1]
	scratch_store_dwordx2 off, v[2:3], off offset:448
	s_and_saveexec_b64 s[0:1], vcc
	s_cbranch_execz .LBB60_269
; %bb.268:
	scratch_load_dwordx2 v[2:3], off, off offset:440
	v_mov_b32_e32 v4, 0
	v_mov_b32_e32 v5, v4
	scratch_store_dwordx2 off, v[4:5], off offset:440
	s_waitcnt vmcnt(1)
	ds_write_b64 v1, v[2:3]
.LBB60_269:
	s_or_b64 exec, exec, s[0:1]
	s_waitcnt lgkmcnt(0)
	; wave barrier
	scratch_load_dwordx4 v[4:7], off, off offset:448
	scratch_load_dwordx4 v[8:11], off, off offset:464
	scratch_load_dwordx2 v[20:21], off, off offset:480
	scratch_load_dwordx2 v[22:23], off, off offset:440
	v_mov_b32_e32 v2, 0
	ds_read_b128 v[12:15], v2 offset:944
	ds_read_b128 v[16:19], v2 offset:960
	ds_read_b64 v[24:25], v2 offset:976
	v_cmp_lt_u32_e32 vcc, 54, v0
	s_waitcnt vmcnt(3) lgkmcnt(2)
	v_pk_mul_f32 v[26:27], v[12:13], v[4:5] op_sel:[1,1] op_sel_hi:[0,1]
	v_mov_b32_e32 v28, v7
	v_pk_fma_f32 v[36:37], v[12:13], v[4:5], v[26:27] neg_lo:[0,0,1] neg_hi:[0,0,1]
	v_pk_fma_f32 v[4:5], v[12:13], v[4:5], v[26:27] op_sel_hi:[1,0,1]
	v_pk_mul_f32 v[12:13], v[14:15], v[28:29] op_sel:[1,0] op_sel_hi:[0,0]
	s_waitcnt vmcnt(2) lgkmcnt(1)
	v_pk_mul_f32 v[30:31], v[16:17], v[8:9] op_sel:[1,1] op_sel_hi:[0,1]
	v_mov_b32_e32 v32, v11
	v_mov_b32_e32 v37, v5
	v_pk_fma_f32 v[4:5], v[14:15], v[6:7], v[12:13] neg_lo:[0,0,1] neg_hi:[0,0,1]
	v_pk_fma_f32 v[6:7], v[14:15], v[6:7], v[12:13] op_sel_hi:[1,0,1]
	v_pk_fma_f32 v[26:27], v[16:17], v[8:9], v[30:31] neg_lo:[0,0,1] neg_hi:[0,0,1]
	v_pk_fma_f32 v[8:9], v[16:17], v[8:9], v[30:31] op_sel_hi:[1,0,1]
	v_pk_mul_f32 v[16:17], v[18:19], v[32:33] op_sel:[1,0] op_sel_hi:[0,0]
	v_pk_add_f32 v[12:13], v[36:37], 0 op_sel_hi:[1,0]
	v_mov_b32_e32 v5, v7
	s_waitcnt vmcnt(1) lgkmcnt(0)
	v_pk_mul_f32 v[34:35], v[24:25], v[20:21] op_sel:[1,1] op_sel_hi:[0,1]
	v_mov_b32_e32 v27, v9
	v_pk_fma_f32 v[8:9], v[18:19], v[10:11], v[16:17] neg_lo:[0,0,1] neg_hi:[0,0,1]
	v_pk_fma_f32 v[10:11], v[18:19], v[10:11], v[16:17] op_sel_hi:[1,0,1]
	v_pk_add_f32 v[4:5], v[12:13], v[4:5]
	v_pk_fma_f32 v[28:29], v[24:25], v[20:21], v[34:35] neg_lo:[0,0,1] neg_hi:[0,0,1]
	v_pk_fma_f32 v[20:21], v[24:25], v[20:21], v[34:35] op_sel_hi:[1,0,1]
	v_mov_b32_e32 v9, v11
	v_pk_add_f32 v[4:5], v[4:5], v[26:27]
	v_mov_b32_e32 v29, v21
	v_pk_add_f32 v[4:5], v[4:5], v[8:9]
	s_nop 0
	v_pk_add_f32 v[4:5], v[4:5], v[28:29]
	s_waitcnt vmcnt(0)
	v_pk_add_f32 v[4:5], v[22:23], v[4:5] neg_lo:[0,1] neg_hi:[0,1]
	scratch_store_dwordx2 off, v[4:5], off offset:440
	s_and_saveexec_b64 s[0:1], vcc
	s_cbranch_execz .LBB60_271
; %bb.270:
	scratch_load_dwordx2 v[4:5], off, off offset:432
	v_mov_b32_e32 v3, v2
	scratch_store_dwordx2 off, v[2:3], off offset:432
	s_waitcnt vmcnt(1)
	ds_write_b64 v1, v[4:5]
.LBB60_271:
	s_or_b64 exec, exec, s[0:1]
	s_waitcnt lgkmcnt(0)
	; wave barrier
	scratch_load_dwordx4 v[4:7], off, off offset:440
	scratch_load_dwordx4 v[8:11], off, off offset:456
	;; [unrolled: 1-line block ×3, first 2 shown]
	scratch_load_dwordx2 v[28:29], off, off offset:432
	ds_read2_b64 v[16:19], v2 offset0:117 offset1:118
	ds_read2_b64 v[20:23], v2 offset0:119 offset1:120
	;; [unrolled: 1-line block ×3, first 2 shown]
	v_cmp_lt_u32_e32 vcc, 53, v0
	s_waitcnt vmcnt(3) lgkmcnt(2)
	v_pk_mul_f32 v[2:3], v[16:17], v[4:5] op_sel:[1,1] op_sel_hi:[0,1]
	v_mov_b32_e32 v30, v7
	s_waitcnt vmcnt(2) lgkmcnt(1)
	v_pk_mul_f32 v[32:33], v[20:21], v[8:9] op_sel:[1,1] op_sel_hi:[0,1]
	v_mov_b32_e32 v34, v11
	s_waitcnt vmcnt(1) lgkmcnt(0)
	v_pk_mul_f32 v[36:37], v[24:25], v[12:13] op_sel:[1,1] op_sel_hi:[0,1]
	v_mov_b32_e32 v38, v15
	v_pk_fma_f32 v[40:41], v[16:17], v[4:5], v[2:3] neg_lo:[0,0,1] neg_hi:[0,0,1]
	v_pk_fma_f32 v[2:3], v[16:17], v[4:5], v[2:3] op_sel_hi:[1,0,1]
	v_pk_mul_f32 v[4:5], v[18:19], v[30:31] op_sel:[1,0] op_sel_hi:[0,0]
	v_pk_fma_f32 v[16:17], v[20:21], v[8:9], v[32:33] neg_lo:[0,0,1] neg_hi:[0,0,1]
	v_pk_fma_f32 v[8:9], v[20:21], v[8:9], v[32:33] op_sel_hi:[1,0,1]
	v_pk_mul_f32 v[20:21], v[22:23], v[34:35] op_sel:[1,0] op_sel_hi:[0,0]
	;; [unrolled: 3-line block ×3, first 2 shown]
	v_mov_b32_e32 v41, v3
	v_pk_fma_f32 v[2:3], v[18:19], v[6:7], v[4:5] neg_lo:[0,0,1] neg_hi:[0,0,1]
	v_pk_fma_f32 v[4:5], v[18:19], v[6:7], v[4:5] op_sel_hi:[1,0,1]
	v_mov_b32_e32 v17, v9
	v_pk_fma_f32 v[6:7], v[22:23], v[10:11], v[20:21] neg_lo:[0,0,1] neg_hi:[0,0,1]
	v_pk_fma_f32 v[8:9], v[22:23], v[10:11], v[20:21] op_sel_hi:[1,0,1]
	;; [unrolled: 3-line block ×3, first 2 shown]
	v_pk_add_f32 v[14:15], v[40:41], 0 op_sel_hi:[1,0]
	v_mov_b32_e32 v3, v5
	v_pk_add_f32 v[2:3], v[14:15], v[2:3]
	v_mov_b32_e32 v7, v9
	v_pk_add_f32 v[2:3], v[2:3], v[16:17]
	;; [unrolled: 2-line block ×3, first 2 shown]
	s_nop 0
	v_pk_add_f32 v[2:3], v[2:3], v[30:31]
	s_nop 0
	v_pk_add_f32 v[2:3], v[2:3], v[10:11]
	s_waitcnt vmcnt(0)
	v_pk_add_f32 v[2:3], v[28:29], v[2:3] neg_lo:[0,1] neg_hi:[0,1]
	scratch_store_dwordx2 off, v[2:3], off offset:432
	s_and_saveexec_b64 s[0:1], vcc
	s_cbranch_execz .LBB60_273
; %bb.272:
	scratch_load_dwordx2 v[2:3], off, off offset:424
	v_mov_b32_e32 v4, 0
	v_mov_b32_e32 v5, v4
	scratch_store_dwordx2 off, v[4:5], off offset:424
	s_waitcnt vmcnt(1)
	ds_write_b64 v1, v[2:3]
.LBB60_273:
	s_or_b64 exec, exec, s[0:1]
	s_waitcnt lgkmcnt(0)
	; wave barrier
	scratch_load_dwordx4 v[4:7], off, off offset:432
	scratch_load_dwordx4 v[8:11], off, off offset:448
	;; [unrolled: 1-line block ×3, first 2 shown]
	scratch_load_dwordx2 v[28:29], off, off offset:480
	v_mov_b32_e32 v2, 0
	ds_read_b128 v[16:19], v2 offset:928
	ds_read_b128 v[20:23], v2 offset:944
	;; [unrolled: 1-line block ×3, first 2 shown]
	ds_read_b64 v[30:31], v2 offset:976
	v_cmp_lt_u32_e32 vcc, 52, v0
	s_waitcnt vmcnt(3) lgkmcnt(3)
	v_pk_mul_f32 v[32:33], v[16:17], v[4:5] op_sel:[1,1] op_sel_hi:[0,1]
	v_pk_fma_f32 v[34:35], v[16:17], v[4:5], v[32:33] neg_lo:[0,0,1] neg_hi:[0,0,1]
	v_pk_fma_f32 v[4:5], v[16:17], v[4:5], v[32:33] op_sel_hi:[1,0,1]
	v_mov_b32_e32 v16, v7
	v_pk_mul_f32 v[16:17], v[18:19], v[16:17] op_sel:[1,0] op_sel_hi:[0,0]
	v_pk_fma_f32 v[32:33], v[18:19], v[6:7], v[16:17] neg_lo:[0,0,1] neg_hi:[0,0,1]
	v_pk_fma_f32 v[6:7], v[18:19], v[6:7], v[16:17] op_sel_hi:[1,0,1]
	v_mov_b32_e32 v35, v5
	v_mov_b32_e32 v33, v7
	s_waitcnt vmcnt(2) lgkmcnt(2)
	v_pk_mul_f32 v[6:7], v[20:21], v[8:9] op_sel:[1,1] op_sel_hi:[0,1]
	v_pk_fma_f32 v[16:17], v[20:21], v[8:9], v[6:7] neg_lo:[0,0,1] neg_hi:[0,0,1]
	v_pk_fma_f32 v[6:7], v[20:21], v[8:9], v[6:7] op_sel_hi:[1,0,1]
	v_pk_add_f32 v[4:5], v[34:35], 0 op_sel_hi:[1,0]
	v_mov_b32_e32 v6, v11
	v_mov_b32_e32 v17, v7
	v_pk_mul_f32 v[6:7], v[22:23], v[6:7] op_sel:[1,0] op_sel_hi:[0,0]
	v_pk_add_f32 v[4:5], v[4:5], v[32:33]
	v_pk_fma_f32 v[8:9], v[22:23], v[10:11], v[6:7] neg_lo:[0,0,1] neg_hi:[0,0,1]
	v_pk_fma_f32 v[6:7], v[22:23], v[10:11], v[6:7] op_sel_hi:[1,0,1]
	v_pk_add_f32 v[4:5], v[4:5], v[16:17]
	v_mov_b32_e32 v9, v7
	s_waitcnt vmcnt(1) lgkmcnt(1)
	v_pk_mul_f32 v[6:7], v[24:25], v[12:13] op_sel:[1,1] op_sel_hi:[0,1]
	v_pk_add_f32 v[4:5], v[4:5], v[8:9]
	v_pk_fma_f32 v[8:9], v[24:25], v[12:13], v[6:7] neg_lo:[0,0,1] neg_hi:[0,0,1]
	v_pk_fma_f32 v[6:7], v[24:25], v[12:13], v[6:7] op_sel_hi:[1,0,1]
	s_nop 0
	v_mov_b32_e32 v6, v15
	v_mov_b32_e32 v9, v7
	v_pk_mul_f32 v[6:7], v[26:27], v[6:7] op_sel:[1,0] op_sel_hi:[0,0]
	v_pk_add_f32 v[4:5], v[4:5], v[8:9]
	v_pk_fma_f32 v[8:9], v[26:27], v[14:15], v[6:7] neg_lo:[0,0,1] neg_hi:[0,0,1]
	v_pk_fma_f32 v[6:7], v[26:27], v[14:15], v[6:7] op_sel_hi:[1,0,1]
	s_nop 0
	v_mov_b32_e32 v9, v7
	s_waitcnt vmcnt(0) lgkmcnt(0)
	v_pk_mul_f32 v[6:7], v[30:31], v[28:29] op_sel:[1,1] op_sel_hi:[0,1]
	v_pk_add_f32 v[4:5], v[4:5], v[8:9]
	v_pk_fma_f32 v[8:9], v[30:31], v[28:29], v[6:7] neg_lo:[0,0,1] neg_hi:[0,0,1]
	v_pk_fma_f32 v[6:7], v[30:31], v[28:29], v[6:7] op_sel_hi:[1,0,1]
	s_nop 0
	v_mov_b32_e32 v9, v7
	scratch_load_dwordx2 v[6:7], off, off offset:424
	v_pk_add_f32 v[4:5], v[4:5], v[8:9]
	s_waitcnt vmcnt(0)
	v_pk_add_f32 v[4:5], v[6:7], v[4:5] neg_lo:[0,1] neg_hi:[0,1]
	scratch_store_dwordx2 off, v[4:5], off offset:424
	s_and_saveexec_b64 s[0:1], vcc
	s_cbranch_execz .LBB60_275
; %bb.274:
	scratch_load_dwordx2 v[4:5], off, off offset:416
	v_mov_b32_e32 v3, v2
	scratch_store_dwordx2 off, v[2:3], off offset:416
	s_waitcnt vmcnt(1)
	ds_write_b64 v1, v[4:5]
.LBB60_275:
	s_or_b64 exec, exec, s[0:1]
	s_waitcnt lgkmcnt(0)
	; wave barrier
	scratch_load_dwordx4 v[4:7], off, off offset:424
	scratch_load_dwordx4 v[8:11], off, off offset:440
	;; [unrolled: 1-line block ×4, first 2 shown]
	ds_read2_b64 v[20:23], v2 offset0:115 offset1:116
	ds_read2_b64 v[24:27], v2 offset0:117 offset1:118
	;; [unrolled: 1-line block ×4, first 2 shown]
	v_cmp_lt_u32_e32 vcc, 51, v0
	s_waitcnt vmcnt(3) lgkmcnt(3)
	v_pk_mul_f32 v[2:3], v[20:21], v[4:5] op_sel:[1,1] op_sel_hi:[0,1]
	v_pk_fma_f32 v[36:37], v[20:21], v[4:5], v[2:3] neg_lo:[0,0,1] neg_hi:[0,0,1]
	v_pk_fma_f32 v[2:3], v[20:21], v[4:5], v[2:3] op_sel_hi:[1,0,1]
	v_mov_b32_e32 v4, v7
	v_pk_mul_f32 v[4:5], v[22:23], v[4:5] op_sel:[1,0] op_sel_hi:[0,0]
	v_pk_fma_f32 v[20:21], v[22:23], v[6:7], v[4:5] neg_lo:[0,0,1] neg_hi:[0,0,1]
	v_pk_fma_f32 v[4:5], v[22:23], v[6:7], v[4:5] op_sel_hi:[1,0,1]
	v_mov_b32_e32 v37, v3
	v_mov_b32_e32 v21, v5
	s_waitcnt vmcnt(2) lgkmcnt(2)
	v_pk_mul_f32 v[4:5], v[24:25], v[8:9] op_sel:[1,1] op_sel_hi:[0,1]
	v_pk_fma_f32 v[6:7], v[24:25], v[8:9], v[4:5] neg_lo:[0,0,1] neg_hi:[0,0,1]
	v_pk_fma_f32 v[4:5], v[24:25], v[8:9], v[4:5] op_sel_hi:[1,0,1]
	v_pk_add_f32 v[2:3], v[36:37], 0 op_sel_hi:[1,0]
	v_mov_b32_e32 v4, v11
	v_pk_add_f32 v[2:3], v[2:3], v[20:21]
	v_mov_b32_e32 v7, v5
	v_pk_mul_f32 v[4:5], v[26:27], v[4:5] op_sel:[1,0] op_sel_hi:[0,0]
	v_pk_add_f32 v[2:3], v[2:3], v[6:7]
	v_pk_fma_f32 v[6:7], v[26:27], v[10:11], v[4:5] neg_lo:[0,0,1] neg_hi:[0,0,1]
	v_pk_fma_f32 v[4:5], v[26:27], v[10:11], v[4:5] op_sel_hi:[1,0,1]
	s_nop 0
	v_mov_b32_e32 v7, v5
	s_waitcnt vmcnt(1) lgkmcnt(1)
	v_pk_mul_f32 v[4:5], v[28:29], v[12:13] op_sel:[1,1] op_sel_hi:[0,1]
	v_pk_add_f32 v[2:3], v[2:3], v[6:7]
	v_pk_fma_f32 v[6:7], v[28:29], v[12:13], v[4:5] neg_lo:[0,0,1] neg_hi:[0,0,1]
	v_pk_fma_f32 v[4:5], v[28:29], v[12:13], v[4:5] op_sel_hi:[1,0,1]
	s_nop 0
	v_mov_b32_e32 v4, v15
	v_mov_b32_e32 v7, v5
	v_pk_mul_f32 v[4:5], v[30:31], v[4:5] op_sel:[1,0] op_sel_hi:[0,0]
	v_pk_add_f32 v[2:3], v[2:3], v[6:7]
	v_pk_fma_f32 v[6:7], v[30:31], v[14:15], v[4:5] neg_lo:[0,0,1] neg_hi:[0,0,1]
	v_pk_fma_f32 v[4:5], v[30:31], v[14:15], v[4:5] op_sel_hi:[1,0,1]
	s_nop 0
	v_mov_b32_e32 v7, v5
	s_waitcnt vmcnt(0) lgkmcnt(0)
	v_pk_mul_f32 v[4:5], v[32:33], v[16:17] op_sel:[1,1] op_sel_hi:[0,1]
	v_pk_add_f32 v[2:3], v[2:3], v[6:7]
	v_pk_fma_f32 v[6:7], v[32:33], v[16:17], v[4:5] neg_lo:[0,0,1] neg_hi:[0,0,1]
	v_pk_fma_f32 v[4:5], v[32:33], v[16:17], v[4:5] op_sel_hi:[1,0,1]
	s_nop 0
	v_mov_b32_e32 v4, v19
	v_mov_b32_e32 v7, v5
	v_pk_mul_f32 v[4:5], v[34:35], v[4:5] op_sel:[1,0] op_sel_hi:[0,0]
	v_pk_add_f32 v[2:3], v[2:3], v[6:7]
	v_pk_fma_f32 v[6:7], v[34:35], v[18:19], v[4:5] neg_lo:[0,0,1] neg_hi:[0,0,1]
	v_pk_fma_f32 v[4:5], v[34:35], v[18:19], v[4:5] op_sel_hi:[1,0,1]
	s_nop 0
	v_mov_b32_e32 v7, v5
	scratch_load_dwordx2 v[4:5], off, off offset:416
	v_pk_add_f32 v[2:3], v[2:3], v[6:7]
	s_waitcnt vmcnt(0)
	v_pk_add_f32 v[2:3], v[4:5], v[2:3] neg_lo:[0,1] neg_hi:[0,1]
	scratch_store_dwordx2 off, v[2:3], off offset:416
	s_and_saveexec_b64 s[0:1], vcc
	s_cbranch_execz .LBB60_277
; %bb.276:
	scratch_load_dwordx2 v[2:3], off, off offset:408
	v_mov_b32_e32 v4, 0
	v_mov_b32_e32 v5, v4
	scratch_store_dwordx2 off, v[4:5], off offset:408
	s_waitcnt vmcnt(1)
	ds_write_b64 v1, v[2:3]
.LBB60_277:
	s_or_b64 exec, exec, s[0:1]
	v_mov_b32_e32 v2, 0
	s_waitcnt lgkmcnt(0)
	; wave barrier
	ds_read_b128 v[4:7], v2 offset:912
	ds_read_b128 v[8:11], v2 offset:928
	;; [unrolled: 1-line block ×4, first 2 shown]
	scratch_load_dwordx4 v[20:23], off, off offset:416
	scratch_load_dwordx4 v[24:27], off, off offset:432
	scratch_load_dwordx4 v[28:31], off, off offset:448
	scratch_load_dwordx4 v[32:35], off, off offset:464
	scratch_load_dwordx2 v[38:39], off, off offset:480
	v_cmp_lt_u32_e32 vcc, 50, v0
	s_waitcnt vmcnt(4) lgkmcnt(3)
	v_mul_f32_e32 v37, v4, v21
	v_mul_f32_e32 v3, v5, v21
	v_fmac_f32_e32 v37, v5, v20
	v_fma_f32 v36, v4, v20, -v3
	v_pk_add_f32 v[20:21], v[36:37], 0 op_sel_hi:[1,0]
	v_mov_b32_e32 v36, v23
	v_pk_mul_f32 v[36:37], v[6:7], v[36:37] op_sel:[1,0] op_sel_hi:[0,0]
	v_pk_fma_f32 v[40:41], v[6:7], v[22:23], v[36:37] neg_lo:[0,0,1] neg_hi:[0,0,1]
	v_pk_fma_f32 v[6:7], v[6:7], v[22:23], v[36:37] op_sel_hi:[1,0,1]
	ds_read_b64 v[4:5], v2 offset:976
	v_mov_b32_e32 v41, v7
	v_pk_add_f32 v[6:7], v[20:21], v[40:41]
	s_waitcnt vmcnt(3) lgkmcnt(3)
	v_pk_mul_f32 v[20:21], v[8:9], v[24:25] op_sel:[1,1] op_sel_hi:[0,1]
	v_pk_fma_f32 v[22:23], v[8:9], v[24:25], v[20:21] neg_lo:[0,0,1] neg_hi:[0,0,1]
	v_pk_fma_f32 v[8:9], v[8:9], v[24:25], v[20:21] op_sel_hi:[1,0,1]
	s_nop 0
	v_mov_b32_e32 v8, v27
	v_mov_b32_e32 v23, v9
	v_pk_mul_f32 v[8:9], v[10:11], v[8:9] op_sel:[1,0] op_sel_hi:[0,0]
	v_pk_fma_f32 v[20:21], v[10:11], v[26:27], v[8:9] neg_lo:[0,0,1] neg_hi:[0,0,1]
	v_pk_fma_f32 v[8:9], v[10:11], v[26:27], v[8:9] op_sel_hi:[1,0,1]
	v_pk_add_f32 v[6:7], v[6:7], v[22:23]
	v_mov_b32_e32 v21, v9
	s_waitcnt vmcnt(2) lgkmcnt(2)
	v_pk_mul_f32 v[8:9], v[12:13], v[28:29] op_sel:[1,1] op_sel_hi:[0,1]
	v_pk_fma_f32 v[10:11], v[12:13], v[28:29], v[8:9] neg_lo:[0,0,1] neg_hi:[0,0,1]
	v_pk_fma_f32 v[8:9], v[12:13], v[28:29], v[8:9] op_sel_hi:[1,0,1]
	v_pk_add_f32 v[6:7], v[6:7], v[20:21]
	v_mov_b32_e32 v8, v31
	v_mov_b32_e32 v11, v9
	v_pk_mul_f32 v[8:9], v[14:15], v[8:9] op_sel:[1,0] op_sel_hi:[0,0]
	v_pk_add_f32 v[6:7], v[6:7], v[10:11]
	v_pk_fma_f32 v[10:11], v[14:15], v[30:31], v[8:9] neg_lo:[0,0,1] neg_hi:[0,0,1]
	v_pk_fma_f32 v[8:9], v[14:15], v[30:31], v[8:9] op_sel_hi:[1,0,1]
	s_nop 0
	v_mov_b32_e32 v11, v9
	s_waitcnt vmcnt(1) lgkmcnt(1)
	v_pk_mul_f32 v[8:9], v[16:17], v[32:33] op_sel:[1,1] op_sel_hi:[0,1]
	v_pk_add_f32 v[6:7], v[6:7], v[10:11]
	v_pk_fma_f32 v[10:11], v[16:17], v[32:33], v[8:9] neg_lo:[0,0,1] neg_hi:[0,0,1]
	v_pk_fma_f32 v[8:9], v[16:17], v[32:33], v[8:9] op_sel_hi:[1,0,1]
	s_nop 0
	v_mov_b32_e32 v8, v35
	v_mov_b32_e32 v11, v9
	v_pk_mul_f32 v[8:9], v[18:19], v[8:9] op_sel:[1,0] op_sel_hi:[0,0]
	v_pk_add_f32 v[6:7], v[6:7], v[10:11]
	v_pk_fma_f32 v[10:11], v[18:19], v[34:35], v[8:9] neg_lo:[0,0,1] neg_hi:[0,0,1]
	v_pk_fma_f32 v[8:9], v[18:19], v[34:35], v[8:9] op_sel_hi:[1,0,1]
	s_nop 0
	v_mov_b32_e32 v11, v9
	s_waitcnt vmcnt(0) lgkmcnt(0)
	v_pk_mul_f32 v[8:9], v[4:5], v[38:39] op_sel:[1,1] op_sel_hi:[0,1]
	v_pk_add_f32 v[6:7], v[6:7], v[10:11]
	v_pk_fma_f32 v[10:11], v[4:5], v[38:39], v[8:9] neg_lo:[0,0,1] neg_hi:[0,0,1]
	v_pk_fma_f32 v[4:5], v[4:5], v[38:39], v[8:9] op_sel_hi:[1,0,1]
	s_nop 0
	v_mov_b32_e32 v11, v5
	v_pk_add_f32 v[4:5], v[6:7], v[10:11]
	scratch_load_dwordx2 v[6:7], off, off offset:408
	s_waitcnt vmcnt(0)
	v_pk_add_f32 v[4:5], v[6:7], v[4:5] neg_lo:[0,1] neg_hi:[0,1]
	scratch_store_dwordx2 off, v[4:5], off offset:408
	s_and_saveexec_b64 s[0:1], vcc
	s_cbranch_execz .LBB60_279
; %bb.278:
	scratch_load_dwordx2 v[4:5], off, off offset:400
	v_mov_b32_e32 v3, v2
	scratch_store_dwordx2 off, v[2:3], off offset:400
	s_waitcnt vmcnt(1)
	ds_write_b64 v1, v[4:5]
.LBB60_279:
	s_or_b64 exec, exec, s[0:1]
	s_waitcnt lgkmcnt(0)
	; wave barrier
	scratch_load_dwordx4 v[8:11], off, off offset:408
	ds_read2_b64 v[4:7], v2 offset0:113 offset1:114
	scratch_load_dwordx4 v[12:15], off, off offset:424
	scratch_load_dwordx4 v[16:19], off, off offset:440
	;; [unrolled: 1-line block ×4, first 2 shown]
	v_cmp_lt_u32_e32 vcc, 49, v0
	s_waitcnt vmcnt(4) lgkmcnt(0)
	v_mul_f32_e32 v3, v5, v9
	v_mul_f32_e32 v37, v4, v9
	;; [unrolled: 1-line block ×3, first 2 shown]
	v_fma_f32 v36, v4, v8, -v3
	v_mul_f32_e32 v3, v7, v11
	v_fmac_f32_e32 v37, v5, v8
	v_fmac_f32_e32 v39, v7, v10
	v_fma_f32 v38, v6, v10, -v3
	ds_read2_b64 v[4:7], v2 offset0:115 offset1:116
	ds_read2_b64 v[8:11], v2 offset0:117 offset1:118
	;; [unrolled: 1-line block ×4, first 2 shown]
	v_pk_add_f32 v[2:3], v[36:37], 0 op_sel_hi:[1,0]
	s_waitcnt vmcnt(3) lgkmcnt(3)
	v_pk_mul_f32 v[36:37], v[4:5], v[12:13] op_sel:[1,1] op_sel_hi:[0,1]
	v_pk_add_f32 v[2:3], v[2:3], v[38:39]
	v_pk_fma_f32 v[38:39], v[4:5], v[12:13], v[36:37] neg_lo:[0,0,1] neg_hi:[0,0,1]
	v_pk_fma_f32 v[4:5], v[4:5], v[12:13], v[36:37] op_sel_hi:[1,0,1]
	s_nop 0
	v_mov_b32_e32 v4, v15
	v_mov_b32_e32 v39, v5
	v_pk_mul_f32 v[4:5], v[6:7], v[4:5] op_sel:[1,0] op_sel_hi:[0,0]
	v_pk_fma_f32 v[12:13], v[6:7], v[14:15], v[4:5] neg_lo:[0,0,1] neg_hi:[0,0,1]
	v_pk_fma_f32 v[4:5], v[6:7], v[14:15], v[4:5] op_sel_hi:[1,0,1]
	v_pk_add_f32 v[2:3], v[2:3], v[38:39]
	v_mov_b32_e32 v13, v5
	s_waitcnt vmcnt(2) lgkmcnt(2)
	v_pk_mul_f32 v[4:5], v[8:9], v[16:17] op_sel:[1,1] op_sel_hi:[0,1]
	v_pk_fma_f32 v[6:7], v[8:9], v[16:17], v[4:5] neg_lo:[0,0,1] neg_hi:[0,0,1]
	v_pk_fma_f32 v[4:5], v[8:9], v[16:17], v[4:5] op_sel_hi:[1,0,1]
	v_pk_add_f32 v[2:3], v[2:3], v[12:13]
	v_mov_b32_e32 v4, v19
	v_mov_b32_e32 v7, v5
	v_pk_mul_f32 v[4:5], v[10:11], v[4:5] op_sel:[1,0] op_sel_hi:[0,0]
	v_pk_add_f32 v[2:3], v[2:3], v[6:7]
	v_pk_fma_f32 v[6:7], v[10:11], v[18:19], v[4:5] neg_lo:[0,0,1] neg_hi:[0,0,1]
	v_pk_fma_f32 v[4:5], v[10:11], v[18:19], v[4:5] op_sel_hi:[1,0,1]
	s_nop 0
	v_mov_b32_e32 v7, v5
	s_waitcnt vmcnt(1) lgkmcnt(1)
	v_pk_mul_f32 v[4:5], v[28:29], v[20:21] op_sel:[1,1] op_sel_hi:[0,1]
	v_pk_add_f32 v[2:3], v[2:3], v[6:7]
	v_pk_fma_f32 v[6:7], v[28:29], v[20:21], v[4:5] neg_lo:[0,0,1] neg_hi:[0,0,1]
	v_pk_fma_f32 v[4:5], v[28:29], v[20:21], v[4:5] op_sel_hi:[1,0,1]
	s_nop 0
	v_mov_b32_e32 v4, v23
	v_mov_b32_e32 v7, v5
	v_pk_mul_f32 v[4:5], v[30:31], v[4:5] op_sel:[1,0] op_sel_hi:[0,0]
	v_pk_add_f32 v[2:3], v[2:3], v[6:7]
	v_pk_fma_f32 v[6:7], v[30:31], v[22:23], v[4:5] neg_lo:[0,0,1] neg_hi:[0,0,1]
	v_pk_fma_f32 v[4:5], v[30:31], v[22:23], v[4:5] op_sel_hi:[1,0,1]
	s_nop 0
	v_mov_b32_e32 v7, v5
	s_waitcnt vmcnt(0) lgkmcnt(0)
	v_pk_mul_f32 v[4:5], v[32:33], v[24:25] op_sel:[1,1] op_sel_hi:[0,1]
	v_pk_add_f32 v[2:3], v[2:3], v[6:7]
	v_pk_fma_f32 v[6:7], v[32:33], v[24:25], v[4:5] neg_lo:[0,0,1] neg_hi:[0,0,1]
	v_pk_fma_f32 v[4:5], v[32:33], v[24:25], v[4:5] op_sel_hi:[1,0,1]
	s_nop 0
	v_mov_b32_e32 v4, v27
	v_mov_b32_e32 v7, v5
	v_pk_mul_f32 v[4:5], v[34:35], v[4:5] op_sel:[1,0] op_sel_hi:[0,0]
	v_pk_add_f32 v[2:3], v[2:3], v[6:7]
	v_pk_fma_f32 v[6:7], v[34:35], v[26:27], v[4:5] neg_lo:[0,0,1] neg_hi:[0,0,1]
	v_pk_fma_f32 v[4:5], v[34:35], v[26:27], v[4:5] op_sel_hi:[1,0,1]
	s_nop 0
	v_mov_b32_e32 v7, v5
	scratch_load_dwordx2 v[4:5], off, off offset:400
	v_pk_add_f32 v[2:3], v[2:3], v[6:7]
	s_waitcnt vmcnt(0)
	v_pk_add_f32 v[2:3], v[4:5], v[2:3] neg_lo:[0,1] neg_hi:[0,1]
	scratch_store_dwordx2 off, v[2:3], off offset:400
	s_and_saveexec_b64 s[0:1], vcc
	s_cbranch_execz .LBB60_281
; %bb.280:
	scratch_load_dwordx2 v[2:3], off, off offset:392
	v_mov_b32_e32 v4, 0
	v_mov_b32_e32 v5, v4
	scratch_store_dwordx2 off, v[4:5], off offset:392
	s_waitcnt vmcnt(1)
	ds_write_b64 v1, v[2:3]
.LBB60_281:
	s_or_b64 exec, exec, s[0:1]
	v_mov_b32_e32 v2, 0
	s_waitcnt lgkmcnt(0)
	; wave barrier
	ds_read_b128 v[4:7], v2 offset:896
	ds_read_b128 v[8:11], v2 offset:912
	;; [unrolled: 1-line block ×4, first 2 shown]
	scratch_load_dwordx4 v[20:23], off, off offset:400
	scratch_load_dwordx4 v[24:27], off, off offset:416
	;; [unrolled: 1-line block ×5, first 2 shown]
	scratch_load_dwordx2 v[46:47], off, off offset:480
	v_cmp_lt_u32_e32 vcc, 48, v0
	s_waitcnt vmcnt(5) lgkmcnt(3)
	v_mul_f32_e32 v3, v4, v21
	v_fmac_f32_e32 v3, v5, v20
	v_add_f32_e32 v41, 0, v3
	v_mul_f32_e32 v3, v5, v21
	v_fma_f32 v3, v4, v20, -v3
	v_mul_f32_e32 v43, v6, v23
	v_add_f32_e32 v40, 0, v3
	v_mul_f32_e32 v3, v7, v23
	v_fmac_f32_e32 v43, v7, v22
	v_fma_f32 v42, v6, v22, -v3
	s_waitcnt vmcnt(4)
	v_mov_b32_e32 v22, v27
	s_waitcnt lgkmcnt(2)
	v_mul_f32_e32 v45, v8, v25
	v_mul_f32_e32 v3, v9, v25
	v_pk_mul_f32 v[22:23], v[10:11], v[22:23] op_sel:[1,0] op_sel_hi:[0,0]
	v_fmac_f32_e32 v45, v9, v24
	v_fma_f32 v44, v8, v24, -v3
	v_pk_add_f32 v[20:21], v[40:41], v[42:43]
	v_pk_fma_f32 v[24:25], v[10:11], v[26:27], v[22:23] neg_lo:[0,0,1] neg_hi:[0,0,1]
	v_pk_fma_f32 v[10:11], v[10:11], v[26:27], v[22:23] op_sel_hi:[1,0,1]
	v_pk_add_f32 v[20:21], v[20:21], v[44:45]
	v_mov_b32_e32 v25, v11
	v_pk_add_f32 v[10:11], v[20:21], v[24:25]
	s_waitcnt vmcnt(3) lgkmcnt(1)
	v_pk_mul_f32 v[20:21], v[12:13], v[28:29] op_sel:[1,1] op_sel_hi:[0,1]
	v_pk_fma_f32 v[22:23], v[12:13], v[28:29], v[20:21] neg_lo:[0,0,1] neg_hi:[0,0,1]
	v_pk_fma_f32 v[12:13], v[12:13], v[28:29], v[20:21] op_sel_hi:[1,0,1]
	ds_read_b128 v[4:7], v2 offset:960
	ds_read_b64 v[8:9], v2 offset:976
	v_mov_b32_e32 v12, v31
	v_mov_b32_e32 v23, v13
	v_pk_mul_f32 v[12:13], v[14:15], v[12:13] op_sel:[1,0] op_sel_hi:[0,0]
	v_pk_fma_f32 v[20:21], v[14:15], v[30:31], v[12:13] neg_lo:[0,0,1] neg_hi:[0,0,1]
	v_pk_fma_f32 v[12:13], v[14:15], v[30:31], v[12:13] op_sel_hi:[1,0,1]
	v_pk_add_f32 v[10:11], v[10:11], v[22:23]
	v_mov_b32_e32 v21, v13
	s_waitcnt vmcnt(2) lgkmcnt(2)
	v_pk_mul_f32 v[12:13], v[16:17], v[32:33] op_sel:[1,1] op_sel_hi:[0,1]
	v_pk_fma_f32 v[14:15], v[16:17], v[32:33], v[12:13] neg_lo:[0,0,1] neg_hi:[0,0,1]
	v_pk_fma_f32 v[12:13], v[16:17], v[32:33], v[12:13] op_sel_hi:[1,0,1]
	v_pk_add_f32 v[10:11], v[10:11], v[20:21]
	v_mov_b32_e32 v12, v35
	v_mov_b32_e32 v15, v13
	v_pk_mul_f32 v[12:13], v[18:19], v[12:13] op_sel:[1,0] op_sel_hi:[0,0]
	v_pk_add_f32 v[10:11], v[10:11], v[14:15]
	v_pk_fma_f32 v[14:15], v[18:19], v[34:35], v[12:13] neg_lo:[0,0,1] neg_hi:[0,0,1]
	v_pk_fma_f32 v[12:13], v[18:19], v[34:35], v[12:13] op_sel_hi:[1,0,1]
	s_nop 0
	v_mov_b32_e32 v15, v13
	s_waitcnt vmcnt(1) lgkmcnt(1)
	v_pk_mul_f32 v[12:13], v[4:5], v[36:37] op_sel:[1,1] op_sel_hi:[0,1]
	v_pk_add_f32 v[10:11], v[10:11], v[14:15]
	v_pk_fma_f32 v[14:15], v[4:5], v[36:37], v[12:13] neg_lo:[0,0,1] neg_hi:[0,0,1]
	v_pk_fma_f32 v[4:5], v[4:5], v[36:37], v[12:13] op_sel_hi:[1,0,1]
	s_nop 0
	v_mov_b32_e32 v15, v5
	v_pk_add_f32 v[4:5], v[10:11], v[14:15]
	v_mov_b32_e32 v10, v39
	v_pk_mul_f32 v[10:11], v[6:7], v[10:11] op_sel:[1,0] op_sel_hi:[0,0]
	v_pk_fma_f32 v[12:13], v[6:7], v[38:39], v[10:11] neg_lo:[0,0,1] neg_hi:[0,0,1]
	v_pk_fma_f32 v[6:7], v[6:7], v[38:39], v[10:11] op_sel_hi:[1,0,1]
	s_nop 0
	v_mov_b32_e32 v13, v7
	s_waitcnt vmcnt(0) lgkmcnt(0)
	v_pk_mul_f32 v[6:7], v[8:9], v[46:47] op_sel:[1,1] op_sel_hi:[0,1]
	v_pk_fma_f32 v[10:11], v[8:9], v[46:47], v[6:7] neg_lo:[0,0,1] neg_hi:[0,0,1]
	v_pk_fma_f32 v[6:7], v[8:9], v[46:47], v[6:7] op_sel_hi:[1,0,1]
	v_pk_add_f32 v[4:5], v[4:5], v[12:13]
	v_mov_b32_e32 v11, v7
	scratch_load_dwordx2 v[6:7], off, off offset:392
	v_pk_add_f32 v[4:5], v[4:5], v[10:11]
	s_waitcnt vmcnt(0)
	v_pk_add_f32 v[4:5], v[6:7], v[4:5] neg_lo:[0,1] neg_hi:[0,1]
	scratch_store_dwordx2 off, v[4:5], off offset:392
	s_and_saveexec_b64 s[0:1], vcc
	s_cbranch_execz .LBB60_283
; %bb.282:
	scratch_load_dwordx2 v[4:5], off, off offset:384
	v_mov_b32_e32 v3, v2
	scratch_store_dwordx2 off, v[2:3], off offset:384
	s_waitcnt vmcnt(1)
	ds_write_b64 v1, v[4:5]
.LBB60_283:
	s_or_b64 exec, exec, s[0:1]
	s_waitcnt lgkmcnt(0)
	; wave barrier
	scratch_load_dwordx4 v[8:11], off, off offset:392
	scratch_load_dwordx4 v[16:19], off, off offset:408
	ds_read2_b64 v[4:7], v2 offset0:111 offset1:112
	v_cmp_lt_u32_e32 vcc, 47, v0
	s_waitcnt vmcnt(1) lgkmcnt(0)
	v_mul_f32_e32 v3, v4, v9
	v_fmac_f32_e32 v3, v5, v8
	v_mul_f32_e32 v12, v6, v11
	v_add_f32_e32 v3, 0, v3
	v_fmac_f32_e32 v12, v7, v10
	v_add_f32_e32 v37, v3, v12
	ds_read2_b64 v[12:15], v2 offset0:113 offset1:114
	scratch_load_dwordx4 v[20:23], off, off offset:424
	scratch_load_dwordx4 v[24:27], off, off offset:440
	;; [unrolled: 1-line block ×4, first 2 shown]
	v_mul_f32_e32 v3, v5, v9
	v_fma_f32 v3, v4, v8, -v3
	v_mul_f32_e32 v4, v7, v11
	v_add_f32_e32 v3, 0, v3
	v_fma_f32 v4, v6, v10, -v4
	v_add_f32_e32 v36, v3, v4
	s_waitcnt vmcnt(4) lgkmcnt(0)
	v_mul_f32_e32 v3, v13, v17
	v_mul_f32_e32 v39, v12, v17
	v_mul_f32_e32 v41, v14, v19
	v_fma_f32 v38, v12, v16, -v3
	v_mul_f32_e32 v3, v15, v19
	v_fmac_f32_e32 v39, v13, v16
	v_fmac_f32_e32 v41, v15, v18
	v_fma_f32 v40, v14, v18, -v3
	ds_read2_b64 v[4:7], v2 offset0:115 offset1:116
	ds_read2_b64 v[8:11], v2 offset0:117 offset1:118
	;; [unrolled: 1-line block ×4, first 2 shown]
	v_pk_add_f32 v[2:3], v[36:37], v[38:39]
	s_waitcnt vmcnt(3) lgkmcnt(3)
	v_pk_mul_f32 v[36:37], v[4:5], v[20:21] op_sel:[1,1] op_sel_hi:[0,1]
	v_pk_fma_f32 v[38:39], v[4:5], v[20:21], v[36:37] neg_lo:[0,0,1] neg_hi:[0,0,1]
	v_pk_fma_f32 v[4:5], v[4:5], v[20:21], v[36:37] op_sel_hi:[1,0,1]
	v_pk_add_f32 v[2:3], v[2:3], v[40:41]
	v_mov_b32_e32 v4, v23
	v_mov_b32_e32 v39, v5
	v_pk_mul_f32 v[4:5], v[6:7], v[4:5] op_sel:[1,0] op_sel_hi:[0,0]
	v_pk_fma_f32 v[20:21], v[6:7], v[22:23], v[4:5] neg_lo:[0,0,1] neg_hi:[0,0,1]
	v_pk_fma_f32 v[4:5], v[6:7], v[22:23], v[4:5] op_sel_hi:[1,0,1]
	v_pk_add_f32 v[2:3], v[2:3], v[38:39]
	v_mov_b32_e32 v21, v5
	s_waitcnt vmcnt(2) lgkmcnt(2)
	v_pk_mul_f32 v[4:5], v[8:9], v[24:25] op_sel:[1,1] op_sel_hi:[0,1]
	v_pk_fma_f32 v[6:7], v[8:9], v[24:25], v[4:5] neg_lo:[0,0,1] neg_hi:[0,0,1]
	v_pk_fma_f32 v[4:5], v[8:9], v[24:25], v[4:5] op_sel_hi:[1,0,1]
	v_pk_add_f32 v[2:3], v[2:3], v[20:21]
	v_mov_b32_e32 v4, v27
	v_mov_b32_e32 v7, v5
	v_pk_mul_f32 v[4:5], v[10:11], v[4:5] op_sel:[1,0] op_sel_hi:[0,0]
	v_pk_add_f32 v[2:3], v[2:3], v[6:7]
	v_pk_fma_f32 v[6:7], v[10:11], v[26:27], v[4:5] neg_lo:[0,0,1] neg_hi:[0,0,1]
	v_pk_fma_f32 v[4:5], v[10:11], v[26:27], v[4:5] op_sel_hi:[1,0,1]
	s_nop 0
	v_mov_b32_e32 v7, v5
	s_waitcnt vmcnt(1) lgkmcnt(1)
	v_pk_mul_f32 v[4:5], v[12:13], v[28:29] op_sel:[1,1] op_sel_hi:[0,1]
	v_pk_add_f32 v[2:3], v[2:3], v[6:7]
	v_pk_fma_f32 v[6:7], v[12:13], v[28:29], v[4:5] neg_lo:[0,0,1] neg_hi:[0,0,1]
	v_pk_fma_f32 v[4:5], v[12:13], v[28:29], v[4:5] op_sel_hi:[1,0,1]
	s_nop 0
	v_mov_b32_e32 v4, v31
	v_mov_b32_e32 v7, v5
	v_pk_mul_f32 v[4:5], v[14:15], v[4:5] op_sel:[1,0] op_sel_hi:[0,0]
	v_pk_add_f32 v[2:3], v[2:3], v[6:7]
	v_pk_fma_f32 v[6:7], v[14:15], v[30:31], v[4:5] neg_lo:[0,0,1] neg_hi:[0,0,1]
	v_pk_fma_f32 v[4:5], v[14:15], v[30:31], v[4:5] op_sel_hi:[1,0,1]
	s_nop 0
	v_mov_b32_e32 v7, v5
	s_waitcnt vmcnt(0) lgkmcnt(0)
	v_pk_mul_f32 v[4:5], v[16:17], v[32:33] op_sel:[1,1] op_sel_hi:[0,1]
	v_pk_add_f32 v[2:3], v[2:3], v[6:7]
	v_pk_fma_f32 v[6:7], v[16:17], v[32:33], v[4:5] neg_lo:[0,0,1] neg_hi:[0,0,1]
	v_pk_fma_f32 v[4:5], v[16:17], v[32:33], v[4:5] op_sel_hi:[1,0,1]
	s_nop 0
	v_mov_b32_e32 v4, v35
	v_mov_b32_e32 v7, v5
	v_pk_mul_f32 v[4:5], v[18:19], v[4:5] op_sel:[1,0] op_sel_hi:[0,0]
	v_pk_add_f32 v[2:3], v[2:3], v[6:7]
	v_pk_fma_f32 v[6:7], v[18:19], v[34:35], v[4:5] neg_lo:[0,0,1] neg_hi:[0,0,1]
	v_pk_fma_f32 v[4:5], v[18:19], v[34:35], v[4:5] op_sel_hi:[1,0,1]
	s_nop 0
	v_mov_b32_e32 v7, v5
	scratch_load_dwordx2 v[4:5], off, off offset:384
	v_pk_add_f32 v[2:3], v[2:3], v[6:7]
	s_waitcnt vmcnt(0)
	v_pk_add_f32 v[2:3], v[4:5], v[2:3] neg_lo:[0,1] neg_hi:[0,1]
	scratch_store_dwordx2 off, v[2:3], off offset:384
	s_and_saveexec_b64 s[0:1], vcc
	s_cbranch_execz .LBB60_285
; %bb.284:
	scratch_load_dwordx2 v[2:3], off, off offset:376
	v_mov_b32_e32 v4, 0
	v_mov_b32_e32 v5, v4
	scratch_store_dwordx2 off, v[4:5], off offset:376
	s_waitcnt vmcnt(1)
	ds_write_b64 v1, v[2:3]
.LBB60_285:
	s_or_b64 exec, exec, s[0:1]
	s_waitcnt lgkmcnt(0)
	; wave barrier
	scratch_load_dwordx4 v[4:7], off, off offset:384
	scratch_load_dwordx4 v[8:11], off, off offset:400
	;; [unrolled: 1-line block ×6, first 2 shown]
	scratch_load_dwordx2 v[52:53], off, off offset:480
	scratch_load_dwordx2 v[54:55], off, off offset:376
	v_mov_b32_e32 v2, 0
	ds_read_b128 v[28:31], v2 offset:880
	ds_read_b128 v[32:35], v2 offset:896
	ds_read_b128 v[36:39], v2 offset:912
	ds_read_b128 v[40:43], v2 offset:928
	ds_read_b128 v[44:47], v2 offset:944
	ds_read_b128 v[48:51], v2 offset:960
	ds_read_b64 v[56:57], v2 offset:976
	v_cmp_lt_u32_e32 vcc, 46, v0
	s_waitcnt vmcnt(7) lgkmcnt(6)
	v_mul_f32_e32 v63, v30, v7
	v_mul_f32_e32 v3, v28, v5
	s_waitcnt vmcnt(5) lgkmcnt(4)
	v_mul_f32_e32 v61, v36, v13
	v_mul_f32_e32 v5, v29, v5
	v_mov_b32_e32 v62, v15
	s_waitcnt vmcnt(2) lgkmcnt(1)
	v_pk_mul_f32 v[72:73], v[48:49], v[24:25] op_sel:[1,1] op_sel_hi:[0,1]
	v_fmac_f32_e32 v63, v31, v6
	v_mul_f32_e32 v7, v31, v7
	v_mul_f32_e32 v13, v37, v13
	v_fmac_f32_e32 v3, v29, v4
	v_fmac_f32_e32 v61, v37, v12
	v_fma_f32 v37, v28, v4, -v5
	v_pk_mul_f32 v[4:5], v[38:39], v[62:63] op_sel:[1,0] op_sel_hi:[0,0]
	v_pk_fma_f32 v[28:29], v[48:49], v[24:25], v[72:73] neg_lo:[0,0,1] neg_hi:[0,0,1]
	v_pk_fma_f32 v[24:25], v[48:49], v[24:25], v[72:73] op_sel_hi:[1,0,1]
	v_mul_f32_e32 v67, v32, v9
	v_mul_f32_e32 v9, v33, v9
	v_fma_f32 v71, v30, v6, -v7
	v_fma_f32 v60, v36, v12, -v13
	v_add_f32_e32 v3, 0, v3
	v_add_f32_e32 v24, 0, v37
	v_pk_fma_f32 v[36:37], v[38:39], v[14:15], v[4:5] neg_lo:[0,0,1] neg_hi:[0,0,1]
	v_pk_fma_f32 v[4:5], v[38:39], v[14:15], v[4:5] op_sel_hi:[1,0,1]
	v_mul_f32_e32 v59, v34, v11
	v_mul_f32_e32 v11, v35, v11
	v_fmac_f32_e32 v67, v33, v8
	v_fma_f32 v75, v32, v8, -v9
	v_add_f32_e32 v3, v3, v63
	v_add_f32_e32 v4, v24, v71
	v_fmac_f32_e32 v59, v35, v10
	v_fma_f32 v58, v34, v10, -v11
	v_mov_b32_e32 v37, v5
	v_add_f32_e32 v5, v3, v67
	v_add_f32_e32 v4, v4, v75
	v_pk_mul_f32 v[64:65], v[40:41], v[16:17] op_sel:[1,1] op_sel_hi:[0,1]
	v_mov_b32_e32 v66, v19
	v_pk_add_f32 v[4:5], v[4:5], v[58:59]
	v_pk_fma_f32 v[6:7], v[40:41], v[16:17], v[64:65] neg_lo:[0,0,1] neg_hi:[0,0,1]
	v_pk_fma_f32 v[8:9], v[40:41], v[16:17], v[64:65] op_sel_hi:[1,0,1]
	v_pk_mul_f32 v[10:11], v[42:43], v[66:67] op_sel:[1,0] op_sel_hi:[0,0]
	v_pk_add_f32 v[4:5], v[4:5], v[60:61]
	v_pk_mul_f32 v[68:69], v[44:45], v[20:21] op_sel:[1,1] op_sel_hi:[0,1]
	v_mov_b32_e32 v70, v23
	v_mov_b32_e32 v7, v9
	v_pk_fma_f32 v[8:9], v[42:43], v[18:19], v[10:11] neg_lo:[0,0,1] neg_hi:[0,0,1]
	v_pk_fma_f32 v[10:11], v[42:43], v[18:19], v[10:11] op_sel_hi:[1,0,1]
	v_pk_add_f32 v[4:5], v[4:5], v[36:37]
	v_pk_fma_f32 v[12:13], v[44:45], v[20:21], v[68:69] neg_lo:[0,0,1] neg_hi:[0,0,1]
	v_pk_fma_f32 v[16:17], v[44:45], v[20:21], v[68:69] op_sel_hi:[1,0,1]
	v_pk_mul_f32 v[20:21], v[46:47], v[70:71] op_sel:[1,0] op_sel_hi:[0,0]
	v_mov_b32_e32 v9, v11
	v_pk_add_f32 v[4:5], v[4:5], v[6:7]
	v_mov_b32_e32 v74, v27
	v_mov_b32_e32 v13, v17
	v_pk_fma_f32 v[14:15], v[46:47], v[22:23], v[20:21] neg_lo:[0,0,1] neg_hi:[0,0,1]
	v_pk_fma_f32 v[16:17], v[46:47], v[22:23], v[20:21] op_sel_hi:[1,0,1]
	v_pk_add_f32 v[4:5], v[4:5], v[8:9]
	v_pk_mul_f32 v[30:31], v[50:51], v[74:75] op_sel:[1,0] op_sel_hi:[0,0]
	v_mov_b32_e32 v15, v17
	v_pk_add_f32 v[4:5], v[4:5], v[12:13]
	s_waitcnt vmcnt(1) lgkmcnt(0)
	v_pk_mul_f32 v[76:77], v[56:57], v[52:53] op_sel:[1,1] op_sel_hi:[0,1]
	v_mov_b32_e32 v29, v25
	v_pk_fma_f32 v[18:19], v[50:51], v[26:27], v[30:31] neg_lo:[0,0,1] neg_hi:[0,0,1]
	v_pk_fma_f32 v[20:21], v[50:51], v[26:27], v[30:31] op_sel_hi:[1,0,1]
	v_pk_add_f32 v[4:5], v[4:5], v[14:15]
	v_pk_fma_f32 v[32:33], v[56:57], v[52:53], v[76:77] neg_lo:[0,0,1] neg_hi:[0,0,1]
	v_pk_fma_f32 v[34:35], v[56:57], v[52:53], v[76:77] op_sel_hi:[1,0,1]
	v_mov_b32_e32 v19, v21
	v_pk_add_f32 v[4:5], v[4:5], v[28:29]
	v_mov_b32_e32 v33, v35
	v_pk_add_f32 v[4:5], v[4:5], v[18:19]
	s_nop 0
	v_pk_add_f32 v[4:5], v[4:5], v[32:33]
	s_waitcnt vmcnt(0)
	v_pk_add_f32 v[4:5], v[54:55], v[4:5] neg_lo:[0,1] neg_hi:[0,1]
	scratch_store_dwordx2 off, v[4:5], off offset:376
	s_and_saveexec_b64 s[0:1], vcc
	s_cbranch_execz .LBB60_287
; %bb.286:
	scratch_load_dwordx2 v[4:5], off, off offset:368
	v_mov_b32_e32 v3, v2
	scratch_store_dwordx2 off, v[2:3], off offset:368
	s_waitcnt vmcnt(1)
	ds_write_b64 v1, v[4:5]
.LBB60_287:
	s_or_b64 exec, exec, s[0:1]
	s_waitcnt lgkmcnt(0)
	; wave barrier
	scratch_load_dwordx4 v[4:7], off, off offset:376
	scratch_load_dwordx4 v[8:11], off, off offset:392
	;; [unrolled: 1-line block ×7, first 2 shown]
	ds_read2_b64 v[32:35], v2 offset0:109 offset1:110
	ds_read2_b64 v[36:39], v2 offset0:111 offset1:112
	;; [unrolled: 1-line block ×6, first 2 shown]
	scratch_load_dwordx2 v[60:61], off, off offset:368
	ds_read2_b64 v[56:59], v2 offset0:121 offset1:122
	v_cmp_lt_u32_e32 vcc, 45, v0
	s_waitcnt vmcnt(7) lgkmcnt(6)
	v_mul_f32_e32 v67, v32, v5
	v_mul_f32_e32 v71, v34, v7
	s_waitcnt vmcnt(6) lgkmcnt(5)
	v_mul_f32_e32 v75, v36, v9
	v_mul_f32_e32 v79, v38, v11
	;; [unrolled: 3-line block ×3, first 2 shown]
	v_mul_f32_e32 v2, v33, v5
	v_mul_f32_e32 v5, v35, v7
	;; [unrolled: 1-line block ×6, first 2 shown]
	s_waitcnt vmcnt(4) lgkmcnt(3)
	v_pk_mul_f32 v[64:65], v[44:45], v[16:17] op_sel:[1,1] op_sel_hi:[0,1]
	v_mov_b32_e32 v66, v19
	s_waitcnt vmcnt(3) lgkmcnt(2)
	v_pk_mul_f32 v[68:69], v[48:49], v[20:21] op_sel:[1,1] op_sel_hi:[0,1]
	v_mov_b32_e32 v70, v23
	s_waitcnt vmcnt(1) lgkmcnt(0)
	v_pk_mul_f32 v[76:77], v[56:57], v[28:29] op_sel:[1,1] op_sel_hi:[0,1]
	v_fmac_f32_e32 v67, v33, v4
	v_fmac_f32_e32 v71, v35, v6
	v_fmac_f32_e32 v75, v37, v8
	v_fmac_f32_e32 v79, v39, v10
	v_fmac_f32_e32 v3, v41, v12
	v_fmac_f32_e32 v63, v43, v14
	v_fma_f32 v37, v32, v4, -v2
	v_fma_f32 v39, v34, v6, -v5
	;; [unrolled: 1-line block ×6, first 2 shown]
	v_pk_fma_f32 v[4:5], v[44:45], v[16:17], v[64:65] neg_lo:[0,0,1] neg_hi:[0,0,1]
	v_pk_fma_f32 v[6:7], v[44:45], v[16:17], v[64:65] op_sel_hi:[1,0,1]
	v_pk_mul_f32 v[8:9], v[46:47], v[66:67] op_sel:[1,0] op_sel_hi:[0,0]
	v_pk_fma_f32 v[10:11], v[48:49], v[20:21], v[68:69] neg_lo:[0,0,1] neg_hi:[0,0,1]
	v_pk_fma_f32 v[12:13], v[48:49], v[20:21], v[68:69] op_sel_hi:[1,0,1]
	v_pk_mul_f32 v[14:15], v[50:51], v[70:71] op_sel:[1,0] op_sel_hi:[0,0]
	v_pk_fma_f32 v[32:33], v[56:57], v[28:29], v[76:77] neg_lo:[0,0,1] neg_hi:[0,0,1]
	v_pk_fma_f32 v[28:29], v[56:57], v[28:29], v[76:77] op_sel_hi:[1,0,1]
	v_add_f32_e32 v37, 0, v37
	v_add_f32_e32 v28, 0, v67
	v_mov_b32_e32 v5, v7
	v_pk_fma_f32 v[6:7], v[46:47], v[18:19], v[8:9] neg_lo:[0,0,1] neg_hi:[0,0,1]
	v_pk_fma_f32 v[8:9], v[46:47], v[18:19], v[8:9] op_sel_hi:[1,0,1]
	v_mov_b32_e32 v11, v13
	v_pk_fma_f32 v[12:13], v[50:51], v[22:23], v[14:15] neg_lo:[0,0,1] neg_hi:[0,0,1]
	v_pk_fma_f32 v[14:15], v[50:51], v[22:23], v[14:15] op_sel_hi:[1,0,1]
	v_add_f32_e32 v8, v28, v71
	v_add_f32_e32 v14, v37, v39
	;; [unrolled: 1-line block ×4, first 2 shown]
	v_mov_b32_e32 v7, v9
	v_add_f32_e32 v9, v8, v79
	v_add_f32_e32 v8, v14, v38
	v_pk_add_f32 v[2:3], v[8:9], v[2:3]
	v_pk_mul_f32 v[72:73], v[52:53], v[24:25] op_sel:[1,1] op_sel_hi:[0,1]
	v_pk_add_f32 v[2:3], v[2:3], v[62:63]
	v_mov_b32_e32 v74, v27
	v_pk_add_f32 v[2:3], v[2:3], v[4:5]
	v_pk_fma_f32 v[16:17], v[52:53], v[24:25], v[72:73] neg_lo:[0,0,1] neg_hi:[0,0,1]
	v_pk_add_f32 v[2:3], v[2:3], v[6:7]
	v_pk_fma_f32 v[20:21], v[52:53], v[24:25], v[72:73] op_sel_hi:[1,0,1]
	v_pk_mul_f32 v[24:25], v[54:55], v[74:75] op_sel:[1,0] op_sel_hi:[0,0]
	v_mov_b32_e32 v13, v15
	v_pk_add_f32 v[2:3], v[2:3], v[10:11]
	v_mov_b32_e32 v78, v31
	v_mov_b32_e32 v17, v21
	v_pk_fma_f32 v[18:19], v[54:55], v[26:27], v[24:25] neg_lo:[0,0,1] neg_hi:[0,0,1]
	v_pk_fma_f32 v[20:21], v[54:55], v[26:27], v[24:25] op_sel_hi:[1,0,1]
	v_pk_add_f32 v[2:3], v[2:3], v[12:13]
	v_pk_mul_f32 v[34:35], v[58:59], v[78:79] op_sel:[1,0] op_sel_hi:[0,0]
	v_mov_b32_e32 v19, v21
	v_pk_add_f32 v[2:3], v[2:3], v[16:17]
	v_mov_b32_e32 v33, v29
	v_pk_fma_f32 v[22:23], v[58:59], v[30:31], v[34:35] neg_lo:[0,0,1] neg_hi:[0,0,1]
	v_pk_fma_f32 v[24:25], v[58:59], v[30:31], v[34:35] op_sel_hi:[1,0,1]
	v_pk_add_f32 v[2:3], v[2:3], v[18:19]
	v_mov_b32_e32 v23, v25
	v_pk_add_f32 v[2:3], v[2:3], v[32:33]
	s_nop 0
	v_pk_add_f32 v[2:3], v[2:3], v[22:23]
	s_waitcnt vmcnt(0)
	v_pk_add_f32 v[2:3], v[60:61], v[2:3] neg_lo:[0,1] neg_hi:[0,1]
	scratch_store_dwordx2 off, v[2:3], off offset:368
	s_and_saveexec_b64 s[0:1], vcc
	s_cbranch_execz .LBB60_289
; %bb.288:
	scratch_load_dwordx2 v[2:3], off, off offset:360
	v_mov_b32_e32 v4, 0
	v_mov_b32_e32 v5, v4
	scratch_store_dwordx2 off, v[4:5], off offset:360
	s_waitcnt vmcnt(1)
	ds_write_b64 v1, v[2:3]
.LBB60_289:
	s_or_b64 exec, exec, s[0:1]
	s_waitcnt lgkmcnt(0)
	; wave barrier
	scratch_load_dwordx4 v[4:7], off, off offset:368
	scratch_load_dwordx4 v[8:11], off, off offset:384
	;; [unrolled: 1-line block ×7, first 2 shown]
	scratch_load_dwordx2 v[60:61], off, off offset:480
	scratch_load_dwordx2 v[62:63], off, off offset:360
	v_mov_b32_e32 v2, 0
	ds_read_b128 v[32:35], v2 offset:864
	ds_read_b128 v[36:39], v2 offset:880
	;; [unrolled: 1-line block ×7, first 2 shown]
	ds_read_b64 v[64:65], v2 offset:976
	v_cmp_lt_u32_e32 vcc, 44, v0
	s_waitcnt vmcnt(8) lgkmcnt(7)
	v_mul_f32_e32 v71, v34, v7
	v_mul_f32_e32 v3, v32, v5
	s_waitcnt vmcnt(7) lgkmcnt(6)
	v_mul_f32_e32 v75, v36, v9
	s_waitcnt vmcnt(6) lgkmcnt(5)
	v_mul_f32_e32 v83, v40, v13
	v_mul_f32_e32 v67, v42, v15
	;; [unrolled: 1-line block ×5, first 2 shown]
	s_waitcnt vmcnt(5)
	v_mov_b32_e32 v70, v19
	s_waitcnt vmcnt(3) lgkmcnt(2)
	v_pk_mul_f32 v[76:77], v[52:53], v[24:25] op_sel:[1,1] op_sel_hi:[0,1]
	s_waitcnt vmcnt(2) lgkmcnt(1)
	v_pk_mul_f32 v[80:81], v[56:57], v[28:29] op_sel:[1,1] op_sel_hi:[0,1]
	v_fmac_f32_e32 v71, v35, v6
	v_mul_f32_e32 v7, v35, v7
	v_mul_f32_e32 v9, v37, v9
	v_fmac_f32_e32 v3, v33, v4
	v_fmac_f32_e32 v75, v37, v8
	;; [unrolled: 1-line block ×4, first 2 shown]
	v_fma_f32 v32, v32, v4, -v5
	v_fma_f32 v37, v40, v12, -v13
	;; [unrolled: 1-line block ×3, first 2 shown]
	v_pk_mul_f32 v[4:5], v[46:47], v[70:71] op_sel:[1,0] op_sel_hi:[0,0]
	v_pk_fma_f32 v[12:13], v[52:53], v[24:25], v[76:77] neg_lo:[0,0,1] neg_hi:[0,0,1]
	v_pk_fma_f32 v[14:15], v[52:53], v[24:25], v[76:77] op_sel_hi:[1,0,1]
	v_pk_fma_f32 v[24:25], v[56:57], v[28:29], v[80:81] op_sel_hi:[1,0,1]
	v_fma_f32 v34, v34, v6, -v7
	v_add_f32_e32 v3, 0, v3
	v_add_f32_e32 v24, 0, v32
	v_pk_fma_f32 v[32:33], v[46:47], v[18:19], v[4:5] neg_lo:[0,0,1] neg_hi:[0,0,1]
	v_pk_fma_f32 v[4:5], v[46:47], v[18:19], v[4:5] op_sel_hi:[1,0,1]
	v_mul_f32_e32 v79, v38, v11
	v_mul_f32_e32 v11, v39, v11
	v_fma_f32 v35, v36, v8, -v9
	v_add_f32_e32 v3, v3, v71
	v_add_f32_e32 v4, v24, v34
	v_fmac_f32_e32 v79, v39, v10
	v_fma_f32 v36, v38, v10, -v11
	v_add_f32_e32 v3, v3, v75
	v_add_f32_e32 v4, v4, v35
	v_add_f32_e32 v3, v3, v79
	v_add_f32_e32 v4, v4, v36
	v_mul_f32_e32 v69, v44, v17
	v_mul_f32_e32 v17, v45, v17
	v_mov_b32_e32 v33, v5
	v_add_f32_e32 v5, v3, v83
	v_add_f32_e32 v4, v4, v37
	v_pk_mul_f32 v[72:73], v[48:49], v[20:21] op_sel:[1,1] op_sel_hi:[0,1]
	v_mov_b32_e32 v74, v23
	v_fmac_f32_e32 v69, v45, v16
	v_fma_f32 v68, v44, v16, -v17
	v_pk_add_f32 v[4:5], v[4:5], v[66:67]
	v_pk_fma_f32 v[6:7], v[48:49], v[20:21], v[72:73] neg_lo:[0,0,1] neg_hi:[0,0,1]
	v_pk_fma_f32 v[8:9], v[48:49], v[20:21], v[72:73] op_sel_hi:[1,0,1]
	v_pk_mul_f32 v[10:11], v[50:51], v[74:75] op_sel:[1,0] op_sel_hi:[0,0]
	v_pk_add_f32 v[4:5], v[4:5], v[68:69]
	v_mov_b32_e32 v78, v27
	v_mov_b32_e32 v7, v9
	v_pk_fma_f32 v[8:9], v[50:51], v[22:23], v[10:11] neg_lo:[0,0,1] neg_hi:[0,0,1]
	v_pk_fma_f32 v[10:11], v[50:51], v[22:23], v[10:11] op_sel_hi:[1,0,1]
	v_pk_add_f32 v[4:5], v[4:5], v[32:33]
	v_pk_mul_f32 v[16:17], v[54:55], v[78:79] op_sel:[1,0] op_sel_hi:[0,0]
	v_mov_b32_e32 v9, v11
	v_pk_add_f32 v[4:5], v[4:5], v[6:7]
	v_mov_b32_e32 v82, v31
	v_mov_b32_e32 v13, v15
	v_pk_fma_f32 v[14:15], v[54:55], v[26:27], v[16:17] neg_lo:[0,0,1] neg_hi:[0,0,1]
	v_pk_fma_f32 v[16:17], v[54:55], v[26:27], v[16:17] op_sel_hi:[1,0,1]
	v_pk_add_f32 v[4:5], v[4:5], v[8:9]
	v_pk_fma_f32 v[20:21], v[56:57], v[28:29], v[80:81] neg_lo:[0,0,1] neg_hi:[0,0,1]
	v_pk_mul_f32 v[28:29], v[58:59], v[82:83] op_sel:[1,0] op_sel_hi:[0,0]
	v_mov_b32_e32 v15, v17
	v_pk_add_f32 v[4:5], v[4:5], v[12:13]
	v_mov_b32_e32 v21, v25
	v_pk_add_f32 v[4:5], v[4:5], v[14:15]
	v_pk_fma_f32 v[6:7], v[58:59], v[30:31], v[28:29] neg_lo:[0,0,1] neg_hi:[0,0,1]
	v_pk_fma_f32 v[8:9], v[58:59], v[30:31], v[28:29] op_sel_hi:[1,0,1]
	v_pk_add_f32 v[4:5], v[4:5], v[20:21]
	v_mov_b32_e32 v7, v9
	v_pk_add_f32 v[4:5], v[4:5], v[6:7]
	s_waitcnt vmcnt(1) lgkmcnt(0)
	v_pk_mul_f32 v[6:7], v[64:65], v[60:61] op_sel:[1,1] op_sel_hi:[0,1]
	v_pk_fma_f32 v[8:9], v[64:65], v[60:61], v[6:7] neg_lo:[0,0,1] neg_hi:[0,0,1]
	v_pk_fma_f32 v[6:7], v[64:65], v[60:61], v[6:7] op_sel_hi:[1,0,1]
	s_nop 0
	v_mov_b32_e32 v9, v7
	v_pk_add_f32 v[4:5], v[4:5], v[8:9]
	s_waitcnt vmcnt(0)
	v_pk_add_f32 v[4:5], v[62:63], v[4:5] neg_lo:[0,1] neg_hi:[0,1]
	scratch_store_dwordx2 off, v[4:5], off offset:360
	s_and_saveexec_b64 s[0:1], vcc
	s_cbranch_execz .LBB60_291
; %bb.290:
	scratch_load_dwordx2 v[4:5], off, off offset:352
	v_mov_b32_e32 v3, v2
	scratch_store_dwordx2 off, v[2:3], off offset:352
	s_waitcnt vmcnt(1)
	ds_write_b64 v1, v[4:5]
.LBB60_291:
	s_or_b64 exec, exec, s[0:1]
	s_waitcnt lgkmcnt(0)
	; wave barrier
	scratch_load_dwordx4 v[4:7], off, off offset:360
	scratch_load_dwordx4 v[8:11], off, off offset:376
	scratch_load_dwordx4 v[12:15], off, off offset:392
	scratch_load_dwordx4 v[16:19], off, off offset:408
	scratch_load_dwordx4 v[20:23], off, off offset:424
	scratch_load_dwordx4 v[24:27], off, off offset:440
	scratch_load_dwordx4 v[28:31], off, off offset:456
	ds_read2_b64 v[32:35], v2 offset0:107 offset1:108
	ds_read2_b64 v[36:39], v2 offset0:109 offset1:110
	;; [unrolled: 1-line block ×4, first 2 shown]
	scratch_load_dwordx4 v[48:51], off, off offset:472
	ds_read2_b64 v[52:55], v2 offset0:115 offset1:116
	ds_read2_b64 v[56:59], v2 offset0:117 offset1:118
	;; [unrolled: 1-line block ×4, first 2 shown]
	scratch_load_dwordx2 v[2:3], off, off offset:352
	v_cmp_lt_u32_e32 vcc, 43, v0
	s_waitcnt vmcnt(8) lgkmcnt(7)
	v_mul_f32_e32 v75, v32, v5
	v_mul_f32_e32 v79, v34, v7
	s_waitcnt vmcnt(7) lgkmcnt(6)
	v_mul_f32_e32 v83, v36, v9
	v_mul_f32_e32 v84, v38, v11
	;; [unrolled: 3-line block ×3, first 2 shown]
	v_mul_f32_e32 v5, v33, v5
	v_mul_f32_e32 v7, v35, v7
	;; [unrolled: 1-line block ×6, first 2 shown]
	s_waitcnt vmcnt(4) lgkmcnt(3)
	v_pk_mul_f32 v[72:73], v[52:53], v[20:21] op_sel:[1,1] op_sel_hi:[0,1]
	v_mov_b32_e32 v74, v23
	s_waitcnt vmcnt(3) lgkmcnt(2)
	v_pk_mul_f32 v[76:77], v[56:57], v[24:25] op_sel:[1,1] op_sel_hi:[0,1]
	v_mov_b32_e32 v78, v27
	v_fmac_f32_e32 v75, v33, v4
	v_fmac_f32_e32 v79, v35, v6
	v_fmac_f32_e32 v83, v37, v8
	v_fmac_f32_e32 v84, v39, v10
	v_fmac_f32_e32 v85, v41, v12
	v_fmac_f32_e32 v86, v43, v14
	v_fma_f32 v32, v32, v4, -v5
	v_fma_f32 v33, v34, v6, -v7
	;; [unrolled: 1-line block ×6, first 2 shown]
	v_pk_fma_f32 v[4:5], v[52:53], v[20:21], v[72:73] neg_lo:[0,0,1] neg_hi:[0,0,1]
	v_pk_fma_f32 v[6:7], v[52:53], v[20:21], v[72:73] op_sel_hi:[1,0,1]
	v_pk_mul_f32 v[8:9], v[54:55], v[74:75] op_sel:[1,0] op_sel_hi:[0,0]
	v_pk_fma_f32 v[10:11], v[56:57], v[24:25], v[76:77] neg_lo:[0,0,1] neg_hi:[0,0,1]
	v_pk_fma_f32 v[12:13], v[56:57], v[24:25], v[76:77] op_sel_hi:[1,0,1]
	v_pk_mul_f32 v[14:15], v[58:59], v[78:79] op_sel:[1,0] op_sel_hi:[0,0]
	v_add_f32_e32 v24, 0, v75
	v_add_f32_e32 v25, 0, v32
	v_mov_b32_e32 v5, v7
	v_pk_fma_f32 v[6:7], v[54:55], v[22:23], v[8:9] neg_lo:[0,0,1] neg_hi:[0,0,1]
	v_pk_fma_f32 v[8:9], v[54:55], v[22:23], v[8:9] op_sel_hi:[1,0,1]
	v_mov_b32_e32 v11, v13
	v_pk_fma_f32 v[12:13], v[58:59], v[26:27], v[14:15] neg_lo:[0,0,1] neg_hi:[0,0,1]
	v_pk_fma_f32 v[14:15], v[58:59], v[26:27], v[14:15] op_sel_hi:[1,0,1]
	v_add_f32_e32 v8, v24, v79
	v_add_f32_e32 v14, v25, v33
	v_mov_b32_e32 v7, v9
	v_add_f32_e32 v8, v8, v83
	v_add_f32_e32 v9, v14, v34
	v_add_f32_e32 v8, v8, v84
	v_add_f32_e32 v9, v9, v35
	v_mul_f32_e32 v69, v44, v17
	v_mul_f32_e32 v17, v45, v17
	v_add_f32_e32 v8, v8, v85
	v_add_f32_e32 v14, v9, v36
	v_mul_f32_e32 v71, v46, v19
	v_mul_f32_e32 v19, v47, v19
	v_fmac_f32_e32 v69, v45, v16
	v_fma_f32 v68, v44, v16, -v17
	v_add_f32_e32 v9, v8, v86
	v_add_f32_e32 v8, v14, v37
	v_fmac_f32_e32 v71, v47, v18
	v_fma_f32 v70, v46, v18, -v19
	v_pk_add_f32 v[8:9], v[8:9], v[68:69]
	s_waitcnt vmcnt(2) lgkmcnt(1)
	v_pk_mul_f32 v[80:81], v[60:61], v[28:29] op_sel:[1,1] op_sel_hi:[0,1]
	v_mov_b32_e32 v82, v31
	v_pk_add_f32 v[8:9], v[8:9], v[70:71]
	v_pk_fma_f32 v[16:17], v[60:61], v[28:29], v[80:81] neg_lo:[0,0,1] neg_hi:[0,0,1]
	v_pk_fma_f32 v[18:19], v[60:61], v[28:29], v[80:81] op_sel_hi:[1,0,1]
	v_pk_mul_f32 v[20:21], v[62:63], v[82:83] op_sel:[1,0] op_sel_hi:[0,0]
	v_pk_add_f32 v[4:5], v[8:9], v[4:5]
	v_mov_b32_e32 v17, v19
	v_pk_fma_f32 v[18:19], v[62:63], v[30:31], v[20:21] neg_lo:[0,0,1] neg_hi:[0,0,1]
	v_pk_add_f32 v[4:5], v[4:5], v[6:7]
	v_pk_fma_f32 v[6:7], v[62:63], v[30:31], v[20:21] op_sel_hi:[1,0,1]
	v_mov_b32_e32 v13, v15
	v_pk_add_f32 v[4:5], v[4:5], v[10:11]
	v_mov_b32_e32 v19, v7
	s_waitcnt vmcnt(1) lgkmcnt(0)
	v_pk_mul_f32 v[6:7], v[64:65], v[48:49] op_sel:[1,1] op_sel_hi:[0,1]
	v_pk_add_f32 v[4:5], v[4:5], v[12:13]
	v_pk_fma_f32 v[8:9], v[64:65], v[48:49], v[6:7] neg_lo:[0,0,1] neg_hi:[0,0,1]
	v_pk_fma_f32 v[6:7], v[64:65], v[48:49], v[6:7] op_sel_hi:[1,0,1]
	v_pk_add_f32 v[4:5], v[4:5], v[16:17]
	v_mov_b32_e32 v6, v51
	v_pk_add_f32 v[4:5], v[4:5], v[18:19]
	v_mov_b32_e32 v9, v7
	v_pk_mul_f32 v[6:7], v[66:67], v[6:7] op_sel:[1,0] op_sel_hi:[0,0]
	v_pk_add_f32 v[4:5], v[4:5], v[8:9]
	v_pk_fma_f32 v[8:9], v[66:67], v[50:51], v[6:7] neg_lo:[0,0,1] neg_hi:[0,0,1]
	v_pk_fma_f32 v[6:7], v[66:67], v[50:51], v[6:7] op_sel_hi:[1,0,1]
	s_nop 0
	v_mov_b32_e32 v9, v7
	v_pk_add_f32 v[4:5], v[4:5], v[8:9]
	s_waitcnt vmcnt(0)
	v_pk_add_f32 v[2:3], v[2:3], v[4:5] neg_lo:[0,1] neg_hi:[0,1]
	scratch_store_dwordx2 off, v[2:3], off offset:352
	s_and_saveexec_b64 s[0:1], vcc
	s_cbranch_execz .LBB60_293
; %bb.292:
	scratch_load_dwordx2 v[2:3], off, off offset:344
	v_mov_b32_e32 v4, 0
	v_mov_b32_e32 v5, v4
	scratch_store_dwordx2 off, v[4:5], off offset:344
	s_waitcnt vmcnt(1)
	ds_write_b64 v1, v[2:3]
.LBB60_293:
	s_or_b64 exec, exec, s[0:1]
	s_waitcnt lgkmcnt(0)
	; wave barrier
	scratch_load_dwordx4 v[4:7], off, off offset:352
	scratch_load_dwordx4 v[8:11], off, off offset:368
	;; [unrolled: 1-line block ×8, first 2 shown]
	scratch_load_dwordx2 v[68:69], off, off offset:480
	scratch_load_dwordx2 v[70:71], off, off offset:344
	v_mov_b32_e32 v2, 0
	ds_read_b128 v[36:39], v2 offset:848
	ds_read_b128 v[40:43], v2 offset:864
	;; [unrolled: 1-line block ×8, first 2 shown]
	ds_read_b64 v[72:73], v2 offset:976
	v_cmp_lt_u32_e32 vcc, 42, v0
	s_waitcnt vmcnt(9) lgkmcnt(8)
	v_mul_f32_e32 v79, v38, v7
	v_mul_f32_e32 v3, v36, v5
	s_waitcnt vmcnt(8) lgkmcnt(7)
	v_mul_f32_e32 v83, v40, v9
	s_waitcnt vmcnt(7) lgkmcnt(6)
	v_mul_f32_e32 v87, v44, v13
	v_mul_f32_e32 v5, v37, v5
	;; [unrolled: 1-line block ×5, first 2 shown]
	s_waitcnt vmcnt(5)
	v_mov_b32_e32 v78, v23
	s_waitcnt vmcnt(3) lgkmcnt(2)
	v_pk_mul_f32 v[84:85], v[60:61], v[28:29] op_sel:[1,1] op_sel_hi:[0,1]
	v_fmac_f32_e32 v79, v39, v6
	v_mul_f32_e32 v86, v42, v11
	v_mul_f32_e32 v89, v48, v17
	;; [unrolled: 1-line block ×4, first 2 shown]
	v_fmac_f32_e32 v3, v37, v4
	v_fmac_f32_e32 v87, v45, v12
	v_fma_f32 v36, v36, v4, -v5
	v_fma_f32 v37, v38, v6, -v7
	;; [unrolled: 1-line block ×4, first 2 shown]
	v_pk_mul_f32 v[4:5], v[54:55], v[78:79] op_sel:[1,0] op_sel_hi:[0,0]
	v_pk_fma_f32 v[12:13], v[60:61], v[28:29], v[84:85] neg_lo:[0,0,1] neg_hi:[0,0,1]
	v_fmac_f32_e32 v89, v49, v16
	v_fma_f32 v39, v42, v10, -v11
	v_fma_f32 v42, v48, v16, -v17
	v_add_f32_e32 v3, 0, v3
	v_add_f32_e32 v13, 0, v36
	v_pk_fma_f32 v[16:17], v[54:55], v[22:23], v[4:5] neg_lo:[0,0,1] neg_hi:[0,0,1]
	v_pk_fma_f32 v[4:5], v[54:55], v[22:23], v[4:5] op_sel_hi:[1,0,1]
	v_fmac_f32_e32 v83, v41, v8
	v_add_f32_e32 v3, v3, v79
	v_add_f32_e32 v4, v13, v37
	v_fmac_f32_e32 v86, v43, v10
	v_add_f32_e32 v3, v3, v83
	v_add_f32_e32 v4, v4, v38
	v_mul_f32_e32 v88, v46, v15
	v_mul_f32_e32 v15, v47, v15
	v_add_f32_e32 v3, v3, v86
	v_add_f32_e32 v4, v4, v39
	v_fmac_f32_e32 v88, v47, v14
	v_fma_f32 v41, v46, v14, -v15
	v_add_f32_e32 v3, v3, v87
	v_add_f32_e32 v4, v4, v40
	v_mul_f32_e32 v75, v50, v19
	v_mul_f32_e32 v19, v51, v19
	v_add_f32_e32 v3, v3, v88
	v_add_f32_e32 v4, v4, v41
	v_mul_f32_e32 v77, v52, v21
	v_mul_f32_e32 v21, v53, v21
	v_fmac_f32_e32 v75, v51, v18
	v_fma_f32 v74, v50, v18, -v19
	v_mov_b32_e32 v17, v5
	v_add_f32_e32 v5, v3, v89
	v_add_f32_e32 v4, v4, v42
	v_pk_mul_f32 v[80:81], v[56:57], v[24:25] op_sel:[1,1] op_sel_hi:[0,1]
	v_fmac_f32_e32 v77, v53, v20
	v_fma_f32 v76, v52, v20, -v21
	v_pk_add_f32 v[4:5], v[4:5], v[74:75]
	v_mov_b32_e32 v82, v27
	v_pk_fma_f32 v[6:7], v[56:57], v[24:25], v[80:81] neg_lo:[0,0,1] neg_hi:[0,0,1]
	v_pk_fma_f32 v[8:9], v[56:57], v[24:25], v[80:81] op_sel_hi:[1,0,1]
	v_pk_add_f32 v[4:5], v[4:5], v[76:77]
	v_pk_mul_f32 v[10:11], v[58:59], v[82:83] op_sel:[1,0] op_sel_hi:[0,0]
	v_mov_b32_e32 v7, v9
	v_pk_add_f32 v[4:5], v[4:5], v[16:17]
	v_pk_fma_f32 v[8:9], v[58:59], v[26:27], v[10:11] neg_lo:[0,0,1] neg_hi:[0,0,1]
	v_pk_fma_f32 v[10:11], v[58:59], v[26:27], v[10:11] op_sel_hi:[1,0,1]
	v_pk_add_f32 v[4:5], v[4:5], v[6:7]
	v_mov_b32_e32 v6, v31
	v_pk_fma_f32 v[14:15], v[60:61], v[28:29], v[84:85] op_sel_hi:[1,0,1]
	v_mov_b32_e32 v9, v11
	v_pk_mul_f32 v[6:7], v[62:63], v[6:7] op_sel:[1,0] op_sel_hi:[0,0]
	v_pk_add_f32 v[4:5], v[4:5], v[8:9]
	v_mov_b32_e32 v13, v15
	v_pk_fma_f32 v[8:9], v[62:63], v[30:31], v[6:7] neg_lo:[0,0,1] neg_hi:[0,0,1]
	v_pk_fma_f32 v[6:7], v[62:63], v[30:31], v[6:7] op_sel_hi:[1,0,1]
	v_pk_add_f32 v[4:5], v[4:5], v[12:13]
	v_mov_b32_e32 v9, v7
	s_waitcnt vmcnt(2) lgkmcnt(1)
	v_pk_mul_f32 v[6:7], v[64:65], v[32:33] op_sel:[1,1] op_sel_hi:[0,1]
	v_pk_add_f32 v[4:5], v[4:5], v[8:9]
	v_pk_fma_f32 v[8:9], v[64:65], v[32:33], v[6:7] neg_lo:[0,0,1] neg_hi:[0,0,1]
	v_pk_fma_f32 v[6:7], v[64:65], v[32:33], v[6:7] op_sel_hi:[1,0,1]
	s_nop 0
	v_mov_b32_e32 v6, v35
	v_mov_b32_e32 v9, v7
	v_pk_mul_f32 v[6:7], v[66:67], v[6:7] op_sel:[1,0] op_sel_hi:[0,0]
	v_pk_add_f32 v[4:5], v[4:5], v[8:9]
	v_pk_fma_f32 v[8:9], v[66:67], v[34:35], v[6:7] neg_lo:[0,0,1] neg_hi:[0,0,1]
	v_pk_fma_f32 v[6:7], v[66:67], v[34:35], v[6:7] op_sel_hi:[1,0,1]
	s_nop 0
	v_mov_b32_e32 v9, v7
	s_waitcnt vmcnt(1) lgkmcnt(0)
	v_pk_mul_f32 v[6:7], v[72:73], v[68:69] op_sel:[1,1] op_sel_hi:[0,1]
	v_pk_add_f32 v[4:5], v[4:5], v[8:9]
	v_pk_fma_f32 v[8:9], v[72:73], v[68:69], v[6:7] neg_lo:[0,0,1] neg_hi:[0,0,1]
	v_pk_fma_f32 v[6:7], v[72:73], v[68:69], v[6:7] op_sel_hi:[1,0,1]
	s_nop 0
	v_mov_b32_e32 v9, v7
	v_pk_add_f32 v[4:5], v[4:5], v[8:9]
	s_waitcnt vmcnt(0)
	v_pk_add_f32 v[4:5], v[70:71], v[4:5] neg_lo:[0,1] neg_hi:[0,1]
	scratch_store_dwordx2 off, v[4:5], off offset:344
	s_and_saveexec_b64 s[0:1], vcc
	s_cbranch_execz .LBB60_295
; %bb.294:
	scratch_load_dwordx2 v[4:5], off, off offset:336
	v_mov_b32_e32 v3, v2
	scratch_store_dwordx2 off, v[2:3], off offset:336
	s_waitcnt vmcnt(1)
	ds_write_b64 v1, v[4:5]
.LBB60_295:
	s_or_b64 exec, exec, s[0:1]
	s_waitcnt lgkmcnt(0)
	; wave barrier
	scratch_load_dwordx4 v[4:7], off, off offset:344
	scratch_load_dwordx4 v[8:11], off, off offset:360
	;; [unrolled: 1-line block ×7, first 2 shown]
	ds_read2_b64 v[32:35], v2 offset0:105 offset1:106
	ds_read2_b64 v[36:39], v2 offset0:107 offset1:108
	;; [unrolled: 1-line block ×4, first 2 shown]
	scratch_load_dwordx4 v[48:51], off, off offset:456
	scratch_load_dwordx4 v[52:55], off, off offset:472
	ds_read2_b64 v[56:59], v2 offset0:113 offset1:114
	ds_read2_b64 v[60:63], v2 offset0:115 offset1:116
	;; [unrolled: 1-line block ×5, first 2 shown]
	scratch_load_dwordx2 v[2:3], off, off offset:336
	v_cmp_lt_u32_e32 vcc, 41, v0
	s_waitcnt vmcnt(9) lgkmcnt(8)
	v_mul_f32_e32 v83, v32, v5
	v_mul_f32_e32 v86, v34, v7
	s_waitcnt vmcnt(8) lgkmcnt(7)
	v_mul_f32_e32 v87, v36, v9
	s_waitcnt vmcnt(7) lgkmcnt(6)
	v_mul_f32_e32 v89, v40, v13
	v_mul_f32_e32 v5, v33, v5
	;; [unrolled: 1-line block ×5, first 2 shown]
	s_waitcnt vmcnt(4) lgkmcnt(3)
	v_pk_mul_f32 v[80:81], v[60:61], v[24:25] op_sel:[1,1] op_sel_hi:[0,1]
	v_mov_b32_e32 v82, v27
	s_waitcnt vmcnt(3) lgkmcnt(2)
	v_pk_mul_f32 v[84:85], v[64:65], v[28:29] op_sel:[1,1] op_sel_hi:[0,1]
	v_fmac_f32_e32 v83, v33, v4
	v_mul_f32_e32 v90, v42, v15
	v_mul_f32_e32 v91, v44, v17
	;; [unrolled: 1-line block ×4, first 2 shown]
	v_fmac_f32_e32 v86, v35, v6
	v_fmac_f32_e32 v87, v37, v8
	;; [unrolled: 1-line block ×3, first 2 shown]
	v_fma_f32 v32, v32, v4, -v5
	v_fma_f32 v33, v34, v6, -v7
	;; [unrolled: 1-line block ×4, first 2 shown]
	v_pk_fma_f32 v[4:5], v[60:61], v[24:25], v[80:81] neg_lo:[0,0,1] neg_hi:[0,0,1]
	v_pk_fma_f32 v[6:7], v[60:61], v[24:25], v[80:81] op_sel_hi:[1,0,1]
	v_pk_mul_f32 v[8:9], v[62:63], v[82:83] op_sel:[1,0] op_sel_hi:[0,0]
	v_pk_fma_f32 v[12:13], v[64:65], v[28:29], v[84:85] op_sel_hi:[1,0,1]
	v_fmac_f32_e32 v90, v43, v14
	v_fma_f32 v14, v42, v14, -v15
	v_fma_f32 v15, v44, v16, -v17
	v_add_f32_e32 v12, 0, v83
	v_add_f32_e32 v17, 0, v32
	v_mov_b32_e32 v5, v7
	v_pk_fma_f32 v[6:7], v[62:63], v[26:27], v[8:9] neg_lo:[0,0,1] neg_hi:[0,0,1]
	v_pk_fma_f32 v[8:9], v[62:63], v[26:27], v[8:9] op_sel_hi:[1,0,1]
	v_mul_f32_e32 v88, v38, v11
	v_mul_f32_e32 v11, v39, v11
	v_add_f32_e32 v8, v12, v86
	v_add_f32_e32 v12, v17, v33
	v_fmac_f32_e32 v88, v39, v10
	v_fma_f32 v35, v38, v10, -v11
	v_mov_b32_e32 v7, v9
	v_add_f32_e32 v8, v8, v87
	v_add_f32_e32 v9, v12, v34
	;; [unrolled: 1-line block ×6, first 2 shown]
	v_mul_f32_e32 v92, v46, v19
	v_mul_f32_e32 v19, v47, v19
	v_fmac_f32_e32 v91, v45, v16
	v_add_f32_e32 v8, v8, v90
	v_add_f32_e32 v9, v9, v14
	v_mul_f32_e32 v77, v56, v21
	v_mul_f32_e32 v21, v57, v21
	v_fmac_f32_e32 v92, v47, v18
	v_fma_f32 v16, v46, v18, -v19
	v_add_f32_e32 v8, v8, v91
	v_add_f32_e32 v12, v9, v15
	v_mul_f32_e32 v79, v58, v23
	v_mul_f32_e32 v23, v59, v23
	v_fmac_f32_e32 v77, v57, v20
	v_fma_f32 v76, v56, v20, -v21
	v_add_f32_e32 v9, v8, v92
	v_add_f32_e32 v8, v12, v16
	v_fmac_f32_e32 v79, v59, v22
	v_fma_f32 v78, v58, v22, -v23
	v_pk_add_f32 v[8:9], v[8:9], v[76:77]
	v_pk_fma_f32 v[10:11], v[64:65], v[28:29], v[84:85] neg_lo:[0,0,1] neg_hi:[0,0,1]
	v_pk_add_f32 v[8:9], v[8:9], v[78:79]
	v_mov_b32_e32 v11, v13
	v_pk_add_f32 v[4:5], v[8:9], v[4:5]
	s_nop 0
	v_pk_add_f32 v[4:5], v[4:5], v[6:7]
	v_mov_b32_e32 v6, v31
	v_pk_mul_f32 v[6:7], v[66:67], v[6:7] op_sel:[1,0] op_sel_hi:[0,0]
	v_pk_fma_f32 v[8:9], v[66:67], v[30:31], v[6:7] neg_lo:[0,0,1] neg_hi:[0,0,1]
	v_pk_fma_f32 v[6:7], v[66:67], v[30:31], v[6:7] op_sel_hi:[1,0,1]
	v_pk_add_f32 v[4:5], v[4:5], v[10:11]
	v_mov_b32_e32 v9, v7
	s_waitcnt vmcnt(2) lgkmcnt(1)
	v_pk_mul_f32 v[6:7], v[68:69], v[48:49] op_sel:[1,1] op_sel_hi:[0,1]
	v_pk_add_f32 v[4:5], v[4:5], v[8:9]
	v_pk_fma_f32 v[8:9], v[68:69], v[48:49], v[6:7] neg_lo:[0,0,1] neg_hi:[0,0,1]
	v_pk_fma_f32 v[6:7], v[68:69], v[48:49], v[6:7] op_sel_hi:[1,0,1]
	s_nop 0
	v_mov_b32_e32 v6, v51
	v_mov_b32_e32 v9, v7
	v_pk_mul_f32 v[6:7], v[70:71], v[6:7] op_sel:[1,0] op_sel_hi:[0,0]
	v_pk_add_f32 v[4:5], v[4:5], v[8:9]
	v_pk_fma_f32 v[8:9], v[70:71], v[50:51], v[6:7] neg_lo:[0,0,1] neg_hi:[0,0,1]
	v_pk_fma_f32 v[6:7], v[70:71], v[50:51], v[6:7] op_sel_hi:[1,0,1]
	s_nop 0
	v_mov_b32_e32 v9, v7
	s_waitcnt vmcnt(1) lgkmcnt(0)
	v_pk_mul_f32 v[6:7], v[72:73], v[52:53] op_sel:[1,1] op_sel_hi:[0,1]
	v_pk_add_f32 v[4:5], v[4:5], v[8:9]
	v_pk_fma_f32 v[8:9], v[72:73], v[52:53], v[6:7] neg_lo:[0,0,1] neg_hi:[0,0,1]
	v_pk_fma_f32 v[6:7], v[72:73], v[52:53], v[6:7] op_sel_hi:[1,0,1]
	s_nop 0
	v_mov_b32_e32 v6, v55
	v_mov_b32_e32 v9, v7
	v_pk_mul_f32 v[6:7], v[74:75], v[6:7] op_sel:[1,0] op_sel_hi:[0,0]
	v_pk_add_f32 v[4:5], v[4:5], v[8:9]
	v_pk_fma_f32 v[8:9], v[74:75], v[54:55], v[6:7] neg_lo:[0,0,1] neg_hi:[0,0,1]
	v_pk_fma_f32 v[6:7], v[74:75], v[54:55], v[6:7] op_sel_hi:[1,0,1]
	s_nop 0
	v_mov_b32_e32 v9, v7
	v_pk_add_f32 v[4:5], v[4:5], v[8:9]
	s_waitcnt vmcnt(0)
	v_pk_add_f32 v[2:3], v[2:3], v[4:5] neg_lo:[0,1] neg_hi:[0,1]
	scratch_store_dwordx2 off, v[2:3], off offset:336
	s_and_saveexec_b64 s[0:1], vcc
	s_cbranch_execz .LBB60_297
; %bb.296:
	scratch_load_dwordx2 v[2:3], off, off offset:328
	v_mov_b32_e32 v4, 0
	v_mov_b32_e32 v5, v4
	scratch_store_dwordx2 off, v[4:5], off offset:328
	s_waitcnt vmcnt(1)
	ds_write_b64 v1, v[2:3]
.LBB60_297:
	s_or_b64 exec, exec, s[0:1]
	s_waitcnt lgkmcnt(0)
	; wave barrier
	scratch_load_dwordx4 v[4:7], off, off offset:336
	scratch_load_dwordx4 v[8:11], off, off offset:352
	;; [unrolled: 1-line block ×9, first 2 shown]
	scratch_load_dwordx2 v[76:77], off, off offset:480
	scratch_load_dwordx2 v[78:79], off, off offset:328
	v_mov_b32_e32 v2, 0
	ds_read_b128 v[40:43], v2 offset:832
	ds_read_b128 v[44:47], v2 offset:848
	;; [unrolled: 1-line block ×9, first 2 shown]
	ds_read_b64 v[80:81], v2 offset:976
	v_cmp_lt_u32_e32 vcc, 40, v0
	s_waitcnt vmcnt(10) lgkmcnt(9)
	v_mul_f32_e32 v87, v42, v7
	v_mul_f32_e32 v3, v40, v5
	;; [unrolled: 1-line block ×3, first 2 shown]
	v_fmac_f32_e32 v87, v43, v6
	s_waitcnt vmcnt(9) lgkmcnt(8)
	v_mul_f32_e32 v88, v44, v9
	s_waitcnt vmcnt(5)
	v_mov_b32_e32 v86, v27
	v_mul_f32_e32 v89, v46, v11
	s_waitcnt lgkmcnt(7)
	v_mul_f32_e32 v91, v50, v15
	v_mul_f32_e32 v7, v43, v7
	;; [unrolled: 1-line block ×5, first 2 shown]
	v_fmac_f32_e32 v3, v41, v4
	v_fma_f32 v40, v40, v4, -v5
	s_waitcnt lgkmcnt(4)
	v_pk_mul_f32 v[4:5], v[62:63], v[86:87] op_sel:[1,0] op_sel_hi:[0,0]
	v_fmac_f32_e32 v88, v45, v8
	v_fma_f32 v41, v42, v6, -v7
	v_fma_f32 v8, v44, v8, -v9
	;; [unrolled: 1-line block ×4, first 2 shown]
	v_add_f32_e32 v3, 0, v3
	v_add_f32_e32 v15, 0, v40
	v_pk_fma_f32 v[6:7], v[62:63], v[26:27], v[4:5] neg_lo:[0,0,1] neg_hi:[0,0,1]
	v_pk_fma_f32 v[4:5], v[62:63], v[26:27], v[4:5] op_sel_hi:[1,0,1]
	v_add_f32_e32 v3, v3, v87
	v_add_f32_e32 v4, v15, v41
	v_mul_f32_e32 v90, v48, v13
	v_mul_f32_e32 v13, v49, v13
	v_fmac_f32_e32 v89, v47, v10
	v_add_f32_e32 v3, v3, v88
	v_add_f32_e32 v4, v4, v8
	v_fmac_f32_e32 v90, v49, v12
	v_fma_f32 v10, v48, v12, -v13
	v_add_f32_e32 v3, v3, v89
	v_add_f32_e32 v4, v4, v9
	v_mul_f32_e32 v92, v52, v17
	v_mul_f32_e32 v17, v53, v17
	v_fmac_f32_e32 v91, v51, v14
	v_add_f32_e32 v3, v3, v90
	v_add_f32_e32 v4, v4, v10
	v_mul_f32_e32 v93, v54, v19
	v_mul_f32_e32 v19, v55, v19
	v_fmac_f32_e32 v92, v53, v16
	v_fma_f32 v12, v52, v16, -v17
	v_add_f32_e32 v3, v3, v91
	v_add_f32_e32 v4, v4, v11
	v_mul_f32_e32 v94, v56, v21
	v_mul_f32_e32 v21, v57, v21
	v_fmac_f32_e32 v93, v55, v18
	v_fma_f32 v13, v54, v18, -v19
	;; [unrolled: 6-line block ×4, first 2 shown]
	v_mov_b32_e32 v7, v5
	v_add_f32_e32 v5, v3, v94
	v_add_f32_e32 v4, v4, v14
	v_fmac_f32_e32 v85, v61, v24
	v_fma_f32 v84, v60, v24, -v25
	v_pk_add_f32 v[4:5], v[4:5], v[82:83]
	s_nop 0
	v_pk_add_f32 v[4:5], v[4:5], v[84:85]
	s_nop 0
	v_pk_add_f32 v[4:5], v[4:5], v[6:7]
	s_waitcnt vmcnt(4) lgkmcnt(3)
	v_pk_mul_f32 v[6:7], v[64:65], v[28:29] op_sel:[1,1] op_sel_hi:[0,1]
	v_pk_fma_f32 v[8:9], v[64:65], v[28:29], v[6:7] neg_lo:[0,0,1] neg_hi:[0,0,1]
	v_pk_fma_f32 v[6:7], v[64:65], v[28:29], v[6:7] op_sel_hi:[1,0,1]
	s_nop 0
	v_mov_b32_e32 v6, v31
	v_mov_b32_e32 v9, v7
	v_pk_mul_f32 v[6:7], v[66:67], v[6:7] op_sel:[1,0] op_sel_hi:[0,0]
	v_pk_add_f32 v[4:5], v[4:5], v[8:9]
	v_pk_fma_f32 v[8:9], v[66:67], v[30:31], v[6:7] neg_lo:[0,0,1] neg_hi:[0,0,1]
	v_pk_fma_f32 v[6:7], v[66:67], v[30:31], v[6:7] op_sel_hi:[1,0,1]
	s_nop 0
	v_mov_b32_e32 v9, v7
	s_waitcnt vmcnt(3) lgkmcnt(2)
	v_pk_mul_f32 v[6:7], v[68:69], v[32:33] op_sel:[1,1] op_sel_hi:[0,1]
	v_pk_add_f32 v[4:5], v[4:5], v[8:9]
	v_pk_fma_f32 v[8:9], v[68:69], v[32:33], v[6:7] neg_lo:[0,0,1] neg_hi:[0,0,1]
	v_pk_fma_f32 v[6:7], v[68:69], v[32:33], v[6:7] op_sel_hi:[1,0,1]
	s_nop 0
	v_mov_b32_e32 v6, v35
	v_mov_b32_e32 v9, v7
	v_pk_mul_f32 v[6:7], v[70:71], v[6:7] op_sel:[1,0] op_sel_hi:[0,0]
	v_pk_add_f32 v[4:5], v[4:5], v[8:9]
	v_pk_fma_f32 v[8:9], v[70:71], v[34:35], v[6:7] neg_lo:[0,0,1] neg_hi:[0,0,1]
	v_pk_fma_f32 v[6:7], v[70:71], v[34:35], v[6:7] op_sel_hi:[1,0,1]
	s_nop 0
	v_mov_b32_e32 v9, v7
	s_waitcnt vmcnt(2) lgkmcnt(1)
	v_pk_mul_f32 v[6:7], v[72:73], v[36:37] op_sel:[1,1] op_sel_hi:[0,1]
	v_pk_add_f32 v[4:5], v[4:5], v[8:9]
	;; [unrolled: 14-line block ×3, first 2 shown]
	v_pk_fma_f32 v[8:9], v[80:81], v[76:77], v[6:7] neg_lo:[0,0,1] neg_hi:[0,0,1]
	v_pk_fma_f32 v[6:7], v[80:81], v[76:77], v[6:7] op_sel_hi:[1,0,1]
	s_nop 0
	v_mov_b32_e32 v9, v7
	v_pk_add_f32 v[4:5], v[4:5], v[8:9]
	s_waitcnt vmcnt(0)
	v_pk_add_f32 v[4:5], v[78:79], v[4:5] neg_lo:[0,1] neg_hi:[0,1]
	scratch_store_dwordx2 off, v[4:5], off offset:328
	s_and_saveexec_b64 s[0:1], vcc
	s_cbranch_execz .LBB60_299
; %bb.298:
	scratch_load_dwordx2 v[4:5], off, off offset:320
	v_mov_b32_e32 v3, v2
	scratch_store_dwordx2 off, v[2:3], off offset:320
	s_waitcnt vmcnt(1)
	ds_write_b64 v1, v[4:5]
.LBB60_299:
	s_or_b64 exec, exec, s[0:1]
	s_waitcnt lgkmcnt(0)
	; wave barrier
	scratch_load_dwordx4 v[4:7], off, off offset:328
	scratch_load_dwordx4 v[8:11], off, off offset:344
	;; [unrolled: 1-line block ×7, first 2 shown]
	ds_read2_b64 v[32:35], v2 offset0:103 offset1:104
	ds_read2_b64 v[36:39], v2 offset0:105 offset1:106
	;; [unrolled: 1-line block ×6, first 2 shown]
	scratch_load_dwordx4 v[56:59], off, off offset:440
	scratch_load_dwordx4 v[60:63], off, off offset:456
	;; [unrolled: 1-line block ×3, first 2 shown]
	ds_read2_b64 v[68:71], v2 offset0:115 offset1:116
	ds_read2_b64 v[72:75], v2 offset0:117 offset1:118
	;; [unrolled: 1-line block ×4, first 2 shown]
	scratch_load_dwordx2 v[2:3], off, off offset:320
	v_cmp_lt_u32_e32 vcc, 39, v0
	s_waitcnt vmcnt(10) lgkmcnt(9)
	v_mul_f32_e32 v90, v32, v5
	v_mul_f32_e32 v5, v33, v5
	;; [unrolled: 1-line block ×3, first 2 shown]
	s_waitcnt vmcnt(9) lgkmcnt(8)
	v_mul_f32_e32 v92, v36, v9
	s_waitcnt vmcnt(8) lgkmcnt(7)
	v_mul_f32_e32 v95, v42, v15
	v_mul_f32_e32 v7, v35, v7
	;; [unrolled: 1-line block ×4, first 2 shown]
	v_fmac_f32_e32 v90, v33, v4
	v_fma_f32 v4, v32, v4, -v5
	v_fmac_f32_e32 v91, v35, v6
	v_fmac_f32_e32 v95, v43, v14
	v_fma_f32 v5, v34, v6, -v7
	v_fma_f32 v6, v36, v8, -v9
	;; [unrolled: 1-line block ×3, first 2 shown]
	v_add_f32_e32 v14, 0, v90
	v_add_f32_e32 v4, 0, v4
	v_mul_f32_e32 v93, v38, v11
	v_mul_f32_e32 v11, v39, v11
	v_fmac_f32_e32 v92, v37, v8
	v_add_f32_e32 v14, v14, v91
	v_add_f32_e32 v4, v4, v5
	v_mul_f32_e32 v94, v40, v13
	v_mul_f32_e32 v13, v41, v13
	v_fmac_f32_e32 v93, v39, v10
	v_fma_f32 v7, v38, v10, -v11
	v_add_f32_e32 v5, v14, v92
	v_add_f32_e32 v4, v4, v6
	v_fmac_f32_e32 v94, v41, v12
	v_fma_f32 v8, v40, v12, -v13
	v_add_f32_e32 v5, v5, v93
	v_add_f32_e32 v4, v4, v7
	s_waitcnt vmcnt(7) lgkmcnt(6)
	v_mul_f32_e32 v96, v44, v17
	v_mul_f32_e32 v17, v45, v17
	v_add_f32_e32 v5, v5, v94
	v_add_f32_e32 v4, v4, v8
	v_mul_f32_e32 v97, v46, v19
	v_mul_f32_e32 v19, v47, v19
	v_fmac_f32_e32 v96, v45, v16
	v_fma_f32 v10, v44, v16, -v17
	v_add_f32_e32 v5, v5, v95
	v_add_f32_e32 v4, v4, v9
	s_waitcnt vmcnt(6) lgkmcnt(5)
	v_mul_f32_e32 v98, v48, v21
	v_mul_f32_e32 v21, v49, v21
	v_fmac_f32_e32 v97, v47, v18
	v_fma_f32 v11, v46, v18, -v19
	v_add_f32_e32 v5, v5, v96
	v_add_f32_e32 v4, v4, v10
	v_mul_f32_e32 v99, v50, v23
	v_mul_f32_e32 v23, v51, v23
	v_fmac_f32_e32 v98, v49, v20
	v_fma_f32 v12, v48, v20, -v21
	v_add_f32_e32 v5, v5, v97
	v_add_f32_e32 v4, v4, v11
	s_waitcnt vmcnt(5) lgkmcnt(4)
	v_mul_f32_e32 v85, v52, v25
	v_mul_f32_e32 v25, v53, v25
	v_fmac_f32_e32 v99, v51, v22
	v_fma_f32 v13, v50, v22, -v23
	v_add_f32_e32 v5, v5, v98
	v_add_f32_e32 v4, v4, v12
	v_mul_f32_e32 v87, v54, v27
	v_mul_f32_e32 v27, v55, v27
	s_waitcnt vmcnt(4) lgkmcnt(3)
	v_pk_mul_f32 v[88:89], v[68:69], v[28:29] op_sel:[1,1] op_sel_hi:[0,1]
	v_fmac_f32_e32 v85, v53, v24
	v_fma_f32 v84, v52, v24, -v25
	v_add_f32_e32 v5, v5, v99
	v_add_f32_e32 v4, v4, v13
	v_fmac_f32_e32 v87, v55, v26
	v_fma_f32 v86, v54, v26, -v27
	v_pk_add_f32 v[4:5], v[4:5], v[84:85]
	v_pk_fma_f32 v[6:7], v[68:69], v[28:29], v[88:89] neg_lo:[0,0,1] neg_hi:[0,0,1]
	v_pk_fma_f32 v[8:9], v[68:69], v[28:29], v[88:89] op_sel_hi:[1,0,1]
	v_pk_add_f32 v[4:5], v[4:5], v[86:87]
	v_mov_b32_e32 v7, v9
	v_pk_add_f32 v[4:5], v[4:5], v[6:7]
	v_mov_b32_e32 v6, v31
	v_pk_mul_f32 v[6:7], v[70:71], v[6:7] op_sel:[1,0] op_sel_hi:[0,0]
	v_pk_fma_f32 v[8:9], v[70:71], v[30:31], v[6:7] neg_lo:[0,0,1] neg_hi:[0,0,1]
	v_pk_fma_f32 v[6:7], v[70:71], v[30:31], v[6:7] op_sel_hi:[1,0,1]
	s_nop 0
	v_mov_b32_e32 v9, v7
	s_waitcnt vmcnt(3) lgkmcnt(2)
	v_pk_mul_f32 v[6:7], v[72:73], v[56:57] op_sel:[1,1] op_sel_hi:[0,1]
	v_pk_add_f32 v[4:5], v[4:5], v[8:9]
	v_pk_fma_f32 v[8:9], v[72:73], v[56:57], v[6:7] neg_lo:[0,0,1] neg_hi:[0,0,1]
	v_pk_fma_f32 v[6:7], v[72:73], v[56:57], v[6:7] op_sel_hi:[1,0,1]
	s_nop 0
	v_mov_b32_e32 v6, v59
	v_mov_b32_e32 v9, v7
	v_pk_mul_f32 v[6:7], v[74:75], v[6:7] op_sel:[1,0] op_sel_hi:[0,0]
	v_pk_add_f32 v[4:5], v[4:5], v[8:9]
	v_pk_fma_f32 v[8:9], v[74:75], v[58:59], v[6:7] neg_lo:[0,0,1] neg_hi:[0,0,1]
	v_pk_fma_f32 v[6:7], v[74:75], v[58:59], v[6:7] op_sel_hi:[1,0,1]
	s_nop 0
	v_mov_b32_e32 v9, v7
	s_waitcnt vmcnt(2) lgkmcnt(1)
	v_pk_mul_f32 v[6:7], v[76:77], v[60:61] op_sel:[1,1] op_sel_hi:[0,1]
	v_pk_add_f32 v[4:5], v[4:5], v[8:9]
	v_pk_fma_f32 v[8:9], v[76:77], v[60:61], v[6:7] neg_lo:[0,0,1] neg_hi:[0,0,1]
	v_pk_fma_f32 v[6:7], v[76:77], v[60:61], v[6:7] op_sel_hi:[1,0,1]
	s_nop 0
	v_mov_b32_e32 v6, v63
	v_mov_b32_e32 v9, v7
	v_pk_mul_f32 v[6:7], v[78:79], v[6:7] op_sel:[1,0] op_sel_hi:[0,0]
	v_pk_add_f32 v[4:5], v[4:5], v[8:9]
	;; [unrolled: 14-line block ×3, first 2 shown]
	v_pk_fma_f32 v[8:9], v[82:83], v[66:67], v[6:7] neg_lo:[0,0,1] neg_hi:[0,0,1]
	v_pk_fma_f32 v[6:7], v[82:83], v[66:67], v[6:7] op_sel_hi:[1,0,1]
	s_nop 0
	v_mov_b32_e32 v9, v7
	v_pk_add_f32 v[4:5], v[4:5], v[8:9]
	s_waitcnt vmcnt(0)
	v_pk_add_f32 v[2:3], v[2:3], v[4:5] neg_lo:[0,1] neg_hi:[0,1]
	scratch_store_dwordx2 off, v[2:3], off offset:320
	s_and_saveexec_b64 s[0:1], vcc
	s_cbranch_execz .LBB60_301
; %bb.300:
	scratch_load_dwordx2 v[2:3], off, off offset:312
	v_mov_b32_e32 v4, 0
	v_mov_b32_e32 v5, v4
	scratch_store_dwordx2 off, v[4:5], off offset:312
	s_waitcnt vmcnt(1)
	ds_write_b64 v1, v[2:3]
.LBB60_301:
	s_or_b64 exec, exec, s[0:1]
	s_waitcnt lgkmcnt(0)
	; wave barrier
	scratch_load_dwordx4 v[2:5], off, off offset:320
	scratch_load_dwordx4 v[6:9], off, off offset:336
	;; [unrolled: 1-line block ×10, first 2 shown]
	scratch_load_dwordx2 v[76:77], off, off offset:480
	scratch_load_dwordx2 v[78:79], off, off offset:312
	v_mov_b32_e32 v10, 0
	ds_read_b128 v[44:47], v10 offset:816
	ds_read_b128 v[48:51], v10 offset:832
	;; [unrolled: 1-line block ×8, first 2 shown]
	v_cmp_lt_u32_e32 vcc, 38, v0
	s_waitcnt vmcnt(11) lgkmcnt(7)
	v_mul_f32_e32 v11, v44, v3
	v_mul_f32_e32 v3, v45, v3
	;; [unrolled: 1-line block ×4, first 2 shown]
	v_fmac_f32_e32 v11, v45, v2
	v_fma_f32 v2, v44, v2, -v3
	s_waitcnt vmcnt(10) lgkmcnt(6)
	v_mul_f32_e32 v82, v48, v7
	v_mul_f32_e32 v7, v49, v7
	v_fma_f32 v3, v46, v4, -v5
	v_add_f32_e32 v2, 0, v2
	v_mul_f32_e32 v84, v50, v9
	v_mul_f32_e32 v9, v51, v9
	v_fmac_f32_e32 v80, v47, v4
	v_fma_f32 v4, v48, v6, -v7
	v_add_f32_e32 v11, 0, v11
	v_add_f32_e32 v2, v2, v3
	s_waitcnt vmcnt(9) lgkmcnt(5)
	v_mul_f32_e32 v85, v52, v13
	v_mul_f32_e32 v13, v53, v13
	v_fmac_f32_e32 v82, v49, v6
	v_fma_f32 v5, v50, v8, -v9
	v_add_f32_e32 v11, v11, v80
	v_add_f32_e32 v2, v2, v4
	v_mul_f32_e32 v86, v54, v15
	v_mul_f32_e32 v15, v55, v15
	v_fmac_f32_e32 v84, v51, v8
	v_fma_f32 v6, v52, v12, -v13
	v_add_f32_e32 v3, v11, v82
	v_add_f32_e32 v2, v2, v5
	s_waitcnt vmcnt(8) lgkmcnt(4)
	v_mul_f32_e32 v87, v56, v17
	v_mul_f32_e32 v17, v57, v17
	v_fmac_f32_e32 v85, v53, v12
	v_fma_f32 v7, v54, v14, -v15
	v_add_f32_e32 v3, v3, v84
	;; [unrolled: 13-line block ×4, first 2 shown]
	v_add_f32_e32 v2, v2, v12
	v_fmac_f32_e32 v90, v63, v22
	v_fma_f32 v14, v64, v24, -v25
	v_add_f32_e32 v3, v3, v89
	v_add_f32_e32 v2, v2, v13
	v_mul_f32_e32 v81, v66, v27
	v_fmac_f32_e32 v91, v65, v24
	v_add_f32_e32 v3, v3, v90
	v_add_f32_e32 v12, v2, v14
	v_mul_f32_e32 v2, v67, v27
	s_waitcnt vmcnt(5)
	v_mov_b32_e32 v16, v31
	s_waitcnt lgkmcnt(1)
	v_mul_f32_e32 v83, v68, v29
	v_fmac_f32_e32 v81, v67, v26
	v_add_f32_e32 v13, v3, v91
	v_fma_f32 v80, v66, v26, -v2
	v_mul_f32_e32 v2, v69, v29
	v_pk_mul_f32 v[16:17], v[70:71], v[16:17] op_sel:[1,0] op_sel_hi:[0,0]
	v_fmac_f32_e32 v83, v69, v28
	v_fma_f32 v82, v68, v28, -v2
	v_pk_add_f32 v[12:13], v[12:13], v[80:81]
	v_pk_fma_f32 v[18:19], v[70:71], v[30:31], v[16:17] neg_lo:[0,0,1] neg_hi:[0,0,1]
	v_pk_fma_f32 v[16:17], v[70:71], v[30:31], v[16:17] op_sel_hi:[1,0,1]
	v_pk_add_f32 v[12:13], v[12:13], v[82:83]
	v_mov_b32_e32 v19, v17
	s_waitcnt vmcnt(4) lgkmcnt(0)
	v_pk_mul_f32 v[16:17], v[72:73], v[32:33] op_sel:[1,1] op_sel_hi:[0,1]
	v_pk_add_f32 v[12:13], v[12:13], v[18:19]
	v_pk_fma_f32 v[18:19], v[72:73], v[32:33], v[16:17] neg_lo:[0,0,1] neg_hi:[0,0,1]
	v_pk_fma_f32 v[16:17], v[72:73], v[32:33], v[16:17] op_sel_hi:[1,0,1]
	ds_read_b128 v[2:5], v10 offset:944
	ds_read_b128 v[6:9], v10 offset:960
	ds_read_b64 v[14:15], v10 offset:976
	v_mov_b32_e32 v16, v35
	v_mov_b32_e32 v19, v17
	v_pk_mul_f32 v[16:17], v[74:75], v[16:17] op_sel:[1,0] op_sel_hi:[0,0]
	v_pk_add_f32 v[12:13], v[12:13], v[18:19]
	v_pk_fma_f32 v[18:19], v[74:75], v[34:35], v[16:17] neg_lo:[0,0,1] neg_hi:[0,0,1]
	v_pk_fma_f32 v[16:17], v[74:75], v[34:35], v[16:17] op_sel_hi:[1,0,1]
	s_nop 0
	v_mov_b32_e32 v19, v17
	s_waitcnt vmcnt(3) lgkmcnt(2)
	v_pk_mul_f32 v[16:17], v[2:3], v[36:37] op_sel:[1,1] op_sel_hi:[0,1]
	v_pk_add_f32 v[12:13], v[12:13], v[18:19]
	v_pk_fma_f32 v[18:19], v[2:3], v[36:37], v[16:17] neg_lo:[0,0,1] neg_hi:[0,0,1]
	v_pk_fma_f32 v[2:3], v[2:3], v[36:37], v[16:17] op_sel_hi:[1,0,1]
	s_nop 0
	v_mov_b32_e32 v19, v3
	v_pk_add_f32 v[2:3], v[12:13], v[18:19]
	v_mov_b32_e32 v12, v39
	v_pk_mul_f32 v[12:13], v[4:5], v[12:13] op_sel:[1,0] op_sel_hi:[0,0]
	v_pk_fma_f32 v[16:17], v[4:5], v[38:39], v[12:13] neg_lo:[0,0,1] neg_hi:[0,0,1]
	v_pk_fma_f32 v[4:5], v[4:5], v[38:39], v[12:13] op_sel_hi:[1,0,1]
	s_nop 0
	v_mov_b32_e32 v17, v5
	s_waitcnt vmcnt(2) lgkmcnt(1)
	v_pk_mul_f32 v[4:5], v[6:7], v[40:41] op_sel:[1,1] op_sel_hi:[0,1]
	v_pk_fma_f32 v[12:13], v[6:7], v[40:41], v[4:5] neg_lo:[0,0,1] neg_hi:[0,0,1]
	v_pk_fma_f32 v[4:5], v[6:7], v[40:41], v[4:5] op_sel_hi:[1,0,1]
	v_pk_add_f32 v[2:3], v[2:3], v[16:17]
	v_mov_b32_e32 v4, v43
	v_mov_b32_e32 v13, v5
	v_pk_mul_f32 v[4:5], v[8:9], v[4:5] op_sel:[1,0] op_sel_hi:[0,0]
	v_pk_fma_f32 v[6:7], v[8:9], v[42:43], v[4:5] neg_lo:[0,0,1] neg_hi:[0,0,1]
	v_pk_fma_f32 v[4:5], v[8:9], v[42:43], v[4:5] op_sel_hi:[1,0,1]
	v_pk_add_f32 v[2:3], v[2:3], v[12:13]
	v_mov_b32_e32 v7, v5
	s_waitcnt vmcnt(1) lgkmcnt(0)
	v_pk_mul_f32 v[4:5], v[14:15], v[76:77] op_sel:[1,1] op_sel_hi:[0,1]
	v_pk_add_f32 v[2:3], v[2:3], v[6:7]
	v_pk_fma_f32 v[6:7], v[14:15], v[76:77], v[4:5] neg_lo:[0,0,1] neg_hi:[0,0,1]
	v_pk_fma_f32 v[4:5], v[14:15], v[76:77], v[4:5] op_sel_hi:[1,0,1]
	s_nop 0
	v_mov_b32_e32 v7, v5
	v_pk_add_f32 v[2:3], v[2:3], v[6:7]
	s_waitcnt vmcnt(0)
	v_pk_add_f32 v[2:3], v[78:79], v[2:3] neg_lo:[0,1] neg_hi:[0,1]
	scratch_store_dwordx2 off, v[2:3], off offset:312
	s_and_saveexec_b64 s[0:1], vcc
	s_cbranch_execz .LBB60_303
; %bb.302:
	scratch_load_dwordx2 v[2:3], off, off offset:304
	v_mov_b32_e32 v11, v10
	scratch_store_dwordx2 off, v[10:11], off offset:304
	s_waitcnt vmcnt(1)
	ds_write_b64 v1, v[2:3]
.LBB60_303:
	s_or_b64 exec, exec, s[0:1]
	s_waitcnt lgkmcnt(0)
	; wave barrier
	scratch_load_dwordx4 v[6:9], off, off offset:312
	scratch_load_dwordx4 v[12:15], off, off offset:328
	;; [unrolled: 1-line block ×7, first 2 shown]
	ds_read2_b64 v[36:39], v10 offset0:101 offset1:102
	ds_read2_b64 v[40:43], v10 offset0:103 offset1:104
	;; [unrolled: 1-line block ×6, first 2 shown]
	scratch_load_dwordx4 v[60:63], off, off offset:424
	scratch_load_dwordx4 v[64:67], off, off offset:440
	;; [unrolled: 1-line block ×4, first 2 shown]
	ds_read2_b64 v[72:75], v10 offset0:113 offset1:114
	ds_read2_b64 v[76:79], v10 offset0:115 offset1:116
	scratch_load_dwordx2 v[80:81], off, off offset:304
	v_cmp_lt_u32_e32 vcc, 37, v0
	s_waitcnt vmcnt(11) lgkmcnt(7)
	v_mul_f32_e32 v11, v36, v7
	v_mul_f32_e32 v82, v38, v9
	;; [unrolled: 1-line block ×3, first 2 shown]
	v_fmac_f32_e32 v11, v37, v6
	s_waitcnt vmcnt(10) lgkmcnt(6)
	v_mul_f32_e32 v84, v40, v13
	v_mul_f32_e32 v9, v39, v9
	v_fmac_f32_e32 v82, v39, v8
	v_fma_f32 v6, v36, v6, -v7
	v_add_f32_e32 v11, 0, v11
	v_mul_f32_e32 v86, v42, v15
	v_fmac_f32_e32 v84, v41, v12
	v_fma_f32 v7, v38, v8, -v9
	v_add_f32_e32 v6, 0, v6
	v_add_f32_e32 v11, v11, v82
	s_waitcnt vmcnt(9) lgkmcnt(5)
	v_mul_f32_e32 v87, v44, v17
	v_mul_f32_e32 v13, v41, v13
	v_fmac_f32_e32 v86, v43, v14
	v_add_f32_e32 v6, v6, v7
	v_add_f32_e32 v7, v11, v84
	v_mul_f32_e32 v88, v46, v19
	v_mul_f32_e32 v15, v43, v15
	v_fmac_f32_e32 v87, v45, v16
	v_fma_f32 v8, v40, v12, -v13
	v_add_f32_e32 v7, v7, v86
	s_waitcnt vmcnt(8) lgkmcnt(4)
	v_mul_f32_e32 v89, v48, v21
	v_mul_f32_e32 v17, v45, v17
	v_fmac_f32_e32 v88, v47, v18
	v_fma_f32 v9, v42, v14, -v15
	v_add_f32_e32 v6, v6, v8
	v_add_f32_e32 v7, v7, v87
	v_mul_f32_e32 v90, v50, v23
	v_mul_f32_e32 v19, v47, v19
	v_fmac_f32_e32 v89, v49, v20
	v_fma_f32 v12, v44, v16, -v17
	v_add_f32_e32 v6, v6, v9
	v_add_f32_e32 v7, v7, v88
	s_waitcnt vmcnt(7) lgkmcnt(3)
	v_mul_f32_e32 v91, v52, v25
	v_mul_f32_e32 v21, v49, v21
	v_fmac_f32_e32 v90, v51, v22
	v_fma_f32 v13, v46, v18, -v19
	v_add_f32_e32 v6, v6, v12
	v_add_f32_e32 v7, v7, v89
	v_mul_f32_e32 v92, v54, v27
	v_mul_f32_e32 v23, v51, v23
	v_fmac_f32_e32 v91, v53, v24
	v_fma_f32 v14, v48, v20, -v21
	v_add_f32_e32 v6, v6, v13
	;; [unrolled: 13-line block ×3, first 2 shown]
	v_add_f32_e32 v7, v7, v92
	v_mul_f32_e32 v29, v57, v29
	v_fmac_f32_e32 v94, v59, v30
	v_fma_f32 v17, v54, v26, -v27
	v_add_f32_e32 v6, v6, v16
	v_add_f32_e32 v7, v7, v93
	v_fma_f32 v18, v56, v28, -v29
	v_add_f32_e32 v6, v6, v17
	v_add_f32_e32 v21, v7, v94
	v_mul_f32_e32 v7, v59, v31
	v_add_f32_e32 v6, v6, v18
	v_fma_f32 v7, v58, v30, -v7
	s_waitcnt vmcnt(5) lgkmcnt(1)
	v_mul_f32_e32 v83, v72, v33
	v_add_f32_e32 v20, v6, v7
	v_mul_f32_e32 v6, v73, v33
	v_fmac_f32_e32 v83, v73, v32
	v_fma_f32 v82, v72, v32, -v6
	v_mul_f32_e32 v6, v75, v35
	v_fma_f32 v84, v74, v34, -v6
	ds_read2_b64 v[6:9], v10 offset0:117 offset1:118
	ds_read2_b64 v[12:15], v10 offset0:119 offset1:120
	;; [unrolled: 1-line block ×3, first 2 shown]
	v_pk_add_f32 v[10:11], v[20:21], v[82:83]
	s_waitcnt vmcnt(4) lgkmcnt(3)
	v_pk_mul_f32 v[20:21], v[76:77], v[60:61] op_sel:[1,1] op_sel_hi:[0,1]
	v_mul_f32_e32 v85, v74, v35
	v_pk_fma_f32 v[22:23], v[76:77], v[60:61], v[20:21] neg_lo:[0,0,1] neg_hi:[0,0,1]
	v_pk_fma_f32 v[20:21], v[76:77], v[60:61], v[20:21] op_sel_hi:[1,0,1]
	v_fmac_f32_e32 v85, v75, v34
	v_mov_b32_e32 v20, v63
	v_pk_add_f32 v[10:11], v[10:11], v[84:85]
	v_mov_b32_e32 v23, v21
	v_pk_mul_f32 v[20:21], v[78:79], v[20:21] op_sel:[1,0] op_sel_hi:[0,0]
	v_pk_add_f32 v[10:11], v[10:11], v[22:23]
	v_pk_fma_f32 v[22:23], v[78:79], v[62:63], v[20:21] neg_lo:[0,0,1] neg_hi:[0,0,1]
	v_pk_fma_f32 v[20:21], v[78:79], v[62:63], v[20:21] op_sel_hi:[1,0,1]
	s_nop 0
	v_mov_b32_e32 v23, v21
	s_waitcnt vmcnt(3) lgkmcnt(2)
	v_pk_mul_f32 v[20:21], v[6:7], v[64:65] op_sel:[1,1] op_sel_hi:[0,1]
	v_pk_add_f32 v[10:11], v[10:11], v[22:23]
	v_pk_fma_f32 v[22:23], v[6:7], v[64:65], v[20:21] neg_lo:[0,0,1] neg_hi:[0,0,1]
	v_pk_fma_f32 v[6:7], v[6:7], v[64:65], v[20:21] op_sel_hi:[1,0,1]
	s_nop 0
	v_mov_b32_e32 v23, v7
	v_pk_add_f32 v[6:7], v[10:11], v[22:23]
	v_mov_b32_e32 v10, v67
	v_pk_mul_f32 v[10:11], v[8:9], v[10:11] op_sel:[1,0] op_sel_hi:[0,0]
	v_pk_fma_f32 v[20:21], v[8:9], v[66:67], v[10:11] neg_lo:[0,0,1] neg_hi:[0,0,1]
	v_pk_fma_f32 v[8:9], v[8:9], v[66:67], v[10:11] op_sel_hi:[1,0,1]
	s_nop 0
	v_mov_b32_e32 v21, v9
	s_waitcnt vmcnt(2) lgkmcnt(1)
	v_pk_mul_f32 v[8:9], v[12:13], v[68:69] op_sel:[1,1] op_sel_hi:[0,1]
	v_pk_fma_f32 v[10:11], v[12:13], v[68:69], v[8:9] neg_lo:[0,0,1] neg_hi:[0,0,1]
	v_pk_fma_f32 v[8:9], v[12:13], v[68:69], v[8:9] op_sel_hi:[1,0,1]
	v_pk_add_f32 v[6:7], v[6:7], v[20:21]
	v_mov_b32_e32 v8, v71
	v_mov_b32_e32 v11, v9
	v_pk_mul_f32 v[8:9], v[14:15], v[8:9] op_sel:[1,0] op_sel_hi:[0,0]
	v_pk_add_f32 v[6:7], v[6:7], v[10:11]
	v_pk_fma_f32 v[10:11], v[14:15], v[70:71], v[8:9] neg_lo:[0,0,1] neg_hi:[0,0,1]
	v_pk_fma_f32 v[8:9], v[14:15], v[70:71], v[8:9] op_sel_hi:[1,0,1]
	s_nop 0
	v_mov_b32_e32 v11, v9
	s_waitcnt vmcnt(1) lgkmcnt(0)
	v_pk_mul_f32 v[8:9], v[16:17], v[2:3] op_sel:[1,1] op_sel_hi:[0,1]
	v_pk_add_f32 v[6:7], v[6:7], v[10:11]
	v_pk_fma_f32 v[10:11], v[16:17], v[2:3], v[8:9] neg_lo:[0,0,1] neg_hi:[0,0,1]
	v_pk_fma_f32 v[2:3], v[16:17], v[2:3], v[8:9] op_sel_hi:[1,0,1]
	s_nop 0
	v_mov_b32_e32 v11, v3
	v_pk_add_f32 v[2:3], v[6:7], v[10:11]
	v_mov_b32_e32 v6, v5
	v_pk_mul_f32 v[6:7], v[18:19], v[6:7] op_sel:[1,0] op_sel_hi:[0,0]
	v_pk_fma_f32 v[8:9], v[18:19], v[4:5], v[6:7] neg_lo:[0,0,1] neg_hi:[0,0,1]
	v_pk_fma_f32 v[4:5], v[18:19], v[4:5], v[6:7] op_sel_hi:[1,0,1]
	s_nop 0
	v_mov_b32_e32 v9, v5
	v_pk_add_f32 v[2:3], v[2:3], v[8:9]
	s_waitcnt vmcnt(0)
	v_pk_add_f32 v[2:3], v[80:81], v[2:3] neg_lo:[0,1] neg_hi:[0,1]
	scratch_store_dwordx2 off, v[2:3], off offset:304
	s_and_saveexec_b64 s[0:1], vcc
	s_cbranch_execz .LBB60_305
; %bb.304:
	scratch_load_dwordx2 v[2:3], off, off offset:296
	v_mov_b32_e32 v4, 0
	v_mov_b32_e32 v5, v4
	scratch_store_dwordx2 off, v[4:5], off offset:296
	s_waitcnt vmcnt(1)
	ds_write_b64 v1, v[2:3]
.LBB60_305:
	s_or_b64 exec, exec, s[0:1]
	s_waitcnt lgkmcnt(0)
	; wave barrier
	scratch_load_dwordx4 v[6:9], off, off offset:304
	scratch_load_dwordx4 v[14:17], off, off offset:320
	;; [unrolled: 1-line block ×11, first 2 shown]
	scratch_load_dwordx2 v[22:23], off, off offset:480
	scratch_load_dwordx2 v[36:37], off, off offset:296
	v_mov_b32_e32 v38, 0
	ds_read_b128 v[52:55], v38 offset:800
	ds_read_b128 v[56:59], v38 offset:816
	;; [unrolled: 1-line block ×8, first 2 shown]
	v_cmp_lt_u32_e32 vcc, 36, v0
	s_waitcnt vmcnt(12) lgkmcnt(7)
	v_mul_f32_e32 v39, v52, v7
	v_mul_f32_e32 v84, v54, v9
	v_mul_f32_e32 v7, v53, v7
	v_fmac_f32_e32 v39, v53, v6
	s_waitcnt vmcnt(8) lgkmcnt(3)
	v_mul_f32_e32 v93, v68, v19
	v_mul_f32_e32 v19, v69, v19
	;; [unrolled: 1-line block ×4, first 2 shown]
	v_fmac_f32_e32 v84, v55, v8
	v_fmac_f32_e32 v93, v69, v18
	v_fma_f32 v6, v52, v6, -v7
	v_fma_f32 v18, v68, v18, -v19
	v_add_f32_e32 v19, 0, v39
	v_mul_f32_e32 v88, v58, v17
	v_fmac_f32_e32 v86, v57, v14
	v_fma_f32 v7, v54, v8, -v9
	v_add_f32_e32 v6, 0, v6
	v_add_f32_e32 v19, v19, v84
	v_mul_f32_e32 v89, v60, v25
	v_fmac_f32_e32 v88, v59, v16
	v_add_f32_e32 v6, v6, v7
	v_add_f32_e32 v7, v19, v86
	v_mul_f32_e32 v90, v62, v27
	v_fmac_f32_e32 v89, v61, v24
	v_add_f32_e32 v7, v7, v88
	v_mul_f32_e32 v91, v64, v29
	v_mul_f32_e32 v15, v57, v15
	v_fmac_f32_e32 v90, v63, v26
	v_add_f32_e32 v7, v7, v89
	v_mul_f32_e32 v92, v66, v31
	v_mul_f32_e32 v17, v59, v17
	v_fmac_f32_e32 v91, v65, v28
	v_fma_f32 v8, v56, v14, -v15
	v_add_f32_e32 v7, v7, v90
	v_mul_f32_e32 v25, v61, v25
	v_fmac_f32_e32 v92, v67, v30
	v_fma_f32 v9, v58, v16, -v17
	v_add_f32_e32 v6, v6, v8
	v_add_f32_e32 v7, v7, v91
	v_mul_f32_e32 v94, v70, v21
	v_mul_f32_e32 v27, v63, v27
	v_fma_f32 v14, v60, v24, -v25
	v_add_f32_e32 v6, v6, v9
	v_add_f32_e32 v7, v7, v92
	s_waitcnt vmcnt(7) lgkmcnt(2)
	v_mul_f32_e32 v95, v72, v33
	v_mul_f32_e32 v29, v65, v29
	v_fmac_f32_e32 v94, v71, v20
	v_fma_f32 v15, v62, v26, -v27
	v_add_f32_e32 v6, v6, v14
	v_add_f32_e32 v7, v7, v93
	v_mul_f32_e32 v96, v74, v35
	v_mul_f32_e32 v31, v67, v31
	v_fmac_f32_e32 v95, v73, v32
	v_fma_f32 v16, v64, v28, -v29
	v_add_f32_e32 v6, v6, v15
	v_add_f32_e32 v7, v7, v94
	s_waitcnt vmcnt(6) lgkmcnt(1)
	v_mul_f32_e32 v97, v76, v41
	v_fmac_f32_e32 v96, v75, v34
	v_fma_f32 v17, v66, v30, -v31
	v_add_f32_e32 v6, v6, v16
	v_add_f32_e32 v7, v7, v95
	v_mul_f32_e32 v21, v71, v21
	v_fmac_f32_e32 v97, v77, v40
	v_add_f32_e32 v6, v6, v17
	v_add_f32_e32 v7, v7, v96
	;; [unrolled: 1-line block ×4, first 2 shown]
	v_fma_f32 v7, v70, v20, -v21
	v_add_f32_e32 v6, v6, v7
	v_mul_f32_e32 v7, v73, v33
	v_fma_f32 v7, v72, v32, -v7
	v_add_f32_e32 v6, v6, v7
	v_mul_f32_e32 v7, v75, v35
	;; [unrolled: 3-line block ×4, first 2 shown]
	v_mul_f32_e32 v85, v78, v43
	v_fma_f32 v84, v78, v42, -v6
	s_waitcnt vmcnt(5) lgkmcnt(0)
	v_mul_f32_e32 v6, v81, v45
	v_mov_b32_e32 v28, v47
	v_mul_f32_e32 v87, v80, v45
	v_fmac_f32_e32 v85, v79, v42
	v_fma_f32 v86, v80, v44, -v6
	ds_read_b128 v[6:9], v38 offset:928
	ds_read_b128 v[14:17], v38 offset:944
	;; [unrolled: 1-line block ×3, first 2 shown]
	ds_read_b64 v[26:27], v38 offset:976
	v_pk_mul_f32 v[28:29], v[82:83], v[28:29] op_sel:[1,0] op_sel_hi:[0,0]
	v_fmac_f32_e32 v87, v81, v44
	v_pk_add_f32 v[24:25], v[24:25], v[84:85]
	v_pk_fma_f32 v[30:31], v[82:83], v[46:47], v[28:29] neg_lo:[0,0,1] neg_hi:[0,0,1]
	v_pk_fma_f32 v[28:29], v[82:83], v[46:47], v[28:29] op_sel_hi:[1,0,1]
	v_pk_add_f32 v[24:25], v[24:25], v[86:87]
	v_mov_b32_e32 v31, v29
	s_waitcnt vmcnt(4) lgkmcnt(3)
	v_pk_mul_f32 v[28:29], v[6:7], v[48:49] op_sel:[1,1] op_sel_hi:[0,1]
	v_pk_add_f32 v[24:25], v[24:25], v[30:31]
	v_pk_fma_f32 v[30:31], v[6:7], v[48:49], v[28:29] neg_lo:[0,0,1] neg_hi:[0,0,1]
	v_pk_fma_f32 v[6:7], v[6:7], v[48:49], v[28:29] op_sel_hi:[1,0,1]
	s_nop 0
	v_mov_b32_e32 v31, v7
	v_pk_add_f32 v[6:7], v[24:25], v[30:31]
	v_mov_b32_e32 v24, v51
	v_pk_mul_f32 v[24:25], v[8:9], v[24:25] op_sel:[1,0] op_sel_hi:[0,0]
	v_pk_fma_f32 v[28:29], v[8:9], v[50:51], v[24:25] neg_lo:[0,0,1] neg_hi:[0,0,1]
	v_pk_fma_f32 v[8:9], v[8:9], v[50:51], v[24:25] op_sel_hi:[1,0,1]
	s_nop 0
	v_mov_b32_e32 v29, v9
	s_waitcnt vmcnt(3) lgkmcnt(2)
	v_pk_mul_f32 v[8:9], v[14:15], v[10:11] op_sel:[1,1] op_sel_hi:[0,1]
	v_pk_fma_f32 v[24:25], v[14:15], v[10:11], v[8:9] neg_lo:[0,0,1] neg_hi:[0,0,1]
	v_pk_fma_f32 v[8:9], v[14:15], v[10:11], v[8:9] op_sel_hi:[1,0,1]
	v_pk_add_f32 v[6:7], v[6:7], v[28:29]
	v_mov_b32_e32 v8, v13
	v_mov_b32_e32 v25, v9
	v_pk_mul_f32 v[8:9], v[16:17], v[8:9] op_sel:[1,0] op_sel_hi:[0,0]
	v_pk_fma_f32 v[10:11], v[16:17], v[12:13], v[8:9] neg_lo:[0,0,1] neg_hi:[0,0,1]
	v_pk_fma_f32 v[8:9], v[16:17], v[12:13], v[8:9] op_sel_hi:[1,0,1]
	v_pk_add_f32 v[6:7], v[6:7], v[24:25]
	v_mov_b32_e32 v11, v9
	s_waitcnt vmcnt(2) lgkmcnt(1)
	v_pk_mul_f32 v[8:9], v[18:19], v[2:3] op_sel:[1,1] op_sel_hi:[0,1]
	v_pk_add_f32 v[6:7], v[6:7], v[10:11]
	v_pk_fma_f32 v[10:11], v[18:19], v[2:3], v[8:9] neg_lo:[0,0,1] neg_hi:[0,0,1]
	v_pk_fma_f32 v[2:3], v[18:19], v[2:3], v[8:9] op_sel_hi:[1,0,1]
	s_nop 0
	v_mov_b32_e32 v11, v3
	v_pk_add_f32 v[2:3], v[6:7], v[10:11]
	v_mov_b32_e32 v6, v5
	v_pk_mul_f32 v[6:7], v[20:21], v[6:7] op_sel:[1,0] op_sel_hi:[0,0]
	v_pk_fma_f32 v[8:9], v[20:21], v[4:5], v[6:7] neg_lo:[0,0,1] neg_hi:[0,0,1]
	v_pk_fma_f32 v[4:5], v[20:21], v[4:5], v[6:7] op_sel_hi:[1,0,1]
	s_nop 0
	v_mov_b32_e32 v9, v5
	s_waitcnt vmcnt(1) lgkmcnt(0)
	v_pk_mul_f32 v[4:5], v[26:27], v[22:23] op_sel:[1,1] op_sel_hi:[0,1]
	v_pk_fma_f32 v[6:7], v[26:27], v[22:23], v[4:5] neg_lo:[0,0,1] neg_hi:[0,0,1]
	v_pk_fma_f32 v[4:5], v[26:27], v[22:23], v[4:5] op_sel_hi:[1,0,1]
	v_pk_add_f32 v[2:3], v[2:3], v[8:9]
	v_mov_b32_e32 v7, v5
	v_pk_add_f32 v[2:3], v[2:3], v[6:7]
	s_waitcnt vmcnt(0)
	v_pk_add_f32 v[2:3], v[36:37], v[2:3] neg_lo:[0,1] neg_hi:[0,1]
	scratch_store_dwordx2 off, v[2:3], off offset:296
	s_and_saveexec_b64 s[0:1], vcc
	s_cbranch_execz .LBB60_307
; %bb.306:
	scratch_load_dwordx2 v[2:3], off, off offset:288
	v_mov_b32_e32 v39, v38
	scratch_store_dwordx2 off, v[38:39], off offset:288
	s_waitcnt vmcnt(1)
	ds_write_b64 v1, v[2:3]
.LBB60_307:
	s_or_b64 exec, exec, s[0:1]
	s_waitcnt lgkmcnt(0)
	; wave barrier
	scratch_load_dwordx4 v[2:5], off, off offset:296
	scratch_load_dwordx4 v[14:17], off, off offset:312
	;; [unrolled: 1-line block ×8, first 2 shown]
	ds_read2_b64 v[48:51], v38 offset0:99 offset1:100
	ds_read2_b64 v[52:55], v38 offset0:101 offset1:102
	;; [unrolled: 1-line block ×8, first 2 shown]
	scratch_load_dwordx4 v[80:83], off, off offset:424
	scratch_load_dwordx4 v[26:29], off, off offset:440
	;; [unrolled: 1-line block ×4, first 2 shown]
	scratch_load_dwordx2 v[84:85], off, off offset:288
	v_cmp_lt_u32_e32 vcc, 35, v0
	s_waitcnt vmcnt(12) lgkmcnt(7)
	v_mul_f32_e32 v39, v48, v3
	v_mul_f32_e32 v86, v50, v5
	;; [unrolled: 1-line block ×3, first 2 shown]
	v_fmac_f32_e32 v39, v49, v2
	s_waitcnt vmcnt(8) lgkmcnt(3)
	v_mul_f32_e32 v95, v64, v19
	v_mul_f32_e32 v19, v65, v19
	;; [unrolled: 1-line block ×4, first 2 shown]
	v_fmac_f32_e32 v86, v51, v4
	v_fmac_f32_e32 v95, v65, v18
	v_fma_f32 v2, v48, v2, -v3
	v_fma_f32 v18, v64, v18, -v19
	v_add_f32_e32 v19, 0, v39
	v_mul_f32_e32 v90, v54, v17
	v_fmac_f32_e32 v88, v53, v14
	v_fma_f32 v3, v50, v4, -v5
	v_add_f32_e32 v2, 0, v2
	v_add_f32_e32 v19, v19, v86
	v_mul_f32_e32 v91, v56, v31
	v_fmac_f32_e32 v90, v55, v16
	v_add_f32_e32 v2, v2, v3
	v_add_f32_e32 v3, v19, v88
	v_mul_f32_e32 v92, v58, v33
	v_fmac_f32_e32 v91, v57, v30
	v_add_f32_e32 v3, v3, v90
	v_mul_f32_e32 v93, v60, v41
	v_fmac_f32_e32 v92, v59, v32
	;; [unrolled: 3-line block ×4, first 2 shown]
	v_add_f32_e32 v3, v3, v93
	v_mul_f32_e32 v96, v66, v21
	v_mul_f32_e32 v17, v55, v17
	v_fma_f32 v4, v52, v14, -v15
	v_add_f32_e32 v3, v3, v94
	s_waitcnt vmcnt(7) lgkmcnt(2)
	v_mul_f32_e32 v97, v68, v23
	v_mul_f32_e32 v31, v57, v31
	v_fmac_f32_e32 v96, v67, v20
	v_fma_f32 v5, v54, v16, -v17
	v_add_f32_e32 v2, v2, v4
	v_add_f32_e32 v3, v3, v95
	v_mul_f32_e32 v98, v70, v25
	v_mul_f32_e32 v33, v59, v33
	v_fmac_f32_e32 v97, v69, v22
	v_fma_f32 v14, v56, v30, -v31
	v_add_f32_e32 v2, v2, v5
	v_add_f32_e32 v3, v3, v96
	s_waitcnt vmcnt(6) lgkmcnt(1)
	v_mul_f32_e32 v99, v72, v35
	v_mul_f32_e32 v41, v61, v41
	v_fmac_f32_e32 v98, v71, v24
	v_fma_f32 v15, v58, v32, -v33
	v_add_f32_e32 v2, v2, v14
	v_add_f32_e32 v3, v3, v97
	v_mul_f32_e32 v100, v74, v37
	v_mul_f32_e32 v43, v63, v43
	v_fmac_f32_e32 v99, v73, v34
	v_fma_f32 v16, v60, v40, -v41
	v_add_f32_e32 v2, v2, v15
	v_add_f32_e32 v3, v3, v98
	v_fmac_f32_e32 v100, v75, v36
	v_fma_f32 v17, v62, v42, -v43
	v_add_f32_e32 v2, v2, v16
	v_add_f32_e32 v3, v3, v99
	;; [unrolled: 1-line block ×4, first 2 shown]
	v_mul_f32_e32 v3, v67, v21
	v_add_f32_e32 v2, v2, v18
	v_fma_f32 v3, v66, v20, -v3
	v_add_f32_e32 v2, v2, v3
	v_mul_f32_e32 v3, v69, v23
	v_fma_f32 v3, v68, v22, -v3
	v_add_f32_e32 v2, v2, v3
	v_mul_f32_e32 v3, v71, v25
	;; [unrolled: 3-line block ×4, first 2 shown]
	v_fma_f32 v3, v74, v36, -v3
	v_add_f32_e32 v30, v2, v3
	s_waitcnt vmcnt(5) lgkmcnt(0)
	v_mul_f32_e32 v2, v77, v45
	v_fma_f32 v86, v76, v44, -v2
	v_mul_f32_e32 v2, v79, v47
	v_fma_f32 v88, v78, v46, -v2
	ds_read2_b64 v[2:5], v38 offset0:115 offset1:116
	ds_read2_b64 v[14:17], v38 offset0:117 offset1:118
	;; [unrolled: 1-line block ×4, first 2 shown]
	v_mul_f32_e32 v87, v76, v45
	v_mul_f32_e32 v89, v78, v47
	v_fmac_f32_e32 v87, v77, v44
	s_waitcnt vmcnt(4) lgkmcnt(3)
	v_pk_mul_f32 v[32:33], v[2:3], v[80:81] op_sel:[1,1] op_sel_hi:[0,1]
	v_fmac_f32_e32 v89, v79, v46
	v_pk_add_f32 v[30:31], v[30:31], v[86:87]
	v_pk_fma_f32 v[34:35], v[2:3], v[80:81], v[32:33] neg_lo:[0,0,1] neg_hi:[0,0,1]
	v_pk_fma_f32 v[2:3], v[2:3], v[80:81], v[32:33] op_sel_hi:[1,0,1]
	v_pk_add_f32 v[30:31], v[30:31], v[88:89]
	v_mov_b32_e32 v35, v3
	v_pk_add_f32 v[2:3], v[30:31], v[34:35]
	v_mov_b32_e32 v30, v83
	v_pk_mul_f32 v[30:31], v[4:5], v[30:31] op_sel:[1,0] op_sel_hi:[0,0]
	v_pk_fma_f32 v[32:33], v[4:5], v[82:83], v[30:31] neg_lo:[0,0,1] neg_hi:[0,0,1]
	v_pk_fma_f32 v[4:5], v[4:5], v[82:83], v[30:31] op_sel_hi:[1,0,1]
	s_nop 0
	v_mov_b32_e32 v33, v5
	s_waitcnt vmcnt(3) lgkmcnt(2)
	v_pk_mul_f32 v[4:5], v[14:15], v[26:27] op_sel:[1,1] op_sel_hi:[0,1]
	v_pk_fma_f32 v[30:31], v[14:15], v[26:27], v[4:5] neg_lo:[0,0,1] neg_hi:[0,0,1]
	v_pk_fma_f32 v[4:5], v[14:15], v[26:27], v[4:5] op_sel_hi:[1,0,1]
	v_pk_add_f32 v[2:3], v[2:3], v[32:33]
	v_mov_b32_e32 v4, v29
	v_mov_b32_e32 v31, v5
	v_pk_mul_f32 v[4:5], v[16:17], v[4:5] op_sel:[1,0] op_sel_hi:[0,0]
	v_pk_fma_f32 v[14:15], v[16:17], v[28:29], v[4:5] neg_lo:[0,0,1] neg_hi:[0,0,1]
	v_pk_fma_f32 v[4:5], v[16:17], v[28:29], v[4:5] op_sel_hi:[1,0,1]
	v_pk_add_f32 v[2:3], v[2:3], v[30:31]
	v_mov_b32_e32 v15, v5
	s_waitcnt vmcnt(2) lgkmcnt(1)
	v_pk_mul_f32 v[4:5], v[18:19], v[10:11] op_sel:[1,1] op_sel_hi:[0,1]
	v_pk_add_f32 v[2:3], v[2:3], v[14:15]
	v_pk_fma_f32 v[14:15], v[18:19], v[10:11], v[4:5] neg_lo:[0,0,1] neg_hi:[0,0,1]
	v_pk_fma_f32 v[4:5], v[18:19], v[10:11], v[4:5] op_sel_hi:[1,0,1]
	s_nop 0
	v_mov_b32_e32 v4, v13
	v_mov_b32_e32 v15, v5
	v_pk_mul_f32 v[4:5], v[20:21], v[4:5] op_sel:[1,0] op_sel_hi:[0,0]
	v_pk_fma_f32 v[10:11], v[20:21], v[12:13], v[4:5] neg_lo:[0,0,1] neg_hi:[0,0,1]
	v_pk_fma_f32 v[4:5], v[20:21], v[12:13], v[4:5] op_sel_hi:[1,0,1]
	v_pk_add_f32 v[2:3], v[2:3], v[14:15]
	v_mov_b32_e32 v11, v5
	s_waitcnt vmcnt(1) lgkmcnt(0)
	v_pk_mul_f32 v[4:5], v[22:23], v[6:7] op_sel:[1,1] op_sel_hi:[0,1]
	v_pk_add_f32 v[2:3], v[2:3], v[10:11]
	v_pk_fma_f32 v[10:11], v[22:23], v[6:7], v[4:5] neg_lo:[0,0,1] neg_hi:[0,0,1]
	v_pk_fma_f32 v[4:5], v[22:23], v[6:7], v[4:5] op_sel_hi:[1,0,1]
	s_nop 0
	v_mov_b32_e32 v4, v9
	v_mov_b32_e32 v11, v5
	v_pk_mul_f32 v[4:5], v[24:25], v[4:5] op_sel:[1,0] op_sel_hi:[0,0]
	v_pk_fma_f32 v[6:7], v[24:25], v[8:9], v[4:5] neg_lo:[0,0,1] neg_hi:[0,0,1]
	v_pk_fma_f32 v[4:5], v[24:25], v[8:9], v[4:5] op_sel_hi:[1,0,1]
	v_pk_add_f32 v[2:3], v[2:3], v[10:11]
	v_mov_b32_e32 v7, v5
	v_pk_add_f32 v[2:3], v[2:3], v[6:7]
	s_waitcnt vmcnt(0)
	v_pk_add_f32 v[2:3], v[84:85], v[2:3] neg_lo:[0,1] neg_hi:[0,1]
	scratch_store_dwordx2 off, v[2:3], off offset:288
	s_and_saveexec_b64 s[0:1], vcc
	s_cbranch_execz .LBB60_309
; %bb.308:
	scratch_load_dwordx2 v[2:3], off, off offset:280
	v_mov_b32_e32 v4, 0
	v_mov_b32_e32 v5, v4
	scratch_store_dwordx2 off, v[4:5], off offset:280
	s_waitcnt vmcnt(1)
	ds_write_b64 v1, v[2:3]
.LBB60_309:
	s_or_b64 exec, exec, s[0:1]
	s_waitcnt lgkmcnt(0)
	; wave barrier
	scratch_load_dwordx4 v[10:13], off, off offset:288
	scratch_load_dwordx4 v[26:29], off, off offset:304
	;; [unrolled: 1-line block ×12, first 2 shown]
	scratch_load_dwordx2 v[50:51], off, off offset:480
	scratch_load_dwordx2 v[56:57], off, off offset:280
	v_mov_b32_e32 v58, 0
	ds_read_b128 v[52:55], v58 offset:784
	ds_read_b128 v[60:63], v58 offset:800
	;; [unrolled: 1-line block ×10, first 2 shown]
	v_cmp_lt_u32_e32 vcc, 34, v0
	s_waitcnt vmcnt(13) lgkmcnt(9)
	v_mul_f32_e32 v59, v52, v11
	v_mul_f32_e32 v96, v54, v13
	v_fmac_f32_e32 v59, v53, v10
	s_waitcnt vmcnt(10) lgkmcnt(6)
	v_mul_f32_e32 v103, v68, v7
	v_mul_f32_e32 v7, v69, v7
	;; [unrolled: 1-line block ×3, first 2 shown]
	v_fmac_f32_e32 v96, v55, v12
	v_fmac_f32_e32 v103, v69, v6
	v_fma_f32 v6, v68, v6, -v7
	v_add_f32_e32 v7, 0, v59
	v_mul_f32_e32 v100, v62, v29
	v_fmac_f32_e32 v98, v61, v26
	v_add_f32_e32 v7, v7, v96
	v_mul_f32_e32 v101, v64, v39
	v_fmac_f32_e32 v100, v63, v28
	;; [unrolled: 3-line block ×3, first 2 shown]
	v_add_f32_e32 v7, v7, v100
	v_fmac_f32_e32 v102, v67, v40
	v_add_f32_e32 v7, v7, v101
	v_mul_f32_e32 v104, v70, v9
	v_add_f32_e32 v7, v7, v102
	s_waitcnt vmcnt(9) lgkmcnt(5)
	v_mul_f32_e32 v105, v72, v15
	v_fmac_f32_e32 v104, v71, v8
	v_add_f32_e32 v7, v7, v103
	v_mul_f32_e32 v106, v74, v17
	v_mul_f32_e32 v11, v53, v11
	v_fmac_f32_e32 v105, v73, v14
	v_add_f32_e32 v7, v7, v104
	s_waitcnt vmcnt(8) lgkmcnt(4)
	v_mul_f32_e32 v107, v76, v23
	v_mul_f32_e32 v13, v55, v13
	v_fmac_f32_e32 v106, v75, v16
	v_fma_f32 v10, v52, v10, -v11
	v_add_f32_e32 v7, v7, v105
	v_mul_f32_e32 v108, v78, v25
	v_mul_f32_e32 v27, v61, v27
	v_fmac_f32_e32 v107, v77, v22
	v_fma_f32 v11, v54, v12, -v13
	v_add_f32_e32 v10, 0, v10
	v_add_f32_e32 v7, v7, v106
	s_waitcnt vmcnt(7) lgkmcnt(3)
	v_mul_f32_e32 v109, v80, v31
	v_mul_f32_e32 v29, v63, v29
	v_fmac_f32_e32 v108, v79, v24
	v_fma_f32 v12, v60, v26, -v27
	v_add_f32_e32 v10, v10, v11
	v_add_f32_e32 v7, v7, v107
	v_mul_f32_e32 v110, v82, v33
	v_mul_f32_e32 v39, v65, v39
	v_fmac_f32_e32 v109, v81, v30
	v_fma_f32 v13, v62, v28, -v29
	v_add_f32_e32 v10, v10, v12
	v_add_f32_e32 v7, v7, v108
	s_waitcnt vmcnt(6) lgkmcnt(2)
	v_mul_f32_e32 v111, v84, v43
	v_mul_f32_e32 v41, v67, v41
	v_fmac_f32_e32 v110, v83, v32
	v_fma_f32 v26, v64, v38, -v39
	v_add_f32_e32 v10, v10, v13
	v_add_f32_e32 v7, v7, v109
	v_fmac_f32_e32 v111, v85, v42
	v_fma_f32 v27, v66, v40, -v41
	v_add_f32_e32 v10, v10, v26
	v_add_f32_e32 v7, v7, v110
	;; [unrolled: 1-line block ×4, first 2 shown]
	v_mul_f32_e32 v7, v71, v9
	v_add_f32_e32 v6, v10, v6
	v_fma_f32 v7, v70, v8, -v7
	v_add_f32_e32 v6, v6, v7
	v_mul_f32_e32 v7, v73, v15
	v_fma_f32 v7, v72, v14, -v7
	v_add_f32_e32 v6, v6, v7
	v_mul_f32_e32 v7, v75, v17
	;; [unrolled: 3-line block ×7, first 2 shown]
	v_fma_f32 v7, v84, v42, -v7
	v_mul_f32_e32 v97, v86, v45
	v_add_f32_e32 v26, v6, v7
	v_mul_f32_e32 v6, v87, v45
	s_waitcnt vmcnt(5)
	v_mov_b32_e32 v22, v49
	s_waitcnt lgkmcnt(1)
	v_mul_f32_e32 v99, v88, v47
	v_fmac_f32_e32 v97, v87, v44
	v_fma_f32 v96, v86, v44, -v6
	v_mul_f32_e32 v6, v89, v47
	v_pk_mul_f32 v[22:23], v[90:91], v[22:23] op_sel:[1,0] op_sel_hi:[0,0]
	v_fmac_f32_e32 v99, v89, v46
	v_fma_f32 v98, v88, v46, -v6
	v_pk_add_f32 v[16:17], v[26:27], v[96:97]
	v_pk_fma_f32 v[24:25], v[90:91], v[48:49], v[22:23] neg_lo:[0,0,1] neg_hi:[0,0,1]
	v_pk_fma_f32 v[22:23], v[90:91], v[48:49], v[22:23] op_sel_hi:[1,0,1]
	v_pk_add_f32 v[16:17], v[16:17], v[98:99]
	v_mov_b32_e32 v25, v23
	s_waitcnt vmcnt(4) lgkmcnt(0)
	v_pk_mul_f32 v[22:23], v[92:93], v[34:35] op_sel:[1,1] op_sel_hi:[0,1]
	v_pk_add_f32 v[16:17], v[16:17], v[24:25]
	v_pk_fma_f32 v[24:25], v[92:93], v[34:35], v[22:23] neg_lo:[0,0,1] neg_hi:[0,0,1]
	v_pk_fma_f32 v[22:23], v[92:93], v[34:35], v[22:23] op_sel_hi:[1,0,1]
	ds_read_b128 v[6:9], v58 offset:944
	ds_read_b128 v[10:13], v58 offset:960
	ds_read_b64 v[14:15], v58 offset:976
	v_mov_b32_e32 v22, v37
	v_mov_b32_e32 v25, v23
	v_pk_mul_f32 v[22:23], v[94:95], v[22:23] op_sel:[1,0] op_sel_hi:[0,0]
	v_pk_add_f32 v[16:17], v[16:17], v[24:25]
	v_pk_fma_f32 v[24:25], v[94:95], v[36:37], v[22:23] neg_lo:[0,0,1] neg_hi:[0,0,1]
	v_pk_fma_f32 v[22:23], v[94:95], v[36:37], v[22:23] op_sel_hi:[1,0,1]
	s_nop 0
	v_mov_b32_e32 v25, v23
	s_waitcnt vmcnt(3) lgkmcnt(2)
	v_pk_mul_f32 v[22:23], v[6:7], v[18:19] op_sel:[1,1] op_sel_hi:[0,1]
	v_pk_add_f32 v[16:17], v[16:17], v[24:25]
	v_pk_fma_f32 v[24:25], v[6:7], v[18:19], v[22:23] neg_lo:[0,0,1] neg_hi:[0,0,1]
	v_pk_fma_f32 v[6:7], v[6:7], v[18:19], v[22:23] op_sel_hi:[1,0,1]
	s_nop 0
	v_mov_b32_e32 v25, v7
	v_pk_add_f32 v[6:7], v[16:17], v[24:25]
	v_mov_b32_e32 v16, v21
	v_pk_mul_f32 v[16:17], v[8:9], v[16:17] op_sel:[1,0] op_sel_hi:[0,0]
	v_pk_fma_f32 v[18:19], v[8:9], v[20:21], v[16:17] neg_lo:[0,0,1] neg_hi:[0,0,1]
	v_pk_fma_f32 v[8:9], v[8:9], v[20:21], v[16:17] op_sel_hi:[1,0,1]
	s_nop 0
	v_mov_b32_e32 v19, v9
	s_waitcnt vmcnt(2) lgkmcnt(1)
	v_pk_mul_f32 v[8:9], v[10:11], v[2:3] op_sel:[1,1] op_sel_hi:[0,1]
	v_pk_fma_f32 v[16:17], v[10:11], v[2:3], v[8:9] neg_lo:[0,0,1] neg_hi:[0,0,1]
	v_pk_fma_f32 v[2:3], v[10:11], v[2:3], v[8:9] op_sel_hi:[1,0,1]
	v_pk_add_f32 v[6:7], v[6:7], v[18:19]
	v_mov_b32_e32 v17, v3
	v_pk_add_f32 v[2:3], v[6:7], v[16:17]
	v_mov_b32_e32 v6, v5
	v_pk_mul_f32 v[6:7], v[12:13], v[6:7] op_sel:[1,0] op_sel_hi:[0,0]
	v_pk_fma_f32 v[8:9], v[12:13], v[4:5], v[6:7] neg_lo:[0,0,1] neg_hi:[0,0,1]
	v_pk_fma_f32 v[4:5], v[12:13], v[4:5], v[6:7] op_sel_hi:[1,0,1]
	s_nop 0
	v_mov_b32_e32 v9, v5
	s_waitcnt vmcnt(1) lgkmcnt(0)
	v_pk_mul_f32 v[4:5], v[14:15], v[50:51] op_sel:[1,1] op_sel_hi:[0,1]
	v_pk_fma_f32 v[6:7], v[14:15], v[50:51], v[4:5] neg_lo:[0,0,1] neg_hi:[0,0,1]
	v_pk_fma_f32 v[4:5], v[14:15], v[50:51], v[4:5] op_sel_hi:[1,0,1]
	v_pk_add_f32 v[2:3], v[2:3], v[8:9]
	v_mov_b32_e32 v7, v5
	v_pk_add_f32 v[2:3], v[2:3], v[6:7]
	s_waitcnt vmcnt(0)
	v_pk_add_f32 v[2:3], v[56:57], v[2:3] neg_lo:[0,1] neg_hi:[0,1]
	scratch_store_dwordx2 off, v[2:3], off offset:280
	s_and_saveexec_b64 s[0:1], vcc
	s_cbranch_execz .LBB60_311
; %bb.310:
	scratch_load_dwordx2 v[2:3], off, off offset:272
	v_mov_b32_e32 v59, v58
	scratch_store_dwordx2 off, v[58:59], off offset:272
	s_waitcnt vmcnt(1)
	ds_write_b64 v1, v[2:3]
.LBB60_311:
	s_or_b64 exec, exec, s[0:1]
	s_waitcnt lgkmcnt(0)
	; wave barrier
	scratch_load_dwordx4 v[2:5], off, off offset:280
	scratch_load_dwordx4 v[18:21], off, off offset:296
	;; [unrolled: 1-line block ×9, first 2 shown]
	ds_read2_b64 v[60:63], v58 offset0:97 offset1:98
	ds_read2_b64 v[64:67], v58 offset0:99 offset1:100
	ds_read2_b64 v[68:71], v58 offset0:101 offset1:102
	ds_read2_b64 v[72:75], v58 offset0:103 offset1:104
	ds_read2_b64 v[76:79], v58 offset0:105 offset1:106
	ds_read2_b64 v[80:83], v58 offset0:107 offset1:108
	ds_read2_b64 v[84:87], v58 offset0:109 offset1:110
	ds_read2_b64 v[54:57], v58 offset0:111 offset1:112
	scratch_load_dwordx4 v[50:53], off, off offset:424
	scratch_load_dwordx4 v[34:37], off, off offset:440
	;; [unrolled: 1-line block ×4, first 2 shown]
	ds_read2_b64 v[88:91], v58 offset0:113 offset1:114
	ds_read2_b64 v[92:95], v58 offset0:115 offset1:116
	scratch_load_dwordx2 v[96:97], off, off offset:272
	v_cmp_lt_u32_e32 vcc, 33, v0
	s_waitcnt vmcnt(13) lgkmcnt(9)
	v_mul_f32_e32 v59, v60, v3
	v_mul_f32_e32 v98, v62, v5
	;; [unrolled: 1-line block ×3, first 2 shown]
	s_waitcnt vmcnt(10) lgkmcnt(6)
	v_mul_f32_e32 v105, v72, v7
	v_mul_f32_e32 v7, v73, v7
	v_fmac_f32_e32 v59, v61, v2
	v_mul_f32_e32 v100, v64, v19
	v_mul_f32_e32 v5, v63, v5
	v_fmac_f32_e32 v98, v63, v4
	v_fmac_f32_e32 v105, v73, v6
	v_fma_f32 v2, v60, v2, -v3
	v_fma_f32 v6, v72, v6, -v7
	v_add_f32_e32 v7, 0, v59
	v_mul_f32_e32 v102, v66, v21
	v_fmac_f32_e32 v100, v65, v18
	v_fma_f32 v3, v62, v4, -v5
	v_add_f32_e32 v2, 0, v2
	v_add_f32_e32 v7, v7, v98
	v_mul_f32_e32 v103, v68, v39
	v_fmac_f32_e32 v102, v67, v20
	v_add_f32_e32 v2, v2, v3
	v_add_f32_e32 v3, v7, v100
	v_mul_f32_e32 v104, v70, v41
	v_fmac_f32_e32 v103, v69, v38
	v_add_f32_e32 v3, v3, v102
	v_fmac_f32_e32 v104, v71, v40
	v_add_f32_e32 v3, v3, v103
	v_mul_f32_e32 v106, v74, v9
	v_add_f32_e32 v3, v3, v104
	s_waitcnt vmcnt(9) lgkmcnt(5)
	v_mul_f32_e32 v107, v76, v15
	v_fmac_f32_e32 v106, v75, v8
	v_add_f32_e32 v3, v3, v105
	v_mul_f32_e32 v108, v78, v17
	v_fmac_f32_e32 v107, v77, v14
	v_add_f32_e32 v3, v3, v106
	s_waitcnt vmcnt(8) lgkmcnt(4)
	v_mul_f32_e32 v109, v80, v23
	v_fmac_f32_e32 v108, v79, v16
	v_add_f32_e32 v3, v3, v107
	v_mul_f32_e32 v110, v82, v25
	v_fmac_f32_e32 v109, v81, v22
	v_add_f32_e32 v3, v3, v108
	s_waitcnt vmcnt(7) lgkmcnt(3)
	v_mul_f32_e32 v111, v84, v31
	v_mul_f32_e32 v19, v65, v19
	v_fmac_f32_e32 v110, v83, v24
	v_add_f32_e32 v3, v3, v109
	v_mul_f32_e32 v112, v86, v33
	v_mul_f32_e32 v21, v67, v21
	v_fmac_f32_e32 v111, v85, v30
	v_fma_f32 v4, v64, v18, -v19
	v_add_f32_e32 v3, v3, v110
	s_waitcnt vmcnt(6) lgkmcnt(2)
	v_mul_f32_e32 v113, v54, v43
	v_mul_f32_e32 v39, v69, v39
	v_fmac_f32_e32 v112, v87, v32
	v_fma_f32 v5, v66, v20, -v21
	v_add_f32_e32 v2, v2, v4
	v_add_f32_e32 v3, v3, v111
	v_mul_f32_e32 v114, v56, v45
	v_mul_f32_e32 v41, v71, v41
	v_fmac_f32_e32 v113, v55, v42
	v_fma_f32 v18, v68, v38, -v39
	v_add_f32_e32 v2, v2, v5
	v_add_f32_e32 v3, v3, v112
	v_fmac_f32_e32 v114, v57, v44
	v_fma_f32 v19, v70, v40, -v41
	v_add_f32_e32 v2, v2, v18
	v_add_f32_e32 v3, v3, v113
	v_add_f32_e32 v2, v2, v19
	v_add_f32_e32 v19, v3, v114
	v_mul_f32_e32 v3, v75, v9
	v_add_f32_e32 v2, v2, v6
	v_fma_f32 v3, v74, v8, -v3
	v_add_f32_e32 v2, v2, v3
	v_mul_f32_e32 v3, v77, v15
	v_fma_f32 v3, v76, v14, -v3
	v_add_f32_e32 v2, v2, v3
	v_mul_f32_e32 v3, v79, v17
	;; [unrolled: 3-line block ×8, first 2 shown]
	v_fma_f32 v3, v56, v44, -v3
	s_waitcnt vmcnt(5) lgkmcnt(1)
	v_mul_f32_e32 v99, v88, v47
	v_add_f32_e32 v18, v2, v3
	v_mul_f32_e32 v2, v89, v47
	s_waitcnt vmcnt(4) lgkmcnt(0)
	v_pk_mul_f32 v[20:21], v[92:93], v[50:51] op_sel:[1,1] op_sel_hi:[0,1]
	v_mul_f32_e32 v101, v90, v49
	v_fmac_f32_e32 v99, v89, v46
	v_fma_f32 v98, v88, v46, -v2
	v_mul_f32_e32 v2, v91, v49
	v_pk_fma_f32 v[22:23], v[92:93], v[50:51], v[20:21] neg_lo:[0,0,1] neg_hi:[0,0,1]
	v_pk_fma_f32 v[20:21], v[92:93], v[50:51], v[20:21] op_sel_hi:[1,0,1]
	v_fmac_f32_e32 v101, v91, v48
	v_fma_f32 v100, v90, v48, -v2
	ds_read2_b64 v[2:5], v58 offset0:117 offset1:118
	ds_read2_b64 v[6:9], v58 offset0:119 offset1:120
	;; [unrolled: 1-line block ×3, first 2 shown]
	v_pk_add_f32 v[18:19], v[18:19], v[98:99]
	v_mov_b32_e32 v20, v53
	v_pk_add_f32 v[18:19], v[18:19], v[100:101]
	v_mov_b32_e32 v23, v21
	v_pk_mul_f32 v[20:21], v[94:95], v[20:21] op_sel:[1,0] op_sel_hi:[0,0]
	v_pk_add_f32 v[18:19], v[18:19], v[22:23]
	v_pk_fma_f32 v[22:23], v[94:95], v[52:53], v[20:21] neg_lo:[0,0,1] neg_hi:[0,0,1]
	v_pk_fma_f32 v[20:21], v[94:95], v[52:53], v[20:21] op_sel_hi:[1,0,1]
	s_nop 0
	v_mov_b32_e32 v23, v21
	s_waitcnt vmcnt(3) lgkmcnt(2)
	v_pk_mul_f32 v[20:21], v[2:3], v[34:35] op_sel:[1,1] op_sel_hi:[0,1]
	v_pk_add_f32 v[18:19], v[18:19], v[22:23]
	v_pk_fma_f32 v[22:23], v[2:3], v[34:35], v[20:21] neg_lo:[0,0,1] neg_hi:[0,0,1]
	v_pk_fma_f32 v[2:3], v[2:3], v[34:35], v[20:21] op_sel_hi:[1,0,1]
	s_nop 0
	v_mov_b32_e32 v23, v3
	v_pk_add_f32 v[2:3], v[18:19], v[22:23]
	v_mov_b32_e32 v18, v37
	v_pk_mul_f32 v[18:19], v[4:5], v[18:19] op_sel:[1,0] op_sel_hi:[0,0]
	v_pk_fma_f32 v[20:21], v[4:5], v[36:37], v[18:19] neg_lo:[0,0,1] neg_hi:[0,0,1]
	v_pk_fma_f32 v[4:5], v[4:5], v[36:37], v[18:19] op_sel_hi:[1,0,1]
	s_nop 0
	v_mov_b32_e32 v21, v5
	s_waitcnt vmcnt(2) lgkmcnt(1)
	v_pk_mul_f32 v[4:5], v[6:7], v[26:27] op_sel:[1,1] op_sel_hi:[0,1]
	v_pk_fma_f32 v[18:19], v[6:7], v[26:27], v[4:5] neg_lo:[0,0,1] neg_hi:[0,0,1]
	v_pk_fma_f32 v[4:5], v[6:7], v[26:27], v[4:5] op_sel_hi:[1,0,1]
	v_pk_add_f32 v[2:3], v[2:3], v[20:21]
	v_mov_b32_e32 v4, v29
	v_mov_b32_e32 v19, v5
	v_pk_mul_f32 v[4:5], v[8:9], v[4:5] op_sel:[1,0] op_sel_hi:[0,0]
	v_pk_fma_f32 v[6:7], v[8:9], v[28:29], v[4:5] neg_lo:[0,0,1] neg_hi:[0,0,1]
	v_pk_fma_f32 v[4:5], v[8:9], v[28:29], v[4:5] op_sel_hi:[1,0,1]
	v_pk_add_f32 v[2:3], v[2:3], v[18:19]
	v_mov_b32_e32 v7, v5
	s_waitcnt vmcnt(1) lgkmcnt(0)
	v_pk_mul_f32 v[4:5], v[14:15], v[10:11] op_sel:[1,1] op_sel_hi:[0,1]
	v_pk_add_f32 v[2:3], v[2:3], v[6:7]
	v_pk_fma_f32 v[6:7], v[14:15], v[10:11], v[4:5] neg_lo:[0,0,1] neg_hi:[0,0,1]
	v_pk_fma_f32 v[4:5], v[14:15], v[10:11], v[4:5] op_sel_hi:[1,0,1]
	s_nop 0
	v_mov_b32_e32 v4, v13
	v_mov_b32_e32 v7, v5
	v_pk_mul_f32 v[4:5], v[16:17], v[4:5] op_sel:[1,0] op_sel_hi:[0,0]
	v_pk_add_f32 v[2:3], v[2:3], v[6:7]
	v_pk_fma_f32 v[6:7], v[16:17], v[12:13], v[4:5] neg_lo:[0,0,1] neg_hi:[0,0,1]
	v_pk_fma_f32 v[4:5], v[16:17], v[12:13], v[4:5] op_sel_hi:[1,0,1]
	s_nop 0
	v_mov_b32_e32 v7, v5
	v_pk_add_f32 v[2:3], v[2:3], v[6:7]
	s_waitcnt vmcnt(0)
	v_pk_add_f32 v[2:3], v[96:97], v[2:3] neg_lo:[0,1] neg_hi:[0,1]
	scratch_store_dwordx2 off, v[2:3], off offset:272
	s_and_saveexec_b64 s[0:1], vcc
	s_cbranch_execz .LBB60_313
; %bb.312:
	scratch_load_dwordx2 v[2:3], off, off offset:264
	v_mov_b32_e32 v4, 0
	v_mov_b32_e32 v5, v4
	scratch_store_dwordx2 off, v[4:5], off offset:264
	s_waitcnt vmcnt(1)
	ds_write_b64 v1, v[2:3]
.LBB60_313:
	s_or_b64 exec, exec, s[0:1]
	s_waitcnt lgkmcnt(0)
	; wave barrier
	scratch_load_dwordx4 v[18:21], off, off offset:272
	scratch_load_dwordx4 v[30:33], off, off offset:288
	;; [unrolled: 1-line block ×13, first 2 shown]
	scratch_load_dwordx2 v[54:55], off, off offset:480
	scratch_load_dwordx2 v[80:81], off, off offset:264
	v_mov_b32_e32 v82, 0
	ds_read_b128 v[56:59], v82 offset:768
	ds_read_b128 v[60:63], v82 offset:784
	;; [unrolled: 1-line block ×10, first 2 shown]
	v_cmp_lt_u32_e32 vcc, 32, v0
	s_waitcnt vmcnt(14) lgkmcnt(9)
	v_mul_f32_e32 v83, v56, v19
	v_mul_f32_e32 v100, v58, v21
	s_waitcnt vmcnt(12) lgkmcnt(7)
	v_mul_f32_e32 v105, v64, v3
	v_mul_f32_e32 v3, v65, v3
	v_fmac_f32_e32 v83, v57, v18
	v_mul_f32_e32 v102, v60, v31
	v_fmac_f32_e32 v100, v59, v20
	v_fmac_f32_e32 v105, v65, v2
	v_fma_f32 v2, v64, v2, -v3
	v_add_f32_e32 v3, 0, v83
	v_mul_f32_e32 v104, v62, v33
	v_fmac_f32_e32 v102, v61, v30
	v_add_f32_e32 v3, v3, v100
	v_fmac_f32_e32 v104, v63, v32
	v_add_f32_e32 v3, v3, v102
	v_mul_f32_e32 v106, v66, v5
	v_add_f32_e32 v3, v3, v104
	s_waitcnt vmcnt(11) lgkmcnt(6)
	v_mul_f32_e32 v107, v68, v7
	v_fmac_f32_e32 v106, v67, v4
	v_add_f32_e32 v3, v3, v105
	v_mul_f32_e32 v108, v70, v9
	v_fmac_f32_e32 v107, v69, v6
	v_add_f32_e32 v3, v3, v106
	s_waitcnt vmcnt(10) lgkmcnt(5)
	v_mul_f32_e32 v109, v72, v15
	v_fmac_f32_e32 v108, v71, v8
	v_add_f32_e32 v3, v3, v107
	v_mul_f32_e32 v110, v74, v17
	v_fmac_f32_e32 v109, v73, v14
	;; [unrolled: 7-line block ×3, first 2 shown]
	v_add_f32_e32 v3, v3, v110
	s_waitcnt vmcnt(8) lgkmcnt(3)
	v_mul_f32_e32 v113, v84, v35
	v_mul_f32_e32 v19, v57, v19
	v_fmac_f32_e32 v112, v79, v24
	v_add_f32_e32 v3, v3, v111
	v_mul_f32_e32 v114, v86, v37
	v_mul_f32_e32 v21, v59, v21
	v_fmac_f32_e32 v113, v85, v34
	v_fma_f32 v18, v56, v18, -v19
	v_add_f32_e32 v3, v3, v112
	s_waitcnt vmcnt(7) lgkmcnt(2)
	v_mul_f32_e32 v115, v88, v39
	v_mul_f32_e32 v31, v61, v31
	v_fmac_f32_e32 v114, v87, v36
	v_fma_f32 v19, v58, v20, -v21
	v_add_f32_e32 v18, 0, v18
	v_add_f32_e32 v3, v3, v113
	v_mul_f32_e32 v116, v90, v41
	v_mul_f32_e32 v33, v63, v33
	v_fmac_f32_e32 v115, v89, v38
	v_fma_f32 v20, v60, v30, -v31
	v_add_f32_e32 v18, v18, v19
	v_add_f32_e32 v3, v3, v114
	s_waitcnt vmcnt(6) lgkmcnt(1)
	v_mul_f32_e32 v117, v92, v51
	v_fmac_f32_e32 v116, v91, v40
	v_fma_f32 v21, v62, v32, -v33
	v_add_f32_e32 v18, v18, v20
	v_add_f32_e32 v3, v3, v115
	v_mul_f32_e32 v5, v67, v5
	v_fmac_f32_e32 v117, v93, v50
	v_add_f32_e32 v18, v18, v21
	v_add_f32_e32 v3, v3, v116
	;; [unrolled: 1-line block ×4, first 2 shown]
	v_fma_f32 v3, v66, v4, -v5
	v_add_f32_e32 v2, v2, v3
	v_mul_f32_e32 v3, v69, v7
	v_fma_f32 v3, v68, v6, -v3
	v_add_f32_e32 v2, v2, v3
	v_mul_f32_e32 v3, v71, v9
	;; [unrolled: 3-line block ×12, first 2 shown]
	v_mul_f32_e32 v101, v94, v53
	v_fma_f32 v100, v94, v52, -v2
	s_waitcnt vmcnt(5) lgkmcnt(0)
	v_mul_f32_e32 v2, v97, v47
	v_mov_b32_e32 v22, v49
	v_mul_f32_e32 v103, v96, v47
	v_fmac_f32_e32 v101, v95, v52
	v_fma_f32 v102, v96, v46, -v2
	ds_read_b128 v[2:5], v82 offset:928
	ds_read_b128 v[6:9], v82 offset:944
	;; [unrolled: 1-line block ×3, first 2 shown]
	ds_read_b64 v[20:21], v82 offset:976
	v_pk_mul_f32 v[22:23], v[98:99], v[22:23] op_sel:[1,0] op_sel_hi:[0,0]
	v_fmac_f32_e32 v103, v97, v46
	v_pk_add_f32 v[18:19], v[18:19], v[100:101]
	v_pk_fma_f32 v[24:25], v[98:99], v[48:49], v[22:23] neg_lo:[0,0,1] neg_hi:[0,0,1]
	v_pk_fma_f32 v[22:23], v[98:99], v[48:49], v[22:23] op_sel_hi:[1,0,1]
	v_pk_add_f32 v[18:19], v[18:19], v[102:103]
	v_mov_b32_e32 v25, v23
	s_waitcnt vmcnt(4) lgkmcnt(3)
	v_pk_mul_f32 v[22:23], v[2:3], v[42:43] op_sel:[1,1] op_sel_hi:[0,1]
	v_pk_add_f32 v[18:19], v[18:19], v[24:25]
	v_pk_fma_f32 v[24:25], v[2:3], v[42:43], v[22:23] neg_lo:[0,0,1] neg_hi:[0,0,1]
	v_pk_fma_f32 v[2:3], v[2:3], v[42:43], v[22:23] op_sel_hi:[1,0,1]
	s_nop 0
	v_mov_b32_e32 v25, v3
	v_pk_add_f32 v[2:3], v[18:19], v[24:25]
	v_mov_b32_e32 v18, v45
	v_pk_mul_f32 v[18:19], v[4:5], v[18:19] op_sel:[1,0] op_sel_hi:[0,0]
	v_pk_fma_f32 v[22:23], v[4:5], v[44:45], v[18:19] neg_lo:[0,0,1] neg_hi:[0,0,1]
	v_pk_fma_f32 v[4:5], v[4:5], v[44:45], v[18:19] op_sel_hi:[1,0,1]
	s_nop 0
	v_mov_b32_e32 v23, v5
	s_waitcnt vmcnt(3) lgkmcnt(2)
	v_pk_mul_f32 v[4:5], v[6:7], v[26:27] op_sel:[1,1] op_sel_hi:[0,1]
	v_pk_fma_f32 v[18:19], v[6:7], v[26:27], v[4:5] neg_lo:[0,0,1] neg_hi:[0,0,1]
	v_pk_fma_f32 v[4:5], v[6:7], v[26:27], v[4:5] op_sel_hi:[1,0,1]
	v_pk_add_f32 v[2:3], v[2:3], v[22:23]
	v_mov_b32_e32 v4, v29
	v_mov_b32_e32 v19, v5
	v_pk_mul_f32 v[4:5], v[8:9], v[4:5] op_sel:[1,0] op_sel_hi:[0,0]
	v_pk_fma_f32 v[6:7], v[8:9], v[28:29], v[4:5] neg_lo:[0,0,1] neg_hi:[0,0,1]
	v_pk_fma_f32 v[4:5], v[8:9], v[28:29], v[4:5] op_sel_hi:[1,0,1]
	v_pk_add_f32 v[2:3], v[2:3], v[18:19]
	v_mov_b32_e32 v7, v5
	s_waitcnt vmcnt(2) lgkmcnt(1)
	v_pk_mul_f32 v[4:5], v[14:15], v[10:11] op_sel:[1,1] op_sel_hi:[0,1]
	v_pk_add_f32 v[2:3], v[2:3], v[6:7]
	v_pk_fma_f32 v[6:7], v[14:15], v[10:11], v[4:5] neg_lo:[0,0,1] neg_hi:[0,0,1]
	v_pk_fma_f32 v[4:5], v[14:15], v[10:11], v[4:5] op_sel_hi:[1,0,1]
	s_nop 0
	v_mov_b32_e32 v4, v13
	v_mov_b32_e32 v7, v5
	v_pk_mul_f32 v[4:5], v[16:17], v[4:5] op_sel:[1,0] op_sel_hi:[0,0]
	v_pk_add_f32 v[2:3], v[2:3], v[6:7]
	v_pk_fma_f32 v[6:7], v[16:17], v[12:13], v[4:5] neg_lo:[0,0,1] neg_hi:[0,0,1]
	v_pk_fma_f32 v[4:5], v[16:17], v[12:13], v[4:5] op_sel_hi:[1,0,1]
	s_nop 0
	v_mov_b32_e32 v7, v5
	s_waitcnt vmcnt(1) lgkmcnt(0)
	v_pk_mul_f32 v[4:5], v[20:21], v[54:55] op_sel:[1,1] op_sel_hi:[0,1]
	v_pk_add_f32 v[2:3], v[2:3], v[6:7]
	v_pk_fma_f32 v[6:7], v[20:21], v[54:55], v[4:5] neg_lo:[0,0,1] neg_hi:[0,0,1]
	v_pk_fma_f32 v[4:5], v[20:21], v[54:55], v[4:5] op_sel_hi:[1,0,1]
	s_nop 0
	v_mov_b32_e32 v7, v5
	v_pk_add_f32 v[2:3], v[2:3], v[6:7]
	s_waitcnt vmcnt(0)
	v_pk_add_f32 v[2:3], v[80:81], v[2:3] neg_lo:[0,1] neg_hi:[0,1]
	scratch_store_dwordx2 off, v[2:3], off offset:264
	s_and_saveexec_b64 s[0:1], vcc
	s_cbranch_execz .LBB60_315
; %bb.314:
	scratch_load_dwordx2 v[2:3], off, off offset:256
	v_mov_b32_e32 v83, v82
	scratch_store_dwordx2 off, v[82:83], off offset:256
	s_waitcnt vmcnt(1)
	ds_write_b64 v1, v[2:3]
.LBB60_315:
	s_or_b64 exec, exec, s[0:1]
	s_waitcnt lgkmcnt(0)
	; wave barrier
	scratch_load_dwordx4 v[10:13], off, off offset:264
	scratch_load_dwordx4 v[26:29], off, off offset:280
	;; [unrolled: 1-line block ×10, first 2 shown]
	ds_read2_b64 v[84:87], v82 offset0:95 offset1:96
	ds_read2_b64 v[88:91], v82 offset0:97 offset1:98
	;; [unrolled: 1-line block ×10, first 2 shown]
	scratch_load_dwordx4 v[54:57], off, off offset:424
	scratch_load_dwordx4 v[46:49], off, off offset:440
	;; [unrolled: 1-line block ×4, first 2 shown]
	scratch_load_dwordx2 v[100:101], off, off offset:256
	v_cmp_lt_u32_e32 vcc, 31, v0
	s_waitcnt vmcnt(14) lgkmcnt(9)
	v_mul_f32_e32 v83, v84, v11
	v_mul_f32_e32 v102, v86, v13
	s_waitcnt vmcnt(12) lgkmcnt(7)
	v_mul_f32_e32 v107, v92, v3
	v_mul_f32_e32 v3, v93, v3
	v_fmac_f32_e32 v83, v85, v10
	v_mul_f32_e32 v104, v88, v27
	v_fmac_f32_e32 v102, v87, v12
	v_fmac_f32_e32 v107, v93, v2
	v_fma_f32 v2, v92, v2, -v3
	v_add_f32_e32 v3, 0, v83
	v_mul_f32_e32 v106, v90, v29
	v_fmac_f32_e32 v104, v89, v26
	v_add_f32_e32 v3, v3, v102
	v_fmac_f32_e32 v106, v91, v28
	v_add_f32_e32 v3, v3, v104
	v_mul_f32_e32 v108, v94, v5
	v_add_f32_e32 v3, v3, v106
	s_waitcnt vmcnt(11) lgkmcnt(6)
	v_mul_f32_e32 v109, v96, v7
	v_fmac_f32_e32 v108, v95, v4
	v_add_f32_e32 v3, v3, v107
	v_mul_f32_e32 v110, v98, v9
	v_fmac_f32_e32 v109, v97, v6
	v_add_f32_e32 v3, v3, v108
	s_waitcnt vmcnt(10) lgkmcnt(5)
	v_mul_f32_e32 v111, v78, v15
	v_fmac_f32_e32 v110, v99, v8
	v_add_f32_e32 v3, v3, v109
	v_mul_f32_e32 v112, v80, v17
	v_fmac_f32_e32 v111, v79, v14
	;; [unrolled: 7-line block ×4, first 2 shown]
	v_add_f32_e32 v3, v3, v114
	s_waitcnt vmcnt(7) lgkmcnt(2)
	v_mul_f32_e32 v117, v66, v39
	v_mul_f32_e32 v11, v85, v11
	v_fmac_f32_e32 v116, v73, v32
	v_add_f32_e32 v3, v3, v115
	v_mul_f32_e32 v118, v68, v41
	v_mul_f32_e32 v13, v87, v13
	v_fmac_f32_e32 v117, v67, v38
	v_fma_f32 v10, v84, v10, -v11
	v_add_f32_e32 v3, v3, v116
	s_waitcnt vmcnt(6) lgkmcnt(1)
	v_mul_f32_e32 v119, v62, v43
	v_mul_f32_e32 v27, v89, v27
	v_fmac_f32_e32 v118, v69, v40
	v_fma_f32 v11, v86, v12, -v13
	v_add_f32_e32 v10, 0, v10
	v_add_f32_e32 v3, v3, v117
	v_mul_f32_e32 v120, v64, v45
	v_mul_f32_e32 v29, v91, v29
	v_fmac_f32_e32 v119, v63, v42
	v_fma_f32 v12, v88, v26, -v27
	v_add_f32_e32 v10, v10, v11
	v_add_f32_e32 v3, v3, v118
	v_fmac_f32_e32 v120, v65, v44
	v_fma_f32 v13, v90, v28, -v29
	v_add_f32_e32 v10, v10, v12
	v_add_f32_e32 v3, v3, v119
	;; [unrolled: 1-line block ×4, first 2 shown]
	v_mul_f32_e32 v3, v95, v5
	v_add_f32_e32 v2, v10, v2
	v_fma_f32 v3, v94, v4, -v3
	v_add_f32_e32 v2, v2, v3
	v_mul_f32_e32 v3, v97, v7
	v_fma_f32 v3, v96, v6, -v3
	v_add_f32_e32 v2, v2, v3
	v_mul_f32_e32 v3, v99, v9
	;; [unrolled: 3-line block ×12, first 2 shown]
	v_fma_f32 v3, v64, v44, -v3
	v_add_f32_e32 v26, v2, v3
	s_waitcnt vmcnt(5) lgkmcnt(0)
	v_mul_f32_e32 v2, v59, v51
	v_fma_f32 v102, v58, v50, -v2
	v_mul_f32_e32 v2, v61, v53
	v_fma_f32 v104, v60, v52, -v2
	ds_read2_b64 v[2:5], v82 offset0:115 offset1:116
	ds_read2_b64 v[6:9], v82 offset0:117 offset1:118
	;; [unrolled: 1-line block ×4, first 2 shown]
	v_mul_f32_e32 v103, v58, v51
	v_mul_f32_e32 v105, v60, v53
	v_fmac_f32_e32 v103, v59, v50
	s_waitcnt vmcnt(4) lgkmcnt(3)
	v_pk_mul_f32 v[24:25], v[2:3], v[54:55] op_sel:[1,1] op_sel_hi:[0,1]
	v_fmac_f32_e32 v105, v61, v52
	v_pk_add_f32 v[22:23], v[26:27], v[102:103]
	v_pk_fma_f32 v[26:27], v[2:3], v[54:55], v[24:25] neg_lo:[0,0,1] neg_hi:[0,0,1]
	v_pk_fma_f32 v[2:3], v[2:3], v[54:55], v[24:25] op_sel_hi:[1,0,1]
	v_pk_add_f32 v[22:23], v[22:23], v[104:105]
	v_mov_b32_e32 v27, v3
	v_pk_add_f32 v[2:3], v[22:23], v[26:27]
	v_mov_b32_e32 v22, v57
	v_pk_mul_f32 v[22:23], v[4:5], v[22:23] op_sel:[1,0] op_sel_hi:[0,0]
	v_pk_fma_f32 v[24:25], v[4:5], v[56:57], v[22:23] neg_lo:[0,0,1] neg_hi:[0,0,1]
	v_pk_fma_f32 v[4:5], v[4:5], v[56:57], v[22:23] op_sel_hi:[1,0,1]
	s_nop 0
	v_mov_b32_e32 v25, v5
	s_waitcnt vmcnt(3) lgkmcnt(2)
	v_pk_mul_f32 v[4:5], v[6:7], v[46:47] op_sel:[1,1] op_sel_hi:[0,1]
	v_pk_fma_f32 v[22:23], v[6:7], v[46:47], v[4:5] neg_lo:[0,0,1] neg_hi:[0,0,1]
	v_pk_fma_f32 v[4:5], v[6:7], v[46:47], v[4:5] op_sel_hi:[1,0,1]
	v_pk_add_f32 v[2:3], v[2:3], v[24:25]
	v_mov_b32_e32 v4, v49
	v_mov_b32_e32 v23, v5
	v_pk_mul_f32 v[4:5], v[8:9], v[4:5] op_sel:[1,0] op_sel_hi:[0,0]
	v_pk_fma_f32 v[6:7], v[8:9], v[48:49], v[4:5] neg_lo:[0,0,1] neg_hi:[0,0,1]
	v_pk_fma_f32 v[4:5], v[8:9], v[48:49], v[4:5] op_sel_hi:[1,0,1]
	v_pk_add_f32 v[2:3], v[2:3], v[22:23]
	v_mov_b32_e32 v7, v5
	s_waitcnt vmcnt(2) lgkmcnt(1)
	v_pk_mul_f32 v[4:5], v[10:11], v[34:35] op_sel:[1,1] op_sel_hi:[0,1]
	v_pk_add_f32 v[2:3], v[2:3], v[6:7]
	v_pk_fma_f32 v[6:7], v[10:11], v[34:35], v[4:5] neg_lo:[0,0,1] neg_hi:[0,0,1]
	v_pk_fma_f32 v[4:5], v[10:11], v[34:35], v[4:5] op_sel_hi:[1,0,1]
	s_nop 0
	v_mov_b32_e32 v4, v37
	v_mov_b32_e32 v7, v5
	v_pk_mul_f32 v[4:5], v[12:13], v[4:5] op_sel:[1,0] op_sel_hi:[0,0]
	v_pk_add_f32 v[2:3], v[2:3], v[6:7]
	v_pk_fma_f32 v[6:7], v[12:13], v[36:37], v[4:5] neg_lo:[0,0,1] neg_hi:[0,0,1]
	v_pk_fma_f32 v[4:5], v[12:13], v[36:37], v[4:5] op_sel_hi:[1,0,1]
	s_nop 0
	v_mov_b32_e32 v7, v5
	s_waitcnt vmcnt(1) lgkmcnt(0)
	v_pk_mul_f32 v[4:5], v[14:15], v[18:19] op_sel:[1,1] op_sel_hi:[0,1]
	v_pk_add_f32 v[2:3], v[2:3], v[6:7]
	v_pk_fma_f32 v[6:7], v[14:15], v[18:19], v[4:5] neg_lo:[0,0,1] neg_hi:[0,0,1]
	v_pk_fma_f32 v[4:5], v[14:15], v[18:19], v[4:5] op_sel_hi:[1,0,1]
	s_nop 0
	v_mov_b32_e32 v4, v21
	v_mov_b32_e32 v7, v5
	v_pk_mul_f32 v[4:5], v[16:17], v[4:5] op_sel:[1,0] op_sel_hi:[0,0]
	v_pk_add_f32 v[2:3], v[2:3], v[6:7]
	v_pk_fma_f32 v[6:7], v[16:17], v[20:21], v[4:5] neg_lo:[0,0,1] neg_hi:[0,0,1]
	v_pk_fma_f32 v[4:5], v[16:17], v[20:21], v[4:5] op_sel_hi:[1,0,1]
	s_nop 0
	v_mov_b32_e32 v7, v5
	v_pk_add_f32 v[2:3], v[2:3], v[6:7]
	s_waitcnt vmcnt(0)
	v_pk_add_f32 v[2:3], v[100:101], v[2:3] neg_lo:[0,1] neg_hi:[0,1]
	scratch_store_dwordx2 off, v[2:3], off offset:256
	s_and_saveexec_b64 s[0:1], vcc
	s_cbranch_execz .LBB60_317
; %bb.316:
	scratch_load_dwordx2 v[2:3], off, off offset:248
	v_mov_b32_e32 v4, 0
	v_mov_b32_e32 v5, v4
	scratch_store_dwordx2 off, v[4:5], off offset:248
	s_waitcnt vmcnt(1)
	ds_write_b64 v1, v[2:3]
.LBB60_317:
	s_or_b64 exec, exec, s[0:1]
	s_waitcnt lgkmcnt(0)
	; wave barrier
	scratch_load_dwordx4 v[26:29], off, off offset:256
	scratch_load_dwordx4 v[2:5], off, off offset:272
	;; [unrolled: 1-line block ×14, first 2 shown]
	scratch_load_dwordx2 v[58:59], off, off offset:480
	scratch_load_dwordx2 v[68:69], off, off offset:248
	v_mov_b32_e32 v70, 0
	ds_read_b128 v[60:63], v70 offset:752
	ds_read_b128 v[64:67], v70 offset:768
	;; [unrolled: 1-line block ×12, first 2 shown]
	v_cmp_lt_u32_e32 vcc, 30, v0
	s_waitcnt vmcnt(15) lgkmcnt(11)
	v_mul_f32_e32 v71, v60, v27
	v_mul_f32_e32 v112, v62, v29
	s_waitcnt vmcnt(14) lgkmcnt(10)
	v_mul_f32_e32 v114, v64, v3
	v_mul_f32_e32 v3, v65, v3
	v_fmac_f32_e32 v71, v61, v26
	v_fmac_f32_e32 v112, v63, v28
	;; [unrolled: 1-line block ×3, first 2 shown]
	v_fma_f32 v2, v64, v2, -v3
	v_add_f32_e32 v3, 0, v71
	v_mul_f32_e32 v116, v66, v5
	v_add_f32_e32 v3, v3, v112
	s_waitcnt vmcnt(13) lgkmcnt(9)
	v_mul_f32_e32 v117, v72, v7
	v_fmac_f32_e32 v116, v67, v4
	v_add_f32_e32 v3, v3, v114
	v_mul_f32_e32 v118, v74, v9
	v_fmac_f32_e32 v117, v73, v6
	v_add_f32_e32 v3, v3, v116
	s_waitcnt vmcnt(12) lgkmcnt(8)
	v_mul_f32_e32 v119, v76, v11
	v_fmac_f32_e32 v118, v75, v8
	v_add_f32_e32 v3, v3, v117
	v_mul_f32_e32 v120, v78, v13
	v_fmac_f32_e32 v119, v77, v10
	;; [unrolled: 7-line block ×6, first 2 shown]
	v_add_f32_e32 v3, v3, v126
	s_waitcnt vmcnt(7) lgkmcnt(3)
	v_mul_f32_e32 v129, v96, v43
	v_fmac_f32_e32 v128, v95, v40
	v_add_f32_e32 v3, v3, v127
	v_mul_f32_e32 v130, v98, v45
	v_mul_f32_e32 v27, v61, v27
	v_fmac_f32_e32 v129, v97, v42
	v_add_f32_e32 v3, v3, v128
	s_waitcnt vmcnt(6) lgkmcnt(2)
	v_mul_f32_e32 v131, v100, v51
	v_mul_f32_e32 v29, v63, v29
	v_fmac_f32_e32 v130, v99, v44
	v_fma_f32 v26, v60, v26, -v27
	v_add_f32_e32 v3, v3, v129
	v_fmac_f32_e32 v131, v101, v50
	v_fma_f32 v27, v62, v28, -v29
	v_add_f32_e32 v26, 0, v26
	v_add_f32_e32 v3, v3, v130
	;; [unrolled: 1-line block ×4, first 2 shown]
	v_mul_f32_e32 v3, v67, v5
	v_add_f32_e32 v2, v26, v2
	v_fma_f32 v3, v66, v4, -v3
	v_add_f32_e32 v2, v2, v3
	v_mul_f32_e32 v3, v73, v7
	v_fma_f32 v3, v72, v6, -v3
	v_add_f32_e32 v2, v2, v3
	v_mul_f32_e32 v3, v75, v9
	;; [unrolled: 3-line block ×15, first 2 shown]
	v_fma_f32 v3, v100, v50, -v3
	v_mul_f32_e32 v113, v102, v53
	v_add_f32_e32 v26, v2, v3
	v_mul_f32_e32 v2, v103, v53
	s_waitcnt vmcnt(5)
	v_mov_b32_e32 v14, v57
	s_waitcnt lgkmcnt(1)
	v_mul_f32_e32 v115, v104, v55
	v_fmac_f32_e32 v113, v103, v52
	v_fma_f32 v112, v102, v52, -v2
	v_mul_f32_e32 v2, v105, v55
	v_pk_mul_f32 v[14:15], v[106:107], v[14:15] op_sel:[1,0] op_sel_hi:[0,0]
	v_fmac_f32_e32 v115, v105, v54
	v_fma_f32 v114, v104, v54, -v2
	v_pk_add_f32 v[12:13], v[26:27], v[112:113]
	v_pk_fma_f32 v[16:17], v[106:107], v[56:57], v[14:15] neg_lo:[0,0,1] neg_hi:[0,0,1]
	v_pk_fma_f32 v[14:15], v[106:107], v[56:57], v[14:15] op_sel_hi:[1,0,1]
	v_pk_add_f32 v[12:13], v[12:13], v[114:115]
	v_mov_b32_e32 v17, v15
	s_waitcnt vmcnt(4) lgkmcnt(0)
	v_pk_mul_f32 v[14:15], v[108:109], v[46:47] op_sel:[1,1] op_sel_hi:[0,1]
	v_pk_add_f32 v[12:13], v[12:13], v[16:17]
	v_pk_fma_f32 v[16:17], v[108:109], v[46:47], v[14:15] neg_lo:[0,0,1] neg_hi:[0,0,1]
	v_pk_fma_f32 v[14:15], v[108:109], v[46:47], v[14:15] op_sel_hi:[1,0,1]
	ds_read_b128 v[2:5], v70 offset:944
	ds_read_b128 v[6:9], v70 offset:960
	ds_read_b64 v[10:11], v70 offset:976
	v_mov_b32_e32 v14, v49
	v_mov_b32_e32 v17, v15
	v_pk_mul_f32 v[14:15], v[110:111], v[14:15] op_sel:[1,0] op_sel_hi:[0,0]
	v_pk_add_f32 v[12:13], v[12:13], v[16:17]
	v_pk_fma_f32 v[16:17], v[110:111], v[48:49], v[14:15] neg_lo:[0,0,1] neg_hi:[0,0,1]
	v_pk_fma_f32 v[14:15], v[110:111], v[48:49], v[14:15] op_sel_hi:[1,0,1]
	s_nop 0
	v_mov_b32_e32 v17, v15
	s_waitcnt vmcnt(3) lgkmcnt(2)
	v_pk_mul_f32 v[14:15], v[2:3], v[34:35] op_sel:[1,1] op_sel_hi:[0,1]
	v_pk_add_f32 v[12:13], v[12:13], v[16:17]
	v_pk_fma_f32 v[16:17], v[2:3], v[34:35], v[14:15] neg_lo:[0,0,1] neg_hi:[0,0,1]
	v_pk_fma_f32 v[2:3], v[2:3], v[34:35], v[14:15] op_sel_hi:[1,0,1]
	s_nop 0
	v_mov_b32_e32 v17, v3
	v_pk_add_f32 v[2:3], v[12:13], v[16:17]
	v_mov_b32_e32 v12, v37
	v_pk_mul_f32 v[12:13], v[4:5], v[12:13] op_sel:[1,0] op_sel_hi:[0,0]
	v_pk_fma_f32 v[14:15], v[4:5], v[36:37], v[12:13] neg_lo:[0,0,1] neg_hi:[0,0,1]
	v_pk_fma_f32 v[4:5], v[4:5], v[36:37], v[12:13] op_sel_hi:[1,0,1]
	s_nop 0
	v_mov_b32_e32 v15, v5
	s_waitcnt vmcnt(2) lgkmcnt(1)
	v_pk_mul_f32 v[4:5], v[6:7], v[18:19] op_sel:[1,1] op_sel_hi:[0,1]
	v_pk_fma_f32 v[12:13], v[6:7], v[18:19], v[4:5] neg_lo:[0,0,1] neg_hi:[0,0,1]
	v_pk_fma_f32 v[4:5], v[6:7], v[18:19], v[4:5] op_sel_hi:[1,0,1]
	v_pk_add_f32 v[2:3], v[2:3], v[14:15]
	v_mov_b32_e32 v4, v21
	v_mov_b32_e32 v13, v5
	v_pk_mul_f32 v[4:5], v[8:9], v[4:5] op_sel:[1,0] op_sel_hi:[0,0]
	v_pk_fma_f32 v[6:7], v[8:9], v[20:21], v[4:5] neg_lo:[0,0,1] neg_hi:[0,0,1]
	v_pk_fma_f32 v[4:5], v[8:9], v[20:21], v[4:5] op_sel_hi:[1,0,1]
	v_pk_add_f32 v[2:3], v[2:3], v[12:13]
	v_mov_b32_e32 v7, v5
	s_waitcnt vmcnt(1) lgkmcnt(0)
	v_pk_mul_f32 v[4:5], v[10:11], v[58:59] op_sel:[1,1] op_sel_hi:[0,1]
	v_pk_add_f32 v[2:3], v[2:3], v[6:7]
	v_pk_fma_f32 v[6:7], v[10:11], v[58:59], v[4:5] neg_lo:[0,0,1] neg_hi:[0,0,1]
	v_pk_fma_f32 v[4:5], v[10:11], v[58:59], v[4:5] op_sel_hi:[1,0,1]
	s_nop 0
	v_mov_b32_e32 v7, v5
	v_pk_add_f32 v[2:3], v[2:3], v[6:7]
	s_waitcnt vmcnt(0)
	v_pk_add_f32 v[2:3], v[68:69], v[2:3] neg_lo:[0,1] neg_hi:[0,1]
	scratch_store_dwordx2 off, v[2:3], off offset:248
	s_and_saveexec_b64 s[0:1], vcc
	s_cbranch_execz .LBB60_319
; %bb.318:
	scratch_load_dwordx2 v[2:3], off, off offset:240
	v_mov_b32_e32 v71, v70
	scratch_store_dwordx2 off, v[70:71], off offset:240
	s_waitcnt vmcnt(1)
	ds_write_b64 v1, v[2:3]
.LBB60_319:
	s_or_b64 exec, exec, s[0:1]
	s_waitcnt lgkmcnt(0)
	; wave barrier
	scratch_load_dwordx4 v[62:65], off, off offset:248
	scratch_load_dwordx4 v[58:61], off, off offset:264
	;; [unrolled: 1-line block ×11, first 2 shown]
	ds_read2_b64 v[88:91], v70 offset0:93 offset1:94
	ds_read2_b64 v[92:95], v70 offset0:95 offset1:96
	;; [unrolled: 1-line block ×11, first 2 shown]
	scratch_load_dwordx4 v[14:17], off, off offset:424
	scratch_load_dwordx4 v[10:13], off, off offset:440
	;; [unrolled: 1-line block ×4, first 2 shown]
	v_cmp_lt_u32_e32 vcc, 29, v0
	s_waitcnt vmcnt(14) lgkmcnt(10)
	v_mul_f32_e32 v71, v88, v63
	v_mul_f32_e32 v63, v89, v63
	;; [unrolled: 1-line block ×4, first 2 shown]
	v_fmac_f32_e32 v71, v89, v62
	v_fma_f32 v62, v88, v62, -v63
	s_waitcnt vmcnt(13) lgkmcnt(9)
	v_mul_f32_e32 v74, v92, v59
	v_mul_f32_e32 v59, v93, v59
	v_fma_f32 v63, v90, v64, -v65
	v_add_f32_e32 v62, 0, v62
	v_mul_f32_e32 v112, v94, v61
	v_mul_f32_e32 v61, v95, v61
	v_fmac_f32_e32 v74, v93, v58
	v_fma_f32 v58, v92, v58, -v59
	v_add_f32_e32 v62, v62, v63
	v_fmac_f32_e32 v112, v95, v60
	v_add_f32_e32 v58, v62, v58
	v_fma_f32 v60, v94, v60, -v61
	v_add_f32_e32 v58, v58, v60
	s_waitcnt vmcnt(12) lgkmcnt(8)
	v_mul_f32_e32 v60, v97, v67
	v_fma_f32 v60, v96, v66, -v60
	v_add_f32_e32 v58, v58, v60
	v_mul_f32_e32 v60, v99, v69
	v_fma_f32 v60, v98, v68, -v60
	v_add_f32_e32 v58, v58, v60
	s_waitcnt vmcnt(11) lgkmcnt(7)
	v_mul_f32_e32 v60, v101, v77
	v_fma_f32 v60, v100, v76, -v60
	v_add_f32_e32 v58, v58, v60
	v_mul_f32_e32 v60, v103, v79
	;; [unrolled: 7-line block ×4, first 2 shown]
	v_fma_f32 v62, v110, v86, -v60
	scratch_load_dwordx2 v[60:61], off, off offset:240
	s_waitcnt vmcnt(9) lgkmcnt(4)
	v_mul_f32_e32 v121, v54, v19
	v_fmac_f32_e32 v72, v91, v64
	v_add_f32_e32 v59, 0, v71
	v_mul_f32_e32 v19, v55, v19
	v_fmac_f32_e32 v121, v55, v18
	v_add_f32_e32 v59, v59, v72
	v_add_f32_e32 v58, v58, v62
	v_fma_f32 v18, v54, v18, -v19
	v_mul_f32_e32 v19, v57, v21
	v_mul_f32_e32 v113, v96, v67
	v_add_f32_e32 v59, v59, v74
	v_add_f32_e32 v18, v58, v18
	v_fma_f32 v19, v56, v20, -v19
	v_mul_f32_e32 v114, v98, v69
	v_fmac_f32_e32 v113, v97, v66
	v_add_f32_e32 v59, v59, v112
	v_add_f32_e32 v18, v18, v19
	s_waitcnt vmcnt(8) lgkmcnt(3)
	v_mul_f32_e32 v19, v51, v23
	v_mul_f32_e32 v115, v100, v77
	v_fmac_f32_e32 v114, v99, v68
	v_add_f32_e32 v59, v59, v113
	v_fma_f32 v19, v50, v22, -v19
	v_mul_f32_e32 v116, v102, v79
	v_fmac_f32_e32 v115, v101, v76
	v_add_f32_e32 v59, v59, v114
	v_add_f32_e32 v18, v18, v19
	v_mul_f32_e32 v19, v53, v25
	v_mul_f32_e32 v117, v104, v81
	v_fmac_f32_e32 v116, v103, v78
	v_add_f32_e32 v59, v59, v115
	v_fma_f32 v19, v52, v24, -v19
	v_mul_f32_e32 v118, v106, v83
	v_fmac_f32_e32 v117, v105, v80
	v_add_f32_e32 v59, v59, v116
	v_add_f32_e32 v18, v18, v19
	s_waitcnt vmcnt(7) lgkmcnt(2)
	v_mul_f32_e32 v19, v47, v27
	v_mul_f32_e32 v119, v108, v85
	v_fmac_f32_e32 v118, v107, v82
	v_add_f32_e32 v59, v59, v117
	v_fma_f32 v19, v46, v26, -v19
	v_mul_f32_e32 v120, v110, v87
	v_fmac_f32_e32 v119, v109, v84
	v_add_f32_e32 v59, v59, v118
	v_add_f32_e32 v18, v18, v19
	v_mul_f32_e32 v19, v49, v29
	v_fmac_f32_e32 v120, v111, v86
	v_add_f32_e32 v59, v59, v119
	v_fma_f32 v19, v48, v28, -v19
	v_mul_f32_e32 v122, v56, v21
	v_add_f32_e32 v59, v59, v120
	v_add_f32_e32 v18, v18, v19
	s_waitcnt vmcnt(6) lgkmcnt(1)
	v_mul_f32_e32 v19, v43, v31
	v_mul_f32_e32 v123, v50, v23
	v_fmac_f32_e32 v122, v57, v20
	v_add_f32_e32 v59, v59, v121
	v_fma_f32 v19, v42, v30, -v19
	v_mul_f32_e32 v124, v52, v25
	v_fmac_f32_e32 v123, v51, v22
	v_add_f32_e32 v59, v59, v122
	v_add_f32_e32 v18, v18, v19
	v_mul_f32_e32 v19, v45, v33
	v_mul_f32_e32 v125, v46, v27
	v_fmac_f32_e32 v124, v53, v24
	v_add_f32_e32 v59, v59, v123
	v_fma_f32 v19, v44, v32, -v19
	v_mul_f32_e32 v126, v48, v29
	v_fmac_f32_e32 v125, v47, v26
	v_add_f32_e32 v59, v59, v124
	v_add_f32_e32 v58, v18, v19
	s_waitcnt vmcnt(5) lgkmcnt(0)
	v_mul_f32_e32 v18, v39, v35
	v_mul_f32_e32 v127, v42, v31
	;; [unrolled: 1-line block ×3, first 2 shown]
	v_fmac_f32_e32 v126, v49, v28
	v_add_f32_e32 v59, v59, v125
	v_fma_f32 v74, v38, v34, -v18
	v_mul_f32_e32 v18, v41, v37
	v_fmac_f32_e32 v127, v43, v30
	v_fmac_f32_e32 v128, v45, v32
	v_add_f32_e32 v59, v59, v126
	v_fma_f32 v72, v40, v36, -v18
	ds_read2_b64 v[18:21], v70 offset0:115 offset1:116
	ds_read2_b64 v[22:25], v70 offset0:117 offset1:118
	;; [unrolled: 1-line block ×4, first 2 shown]
	v_mul_f32_e32 v75, v38, v35
	v_mul_f32_e32 v73, v40, v37
	v_add_f32_e32 v59, v59, v127
	v_fmac_f32_e32 v75, v39, v34
	v_fmac_f32_e32 v73, v41, v36
	v_add_f32_e32 v59, v59, v128
	s_waitcnt vmcnt(4) lgkmcnt(3)
	v_pk_mul_f32 v[36:37], v[18:19], v[14:15] op_sel:[1,1] op_sel_hi:[0,1]
	v_pk_add_f32 v[34:35], v[58:59], v[74:75]
	v_pk_fma_f32 v[38:39], v[18:19], v[14:15], v[36:37] neg_lo:[0,0,1] neg_hi:[0,0,1]
	v_pk_fma_f32 v[14:15], v[18:19], v[14:15], v[36:37] op_sel_hi:[1,0,1]
	v_mov_b32_e32 v18, v17
	v_pk_add_f32 v[34:35], v[34:35], v[72:73]
	v_mov_b32_e32 v39, v15
	v_pk_mul_f32 v[18:19], v[20:21], v[18:19] op_sel:[1,0] op_sel_hi:[0,0]
	v_pk_add_f32 v[14:15], v[34:35], v[38:39]
	v_pk_fma_f32 v[34:35], v[20:21], v[16:17], v[18:19] neg_lo:[0,0,1] neg_hi:[0,0,1]
	v_pk_fma_f32 v[16:17], v[20:21], v[16:17], v[18:19] op_sel_hi:[1,0,1]
	s_nop 0
	v_mov_b32_e32 v35, v17
	s_waitcnt vmcnt(3) lgkmcnt(2)
	v_pk_mul_f32 v[16:17], v[22:23], v[10:11] op_sel:[1,1] op_sel_hi:[0,1]
	v_pk_fma_f32 v[18:19], v[22:23], v[10:11], v[16:17] neg_lo:[0,0,1] neg_hi:[0,0,1]
	v_pk_fma_f32 v[10:11], v[22:23], v[10:11], v[16:17] op_sel_hi:[1,0,1]
	v_pk_add_f32 v[14:15], v[14:15], v[34:35]
	v_mov_b32_e32 v19, v11
	v_pk_add_f32 v[10:11], v[14:15], v[18:19]
	v_mov_b32_e32 v14, v13
	v_pk_mul_f32 v[14:15], v[24:25], v[14:15] op_sel:[1,0] op_sel_hi:[0,0]
	v_pk_fma_f32 v[16:17], v[24:25], v[12:13], v[14:15] neg_lo:[0,0,1] neg_hi:[0,0,1]
	v_pk_fma_f32 v[12:13], v[24:25], v[12:13], v[14:15] op_sel_hi:[1,0,1]
	s_nop 0
	v_mov_b32_e32 v17, v13
	s_waitcnt vmcnt(2) lgkmcnt(1)
	v_pk_mul_f32 v[12:13], v[26:27], v[6:7] op_sel:[1,1] op_sel_hi:[0,1]
	v_pk_fma_f32 v[14:15], v[26:27], v[6:7], v[12:13] neg_lo:[0,0,1] neg_hi:[0,0,1]
	v_pk_fma_f32 v[6:7], v[26:27], v[6:7], v[12:13] op_sel_hi:[1,0,1]
	v_pk_add_f32 v[10:11], v[10:11], v[16:17]
	v_mov_b32_e32 v15, v7
	v_pk_add_f32 v[6:7], v[10:11], v[14:15]
	v_mov_b32_e32 v10, v9
	v_pk_mul_f32 v[10:11], v[28:29], v[10:11] op_sel:[1,0] op_sel_hi:[0,0]
	;; [unrolled: 13-line block ×3, first 2 shown]
	v_pk_fma_f32 v[8:9], v[32:33], v[4:5], v[6:7] neg_lo:[0,0,1] neg_hi:[0,0,1]
	v_pk_fma_f32 v[4:5], v[32:33], v[4:5], v[6:7] op_sel_hi:[1,0,1]
	s_nop 0
	v_mov_b32_e32 v9, v5
	v_pk_add_f32 v[2:3], v[2:3], v[8:9]
	s_waitcnt vmcnt(0)
	v_pk_add_f32 v[2:3], v[60:61], v[2:3] neg_lo:[0,1] neg_hi:[0,1]
	scratch_store_dwordx2 off, v[2:3], off offset:240
	s_and_saveexec_b64 s[0:1], vcc
	s_cbranch_execz .LBB60_321
; %bb.320:
	scratch_load_dwordx2 v[2:3], off, off offset:232
	v_mov_b32_e32 v4, 0
	v_mov_b32_e32 v5, v4
	scratch_store_dwordx2 off, v[4:5], off offset:232
	s_waitcnt vmcnt(1)
	ds_write_b64 v1, v[2:3]
.LBB60_321:
	s_or_b64 exec, exec, s[0:1]
	v_mov_b32_e32 v62, 0
	s_waitcnt lgkmcnt(0)
	; wave barrier
	ds_read_b128 v[14:17], v62 offset:736
	ds_read_b128 v[10:13], v62 offset:752
	;; [unrolled: 1-line block ×4, first 2 shown]
	scratch_load_dwordx4 v[18:21], off, off offset:240
	scratch_load_dwordx4 v[38:41], off, off offset:304
	;; [unrolled: 1-line block ×6, first 2 shown]
	v_cmp_lt_u32_e32 vcc, 28, v0
	scratch_load_dwordx4 v[46:49], off, off offset:320
	scratch_load_dwordx4 v[54:57], off, off offset:336
	;; [unrolled: 1-line block ×3, first 2 shown]
	s_waitcnt vmcnt(8) lgkmcnt(3)
	v_mul_f32_e32 v22, v14, v19
	v_fmac_f32_e32 v22, v15, v18
	v_mul_f32_e32 v23, v16, v21
	v_add_f32_e32 v22, 0, v22
	v_fmac_f32_e32 v23, v17, v20
	v_add_f32_e32 v26, v22, v23
	scratch_load_dwordx4 v[22:25], off, off offset:256
	v_mul_f32_e32 v15, v15, v19
	v_fma_f32 v14, v14, v18, -v15
	v_mul_f32_e32 v15, v17, v21
	v_add_f32_e32 v14, 0, v14
	v_fma_f32 v15, v16, v20, -v15
	v_add_f32_e32 v14, v14, v15
	s_waitcnt vmcnt(4)
	v_mov_b32_e32 v18, v99
	s_waitcnt vmcnt(0) lgkmcnt(2)
	v_mul_f32_e32 v27, v10, v23
	v_fmac_f32_e32 v27, v11, v22
	v_add_f32_e32 v26, v26, v27
	v_mul_f32_e32 v27, v12, v25
	v_fmac_f32_e32 v27, v13, v24
	v_add_f32_e32 v30, v26, v27
	scratch_load_dwordx4 v[26:29], off, off offset:272
	v_mul_f32_e32 v11, v11, v23
	v_fma_f32 v10, v10, v22, -v11
	v_mul_f32_e32 v11, v13, v25
	v_add_f32_e32 v10, v14, v10
	v_fma_f32 v11, v12, v24, -v11
	v_add_f32_e32 v10, v10, v11
	s_waitcnt vmcnt(0) lgkmcnt(1)
	v_mul_f32_e32 v31, v6, v27
	v_fmac_f32_e32 v31, v7, v26
	v_add_f32_e32 v30, v30, v31
	v_mul_f32_e32 v31, v8, v29
	v_fmac_f32_e32 v31, v9, v28
	v_add_f32_e32 v34, v30, v31
	scratch_load_dwordx4 v[30:33], off, off offset:288
	v_mul_f32_e32 v7, v7, v27
	v_fma_f32 v6, v6, v26, -v7
	v_mul_f32_e32 v7, v9, v29
	v_add_f32_e32 v6, v10, v6
	v_fma_f32 v7, v8, v28, -v7
	v_add_f32_e32 v6, v6, v7
	s_waitcnt vmcnt(0) lgkmcnt(0)
	v_mul_f32_e32 v35, v2, v31
	v_fmac_f32_e32 v35, v3, v30
	v_add_f32_e32 v34, v34, v35
	v_mul_f32_e32 v35, v4, v33
	v_fmac_f32_e32 v35, v5, v32
	v_add_f32_e32 v42, v34, v35
	ds_read_b128 v[34:37], v62 offset:800
	v_mul_f32_e32 v3, v3, v31
	v_fma_f32 v2, v2, v30, -v3
	v_mul_f32_e32 v3, v5, v33
	v_add_f32_e32 v2, v6, v2
	s_waitcnt lgkmcnt(0)
	v_mul_f32_e32 v43, v34, v39
	v_fmac_f32_e32 v43, v35, v38
	v_add_f32_e32 v42, v42, v43
	v_mul_f32_e32 v43, v36, v41
	v_fmac_f32_e32 v43, v37, v40
	v_add_f32_e32 v50, v42, v43
	ds_read_b128 v[42:45], v62 offset:816
	v_fma_f32 v3, v4, v32, -v3
	v_add_f32_e32 v2, v2, v3
	v_mul_f32_e32 v3, v35, v39
	v_fma_f32 v3, v34, v38, -v3
	s_waitcnt lgkmcnt(0)
	v_mul_f32_e32 v51, v42, v47
	v_fmac_f32_e32 v51, v43, v46
	v_add_f32_e32 v50, v50, v51
	v_mul_f32_e32 v51, v44, v49
	v_fmac_f32_e32 v51, v45, v48
	v_add_f32_e32 v58, v50, v51
	ds_read_b128 v[50:53], v62 offset:832
	v_add_f32_e32 v2, v2, v3
	v_mul_f32_e32 v3, v37, v41
	v_fma_f32 v3, v36, v40, -v3
	v_add_f32_e32 v2, v2, v3
	s_waitcnt lgkmcnt(0)
	v_mul_f32_e32 v59, v50, v55
	v_fmac_f32_e32 v59, v51, v54
	v_add_f32_e32 v58, v58, v59
	v_mul_f32_e32 v59, v52, v57
	v_fmac_f32_e32 v59, v53, v56
	v_add_f32_e32 v63, v58, v59
	ds_read_b128 v[58:61], v62 offset:848
	v_mul_f32_e32 v3, v43, v47
	v_fma_f32 v3, v42, v46, -v3
	v_add_f32_e32 v2, v2, v3
	v_mul_f32_e32 v3, v45, v49
	s_waitcnt lgkmcnt(0)
	v_mul_f32_e32 v68, v58, v65
	v_fmac_f32_e32 v68, v59, v64
	v_add_f32_e32 v63, v63, v68
	v_mul_f32_e32 v68, v60, v67
	v_fmac_f32_e32 v68, v61, v66
	v_add_f32_e32 v63, v63, v68
	ds_read_b128 v[68:71], v62 offset:864
	v_fma_f32 v3, v44, v48, -v3
	v_add_f32_e32 v2, v2, v3
	v_mul_f32_e32 v3, v51, v55
	v_fma_f32 v3, v50, v54, -v3
	s_waitcnt lgkmcnt(0)
	v_mul_f32_e32 v76, v68, v73
	v_fmac_f32_e32 v76, v69, v72
	v_add_f32_e32 v63, v63, v76
	v_mul_f32_e32 v76, v70, v75
	v_fmac_f32_e32 v76, v71, v74
	v_add_f32_e32 v63, v63, v76
	ds_read_b128 v[76:79], v62 offset:880
	v_add_f32_e32 v2, v2, v3
	v_mul_f32_e32 v3, v53, v57
	v_fma_f32 v3, v52, v56, -v3
	v_add_f32_e32 v2, v2, v3
	s_waitcnt lgkmcnt(0)
	v_mul_f32_e32 v84, v76, v81
	v_fmac_f32_e32 v84, v77, v80
	v_add_f32_e32 v63, v63, v84
	v_mul_f32_e32 v84, v78, v83
	v_fmac_f32_e32 v84, v79, v82
	v_add_f32_e32 v63, v63, v84
	ds_read_b128 v[84:87], v62 offset:896
	v_mul_f32_e32 v3, v59, v65
	v_fma_f32 v3, v58, v64, -v3
	v_add_f32_e32 v2, v2, v3
	v_mul_f32_e32 v3, v61, v67
	s_waitcnt lgkmcnt(0)
	v_mul_f32_e32 v92, v84, v89
	v_fmac_f32_e32 v92, v85, v88
	v_add_f32_e32 v113, v63, v92
	ds_read_b128 v[92:95], v62 offset:912
	scratch_load_dwordx4 v[100:103], off, off offset:432
	scratch_load_dwordx4 v[104:107], off, off offset:448
	;; [unrolled: 1-line block ×3, first 2 shown]
	scratch_load_dwordx2 v[118:119], off, off offset:480
	v_fma_f32 v3, v60, v66, -v3
	v_add_f32_e32 v2, v2, v3
	v_mul_f32_e32 v3, v69, v73
	v_fma_f32 v3, v68, v72, -v3
	v_add_f32_e32 v2, v2, v3
	v_mul_f32_e32 v3, v71, v75
	;; [unrolled: 3-line block ×6, first 2 shown]
	v_mul_f32_e32 v115, v86, v91
	v_fma_f32 v114, v86, v90, -v2
	s_waitcnt lgkmcnt(0)
	v_mul_f32_e32 v2, v93, v97
	v_fmac_f32_e32 v115, v87, v90
	v_mul_f32_e32 v117, v92, v97
	v_fma_f32 v116, v92, v96, -v2
	ds_read_b128 v[2:5], v62 offset:928
	ds_read_b128 v[6:9], v62 offset:944
	;; [unrolled: 1-line block ×3, first 2 shown]
	ds_read_b64 v[14:15], v62 offset:976
	v_pk_mul_f32 v[18:19], v[94:95], v[18:19] op_sel:[1,0] op_sel_hi:[0,0]
	v_fmac_f32_e32 v117, v93, v96
	v_pk_add_f32 v[16:17], v[112:113], v[114:115]
	v_pk_fma_f32 v[20:21], v[94:95], v[98:99], v[18:19] neg_lo:[0,0,1] neg_hi:[0,0,1]
	v_pk_fma_f32 v[18:19], v[94:95], v[98:99], v[18:19] op_sel_hi:[1,0,1]
	v_pk_add_f32 v[16:17], v[16:17], v[116:117]
	v_mov_b32_e32 v21, v19
	v_pk_add_f32 v[16:17], v[16:17], v[20:21]
	s_waitcnt vmcnt(3) lgkmcnt(3)
	v_pk_mul_f32 v[18:19], v[2:3], v[100:101] op_sel:[1,1] op_sel_hi:[0,1]
	v_pk_fma_f32 v[20:21], v[2:3], v[100:101], v[18:19] neg_lo:[0,0,1] neg_hi:[0,0,1]
	v_pk_fma_f32 v[2:3], v[2:3], v[100:101], v[18:19] op_sel_hi:[1,0,1]
	s_nop 0
	v_mov_b32_e32 v21, v3
	v_pk_add_f32 v[2:3], v[16:17], v[20:21]
	v_mov_b32_e32 v16, v103
	v_pk_mul_f32 v[16:17], v[4:5], v[16:17] op_sel:[1,0] op_sel_hi:[0,0]
	v_pk_fma_f32 v[18:19], v[4:5], v[102:103], v[16:17] neg_lo:[0,0,1] neg_hi:[0,0,1]
	v_pk_fma_f32 v[4:5], v[4:5], v[102:103], v[16:17] op_sel_hi:[1,0,1]
	s_nop 0
	v_mov_b32_e32 v19, v5
	s_waitcnt vmcnt(2) lgkmcnt(2)
	v_pk_mul_f32 v[4:5], v[6:7], v[104:105] op_sel:[1,1] op_sel_hi:[0,1]
	v_pk_fma_f32 v[16:17], v[6:7], v[104:105], v[4:5] neg_lo:[0,0,1] neg_hi:[0,0,1]
	v_pk_fma_f32 v[4:5], v[6:7], v[104:105], v[4:5] op_sel_hi:[1,0,1]
	v_pk_add_f32 v[2:3], v[2:3], v[18:19]
	v_mov_b32_e32 v4, v107
	v_mov_b32_e32 v17, v5
	v_pk_mul_f32 v[4:5], v[8:9], v[4:5] op_sel:[1,0] op_sel_hi:[0,0]
	v_pk_fma_f32 v[6:7], v[8:9], v[106:107], v[4:5] neg_lo:[0,0,1] neg_hi:[0,0,1]
	v_pk_fma_f32 v[4:5], v[8:9], v[106:107], v[4:5] op_sel_hi:[1,0,1]
	v_pk_add_f32 v[2:3], v[2:3], v[16:17]
	v_mov_b32_e32 v7, v5
	s_waitcnt vmcnt(1) lgkmcnt(1)
	v_pk_mul_f32 v[4:5], v[10:11], v[108:109] op_sel:[1,1] op_sel_hi:[0,1]
	v_pk_add_f32 v[2:3], v[2:3], v[6:7]
	v_pk_fma_f32 v[6:7], v[10:11], v[108:109], v[4:5] neg_lo:[0,0,1] neg_hi:[0,0,1]
	v_pk_fma_f32 v[4:5], v[10:11], v[108:109], v[4:5] op_sel_hi:[1,0,1]
	s_nop 0
	v_mov_b32_e32 v4, v111
	v_mov_b32_e32 v7, v5
	v_pk_mul_f32 v[4:5], v[12:13], v[4:5] op_sel:[1,0] op_sel_hi:[0,0]
	v_pk_add_f32 v[2:3], v[2:3], v[6:7]
	v_pk_fma_f32 v[6:7], v[12:13], v[110:111], v[4:5] neg_lo:[0,0,1] neg_hi:[0,0,1]
	v_pk_fma_f32 v[4:5], v[12:13], v[110:111], v[4:5] op_sel_hi:[1,0,1]
	s_nop 0
	v_mov_b32_e32 v7, v5
	s_waitcnt vmcnt(0) lgkmcnt(0)
	v_pk_mul_f32 v[4:5], v[14:15], v[118:119] op_sel:[1,1] op_sel_hi:[0,1]
	v_pk_add_f32 v[2:3], v[2:3], v[6:7]
	v_pk_fma_f32 v[6:7], v[14:15], v[118:119], v[4:5] neg_lo:[0,0,1] neg_hi:[0,0,1]
	v_pk_fma_f32 v[4:5], v[14:15], v[118:119], v[4:5] op_sel_hi:[1,0,1]
	s_nop 0
	v_mov_b32_e32 v7, v5
	scratch_load_dwordx2 v[4:5], off, off offset:232
	v_pk_add_f32 v[2:3], v[2:3], v[6:7]
	s_waitcnt vmcnt(0)
	v_pk_add_f32 v[2:3], v[4:5], v[2:3] neg_lo:[0,1] neg_hi:[0,1]
	scratch_store_dwordx2 off, v[2:3], off offset:232
	s_and_saveexec_b64 s[0:1], vcc
	s_cbranch_execz .LBB60_323
; %bb.322:
	scratch_load_dwordx2 v[2:3], off, off offset:224
	v_mov_b32_e32 v63, v62
	scratch_store_dwordx2 off, v[62:63], off offset:224
	s_waitcnt vmcnt(1)
	ds_write_b64 v1, v[2:3]
.LBB60_323:
	s_or_b64 exec, exec, s[0:1]
	s_waitcnt lgkmcnt(0)
	; wave barrier
	scratch_load_dwordx4 v[6:9], off, off offset:232
	scratch_load_dwordx4 v[14:17], off, off offset:248
	;; [unrolled: 1-line block ×10, first 2 shown]
	ds_read2_b64 v[2:5], v62 offset0:91 offset1:92
	scratch_load_dwordx4 v[88:91], off, off offset:392
	scratch_load_dwordx4 v[96:99], off, off offset:408
	v_cmp_lt_u32_e32 vcc, 27, v0
	s_waitcnt vmcnt(11) lgkmcnt(0)
	v_mul_f32_e32 v10, v2, v7
	v_fmac_f32_e32 v10, v3, v6
	v_mul_f32_e32 v11, v4, v9
	v_add_f32_e32 v10, 0, v10
	v_fmac_f32_e32 v11, v5, v8
	v_add_f32_e32 v18, v10, v11
	ds_read2_b64 v[10:13], v62 offset0:93 offset1:94
	v_mul_f32_e32 v3, v3, v7
	v_fma_f32 v2, v2, v6, -v3
	v_mul_f32_e32 v3, v5, v9
	v_add_f32_e32 v2, 0, v2
	s_waitcnt vmcnt(10) lgkmcnt(0)
	v_mul_f32_e32 v19, v10, v15
	v_fmac_f32_e32 v19, v11, v14
	v_add_f32_e32 v18, v18, v19
	v_mul_f32_e32 v19, v12, v17
	v_fmac_f32_e32 v19, v13, v16
	v_add_f32_e32 v26, v18, v19
	ds_read2_b64 v[18:21], v62 offset0:95 offset1:96
	v_fma_f32 v3, v4, v8, -v3
	v_add_f32_e32 v2, v2, v3
	v_mul_f32_e32 v3, v11, v15
	v_fma_f32 v3, v10, v14, -v3
	s_waitcnt vmcnt(9) lgkmcnt(0)
	v_mul_f32_e32 v27, v18, v23
	v_fmac_f32_e32 v27, v19, v22
	v_add_f32_e32 v26, v26, v27
	v_mul_f32_e32 v27, v20, v25
	v_fmac_f32_e32 v27, v21, v24
	v_add_f32_e32 v34, v26, v27
	ds_read2_b64 v[26:29], v62 offset0:97 offset1:98
	v_add_f32_e32 v2, v2, v3
	v_mul_f32_e32 v3, v13, v17
	v_fma_f32 v3, v12, v16, -v3
	v_add_f32_e32 v2, v2, v3
	s_waitcnt vmcnt(8) lgkmcnt(0)
	v_mul_f32_e32 v35, v26, v31
	v_fmac_f32_e32 v35, v27, v30
	v_add_f32_e32 v34, v34, v35
	v_mul_f32_e32 v35, v28, v33
	v_fmac_f32_e32 v35, v29, v32
	v_add_f32_e32 v42, v34, v35
	ds_read2_b64 v[34:37], v62 offset0:99 offset1:100
	v_mul_f32_e32 v3, v19, v23
	v_fma_f32 v3, v18, v22, -v3
	v_add_f32_e32 v2, v2, v3
	v_mul_f32_e32 v3, v21, v25
	s_waitcnt vmcnt(7) lgkmcnt(0)
	v_mul_f32_e32 v43, v34, v39
	v_fmac_f32_e32 v43, v35, v38
	v_add_f32_e32 v42, v42, v43
	v_mul_f32_e32 v43, v36, v41
	v_fmac_f32_e32 v43, v37, v40
	v_add_f32_e32 v50, v42, v43
	ds_read2_b64 v[42:45], v62 offset0:101 offset1:102
	v_fma_f32 v3, v20, v24, -v3
	v_add_f32_e32 v2, v2, v3
	v_mul_f32_e32 v3, v27, v31
	v_fma_f32 v3, v26, v30, -v3
	s_waitcnt vmcnt(6) lgkmcnt(0)
	v_mul_f32_e32 v51, v42, v47
	v_fmac_f32_e32 v51, v43, v46
	v_add_f32_e32 v50, v50, v51
	v_mul_f32_e32 v51, v44, v49
	v_fmac_f32_e32 v51, v45, v48
	v_add_f32_e32 v58, v50, v51
	ds_read2_b64 v[50:53], v62 offset0:103 offset1:104
	v_add_f32_e32 v2, v2, v3
	v_mul_f32_e32 v3, v29, v33
	v_fma_f32 v3, v28, v32, -v3
	v_add_f32_e32 v2, v2, v3
	s_waitcnt vmcnt(5) lgkmcnt(0)
	v_mul_f32_e32 v59, v50, v55
	v_fmac_f32_e32 v59, v51, v54
	v_add_f32_e32 v58, v58, v59
	v_mul_f32_e32 v59, v52, v57
	v_fmac_f32_e32 v59, v53, v56
	v_add_f32_e32 v63, v58, v59
	ds_read2_b64 v[58:61], v62 offset0:105 offset1:106
	v_mul_f32_e32 v3, v35, v39
	v_fma_f32 v3, v34, v38, -v3
	v_add_f32_e32 v2, v2, v3
	v_mul_f32_e32 v3, v37, v41
	;; [unrolled: 36-line block ×3, first 2 shown]
	s_waitcnt vmcnt(1) lgkmcnt(0)
	v_mul_f32_e32 v92, v84, v89
	v_fmac_f32_e32 v92, v85, v88
	v_add_f32_e32 v63, v63, v92
	v_mul_f32_e32 v92, v86, v91
	v_fmac_f32_e32 v92, v87, v90
	v_add_f32_e32 v117, v63, v92
	ds_read2_b64 v[92:95], v62 offset0:113 offset1:114
	scratch_load_dwordx4 v[100:103], off, off offset:424
	scratch_load_dwordx4 v[104:107], off, off offset:440
	;; [unrolled: 1-line block ×4, first 2 shown]
	v_fma_f32 v3, v52, v56, -v3
	v_add_f32_e32 v2, v2, v3
	v_mul_f32_e32 v3, v59, v65
	v_fma_f32 v3, v58, v64, -v3
	v_add_f32_e32 v2, v2, v3
	v_mul_f32_e32 v3, v61, v67
	;; [unrolled: 3-line block ×8, first 2 shown]
	v_fma_f32 v3, v86, v90, -v3
	v_add_f32_e32 v116, v2, v3
	s_waitcnt vmcnt(4) lgkmcnt(0)
	v_mul_f32_e32 v2, v93, v97
	v_fma_f32 v118, v92, v96, -v2
	v_mul_f32_e32 v2, v95, v99
	v_fma_f32 v120, v94, v98, -v2
	ds_read2_b64 v[2:5], v62 offset0:115 offset1:116
	ds_read2_b64 v[6:9], v62 offset0:117 offset1:118
	;; [unrolled: 1-line block ×4, first 2 shown]
	v_mul_f32_e32 v119, v92, v97
	v_fmac_f32_e32 v119, v93, v96
	v_mul_f32_e32 v121, v94, v99
	v_fmac_f32_e32 v121, v95, v98
	v_pk_add_f32 v[18:19], v[116:117], v[118:119]
	s_waitcnt vmcnt(3) lgkmcnt(3)
	v_pk_mul_f32 v[20:21], v[2:3], v[100:101] op_sel:[1,1] op_sel_hi:[0,1]
	v_pk_fma_f32 v[22:23], v[2:3], v[100:101], v[20:21] neg_lo:[0,0,1] neg_hi:[0,0,1]
	v_pk_fma_f32 v[2:3], v[2:3], v[100:101], v[20:21] op_sel_hi:[1,0,1]
	v_pk_add_f32 v[18:19], v[18:19], v[120:121]
	v_mov_b32_e32 v23, v3
	v_pk_add_f32 v[2:3], v[18:19], v[22:23]
	v_mov_b32_e32 v18, v103
	v_pk_mul_f32 v[18:19], v[4:5], v[18:19] op_sel:[1,0] op_sel_hi:[0,0]
	v_pk_fma_f32 v[20:21], v[4:5], v[102:103], v[18:19] neg_lo:[0,0,1] neg_hi:[0,0,1]
	v_pk_fma_f32 v[4:5], v[4:5], v[102:103], v[18:19] op_sel_hi:[1,0,1]
	s_nop 0
	v_mov_b32_e32 v21, v5
	s_waitcnt vmcnt(2) lgkmcnt(2)
	v_pk_mul_f32 v[4:5], v[6:7], v[104:105] op_sel:[1,1] op_sel_hi:[0,1]
	v_pk_fma_f32 v[18:19], v[6:7], v[104:105], v[4:5] neg_lo:[0,0,1] neg_hi:[0,0,1]
	v_pk_fma_f32 v[4:5], v[6:7], v[104:105], v[4:5] op_sel_hi:[1,0,1]
	v_pk_add_f32 v[2:3], v[2:3], v[20:21]
	v_mov_b32_e32 v4, v107
	v_mov_b32_e32 v19, v5
	v_pk_mul_f32 v[4:5], v[8:9], v[4:5] op_sel:[1,0] op_sel_hi:[0,0]
	v_pk_fma_f32 v[6:7], v[8:9], v[106:107], v[4:5] neg_lo:[0,0,1] neg_hi:[0,0,1]
	v_pk_fma_f32 v[4:5], v[8:9], v[106:107], v[4:5] op_sel_hi:[1,0,1]
	v_pk_add_f32 v[2:3], v[2:3], v[18:19]
	v_mov_b32_e32 v7, v5
	s_waitcnt vmcnt(1) lgkmcnt(1)
	v_pk_mul_f32 v[4:5], v[10:11], v[108:109] op_sel:[1,1] op_sel_hi:[0,1]
	v_pk_add_f32 v[2:3], v[2:3], v[6:7]
	v_pk_fma_f32 v[6:7], v[10:11], v[108:109], v[4:5] neg_lo:[0,0,1] neg_hi:[0,0,1]
	v_pk_fma_f32 v[4:5], v[10:11], v[108:109], v[4:5] op_sel_hi:[1,0,1]
	s_nop 0
	v_mov_b32_e32 v4, v111
	v_mov_b32_e32 v7, v5
	v_pk_mul_f32 v[4:5], v[12:13], v[4:5] op_sel:[1,0] op_sel_hi:[0,0]
	v_pk_add_f32 v[2:3], v[2:3], v[6:7]
	v_pk_fma_f32 v[6:7], v[12:13], v[110:111], v[4:5] neg_lo:[0,0,1] neg_hi:[0,0,1]
	v_pk_fma_f32 v[4:5], v[12:13], v[110:111], v[4:5] op_sel_hi:[1,0,1]
	s_nop 0
	v_mov_b32_e32 v7, v5
	s_waitcnt vmcnt(0) lgkmcnt(0)
	v_pk_mul_f32 v[4:5], v[14:15], v[112:113] op_sel:[1,1] op_sel_hi:[0,1]
	v_pk_add_f32 v[2:3], v[2:3], v[6:7]
	v_pk_fma_f32 v[6:7], v[14:15], v[112:113], v[4:5] neg_lo:[0,0,1] neg_hi:[0,0,1]
	v_pk_fma_f32 v[4:5], v[14:15], v[112:113], v[4:5] op_sel_hi:[1,0,1]
	s_nop 0
	v_mov_b32_e32 v4, v115
	v_mov_b32_e32 v7, v5
	v_pk_mul_f32 v[4:5], v[16:17], v[4:5] op_sel:[1,0] op_sel_hi:[0,0]
	v_pk_add_f32 v[2:3], v[2:3], v[6:7]
	v_pk_fma_f32 v[6:7], v[16:17], v[114:115], v[4:5] neg_lo:[0,0,1] neg_hi:[0,0,1]
	v_pk_fma_f32 v[4:5], v[16:17], v[114:115], v[4:5] op_sel_hi:[1,0,1]
	s_nop 0
	v_mov_b32_e32 v7, v5
	scratch_load_dwordx2 v[4:5], off, off offset:224
	v_pk_add_f32 v[2:3], v[2:3], v[6:7]
	s_waitcnt vmcnt(0)
	v_pk_add_f32 v[2:3], v[4:5], v[2:3] neg_lo:[0,1] neg_hi:[0,1]
	scratch_store_dwordx2 off, v[2:3], off offset:224
	s_and_saveexec_b64 s[0:1], vcc
	s_cbranch_execz .LBB60_325
; %bb.324:
	scratch_load_dwordx2 v[2:3], off, off offset:216
	v_mov_b32_e32 v4, 0
	v_mov_b32_e32 v5, v4
	scratch_store_dwordx2 off, v[4:5], off offset:216
	s_waitcnt vmcnt(1)
	ds_write_b64 v1, v[2:3]
.LBB60_325:
	s_or_b64 exec, exec, s[0:1]
	v_mov_b32_e32 v70, 0
	s_waitcnt lgkmcnt(0)
	; wave barrier
	ds_read_b128 v[14:17], v70 offset:720
	ds_read_b128 v[10:13], v70 offset:736
	;; [unrolled: 1-line block ×4, first 2 shown]
	scratch_load_dwordx4 v[18:21], off, off offset:224
	scratch_load_dwordx4 v[38:41], off, off offset:288
	;; [unrolled: 1-line block ×7, first 2 shown]
	v_cmp_lt_u32_e32 vcc, 26, v0
	scratch_load_dwordx4 v[46:49], off, off offset:304
	scratch_load_dwordx4 v[54:57], off, off offset:320
	;; [unrolled: 1-line block ×3, first 2 shown]
	s_waitcnt vmcnt(9) lgkmcnt(3)
	v_mul_f32_e32 v22, v14, v19
	v_fmac_f32_e32 v22, v15, v18
	v_mul_f32_e32 v23, v16, v21
	v_add_f32_e32 v22, 0, v22
	v_fmac_f32_e32 v23, v17, v20
	v_add_f32_e32 v26, v22, v23
	scratch_load_dwordx4 v[22:25], off, off offset:240
	v_mul_f32_e32 v15, v15, v19
	v_fma_f32 v14, v14, v18, -v15
	v_mul_f32_e32 v15, v17, v21
	v_add_f32_e32 v14, 0, v14
	v_fma_f32 v15, v16, v20, -v15
	v_add_f32_e32 v14, v14, v15
	s_waitcnt vmcnt(4)
	v_mov_b32_e32 v18, v107
	s_waitcnt vmcnt(0) lgkmcnt(2)
	v_mul_f32_e32 v27, v10, v23
	v_fmac_f32_e32 v27, v11, v22
	v_add_f32_e32 v26, v26, v27
	v_mul_f32_e32 v27, v12, v25
	v_fmac_f32_e32 v27, v13, v24
	v_add_f32_e32 v30, v26, v27
	scratch_load_dwordx4 v[26:29], off, off offset:256
	v_mul_f32_e32 v11, v11, v23
	v_fma_f32 v10, v10, v22, -v11
	v_mul_f32_e32 v11, v13, v25
	v_add_f32_e32 v10, v14, v10
	v_fma_f32 v11, v12, v24, -v11
	v_add_f32_e32 v10, v10, v11
	s_waitcnt vmcnt(0) lgkmcnt(1)
	v_mul_f32_e32 v31, v6, v27
	v_fmac_f32_e32 v31, v7, v26
	v_add_f32_e32 v30, v30, v31
	v_mul_f32_e32 v31, v8, v29
	v_fmac_f32_e32 v31, v9, v28
	v_add_f32_e32 v34, v30, v31
	scratch_load_dwordx4 v[30:33], off, off offset:272
	v_mul_f32_e32 v7, v7, v27
	v_fma_f32 v6, v6, v26, -v7
	v_mul_f32_e32 v7, v9, v29
	v_add_f32_e32 v6, v10, v6
	v_fma_f32 v7, v8, v28, -v7
	v_add_f32_e32 v6, v6, v7
	s_waitcnt vmcnt(0) lgkmcnt(0)
	v_mul_f32_e32 v35, v2, v31
	v_fmac_f32_e32 v35, v3, v30
	v_add_f32_e32 v34, v34, v35
	v_mul_f32_e32 v35, v4, v33
	v_fmac_f32_e32 v35, v5, v32
	v_add_f32_e32 v42, v34, v35
	ds_read_b128 v[34:37], v70 offset:784
	v_mul_f32_e32 v3, v3, v31
	v_fma_f32 v2, v2, v30, -v3
	v_mul_f32_e32 v3, v5, v33
	v_add_f32_e32 v2, v6, v2
	s_waitcnt lgkmcnt(0)
	v_mul_f32_e32 v43, v34, v39
	v_fmac_f32_e32 v43, v35, v38
	v_add_f32_e32 v42, v42, v43
	v_mul_f32_e32 v43, v36, v41
	v_fmac_f32_e32 v43, v37, v40
	v_add_f32_e32 v50, v42, v43
	ds_read_b128 v[42:45], v70 offset:800
	v_fma_f32 v3, v4, v32, -v3
	v_add_f32_e32 v2, v2, v3
	v_mul_f32_e32 v3, v35, v39
	v_fma_f32 v3, v34, v38, -v3
	s_waitcnt lgkmcnt(0)
	v_mul_f32_e32 v51, v42, v47
	v_fmac_f32_e32 v51, v43, v46
	v_add_f32_e32 v50, v50, v51
	v_mul_f32_e32 v51, v44, v49
	v_fmac_f32_e32 v51, v45, v48
	v_add_f32_e32 v58, v50, v51
	ds_read_b128 v[50:53], v70 offset:816
	v_add_f32_e32 v2, v2, v3
	v_mul_f32_e32 v3, v37, v41
	v_fma_f32 v3, v36, v40, -v3
	v_add_f32_e32 v2, v2, v3
	s_waitcnt lgkmcnt(0)
	v_mul_f32_e32 v59, v50, v55
	v_fmac_f32_e32 v59, v51, v54
	v_add_f32_e32 v58, v58, v59
	v_mul_f32_e32 v59, v52, v57
	v_fmac_f32_e32 v59, v53, v56
	v_add_f32_e32 v66, v58, v59
	ds_read_b128 v[58:61], v70 offset:832
	v_mul_f32_e32 v3, v43, v47
	v_fma_f32 v3, v42, v46, -v3
	v_add_f32_e32 v2, v2, v3
	v_mul_f32_e32 v3, v45, v49
	s_waitcnt lgkmcnt(0)
	v_mul_f32_e32 v67, v58, v63
	v_fmac_f32_e32 v67, v59, v62
	v_add_f32_e32 v66, v66, v67
	v_mul_f32_e32 v67, v60, v65
	v_fmac_f32_e32 v67, v61, v64
	v_add_f32_e32 v71, v66, v67
	ds_read_b128 v[66:69], v70 offset:848
	v_fma_f32 v3, v44, v48, -v3
	v_add_f32_e32 v2, v2, v3
	v_mul_f32_e32 v3, v51, v55
	v_fma_f32 v3, v50, v54, -v3
	s_waitcnt lgkmcnt(0)
	v_mul_f32_e32 v76, v66, v73
	v_fmac_f32_e32 v76, v67, v72
	v_add_f32_e32 v71, v71, v76
	v_mul_f32_e32 v76, v68, v75
	v_fmac_f32_e32 v76, v69, v74
	v_add_f32_e32 v71, v71, v76
	ds_read_b128 v[76:79], v70 offset:864
	v_add_f32_e32 v2, v2, v3
	v_mul_f32_e32 v3, v53, v57
	v_fma_f32 v3, v52, v56, -v3
	v_add_f32_e32 v2, v2, v3
	s_waitcnt lgkmcnt(0)
	v_mul_f32_e32 v84, v76, v81
	v_fmac_f32_e32 v84, v77, v80
	v_add_f32_e32 v71, v71, v84
	v_mul_f32_e32 v84, v78, v83
	v_fmac_f32_e32 v84, v79, v82
	v_add_f32_e32 v71, v71, v84
	ds_read_b128 v[84:87], v70 offset:880
	v_mul_f32_e32 v3, v59, v63
	v_fma_f32 v3, v58, v62, -v3
	v_add_f32_e32 v2, v2, v3
	v_mul_f32_e32 v3, v61, v65
	s_waitcnt lgkmcnt(0)
	v_mul_f32_e32 v92, v84, v89
	v_fmac_f32_e32 v92, v85, v88
	v_add_f32_e32 v71, v71, v92
	v_mul_f32_e32 v92, v86, v91
	v_fmac_f32_e32 v92, v87, v90
	v_add_f32_e32 v71, v71, v92
	ds_read_b128 v[92:95], v70 offset:896
	v_fma_f32 v3, v60, v64, -v3
	v_add_f32_e32 v2, v2, v3
	v_mul_f32_e32 v3, v67, v73
	v_fma_f32 v3, v66, v72, -v3
	s_waitcnt lgkmcnt(0)
	v_mul_f32_e32 v100, v92, v97
	v_fmac_f32_e32 v100, v93, v96
	v_add_f32_e32 v121, v71, v100
	ds_read_b128 v[100:103], v70 offset:912
	scratch_load_dwordx4 v[108:111], off, off offset:432
	scratch_load_dwordx4 v[112:115], off, off offset:448
	;; [unrolled: 1-line block ×3, first 2 shown]
	scratch_load_dwordx2 v[126:127], off, off offset:480
	v_add_f32_e32 v2, v2, v3
	v_mul_f32_e32 v3, v69, v75
	v_fma_f32 v3, v68, v74, -v3
	v_add_f32_e32 v2, v2, v3
	v_mul_f32_e32 v3, v77, v81
	v_fma_f32 v3, v76, v80, -v3
	;; [unrolled: 3-line block ×6, first 2 shown]
	v_add_f32_e32 v120, v2, v3
	v_mul_f32_e32 v2, v95, v99
	v_mul_f32_e32 v123, v94, v99
	v_fma_f32 v122, v94, v98, -v2
	s_waitcnt lgkmcnt(0)
	v_mul_f32_e32 v2, v101, v105
	v_fmac_f32_e32 v123, v95, v98
	v_mul_f32_e32 v125, v100, v105
	v_fma_f32 v124, v100, v104, -v2
	ds_read_b128 v[2:5], v70 offset:928
	ds_read_b128 v[6:9], v70 offset:944
	;; [unrolled: 1-line block ×3, first 2 shown]
	ds_read_b64 v[14:15], v70 offset:976
	v_pk_mul_f32 v[18:19], v[102:103], v[18:19] op_sel:[1,0] op_sel_hi:[0,0]
	v_fmac_f32_e32 v125, v101, v104
	v_pk_add_f32 v[16:17], v[120:121], v[122:123]
	v_pk_fma_f32 v[20:21], v[102:103], v[106:107], v[18:19] neg_lo:[0,0,1] neg_hi:[0,0,1]
	v_pk_fma_f32 v[18:19], v[102:103], v[106:107], v[18:19] op_sel_hi:[1,0,1]
	v_pk_add_f32 v[16:17], v[16:17], v[124:125]
	v_mov_b32_e32 v21, v19
	v_pk_add_f32 v[16:17], v[16:17], v[20:21]
	s_waitcnt vmcnt(3) lgkmcnt(3)
	v_pk_mul_f32 v[18:19], v[2:3], v[108:109] op_sel:[1,1] op_sel_hi:[0,1]
	v_pk_fma_f32 v[20:21], v[2:3], v[108:109], v[18:19] neg_lo:[0,0,1] neg_hi:[0,0,1]
	v_pk_fma_f32 v[2:3], v[2:3], v[108:109], v[18:19] op_sel_hi:[1,0,1]
	s_nop 0
	v_mov_b32_e32 v21, v3
	v_pk_add_f32 v[2:3], v[16:17], v[20:21]
	v_mov_b32_e32 v16, v111
	v_pk_mul_f32 v[16:17], v[4:5], v[16:17] op_sel:[1,0] op_sel_hi:[0,0]
	v_pk_fma_f32 v[18:19], v[4:5], v[110:111], v[16:17] neg_lo:[0,0,1] neg_hi:[0,0,1]
	v_pk_fma_f32 v[4:5], v[4:5], v[110:111], v[16:17] op_sel_hi:[1,0,1]
	s_nop 0
	v_mov_b32_e32 v19, v5
	s_waitcnt vmcnt(2) lgkmcnt(2)
	v_pk_mul_f32 v[4:5], v[6:7], v[112:113] op_sel:[1,1] op_sel_hi:[0,1]
	v_pk_fma_f32 v[16:17], v[6:7], v[112:113], v[4:5] neg_lo:[0,0,1] neg_hi:[0,0,1]
	v_pk_fma_f32 v[4:5], v[6:7], v[112:113], v[4:5] op_sel_hi:[1,0,1]
	v_pk_add_f32 v[2:3], v[2:3], v[18:19]
	v_mov_b32_e32 v4, v115
	v_mov_b32_e32 v17, v5
	v_pk_mul_f32 v[4:5], v[8:9], v[4:5] op_sel:[1,0] op_sel_hi:[0,0]
	v_pk_fma_f32 v[6:7], v[8:9], v[114:115], v[4:5] neg_lo:[0,0,1] neg_hi:[0,0,1]
	v_pk_fma_f32 v[4:5], v[8:9], v[114:115], v[4:5] op_sel_hi:[1,0,1]
	v_pk_add_f32 v[2:3], v[2:3], v[16:17]
	v_mov_b32_e32 v7, v5
	s_waitcnt vmcnt(1) lgkmcnt(1)
	v_pk_mul_f32 v[4:5], v[10:11], v[116:117] op_sel:[1,1] op_sel_hi:[0,1]
	v_pk_add_f32 v[2:3], v[2:3], v[6:7]
	v_pk_fma_f32 v[6:7], v[10:11], v[116:117], v[4:5] neg_lo:[0,0,1] neg_hi:[0,0,1]
	v_pk_fma_f32 v[4:5], v[10:11], v[116:117], v[4:5] op_sel_hi:[1,0,1]
	s_nop 0
	v_mov_b32_e32 v4, v119
	v_mov_b32_e32 v7, v5
	v_pk_mul_f32 v[4:5], v[12:13], v[4:5] op_sel:[1,0] op_sel_hi:[0,0]
	v_pk_add_f32 v[2:3], v[2:3], v[6:7]
	v_pk_fma_f32 v[6:7], v[12:13], v[118:119], v[4:5] neg_lo:[0,0,1] neg_hi:[0,0,1]
	v_pk_fma_f32 v[4:5], v[12:13], v[118:119], v[4:5] op_sel_hi:[1,0,1]
	s_nop 0
	v_mov_b32_e32 v7, v5
	s_waitcnt vmcnt(0) lgkmcnt(0)
	v_pk_mul_f32 v[4:5], v[14:15], v[126:127] op_sel:[1,1] op_sel_hi:[0,1]
	v_pk_add_f32 v[2:3], v[2:3], v[6:7]
	v_pk_fma_f32 v[6:7], v[14:15], v[126:127], v[4:5] neg_lo:[0,0,1] neg_hi:[0,0,1]
	v_pk_fma_f32 v[4:5], v[14:15], v[126:127], v[4:5] op_sel_hi:[1,0,1]
	s_nop 0
	v_mov_b32_e32 v7, v5
	scratch_load_dwordx2 v[4:5], off, off offset:216
	v_pk_add_f32 v[2:3], v[2:3], v[6:7]
	s_waitcnt vmcnt(0)
	v_pk_add_f32 v[2:3], v[4:5], v[2:3] neg_lo:[0,1] neg_hi:[0,1]
	scratch_store_dwordx2 off, v[2:3], off offset:216
	s_and_saveexec_b64 s[0:1], vcc
	s_cbranch_execz .LBB60_327
; %bb.326:
	scratch_load_dwordx2 v[2:3], off, off offset:208
	v_mov_b32_e32 v71, v70
	scratch_store_dwordx2 off, v[70:71], off offset:208
	s_waitcnt vmcnt(1)
	ds_write_b64 v1, v[2:3]
.LBB60_327:
	s_or_b64 exec, exec, s[0:1]
	s_waitcnt lgkmcnt(0)
	; wave barrier
	scratch_load_dwordx4 v[6:9], off, off offset:216
	scratch_load_dwordx4 v[14:17], off, off offset:232
	;; [unrolled: 1-line block ×12, first 2 shown]
	ds_read2_b64 v[2:5], v70 offset0:89 offset1:90
	ds_read2_b64 v[38:41], v70 offset0:97 offset1:98
	;; [unrolled: 1-line block ×6, first 2 shown]
	scratch_load_dwordx4 v[126:129], off, off offset:408
	ds_read2_b64 v[122:125], v70 offset0:113 offset1:114
	v_cmp_lt_u32_e32 vcc, 25, v0
	ds_read2_b64 v[54:57], v70 offset0:99 offset1:100
	ds_read2_b64 v[66:69], v70 offset0:101 offset1:102
	;; [unrolled: 1-line block ×3, first 2 shown]
	s_waitcnt vmcnt(12) lgkmcnt(9)
	v_mul_f32_e32 v10, v2, v7
	v_fmac_f32_e32 v10, v3, v6
	v_mul_f32_e32 v11, v4, v9
	v_add_f32_e32 v10, 0, v10
	v_fmac_f32_e32 v11, v5, v8
	v_add_f32_e32 v18, v10, v11
	ds_read2_b64 v[10:13], v70 offset0:91 offset1:92
	v_mul_f32_e32 v3, v3, v7
	v_fma_f32 v2, v2, v6, -v3
	v_mul_f32_e32 v3, v5, v9
	v_add_f32_e32 v2, 0, v2
	s_waitcnt vmcnt(11) lgkmcnt(0)
	v_mul_f32_e32 v19, v10, v15
	v_fmac_f32_e32 v19, v11, v14
	v_add_f32_e32 v18, v18, v19
	v_mul_f32_e32 v19, v12, v17
	v_fmac_f32_e32 v19, v13, v16
	v_add_f32_e32 v26, v18, v19
	ds_read2_b64 v[18:21], v70 offset0:93 offset1:94
	v_fma_f32 v3, v4, v8, -v3
	v_add_f32_e32 v2, v2, v3
	v_mul_f32_e32 v3, v11, v15
	v_fma_f32 v3, v10, v14, -v3
	s_waitcnt vmcnt(10) lgkmcnt(0)
	v_mul_f32_e32 v27, v18, v23
	v_fmac_f32_e32 v27, v19, v22
	v_add_f32_e32 v26, v26, v27
	v_mul_f32_e32 v27, v20, v25
	v_fmac_f32_e32 v27, v21, v24
	v_add_f32_e32 v30, v26, v27
	ds_read2_b64 v[26:29], v70 offset0:95 offset1:96
	v_add_f32_e32 v2, v2, v3
	v_mul_f32_e32 v3, v13, v17
	v_fma_f32 v3, v12, v16, -v3
	v_add_f32_e32 v2, v2, v3
	s_waitcnt vmcnt(9) lgkmcnt(0)
	v_mul_f32_e32 v31, v26, v35
	v_fmac_f32_e32 v31, v27, v34
	v_add_f32_e32 v30, v30, v31
	v_mul_f32_e32 v31, v28, v37
	v_fmac_f32_e32 v31, v29, v36
	v_add_f32_e32 v30, v30, v31
	s_waitcnt vmcnt(8)
	v_mul_f32_e32 v31, v38, v51
	v_fmac_f32_e32 v31, v39, v50
	v_add_f32_e32 v30, v30, v31
	v_mul_f32_e32 v31, v40, v53
	v_fmac_f32_e32 v31, v41, v52
	v_add_f32_e32 v30, v30, v31
	s_waitcnt vmcnt(7)
	;; [unrolled: 7-line block ×8, first 2 shown]
	v_mul_f32_e32 v31, v114, v119
	v_fmac_f32_e32 v31, v115, v118
	v_add_f32_e32 v30, v30, v31
	v_mul_f32_e32 v31, v116, v121
	v_fmac_f32_e32 v31, v117, v120
	v_add_f32_e32 v73, v30, v31
	scratch_load_dwordx4 v[58:61], off, off offset:424
	scratch_load_dwordx4 v[46:49], off, off offset:440
	;; [unrolled: 1-line block ×4, first 2 shown]
	v_mul_f32_e32 v3, v19, v23
	v_fma_f32 v3, v18, v22, -v3
	v_add_f32_e32 v2, v2, v3
	v_mul_f32_e32 v3, v21, v25
	v_fma_f32 v3, v20, v24, -v3
	v_add_f32_e32 v2, v2, v3
	;; [unrolled: 3-line block ×20, first 2 shown]
	s_waitcnt vmcnt(4)
	v_mul_f32_e32 v2, v123, v127
	v_fma_f32 v74, v122, v126, -v2
	v_mul_f32_e32 v2, v125, v129
	v_fma_f32 v76, v124, v128, -v2
	ds_read2_b64 v[2:5], v70 offset0:115 offset1:116
	ds_read2_b64 v[6:9], v70 offset0:117 offset1:118
	;; [unrolled: 1-line block ×4, first 2 shown]
	v_mul_f32_e32 v75, v122, v127
	v_fmac_f32_e32 v75, v123, v126
	v_mul_f32_e32 v77, v124, v129
	v_fmac_f32_e32 v77, v125, v128
	v_pk_add_f32 v[18:19], v[72:73], v[74:75]
	s_waitcnt vmcnt(3) lgkmcnt(3)
	v_pk_mul_f32 v[20:21], v[2:3], v[58:59] op_sel:[1,1] op_sel_hi:[0,1]
	v_pk_fma_f32 v[22:23], v[2:3], v[58:59], v[20:21] neg_lo:[0,0,1] neg_hi:[0,0,1]
	v_pk_fma_f32 v[2:3], v[2:3], v[58:59], v[20:21] op_sel_hi:[1,0,1]
	v_pk_add_f32 v[18:19], v[18:19], v[76:77]
	v_mov_b32_e32 v23, v3
	v_pk_add_f32 v[2:3], v[18:19], v[22:23]
	v_mov_b32_e32 v18, v61
	v_pk_mul_f32 v[18:19], v[4:5], v[18:19] op_sel:[1,0] op_sel_hi:[0,0]
	v_pk_fma_f32 v[20:21], v[4:5], v[60:61], v[18:19] neg_lo:[0,0,1] neg_hi:[0,0,1]
	v_pk_fma_f32 v[4:5], v[4:5], v[60:61], v[18:19] op_sel_hi:[1,0,1]
	s_nop 0
	v_mov_b32_e32 v21, v5
	s_waitcnt vmcnt(2) lgkmcnt(2)
	v_pk_mul_f32 v[4:5], v[6:7], v[46:47] op_sel:[1,1] op_sel_hi:[0,1]
	v_pk_fma_f32 v[18:19], v[6:7], v[46:47], v[4:5] neg_lo:[0,0,1] neg_hi:[0,0,1]
	v_pk_fma_f32 v[4:5], v[6:7], v[46:47], v[4:5] op_sel_hi:[1,0,1]
	v_pk_add_f32 v[2:3], v[2:3], v[20:21]
	v_mov_b32_e32 v4, v49
	v_mov_b32_e32 v19, v5
	v_pk_mul_f32 v[4:5], v[8:9], v[4:5] op_sel:[1,0] op_sel_hi:[0,0]
	v_pk_fma_f32 v[6:7], v[8:9], v[48:49], v[4:5] neg_lo:[0,0,1] neg_hi:[0,0,1]
	v_pk_fma_f32 v[4:5], v[8:9], v[48:49], v[4:5] op_sel_hi:[1,0,1]
	v_pk_add_f32 v[2:3], v[2:3], v[18:19]
	v_mov_b32_e32 v7, v5
	s_waitcnt vmcnt(1) lgkmcnt(1)
	v_pk_mul_f32 v[4:5], v[10:11], v[42:43] op_sel:[1,1] op_sel_hi:[0,1]
	v_pk_add_f32 v[2:3], v[2:3], v[6:7]
	v_pk_fma_f32 v[6:7], v[10:11], v[42:43], v[4:5] neg_lo:[0,0,1] neg_hi:[0,0,1]
	v_pk_fma_f32 v[4:5], v[10:11], v[42:43], v[4:5] op_sel_hi:[1,0,1]
	s_nop 0
	v_mov_b32_e32 v4, v45
	v_mov_b32_e32 v7, v5
	v_pk_mul_f32 v[4:5], v[12:13], v[4:5] op_sel:[1,0] op_sel_hi:[0,0]
	v_pk_add_f32 v[2:3], v[2:3], v[6:7]
	v_pk_fma_f32 v[6:7], v[12:13], v[44:45], v[4:5] neg_lo:[0,0,1] neg_hi:[0,0,1]
	v_pk_fma_f32 v[4:5], v[12:13], v[44:45], v[4:5] op_sel_hi:[1,0,1]
	s_nop 0
	v_mov_b32_e32 v7, v5
	s_waitcnt vmcnt(0) lgkmcnt(0)
	v_pk_mul_f32 v[4:5], v[14:15], v[30:31] op_sel:[1,1] op_sel_hi:[0,1]
	v_pk_add_f32 v[2:3], v[2:3], v[6:7]
	v_pk_fma_f32 v[6:7], v[14:15], v[30:31], v[4:5] neg_lo:[0,0,1] neg_hi:[0,0,1]
	v_pk_fma_f32 v[4:5], v[14:15], v[30:31], v[4:5] op_sel_hi:[1,0,1]
	s_nop 0
	v_mov_b32_e32 v4, v33
	v_mov_b32_e32 v7, v5
	v_pk_mul_f32 v[4:5], v[16:17], v[4:5] op_sel:[1,0] op_sel_hi:[0,0]
	v_pk_add_f32 v[2:3], v[2:3], v[6:7]
	v_pk_fma_f32 v[6:7], v[16:17], v[32:33], v[4:5] neg_lo:[0,0,1] neg_hi:[0,0,1]
	v_pk_fma_f32 v[4:5], v[16:17], v[32:33], v[4:5] op_sel_hi:[1,0,1]
	s_nop 0
	v_mov_b32_e32 v7, v5
	scratch_load_dwordx2 v[4:5], off, off offset:208
	v_pk_add_f32 v[2:3], v[2:3], v[6:7]
	s_waitcnt vmcnt(0)
	v_pk_add_f32 v[2:3], v[4:5], v[2:3] neg_lo:[0,1] neg_hi:[0,1]
	scratch_store_dwordx2 off, v[2:3], off offset:208
	s_and_saveexec_b64 s[0:1], vcc
	s_cbranch_execz .LBB60_329
; %bb.328:
	scratch_load_dwordx2 v[2:3], off, off offset:200
	v_mov_b32_e32 v4, 0
	v_mov_b32_e32 v5, v4
	scratch_store_dwordx2 off, v[4:5], off offset:200
	s_waitcnt vmcnt(1)
	ds_write_b64 v1, v[2:3]
.LBB60_329:
	s_or_b64 exec, exec, s[0:1]
	v_mov_b32_e32 v70, 0
	s_waitcnt lgkmcnt(0)
	; wave barrier
	ds_read_b128 v[14:17], v70 offset:704
	ds_read_b128 v[10:13], v70 offset:720
	;; [unrolled: 1-line block ×4, first 2 shown]
	scratch_load_dwordx4 v[18:21], off, off offset:208
	scratch_load_dwordx4 v[38:41], off, off offset:272
	;; [unrolled: 1-line block ×8, first 2 shown]
	v_cmp_lt_u32_e32 vcc, 24, v0
	scratch_load_dwordx4 v[46:49], off, off offset:288
	scratch_load_dwordx4 v[54:57], off, off offset:304
	;; [unrolled: 1-line block ×3, first 2 shown]
	s_waitcnt vmcnt(10) lgkmcnt(3)
	v_mul_f32_e32 v22, v14, v19
	v_fmac_f32_e32 v22, v15, v18
	v_mul_f32_e32 v23, v16, v21
	v_add_f32_e32 v22, 0, v22
	v_fmac_f32_e32 v23, v17, v20
	v_add_f32_e32 v26, v22, v23
	scratch_load_dwordx4 v[22:25], off, off offset:224
	v_mul_f32_e32 v15, v15, v19
	v_fma_f32 v14, v14, v18, -v15
	v_mul_f32_e32 v15, v17, v21
	v_add_f32_e32 v14, 0, v14
	v_fma_f32 v15, v16, v20, -v15
	v_add_f32_e32 v14, v14, v15
	s_waitcnt vmcnt(4)
	v_mov_b32_e32 v18, v115
	s_waitcnt vmcnt(0) lgkmcnt(2)
	v_mul_f32_e32 v27, v10, v23
	v_fmac_f32_e32 v27, v11, v22
	v_add_f32_e32 v26, v26, v27
	v_mul_f32_e32 v27, v12, v25
	v_fmac_f32_e32 v27, v13, v24
	v_add_f32_e32 v30, v26, v27
	scratch_load_dwordx4 v[26:29], off, off offset:240
	v_mul_f32_e32 v11, v11, v23
	v_fma_f32 v10, v10, v22, -v11
	v_mul_f32_e32 v11, v13, v25
	v_add_f32_e32 v10, v14, v10
	v_fma_f32 v11, v12, v24, -v11
	v_add_f32_e32 v10, v10, v11
	s_waitcnt vmcnt(0) lgkmcnt(1)
	v_mul_f32_e32 v31, v6, v27
	v_fmac_f32_e32 v31, v7, v26
	v_add_f32_e32 v30, v30, v31
	v_mul_f32_e32 v31, v8, v29
	v_fmac_f32_e32 v31, v9, v28
	v_add_f32_e32 v34, v30, v31
	scratch_load_dwordx4 v[30:33], off, off offset:256
	v_mul_f32_e32 v7, v7, v27
	v_fma_f32 v6, v6, v26, -v7
	v_mul_f32_e32 v7, v9, v29
	v_add_f32_e32 v6, v10, v6
	v_fma_f32 v7, v8, v28, -v7
	v_add_f32_e32 v6, v6, v7
	s_waitcnt vmcnt(0) lgkmcnt(0)
	v_mul_f32_e32 v35, v2, v31
	v_fmac_f32_e32 v35, v3, v30
	v_add_f32_e32 v34, v34, v35
	v_mul_f32_e32 v35, v4, v33
	v_fmac_f32_e32 v35, v5, v32
	v_add_f32_e32 v42, v34, v35
	ds_read_b128 v[34:37], v70 offset:768
	v_mul_f32_e32 v3, v3, v31
	v_fma_f32 v2, v2, v30, -v3
	v_mul_f32_e32 v3, v5, v33
	v_add_f32_e32 v2, v6, v2
	s_waitcnt lgkmcnt(0)
	v_mul_f32_e32 v43, v34, v39
	v_fmac_f32_e32 v43, v35, v38
	v_add_f32_e32 v42, v42, v43
	v_mul_f32_e32 v43, v36, v41
	v_fmac_f32_e32 v43, v37, v40
	v_add_f32_e32 v50, v42, v43
	ds_read_b128 v[42:45], v70 offset:784
	v_fma_f32 v3, v4, v32, -v3
	v_add_f32_e32 v2, v2, v3
	v_mul_f32_e32 v3, v35, v39
	v_fma_f32 v3, v34, v38, -v3
	s_waitcnt lgkmcnt(0)
	v_mul_f32_e32 v51, v42, v47
	v_fmac_f32_e32 v51, v43, v46
	v_add_f32_e32 v50, v50, v51
	v_mul_f32_e32 v51, v44, v49
	v_fmac_f32_e32 v51, v45, v48
	v_add_f32_e32 v58, v50, v51
	ds_read_b128 v[50:53], v70 offset:800
	v_add_f32_e32 v2, v2, v3
	v_mul_f32_e32 v3, v37, v41
	v_fma_f32 v3, v36, v40, -v3
	v_add_f32_e32 v2, v2, v3
	s_waitcnt lgkmcnt(0)
	v_mul_f32_e32 v59, v50, v55
	v_fmac_f32_e32 v59, v51, v54
	v_add_f32_e32 v58, v58, v59
	v_mul_f32_e32 v59, v52, v57
	v_fmac_f32_e32 v59, v53, v56
	v_add_f32_e32 v66, v58, v59
	ds_read_b128 v[58:61], v70 offset:816
	v_mul_f32_e32 v3, v43, v47
	v_fma_f32 v3, v42, v46, -v3
	v_add_f32_e32 v2, v2, v3
	v_mul_f32_e32 v3, v45, v49
	s_waitcnt lgkmcnt(0)
	v_mul_f32_e32 v67, v58, v63
	v_fmac_f32_e32 v67, v59, v62
	v_add_f32_e32 v66, v66, v67
	v_mul_f32_e32 v67, v60, v65
	v_fmac_f32_e32 v67, v61, v64
	v_add_f32_e32 v71, v66, v67
	ds_read_b128 v[66:69], v70 offset:832
	v_fma_f32 v3, v44, v48, -v3
	v_add_f32_e32 v2, v2, v3
	v_mul_f32_e32 v3, v51, v55
	v_fma_f32 v3, v50, v54, -v3
	s_waitcnt lgkmcnt(0)
	v_mul_f32_e32 v76, v66, v73
	v_fmac_f32_e32 v76, v67, v72
	v_add_f32_e32 v71, v71, v76
	v_mul_f32_e32 v76, v68, v75
	v_fmac_f32_e32 v76, v69, v74
	v_add_f32_e32 v71, v71, v76
	ds_read_b128 v[76:79], v70 offset:848
	v_add_f32_e32 v2, v2, v3
	v_mul_f32_e32 v3, v53, v57
	v_fma_f32 v3, v52, v56, -v3
	v_add_f32_e32 v2, v2, v3
	s_waitcnt lgkmcnt(0)
	v_mul_f32_e32 v84, v76, v81
	v_fmac_f32_e32 v84, v77, v80
	v_add_f32_e32 v71, v71, v84
	v_mul_f32_e32 v84, v78, v83
	v_fmac_f32_e32 v84, v79, v82
	v_add_f32_e32 v71, v71, v84
	ds_read_b128 v[84:87], v70 offset:864
	v_mul_f32_e32 v3, v59, v63
	v_fma_f32 v3, v58, v62, -v3
	v_add_f32_e32 v2, v2, v3
	v_mul_f32_e32 v3, v61, v65
	s_waitcnt lgkmcnt(0)
	v_mul_f32_e32 v92, v84, v89
	v_fmac_f32_e32 v92, v85, v88
	v_add_f32_e32 v71, v71, v92
	v_mul_f32_e32 v92, v86, v91
	v_fmac_f32_e32 v92, v87, v90
	v_add_f32_e32 v71, v71, v92
	ds_read_b128 v[92:95], v70 offset:880
	v_fma_f32 v3, v60, v64, -v3
	v_add_f32_e32 v2, v2, v3
	v_mul_f32_e32 v3, v67, v73
	v_fma_f32 v3, v66, v72, -v3
	s_waitcnt lgkmcnt(0)
	v_mul_f32_e32 v100, v92, v97
	v_fmac_f32_e32 v100, v93, v96
	v_add_f32_e32 v71, v71, v100
	v_mul_f32_e32 v100, v94, v99
	v_fmac_f32_e32 v100, v95, v98
	v_add_f32_e32 v71, v71, v100
	ds_read_b128 v[100:103], v70 offset:896
	v_add_f32_e32 v2, v2, v3
	v_mul_f32_e32 v3, v69, v75
	v_fma_f32 v3, v68, v74, -v3
	v_add_f32_e32 v2, v2, v3
	s_waitcnt lgkmcnt(0)
	v_mul_f32_e32 v108, v100, v105
	v_fmac_f32_e32 v108, v101, v104
	v_add_f32_e32 v129, v71, v108
	ds_read_b128 v[108:111], v70 offset:912
	scratch_load_dwordx4 v[116:119], off, off offset:432
	scratch_load_dwordx4 v[120:123], off, off offset:448
	;; [unrolled: 1-line block ×3, first 2 shown]
	scratch_load_dwordx2 v[134:135], off, off offset:480
	v_mul_f32_e32 v3, v77, v81
	v_fma_f32 v3, v76, v80, -v3
	v_add_f32_e32 v2, v2, v3
	v_mul_f32_e32 v3, v79, v83
	v_fma_f32 v3, v78, v82, -v3
	v_add_f32_e32 v2, v2, v3
	;; [unrolled: 3-line block ×7, first 2 shown]
	v_mul_f32_e32 v2, v103, v107
	v_mul_f32_e32 v131, v102, v107
	v_fma_f32 v130, v102, v106, -v2
	s_waitcnt lgkmcnt(0)
	v_mul_f32_e32 v2, v109, v113
	v_fmac_f32_e32 v131, v103, v106
	v_mul_f32_e32 v133, v108, v113
	v_fma_f32 v132, v108, v112, -v2
	ds_read_b128 v[2:5], v70 offset:928
	ds_read_b128 v[6:9], v70 offset:944
	;; [unrolled: 1-line block ×3, first 2 shown]
	ds_read_b64 v[14:15], v70 offset:976
	v_pk_mul_f32 v[18:19], v[110:111], v[18:19] op_sel:[1,0] op_sel_hi:[0,0]
	v_fmac_f32_e32 v133, v109, v112
	v_pk_add_f32 v[16:17], v[128:129], v[130:131]
	v_pk_fma_f32 v[20:21], v[110:111], v[114:115], v[18:19] neg_lo:[0,0,1] neg_hi:[0,0,1]
	v_pk_fma_f32 v[18:19], v[110:111], v[114:115], v[18:19] op_sel_hi:[1,0,1]
	v_pk_add_f32 v[16:17], v[16:17], v[132:133]
	v_mov_b32_e32 v21, v19
	v_pk_add_f32 v[16:17], v[16:17], v[20:21]
	s_waitcnt vmcnt(3) lgkmcnt(3)
	v_pk_mul_f32 v[18:19], v[2:3], v[116:117] op_sel:[1,1] op_sel_hi:[0,1]
	v_pk_fma_f32 v[20:21], v[2:3], v[116:117], v[18:19] neg_lo:[0,0,1] neg_hi:[0,0,1]
	v_pk_fma_f32 v[2:3], v[2:3], v[116:117], v[18:19] op_sel_hi:[1,0,1]
	s_nop 0
	v_mov_b32_e32 v21, v3
	v_pk_add_f32 v[2:3], v[16:17], v[20:21]
	v_mov_b32_e32 v16, v119
	v_pk_mul_f32 v[16:17], v[4:5], v[16:17] op_sel:[1,0] op_sel_hi:[0,0]
	v_pk_fma_f32 v[18:19], v[4:5], v[118:119], v[16:17] neg_lo:[0,0,1] neg_hi:[0,0,1]
	v_pk_fma_f32 v[4:5], v[4:5], v[118:119], v[16:17] op_sel_hi:[1,0,1]
	s_nop 0
	v_mov_b32_e32 v19, v5
	s_waitcnt vmcnt(2) lgkmcnt(2)
	v_pk_mul_f32 v[4:5], v[6:7], v[120:121] op_sel:[1,1] op_sel_hi:[0,1]
	v_pk_fma_f32 v[16:17], v[6:7], v[120:121], v[4:5] neg_lo:[0,0,1] neg_hi:[0,0,1]
	v_pk_fma_f32 v[4:5], v[6:7], v[120:121], v[4:5] op_sel_hi:[1,0,1]
	v_pk_add_f32 v[2:3], v[2:3], v[18:19]
	v_mov_b32_e32 v4, v123
	v_mov_b32_e32 v17, v5
	v_pk_mul_f32 v[4:5], v[8:9], v[4:5] op_sel:[1,0] op_sel_hi:[0,0]
	v_pk_fma_f32 v[6:7], v[8:9], v[122:123], v[4:5] neg_lo:[0,0,1] neg_hi:[0,0,1]
	v_pk_fma_f32 v[4:5], v[8:9], v[122:123], v[4:5] op_sel_hi:[1,0,1]
	v_pk_add_f32 v[2:3], v[2:3], v[16:17]
	v_mov_b32_e32 v7, v5
	s_waitcnt vmcnt(1) lgkmcnt(1)
	v_pk_mul_f32 v[4:5], v[10:11], v[124:125] op_sel:[1,1] op_sel_hi:[0,1]
	v_pk_add_f32 v[2:3], v[2:3], v[6:7]
	v_pk_fma_f32 v[6:7], v[10:11], v[124:125], v[4:5] neg_lo:[0,0,1] neg_hi:[0,0,1]
	v_pk_fma_f32 v[4:5], v[10:11], v[124:125], v[4:5] op_sel_hi:[1,0,1]
	s_nop 0
	v_mov_b32_e32 v4, v127
	v_mov_b32_e32 v7, v5
	v_pk_mul_f32 v[4:5], v[12:13], v[4:5] op_sel:[1,0] op_sel_hi:[0,0]
	v_pk_add_f32 v[2:3], v[2:3], v[6:7]
	v_pk_fma_f32 v[6:7], v[12:13], v[126:127], v[4:5] neg_lo:[0,0,1] neg_hi:[0,0,1]
	v_pk_fma_f32 v[4:5], v[12:13], v[126:127], v[4:5] op_sel_hi:[1,0,1]
	s_nop 0
	v_mov_b32_e32 v7, v5
	s_waitcnt vmcnt(0) lgkmcnt(0)
	v_pk_mul_f32 v[4:5], v[14:15], v[134:135] op_sel:[1,1] op_sel_hi:[0,1]
	v_pk_add_f32 v[2:3], v[2:3], v[6:7]
	v_pk_fma_f32 v[6:7], v[14:15], v[134:135], v[4:5] neg_lo:[0,0,1] neg_hi:[0,0,1]
	v_pk_fma_f32 v[4:5], v[14:15], v[134:135], v[4:5] op_sel_hi:[1,0,1]
	s_nop 0
	v_mov_b32_e32 v7, v5
	scratch_load_dwordx2 v[4:5], off, off offset:200
	v_pk_add_f32 v[2:3], v[2:3], v[6:7]
	s_waitcnt vmcnt(0)
	v_pk_add_f32 v[2:3], v[4:5], v[2:3] neg_lo:[0,1] neg_hi:[0,1]
	scratch_store_dwordx2 off, v[2:3], off offset:200
	s_and_saveexec_b64 s[0:1], vcc
	s_cbranch_execz .LBB60_331
; %bb.330:
	scratch_load_dwordx2 v[2:3], off, off offset:192
	v_mov_b32_e32 v71, v70
	scratch_store_dwordx2 off, v[70:71], off offset:192
	s_waitcnt vmcnt(1)
	ds_write_b64 v1, v[2:3]
.LBB60_331:
	s_or_b64 exec, exec, s[0:1]
	s_waitcnt lgkmcnt(0)
	; wave barrier
	scratch_load_dwordx4 v[6:9], off, off offset:200
	scratch_load_dwordx4 v[14:17], off, off offset:216
	;; [unrolled: 1-line block ×10, first 2 shown]
	ds_read2_b64 v[2:5], v70 offset0:87 offset1:88
	scratch_load_dwordx4 v[88:91], off, off offset:360
	scratch_load_dwordx4 v[96:99], off, off offset:376
	;; [unrolled: 1-line block ×4, first 2 shown]
	v_cmp_lt_u32_e32 vcc, 23, v0
	s_waitcnt vmcnt(13) lgkmcnt(0)
	v_mul_f32_e32 v10, v2, v7
	v_fmac_f32_e32 v10, v3, v6
	v_mul_f32_e32 v11, v4, v9
	v_add_f32_e32 v10, 0, v10
	v_fmac_f32_e32 v11, v5, v8
	v_add_f32_e32 v18, v10, v11
	ds_read2_b64 v[10:13], v70 offset0:89 offset1:90
	v_mul_f32_e32 v3, v3, v7
	v_fma_f32 v2, v2, v6, -v3
	v_mul_f32_e32 v3, v5, v9
	v_add_f32_e32 v2, 0, v2
	s_waitcnt vmcnt(12) lgkmcnt(0)
	v_mul_f32_e32 v19, v10, v15
	v_fmac_f32_e32 v19, v11, v14
	v_add_f32_e32 v18, v18, v19
	v_mul_f32_e32 v19, v12, v17
	v_fmac_f32_e32 v19, v13, v16
	v_add_f32_e32 v26, v18, v19
	ds_read2_b64 v[18:21], v70 offset0:91 offset1:92
	v_fma_f32 v3, v4, v8, -v3
	v_add_f32_e32 v2, v2, v3
	v_mul_f32_e32 v3, v11, v15
	v_fma_f32 v3, v10, v14, -v3
	s_waitcnt vmcnt(11) lgkmcnt(0)
	v_mul_f32_e32 v27, v18, v23
	v_fmac_f32_e32 v27, v19, v22
	v_add_f32_e32 v26, v26, v27
	v_mul_f32_e32 v27, v20, v25
	v_fmac_f32_e32 v27, v21, v24
	v_add_f32_e32 v34, v26, v27
	ds_read2_b64 v[26:29], v70 offset0:93 offset1:94
	v_add_f32_e32 v2, v2, v3
	v_mul_f32_e32 v3, v13, v17
	v_fma_f32 v3, v12, v16, -v3
	v_add_f32_e32 v2, v2, v3
	s_waitcnt vmcnt(10) lgkmcnt(0)
	v_mul_f32_e32 v35, v26, v31
	v_fmac_f32_e32 v35, v27, v30
	v_add_f32_e32 v34, v34, v35
	v_mul_f32_e32 v35, v28, v33
	v_fmac_f32_e32 v35, v29, v32
	v_add_f32_e32 v42, v34, v35
	ds_read2_b64 v[34:37], v70 offset0:95 offset1:96
	v_mul_f32_e32 v3, v19, v23
	v_fma_f32 v3, v18, v22, -v3
	v_add_f32_e32 v2, v2, v3
	v_mul_f32_e32 v3, v21, v25
	s_waitcnt vmcnt(9) lgkmcnt(0)
	v_mul_f32_e32 v43, v34, v39
	v_fmac_f32_e32 v43, v35, v38
	v_add_f32_e32 v42, v42, v43
	v_mul_f32_e32 v43, v36, v41
	v_fmac_f32_e32 v43, v37, v40
	v_add_f32_e32 v50, v42, v43
	ds_read2_b64 v[42:45], v70 offset0:97 offset1:98
	v_fma_f32 v3, v20, v24, -v3
	v_add_f32_e32 v2, v2, v3
	v_mul_f32_e32 v3, v27, v31
	v_fma_f32 v3, v26, v30, -v3
	s_waitcnt vmcnt(8) lgkmcnt(0)
	v_mul_f32_e32 v51, v42, v47
	v_fmac_f32_e32 v51, v43, v46
	v_add_f32_e32 v50, v50, v51
	v_mul_f32_e32 v51, v44, v49
	v_fmac_f32_e32 v51, v45, v48
	v_add_f32_e32 v58, v50, v51
	ds_read2_b64 v[50:53], v70 offset0:99 offset1:100
	v_add_f32_e32 v2, v2, v3
	v_mul_f32_e32 v3, v29, v33
	v_fma_f32 v3, v28, v32, -v3
	v_add_f32_e32 v2, v2, v3
	s_waitcnt vmcnt(7) lgkmcnt(0)
	v_mul_f32_e32 v59, v50, v55
	v_fmac_f32_e32 v59, v51, v54
	v_add_f32_e32 v58, v58, v59
	v_mul_f32_e32 v59, v52, v57
	v_fmac_f32_e32 v59, v53, v56
	v_add_f32_e32 v66, v58, v59
	ds_read2_b64 v[58:61], v70 offset0:101 offset1:102
	v_mul_f32_e32 v3, v35, v39
	v_fma_f32 v3, v34, v38, -v3
	v_add_f32_e32 v2, v2, v3
	v_mul_f32_e32 v3, v37, v41
	;; [unrolled: 36-line block ×3, first 2 shown]
	s_waitcnt vmcnt(3) lgkmcnt(0)
	v_mul_f32_e32 v92, v84, v89
	v_fmac_f32_e32 v92, v85, v88
	v_add_f32_e32 v71, v71, v92
	v_mul_f32_e32 v92, v86, v91
	v_fmac_f32_e32 v92, v87, v90
	v_add_f32_e32 v71, v71, v92
	ds_read2_b64 v[92:95], v70 offset0:109 offset1:110
	v_fma_f32 v3, v52, v56, -v3
	v_add_f32_e32 v2, v2, v3
	v_mul_f32_e32 v3, v59, v63
	v_fma_f32 v3, v58, v62, -v3
	s_waitcnt vmcnt(2) lgkmcnt(0)
	v_mul_f32_e32 v100, v92, v97
	v_fmac_f32_e32 v100, v93, v96
	v_add_f32_e32 v71, v71, v100
	v_mul_f32_e32 v100, v94, v99
	v_fmac_f32_e32 v100, v95, v98
	v_add_f32_e32 v71, v71, v100
	ds_read2_b64 v[100:103], v70 offset0:111 offset1:112
	v_add_f32_e32 v2, v2, v3
	v_mul_f32_e32 v3, v61, v65
	v_fma_f32 v3, v60, v64, -v3
	v_add_f32_e32 v2, v2, v3
	s_waitcnt vmcnt(1) lgkmcnt(0)
	v_mul_f32_e32 v108, v100, v105
	v_fmac_f32_e32 v108, v101, v104
	v_add_f32_e32 v71, v71, v108
	v_mul_f32_e32 v108, v102, v107
	v_fmac_f32_e32 v108, v103, v106
	v_add_f32_e32 v133, v71, v108
	ds_read2_b64 v[108:111], v70 offset0:113 offset1:114
	scratch_load_dwordx4 v[116:119], off, off offset:424
	scratch_load_dwordx4 v[120:123], off, off offset:440
	;; [unrolled: 1-line block ×4, first 2 shown]
	v_mul_f32_e32 v3, v67, v73
	v_fma_f32 v3, v66, v72, -v3
	v_add_f32_e32 v2, v2, v3
	v_mul_f32_e32 v3, v69, v75
	v_fma_f32 v3, v68, v74, -v3
	v_add_f32_e32 v2, v2, v3
	;; [unrolled: 3-line block ×10, first 2 shown]
	s_waitcnt vmcnt(4) lgkmcnt(0)
	v_mul_f32_e32 v2, v109, v113
	v_fma_f32 v134, v108, v112, -v2
	v_mul_f32_e32 v2, v111, v115
	v_fma_f32 v136, v110, v114, -v2
	ds_read2_b64 v[2:5], v70 offset0:115 offset1:116
	ds_read2_b64 v[6:9], v70 offset0:117 offset1:118
	;; [unrolled: 1-line block ×4, first 2 shown]
	v_mul_f32_e32 v135, v108, v113
	v_fmac_f32_e32 v135, v109, v112
	v_mul_f32_e32 v137, v110, v115
	v_fmac_f32_e32 v137, v111, v114
	v_pk_add_f32 v[18:19], v[132:133], v[134:135]
	s_waitcnt vmcnt(3) lgkmcnt(3)
	v_pk_mul_f32 v[20:21], v[2:3], v[116:117] op_sel:[1,1] op_sel_hi:[0,1]
	v_pk_fma_f32 v[22:23], v[2:3], v[116:117], v[20:21] neg_lo:[0,0,1] neg_hi:[0,0,1]
	v_pk_fma_f32 v[2:3], v[2:3], v[116:117], v[20:21] op_sel_hi:[1,0,1]
	v_pk_add_f32 v[18:19], v[18:19], v[136:137]
	v_mov_b32_e32 v23, v3
	v_pk_add_f32 v[2:3], v[18:19], v[22:23]
	v_mov_b32_e32 v18, v119
	v_pk_mul_f32 v[18:19], v[4:5], v[18:19] op_sel:[1,0] op_sel_hi:[0,0]
	v_pk_fma_f32 v[20:21], v[4:5], v[118:119], v[18:19] neg_lo:[0,0,1] neg_hi:[0,0,1]
	v_pk_fma_f32 v[4:5], v[4:5], v[118:119], v[18:19] op_sel_hi:[1,0,1]
	s_nop 0
	v_mov_b32_e32 v21, v5
	s_waitcnt vmcnt(2) lgkmcnt(2)
	v_pk_mul_f32 v[4:5], v[6:7], v[120:121] op_sel:[1,1] op_sel_hi:[0,1]
	v_pk_fma_f32 v[18:19], v[6:7], v[120:121], v[4:5] neg_lo:[0,0,1] neg_hi:[0,0,1]
	v_pk_fma_f32 v[4:5], v[6:7], v[120:121], v[4:5] op_sel_hi:[1,0,1]
	v_pk_add_f32 v[2:3], v[2:3], v[20:21]
	v_mov_b32_e32 v4, v123
	v_mov_b32_e32 v19, v5
	v_pk_mul_f32 v[4:5], v[8:9], v[4:5] op_sel:[1,0] op_sel_hi:[0,0]
	v_pk_fma_f32 v[6:7], v[8:9], v[122:123], v[4:5] neg_lo:[0,0,1] neg_hi:[0,0,1]
	v_pk_fma_f32 v[4:5], v[8:9], v[122:123], v[4:5] op_sel_hi:[1,0,1]
	v_pk_add_f32 v[2:3], v[2:3], v[18:19]
	v_mov_b32_e32 v7, v5
	s_waitcnt vmcnt(1) lgkmcnt(1)
	v_pk_mul_f32 v[4:5], v[10:11], v[124:125] op_sel:[1,1] op_sel_hi:[0,1]
	v_pk_add_f32 v[2:3], v[2:3], v[6:7]
	v_pk_fma_f32 v[6:7], v[10:11], v[124:125], v[4:5] neg_lo:[0,0,1] neg_hi:[0,0,1]
	v_pk_fma_f32 v[4:5], v[10:11], v[124:125], v[4:5] op_sel_hi:[1,0,1]
	s_nop 0
	v_mov_b32_e32 v4, v127
	v_mov_b32_e32 v7, v5
	v_pk_mul_f32 v[4:5], v[12:13], v[4:5] op_sel:[1,0] op_sel_hi:[0,0]
	v_pk_add_f32 v[2:3], v[2:3], v[6:7]
	v_pk_fma_f32 v[6:7], v[12:13], v[126:127], v[4:5] neg_lo:[0,0,1] neg_hi:[0,0,1]
	v_pk_fma_f32 v[4:5], v[12:13], v[126:127], v[4:5] op_sel_hi:[1,0,1]
	s_nop 0
	v_mov_b32_e32 v7, v5
	s_waitcnt vmcnt(0) lgkmcnt(0)
	v_pk_mul_f32 v[4:5], v[14:15], v[128:129] op_sel:[1,1] op_sel_hi:[0,1]
	v_pk_add_f32 v[2:3], v[2:3], v[6:7]
	v_pk_fma_f32 v[6:7], v[14:15], v[128:129], v[4:5] neg_lo:[0,0,1] neg_hi:[0,0,1]
	v_pk_fma_f32 v[4:5], v[14:15], v[128:129], v[4:5] op_sel_hi:[1,0,1]
	s_nop 0
	v_mov_b32_e32 v4, v131
	v_mov_b32_e32 v7, v5
	v_pk_mul_f32 v[4:5], v[16:17], v[4:5] op_sel:[1,0] op_sel_hi:[0,0]
	v_pk_add_f32 v[2:3], v[2:3], v[6:7]
	v_pk_fma_f32 v[6:7], v[16:17], v[130:131], v[4:5] neg_lo:[0,0,1] neg_hi:[0,0,1]
	v_pk_fma_f32 v[4:5], v[16:17], v[130:131], v[4:5] op_sel_hi:[1,0,1]
	s_nop 0
	v_mov_b32_e32 v7, v5
	scratch_load_dwordx2 v[4:5], off, off offset:192
	v_pk_add_f32 v[2:3], v[2:3], v[6:7]
	s_waitcnt vmcnt(0)
	v_pk_add_f32 v[2:3], v[4:5], v[2:3] neg_lo:[0,1] neg_hi:[0,1]
	scratch_store_dwordx2 off, v[2:3], off offset:192
	s_and_saveexec_b64 s[0:1], vcc
	s_cbranch_execz .LBB60_333
; %bb.332:
	scratch_load_dwordx2 v[2:3], off, off offset:184
	v_mov_b32_e32 v4, 0
	v_mov_b32_e32 v5, v4
	scratch_store_dwordx2 off, v[4:5], off offset:184
	s_waitcnt vmcnt(1)
	ds_write_b64 v1, v[2:3]
.LBB60_333:
	s_or_b64 exec, exec, s[0:1]
	v_mov_b32_e32 v86, 0
	s_waitcnt lgkmcnt(0)
	; wave barrier
	ds_read_b128 v[14:17], v86 offset:688
	ds_read_b128 v[10:13], v86 offset:704
	;; [unrolled: 1-line block ×4, first 2 shown]
	scratch_load_dwordx4 v[18:21], off, off offset:192
	scratch_load_dwordx4 v[38:41], off, off offset:256
	;; [unrolled: 1-line block ×9, first 2 shown]
	v_cmp_lt_u32_e32 vcc, 22, v0
	scratch_load_dwordx4 v[46:49], off, off offset:272
	scratch_load_dwordx4 v[54:57], off, off offset:288
	scratch_load_dwordx4 v[62:65], off, off offset:304
	s_waitcnt vmcnt(11) lgkmcnt(3)
	v_mul_f32_e32 v22, v14, v19
	v_fmac_f32_e32 v22, v15, v18
	v_mul_f32_e32 v23, v16, v21
	v_add_f32_e32 v22, 0, v22
	v_fmac_f32_e32 v23, v17, v20
	v_add_f32_e32 v26, v22, v23
	scratch_load_dwordx4 v[22:25], off, off offset:208
	v_mul_f32_e32 v15, v15, v19
	v_fma_f32 v14, v14, v18, -v15
	v_mul_f32_e32 v15, v17, v21
	v_add_f32_e32 v14, 0, v14
	v_fma_f32 v15, v16, v20, -v15
	v_add_f32_e32 v14, v14, v15
	s_waitcnt vmcnt(4)
	v_mov_b32_e32 v18, v123
	s_waitcnt vmcnt(0) lgkmcnt(2)
	v_mul_f32_e32 v27, v10, v23
	v_fmac_f32_e32 v27, v11, v22
	v_add_f32_e32 v26, v26, v27
	v_mul_f32_e32 v27, v12, v25
	v_fmac_f32_e32 v27, v13, v24
	v_add_f32_e32 v30, v26, v27
	scratch_load_dwordx4 v[26:29], off, off offset:224
	v_mul_f32_e32 v11, v11, v23
	v_fma_f32 v10, v10, v22, -v11
	v_mul_f32_e32 v11, v13, v25
	v_add_f32_e32 v10, v14, v10
	v_fma_f32 v11, v12, v24, -v11
	v_add_f32_e32 v10, v10, v11
	s_waitcnt vmcnt(0) lgkmcnt(1)
	v_mul_f32_e32 v31, v6, v27
	v_fmac_f32_e32 v31, v7, v26
	v_add_f32_e32 v30, v30, v31
	v_mul_f32_e32 v31, v8, v29
	v_fmac_f32_e32 v31, v9, v28
	v_add_f32_e32 v34, v30, v31
	scratch_load_dwordx4 v[30:33], off, off offset:240
	v_mul_f32_e32 v7, v7, v27
	v_fma_f32 v6, v6, v26, -v7
	v_mul_f32_e32 v7, v9, v29
	v_add_f32_e32 v6, v10, v6
	v_fma_f32 v7, v8, v28, -v7
	v_add_f32_e32 v6, v6, v7
	s_waitcnt vmcnt(0) lgkmcnt(0)
	v_mul_f32_e32 v35, v2, v31
	v_fmac_f32_e32 v35, v3, v30
	v_add_f32_e32 v34, v34, v35
	v_mul_f32_e32 v35, v4, v33
	v_fmac_f32_e32 v35, v5, v32
	v_add_f32_e32 v42, v34, v35
	ds_read_b128 v[34:37], v86 offset:752
	v_mul_f32_e32 v3, v3, v31
	v_fma_f32 v2, v2, v30, -v3
	v_mul_f32_e32 v3, v5, v33
	v_add_f32_e32 v2, v6, v2
	s_waitcnt lgkmcnt(0)
	v_mul_f32_e32 v43, v34, v39
	v_fmac_f32_e32 v43, v35, v38
	v_add_f32_e32 v42, v42, v43
	v_mul_f32_e32 v43, v36, v41
	v_fmac_f32_e32 v43, v37, v40
	v_add_f32_e32 v50, v42, v43
	ds_read_b128 v[42:45], v86 offset:768
	v_fma_f32 v3, v4, v32, -v3
	v_add_f32_e32 v2, v2, v3
	v_mul_f32_e32 v3, v35, v39
	v_fma_f32 v3, v34, v38, -v3
	s_waitcnt lgkmcnt(0)
	v_mul_f32_e32 v51, v42, v47
	v_fmac_f32_e32 v51, v43, v46
	v_add_f32_e32 v50, v50, v51
	v_mul_f32_e32 v51, v44, v49
	v_fmac_f32_e32 v51, v45, v48
	v_add_f32_e32 v58, v50, v51
	ds_read_b128 v[50:53], v86 offset:784
	v_add_f32_e32 v2, v2, v3
	v_mul_f32_e32 v3, v37, v41
	v_fma_f32 v3, v36, v40, -v3
	v_add_f32_e32 v2, v2, v3
	s_waitcnt lgkmcnt(0)
	v_mul_f32_e32 v59, v50, v55
	v_fmac_f32_e32 v59, v51, v54
	v_add_f32_e32 v58, v58, v59
	v_mul_f32_e32 v59, v52, v57
	v_fmac_f32_e32 v59, v53, v56
	v_add_f32_e32 v66, v58, v59
	ds_read_b128 v[58:61], v86 offset:800
	v_mul_f32_e32 v3, v43, v47
	v_fma_f32 v3, v42, v46, -v3
	v_add_f32_e32 v2, v2, v3
	v_mul_f32_e32 v3, v45, v49
	s_waitcnt lgkmcnt(0)
	v_mul_f32_e32 v67, v58, v63
	v_fmac_f32_e32 v67, v59, v62
	v_add_f32_e32 v66, v66, v67
	v_mul_f32_e32 v67, v60, v65
	v_fmac_f32_e32 v67, v61, v64
	v_add_f32_e32 v74, v66, v67
	ds_read_b128 v[66:69], v86 offset:816
	v_fma_f32 v3, v44, v48, -v3
	v_add_f32_e32 v2, v2, v3
	v_mul_f32_e32 v3, v51, v55
	v_fma_f32 v3, v50, v54, -v3
	s_waitcnt lgkmcnt(0)
	v_mul_f32_e32 v75, v66, v71
	v_fmac_f32_e32 v75, v67, v70
	v_add_f32_e32 v74, v74, v75
	v_mul_f32_e32 v75, v68, v73
	v_fmac_f32_e32 v75, v69, v72
	v_add_f32_e32 v82, v74, v75
	ds_read_b128 v[74:77], v86 offset:832
	v_add_f32_e32 v2, v2, v3
	v_mul_f32_e32 v3, v53, v57
	v_fma_f32 v3, v52, v56, -v3
	v_add_f32_e32 v2, v2, v3
	s_waitcnt lgkmcnt(0)
	v_mul_f32_e32 v83, v74, v79
	v_fmac_f32_e32 v83, v75, v78
	v_add_f32_e32 v82, v82, v83
	v_mul_f32_e32 v83, v76, v81
	v_fmac_f32_e32 v83, v77, v80
	v_add_f32_e32 v87, v82, v83
	ds_read_b128 v[82:85], v86 offset:848
	v_mul_f32_e32 v3, v59, v63
	v_fma_f32 v3, v58, v62, -v3
	v_add_f32_e32 v2, v2, v3
	v_mul_f32_e32 v3, v61, v65
	;; [unrolled: 36-line block ×3, first 2 shown]
	s_waitcnt lgkmcnt(0)
	v_mul_f32_e32 v116, v108, v113
	v_fmac_f32_e32 v116, v109, v112
	v_add_f32_e32 v137, v87, v116
	ds_read_b128 v[116:119], v86 offset:912
	scratch_load_dwordx4 v[124:127], off, off offset:432
	scratch_load_dwordx4 v[128:131], off, off offset:448
	;; [unrolled: 1-line block ×3, first 2 shown]
	scratch_load_dwordx2 v[142:143], off, off offset:480
	v_fma_f32 v3, v76, v80, -v3
	v_add_f32_e32 v2, v2, v3
	v_mul_f32_e32 v3, v83, v89
	v_fma_f32 v3, v82, v88, -v3
	v_add_f32_e32 v2, v2, v3
	v_mul_f32_e32 v3, v85, v91
	;; [unrolled: 3-line block ×8, first 2 shown]
	v_mul_f32_e32 v139, v110, v115
	v_fma_f32 v138, v110, v114, -v2
	s_waitcnt lgkmcnt(0)
	v_mul_f32_e32 v2, v117, v121
	v_fmac_f32_e32 v139, v111, v114
	v_mul_f32_e32 v141, v116, v121
	v_fma_f32 v140, v116, v120, -v2
	ds_read_b128 v[2:5], v86 offset:928
	ds_read_b128 v[6:9], v86 offset:944
	;; [unrolled: 1-line block ×3, first 2 shown]
	ds_read_b64 v[14:15], v86 offset:976
	v_pk_mul_f32 v[18:19], v[118:119], v[18:19] op_sel:[1,0] op_sel_hi:[0,0]
	v_fmac_f32_e32 v141, v117, v120
	v_pk_add_f32 v[16:17], v[136:137], v[138:139]
	v_pk_fma_f32 v[20:21], v[118:119], v[122:123], v[18:19] neg_lo:[0,0,1] neg_hi:[0,0,1]
	v_pk_fma_f32 v[18:19], v[118:119], v[122:123], v[18:19] op_sel_hi:[1,0,1]
	v_pk_add_f32 v[16:17], v[16:17], v[140:141]
	v_mov_b32_e32 v21, v19
	v_pk_add_f32 v[16:17], v[16:17], v[20:21]
	s_waitcnt vmcnt(3) lgkmcnt(3)
	v_pk_mul_f32 v[18:19], v[2:3], v[124:125] op_sel:[1,1] op_sel_hi:[0,1]
	v_pk_fma_f32 v[20:21], v[2:3], v[124:125], v[18:19] neg_lo:[0,0,1] neg_hi:[0,0,1]
	v_pk_fma_f32 v[2:3], v[2:3], v[124:125], v[18:19] op_sel_hi:[1,0,1]
	s_nop 0
	v_mov_b32_e32 v21, v3
	v_pk_add_f32 v[2:3], v[16:17], v[20:21]
	v_mov_b32_e32 v16, v127
	v_pk_mul_f32 v[16:17], v[4:5], v[16:17] op_sel:[1,0] op_sel_hi:[0,0]
	v_pk_fma_f32 v[18:19], v[4:5], v[126:127], v[16:17] neg_lo:[0,0,1] neg_hi:[0,0,1]
	v_pk_fma_f32 v[4:5], v[4:5], v[126:127], v[16:17] op_sel_hi:[1,0,1]
	s_nop 0
	v_mov_b32_e32 v19, v5
	s_waitcnt vmcnt(2) lgkmcnt(2)
	v_pk_mul_f32 v[4:5], v[6:7], v[128:129] op_sel:[1,1] op_sel_hi:[0,1]
	v_pk_fma_f32 v[16:17], v[6:7], v[128:129], v[4:5] neg_lo:[0,0,1] neg_hi:[0,0,1]
	v_pk_fma_f32 v[4:5], v[6:7], v[128:129], v[4:5] op_sel_hi:[1,0,1]
	v_pk_add_f32 v[2:3], v[2:3], v[18:19]
	v_mov_b32_e32 v4, v131
	v_mov_b32_e32 v17, v5
	v_pk_mul_f32 v[4:5], v[8:9], v[4:5] op_sel:[1,0] op_sel_hi:[0,0]
	v_pk_fma_f32 v[6:7], v[8:9], v[130:131], v[4:5] neg_lo:[0,0,1] neg_hi:[0,0,1]
	v_pk_fma_f32 v[4:5], v[8:9], v[130:131], v[4:5] op_sel_hi:[1,0,1]
	v_pk_add_f32 v[2:3], v[2:3], v[16:17]
	v_mov_b32_e32 v7, v5
	s_waitcnt vmcnt(1) lgkmcnt(1)
	v_pk_mul_f32 v[4:5], v[10:11], v[132:133] op_sel:[1,1] op_sel_hi:[0,1]
	v_pk_add_f32 v[2:3], v[2:3], v[6:7]
	v_pk_fma_f32 v[6:7], v[10:11], v[132:133], v[4:5] neg_lo:[0,0,1] neg_hi:[0,0,1]
	v_pk_fma_f32 v[4:5], v[10:11], v[132:133], v[4:5] op_sel_hi:[1,0,1]
	s_nop 0
	v_mov_b32_e32 v4, v135
	v_mov_b32_e32 v7, v5
	v_pk_mul_f32 v[4:5], v[12:13], v[4:5] op_sel:[1,0] op_sel_hi:[0,0]
	v_pk_add_f32 v[2:3], v[2:3], v[6:7]
	v_pk_fma_f32 v[6:7], v[12:13], v[134:135], v[4:5] neg_lo:[0,0,1] neg_hi:[0,0,1]
	v_pk_fma_f32 v[4:5], v[12:13], v[134:135], v[4:5] op_sel_hi:[1,0,1]
	s_nop 0
	v_mov_b32_e32 v7, v5
	s_waitcnt vmcnt(0) lgkmcnt(0)
	v_pk_mul_f32 v[4:5], v[14:15], v[142:143] op_sel:[1,1] op_sel_hi:[0,1]
	v_pk_add_f32 v[2:3], v[2:3], v[6:7]
	v_pk_fma_f32 v[6:7], v[14:15], v[142:143], v[4:5] neg_lo:[0,0,1] neg_hi:[0,0,1]
	v_pk_fma_f32 v[4:5], v[14:15], v[142:143], v[4:5] op_sel_hi:[1,0,1]
	s_nop 0
	v_mov_b32_e32 v7, v5
	scratch_load_dwordx2 v[4:5], off, off offset:184
	v_pk_add_f32 v[2:3], v[2:3], v[6:7]
	s_waitcnt vmcnt(0)
	v_pk_add_f32 v[2:3], v[4:5], v[2:3] neg_lo:[0,1] neg_hi:[0,1]
	scratch_store_dwordx2 off, v[2:3], off offset:184
	s_and_saveexec_b64 s[0:1], vcc
	s_cbranch_execz .LBB60_335
; %bb.334:
	scratch_load_dwordx2 v[2:3], off, off offset:176
	v_mov_b32_e32 v87, v86
	scratch_store_dwordx2 off, v[86:87], off offset:176
	s_waitcnt vmcnt(1)
	ds_write_b64 v1, v[2:3]
.LBB60_335:
	s_or_b64 exec, exec, s[0:1]
	s_waitcnt lgkmcnt(0)
	; wave barrier
	scratch_load_dwordx4 v[6:9], off, off offset:184
	scratch_load_dwordx4 v[14:17], off, off offset:200
	;; [unrolled: 1-line block ×10, first 2 shown]
	ds_read2_b64 v[2:5], v86 offset0:85 offset1:86
	scratch_load_dwordx4 v[88:91], off, off offset:344
	scratch_load_dwordx4 v[96:99], off, off offset:360
	;; [unrolled: 1-line block ×5, first 2 shown]
	v_cmp_lt_u32_e32 vcc, 21, v0
	s_waitcnt vmcnt(14) lgkmcnt(0)
	v_mul_f32_e32 v10, v2, v7
	v_fmac_f32_e32 v10, v3, v6
	v_mul_f32_e32 v11, v4, v9
	v_add_f32_e32 v10, 0, v10
	v_fmac_f32_e32 v11, v5, v8
	v_add_f32_e32 v18, v10, v11
	ds_read2_b64 v[10:13], v86 offset0:87 offset1:88
	v_mul_f32_e32 v3, v3, v7
	v_fma_f32 v2, v2, v6, -v3
	v_mul_f32_e32 v3, v5, v9
	v_add_f32_e32 v2, 0, v2
	s_waitcnt vmcnt(13) lgkmcnt(0)
	v_mul_f32_e32 v19, v10, v15
	v_fmac_f32_e32 v19, v11, v14
	v_add_f32_e32 v18, v18, v19
	v_mul_f32_e32 v19, v12, v17
	v_fmac_f32_e32 v19, v13, v16
	v_add_f32_e32 v26, v18, v19
	ds_read2_b64 v[18:21], v86 offset0:89 offset1:90
	v_fma_f32 v3, v4, v8, -v3
	v_add_f32_e32 v2, v2, v3
	v_mul_f32_e32 v3, v11, v15
	v_fma_f32 v3, v10, v14, -v3
	s_waitcnt vmcnt(12) lgkmcnt(0)
	v_mul_f32_e32 v27, v18, v23
	v_fmac_f32_e32 v27, v19, v22
	v_add_f32_e32 v26, v26, v27
	v_mul_f32_e32 v27, v20, v25
	v_fmac_f32_e32 v27, v21, v24
	v_add_f32_e32 v34, v26, v27
	ds_read2_b64 v[26:29], v86 offset0:91 offset1:92
	v_add_f32_e32 v2, v2, v3
	v_mul_f32_e32 v3, v13, v17
	v_fma_f32 v3, v12, v16, -v3
	v_add_f32_e32 v2, v2, v3
	s_waitcnt vmcnt(11) lgkmcnt(0)
	v_mul_f32_e32 v35, v26, v31
	v_fmac_f32_e32 v35, v27, v30
	v_add_f32_e32 v34, v34, v35
	v_mul_f32_e32 v35, v28, v33
	v_fmac_f32_e32 v35, v29, v32
	v_add_f32_e32 v42, v34, v35
	ds_read2_b64 v[34:37], v86 offset0:93 offset1:94
	v_mul_f32_e32 v3, v19, v23
	v_fma_f32 v3, v18, v22, -v3
	v_add_f32_e32 v2, v2, v3
	v_mul_f32_e32 v3, v21, v25
	s_waitcnt vmcnt(10) lgkmcnt(0)
	v_mul_f32_e32 v43, v34, v39
	v_fmac_f32_e32 v43, v35, v38
	v_add_f32_e32 v42, v42, v43
	v_mul_f32_e32 v43, v36, v41
	v_fmac_f32_e32 v43, v37, v40
	v_add_f32_e32 v50, v42, v43
	ds_read2_b64 v[42:45], v86 offset0:95 offset1:96
	v_fma_f32 v3, v20, v24, -v3
	v_add_f32_e32 v2, v2, v3
	v_mul_f32_e32 v3, v27, v31
	v_fma_f32 v3, v26, v30, -v3
	s_waitcnt vmcnt(9) lgkmcnt(0)
	v_mul_f32_e32 v51, v42, v47
	v_fmac_f32_e32 v51, v43, v46
	v_add_f32_e32 v50, v50, v51
	v_mul_f32_e32 v51, v44, v49
	v_fmac_f32_e32 v51, v45, v48
	v_add_f32_e32 v58, v50, v51
	ds_read2_b64 v[50:53], v86 offset0:97 offset1:98
	v_add_f32_e32 v2, v2, v3
	v_mul_f32_e32 v3, v29, v33
	v_fma_f32 v3, v28, v32, -v3
	v_add_f32_e32 v2, v2, v3
	s_waitcnt vmcnt(8) lgkmcnt(0)
	v_mul_f32_e32 v59, v50, v55
	v_fmac_f32_e32 v59, v51, v54
	v_add_f32_e32 v58, v58, v59
	v_mul_f32_e32 v59, v52, v57
	v_fmac_f32_e32 v59, v53, v56
	v_add_f32_e32 v66, v58, v59
	ds_read2_b64 v[58:61], v86 offset0:99 offset1:100
	v_mul_f32_e32 v3, v35, v39
	v_fma_f32 v3, v34, v38, -v3
	v_add_f32_e32 v2, v2, v3
	v_mul_f32_e32 v3, v37, v41
	;; [unrolled: 36-line block ×4, first 2 shown]
	s_waitcnt vmcnt(1) lgkmcnt(0)
	v_mul_f32_e32 v116, v108, v113
	v_fmac_f32_e32 v116, v109, v112
	v_add_f32_e32 v87, v87, v116
	v_mul_f32_e32 v116, v110, v115
	v_fmac_f32_e32 v116, v111, v114
	v_add_f32_e32 v141, v87, v116
	ds_read2_b64 v[116:119], v86 offset0:113 offset1:114
	scratch_load_dwordx4 v[124:127], off, off offset:424
	scratch_load_dwordx4 v[128:131], off, off offset:440
	;; [unrolled: 1-line block ×4, first 2 shown]
	v_fma_f32 v3, v68, v72, -v3
	v_add_f32_e32 v2, v2, v3
	v_mul_f32_e32 v3, v75, v79
	v_fma_f32 v3, v74, v78, -v3
	v_add_f32_e32 v2, v2, v3
	v_mul_f32_e32 v3, v77, v81
	;; [unrolled: 3-line block ×10, first 2 shown]
	v_fma_f32 v3, v110, v114, -v3
	v_add_f32_e32 v140, v2, v3
	s_waitcnt vmcnt(4) lgkmcnt(0)
	v_mul_f32_e32 v2, v117, v121
	v_fma_f32 v142, v116, v120, -v2
	v_mul_f32_e32 v2, v119, v123
	v_fma_f32 v144, v118, v122, -v2
	ds_read2_b64 v[2:5], v86 offset0:115 offset1:116
	ds_read2_b64 v[6:9], v86 offset0:117 offset1:118
	;; [unrolled: 1-line block ×4, first 2 shown]
	v_mul_f32_e32 v143, v116, v121
	v_fmac_f32_e32 v143, v117, v120
	v_mul_f32_e32 v145, v118, v123
	v_fmac_f32_e32 v145, v119, v122
	v_pk_add_f32 v[18:19], v[140:141], v[142:143]
	s_waitcnt vmcnt(3) lgkmcnt(3)
	v_pk_mul_f32 v[20:21], v[2:3], v[124:125] op_sel:[1,1] op_sel_hi:[0,1]
	v_pk_fma_f32 v[22:23], v[2:3], v[124:125], v[20:21] neg_lo:[0,0,1] neg_hi:[0,0,1]
	v_pk_fma_f32 v[2:3], v[2:3], v[124:125], v[20:21] op_sel_hi:[1,0,1]
	v_pk_add_f32 v[18:19], v[18:19], v[144:145]
	v_mov_b32_e32 v23, v3
	v_pk_add_f32 v[2:3], v[18:19], v[22:23]
	v_mov_b32_e32 v18, v127
	v_pk_mul_f32 v[18:19], v[4:5], v[18:19] op_sel:[1,0] op_sel_hi:[0,0]
	v_pk_fma_f32 v[20:21], v[4:5], v[126:127], v[18:19] neg_lo:[0,0,1] neg_hi:[0,0,1]
	v_pk_fma_f32 v[4:5], v[4:5], v[126:127], v[18:19] op_sel_hi:[1,0,1]
	s_nop 0
	v_mov_b32_e32 v21, v5
	s_waitcnt vmcnt(2) lgkmcnt(2)
	v_pk_mul_f32 v[4:5], v[6:7], v[128:129] op_sel:[1,1] op_sel_hi:[0,1]
	v_pk_fma_f32 v[18:19], v[6:7], v[128:129], v[4:5] neg_lo:[0,0,1] neg_hi:[0,0,1]
	v_pk_fma_f32 v[4:5], v[6:7], v[128:129], v[4:5] op_sel_hi:[1,0,1]
	v_pk_add_f32 v[2:3], v[2:3], v[20:21]
	v_mov_b32_e32 v4, v131
	v_mov_b32_e32 v19, v5
	v_pk_mul_f32 v[4:5], v[8:9], v[4:5] op_sel:[1,0] op_sel_hi:[0,0]
	v_pk_fma_f32 v[6:7], v[8:9], v[130:131], v[4:5] neg_lo:[0,0,1] neg_hi:[0,0,1]
	v_pk_fma_f32 v[4:5], v[8:9], v[130:131], v[4:5] op_sel_hi:[1,0,1]
	v_pk_add_f32 v[2:3], v[2:3], v[18:19]
	v_mov_b32_e32 v7, v5
	s_waitcnt vmcnt(1) lgkmcnt(1)
	v_pk_mul_f32 v[4:5], v[10:11], v[132:133] op_sel:[1,1] op_sel_hi:[0,1]
	v_pk_add_f32 v[2:3], v[2:3], v[6:7]
	v_pk_fma_f32 v[6:7], v[10:11], v[132:133], v[4:5] neg_lo:[0,0,1] neg_hi:[0,0,1]
	v_pk_fma_f32 v[4:5], v[10:11], v[132:133], v[4:5] op_sel_hi:[1,0,1]
	s_nop 0
	v_mov_b32_e32 v4, v135
	v_mov_b32_e32 v7, v5
	v_pk_mul_f32 v[4:5], v[12:13], v[4:5] op_sel:[1,0] op_sel_hi:[0,0]
	v_pk_add_f32 v[2:3], v[2:3], v[6:7]
	v_pk_fma_f32 v[6:7], v[12:13], v[134:135], v[4:5] neg_lo:[0,0,1] neg_hi:[0,0,1]
	v_pk_fma_f32 v[4:5], v[12:13], v[134:135], v[4:5] op_sel_hi:[1,0,1]
	s_nop 0
	v_mov_b32_e32 v7, v5
	s_waitcnt vmcnt(0) lgkmcnt(0)
	v_pk_mul_f32 v[4:5], v[14:15], v[136:137] op_sel:[1,1] op_sel_hi:[0,1]
	v_pk_add_f32 v[2:3], v[2:3], v[6:7]
	v_pk_fma_f32 v[6:7], v[14:15], v[136:137], v[4:5] neg_lo:[0,0,1] neg_hi:[0,0,1]
	v_pk_fma_f32 v[4:5], v[14:15], v[136:137], v[4:5] op_sel_hi:[1,0,1]
	s_nop 0
	v_mov_b32_e32 v4, v139
	v_mov_b32_e32 v7, v5
	v_pk_mul_f32 v[4:5], v[16:17], v[4:5] op_sel:[1,0] op_sel_hi:[0,0]
	v_pk_add_f32 v[2:3], v[2:3], v[6:7]
	v_pk_fma_f32 v[6:7], v[16:17], v[138:139], v[4:5] neg_lo:[0,0,1] neg_hi:[0,0,1]
	v_pk_fma_f32 v[4:5], v[16:17], v[138:139], v[4:5] op_sel_hi:[1,0,1]
	s_nop 0
	v_mov_b32_e32 v7, v5
	scratch_load_dwordx2 v[4:5], off, off offset:176
	v_pk_add_f32 v[2:3], v[2:3], v[6:7]
	s_waitcnt vmcnt(0)
	v_pk_add_f32 v[2:3], v[4:5], v[2:3] neg_lo:[0,1] neg_hi:[0,1]
	scratch_store_dwordx2 off, v[2:3], off offset:176
	s_and_saveexec_b64 s[0:1], vcc
	s_cbranch_execz .LBB60_337
; %bb.336:
	scratch_load_dwordx2 v[2:3], off, off offset:168
	v_mov_b32_e32 v4, 0
	v_mov_b32_e32 v5, v4
	scratch_store_dwordx2 off, v[4:5], off offset:168
	s_waitcnt vmcnt(1)
	ds_write_b64 v1, v[2:3]
.LBB60_337:
	s_or_b64 exec, exec, s[0:1]
	v_mov_b32_e32 v94, 0
	s_waitcnt lgkmcnt(0)
	; wave barrier
	ds_read_b128 v[14:17], v94 offset:672
	ds_read_b128 v[10:13], v94 offset:688
	;; [unrolled: 1-line block ×4, first 2 shown]
	scratch_load_dwordx4 v[18:21], off, off offset:176
	scratch_load_dwordx4 v[38:41], off, off offset:240
	;; [unrolled: 1-line block ×10, first 2 shown]
	v_cmp_lt_u32_e32 vcc, 20, v0
	scratch_load_dwordx4 v[46:49], off, off offset:256
	scratch_load_dwordx4 v[54:57], off, off offset:272
	;; [unrolled: 1-line block ×3, first 2 shown]
	s_waitcnt vmcnt(12) lgkmcnt(3)
	v_mul_f32_e32 v22, v14, v19
	v_fmac_f32_e32 v22, v15, v18
	v_mul_f32_e32 v23, v16, v21
	v_add_f32_e32 v22, 0, v22
	v_fmac_f32_e32 v23, v17, v20
	v_add_f32_e32 v26, v22, v23
	scratch_load_dwordx4 v[22:25], off, off offset:192
	v_mul_f32_e32 v15, v15, v19
	v_fma_f32 v14, v14, v18, -v15
	v_mul_f32_e32 v15, v17, v21
	v_add_f32_e32 v14, 0, v14
	v_fma_f32 v15, v16, v20, -v15
	v_add_f32_e32 v14, v14, v15
	s_waitcnt vmcnt(4)
	v_mov_b32_e32 v18, v131
	s_waitcnt vmcnt(0) lgkmcnt(2)
	v_mul_f32_e32 v27, v10, v23
	v_fmac_f32_e32 v27, v11, v22
	v_add_f32_e32 v26, v26, v27
	v_mul_f32_e32 v27, v12, v25
	v_fmac_f32_e32 v27, v13, v24
	v_add_f32_e32 v30, v26, v27
	scratch_load_dwordx4 v[26:29], off, off offset:208
	v_mul_f32_e32 v11, v11, v23
	v_fma_f32 v10, v10, v22, -v11
	v_mul_f32_e32 v11, v13, v25
	v_add_f32_e32 v10, v14, v10
	v_fma_f32 v11, v12, v24, -v11
	v_add_f32_e32 v10, v10, v11
	s_waitcnt vmcnt(0) lgkmcnt(1)
	v_mul_f32_e32 v31, v6, v27
	v_fmac_f32_e32 v31, v7, v26
	v_add_f32_e32 v30, v30, v31
	v_mul_f32_e32 v31, v8, v29
	v_fmac_f32_e32 v31, v9, v28
	v_add_f32_e32 v34, v30, v31
	scratch_load_dwordx4 v[30:33], off, off offset:224
	v_mul_f32_e32 v7, v7, v27
	v_fma_f32 v6, v6, v26, -v7
	v_mul_f32_e32 v7, v9, v29
	v_add_f32_e32 v6, v10, v6
	v_fma_f32 v7, v8, v28, -v7
	v_add_f32_e32 v6, v6, v7
	s_waitcnt vmcnt(0) lgkmcnt(0)
	v_mul_f32_e32 v35, v2, v31
	v_fmac_f32_e32 v35, v3, v30
	v_add_f32_e32 v34, v34, v35
	v_mul_f32_e32 v35, v4, v33
	v_fmac_f32_e32 v35, v5, v32
	v_add_f32_e32 v42, v34, v35
	ds_read_b128 v[34:37], v94 offset:736
	v_mul_f32_e32 v3, v3, v31
	v_fma_f32 v2, v2, v30, -v3
	v_mul_f32_e32 v3, v5, v33
	v_add_f32_e32 v2, v6, v2
	s_waitcnt lgkmcnt(0)
	v_mul_f32_e32 v43, v34, v39
	v_fmac_f32_e32 v43, v35, v38
	v_add_f32_e32 v42, v42, v43
	v_mul_f32_e32 v43, v36, v41
	v_fmac_f32_e32 v43, v37, v40
	v_add_f32_e32 v50, v42, v43
	ds_read_b128 v[42:45], v94 offset:752
	v_fma_f32 v3, v4, v32, -v3
	v_add_f32_e32 v2, v2, v3
	v_mul_f32_e32 v3, v35, v39
	v_fma_f32 v3, v34, v38, -v3
	s_waitcnt lgkmcnt(0)
	v_mul_f32_e32 v51, v42, v47
	v_fmac_f32_e32 v51, v43, v46
	v_add_f32_e32 v50, v50, v51
	v_mul_f32_e32 v51, v44, v49
	v_fmac_f32_e32 v51, v45, v48
	v_add_f32_e32 v58, v50, v51
	ds_read_b128 v[50:53], v94 offset:768
	v_add_f32_e32 v2, v2, v3
	v_mul_f32_e32 v3, v37, v41
	v_fma_f32 v3, v36, v40, -v3
	v_add_f32_e32 v2, v2, v3
	s_waitcnt lgkmcnt(0)
	v_mul_f32_e32 v59, v50, v55
	v_fmac_f32_e32 v59, v51, v54
	v_add_f32_e32 v58, v58, v59
	v_mul_f32_e32 v59, v52, v57
	v_fmac_f32_e32 v59, v53, v56
	v_add_f32_e32 v66, v58, v59
	ds_read_b128 v[58:61], v94 offset:784
	v_mul_f32_e32 v3, v43, v47
	v_fma_f32 v3, v42, v46, -v3
	v_add_f32_e32 v2, v2, v3
	v_mul_f32_e32 v3, v45, v49
	s_waitcnt lgkmcnt(0)
	v_mul_f32_e32 v67, v58, v63
	v_fmac_f32_e32 v67, v59, v62
	v_add_f32_e32 v66, v66, v67
	v_mul_f32_e32 v67, v60, v65
	v_fmac_f32_e32 v67, v61, v64
	v_add_f32_e32 v74, v66, v67
	ds_read_b128 v[66:69], v94 offset:800
	v_fma_f32 v3, v44, v48, -v3
	v_add_f32_e32 v2, v2, v3
	v_mul_f32_e32 v3, v51, v55
	v_fma_f32 v3, v50, v54, -v3
	s_waitcnt lgkmcnt(0)
	v_mul_f32_e32 v75, v66, v71
	v_fmac_f32_e32 v75, v67, v70
	v_add_f32_e32 v74, v74, v75
	v_mul_f32_e32 v75, v68, v73
	v_fmac_f32_e32 v75, v69, v72
	v_add_f32_e32 v82, v74, v75
	ds_read_b128 v[74:77], v94 offset:816
	v_add_f32_e32 v2, v2, v3
	v_mul_f32_e32 v3, v53, v57
	v_fma_f32 v3, v52, v56, -v3
	v_add_f32_e32 v2, v2, v3
	s_waitcnt lgkmcnt(0)
	v_mul_f32_e32 v83, v74, v79
	v_fmac_f32_e32 v83, v75, v78
	v_add_f32_e32 v82, v82, v83
	v_mul_f32_e32 v83, v76, v81
	v_fmac_f32_e32 v83, v77, v80
	v_add_f32_e32 v90, v82, v83
	ds_read_b128 v[82:85], v94 offset:832
	v_mul_f32_e32 v3, v59, v63
	v_fma_f32 v3, v58, v62, -v3
	v_add_f32_e32 v2, v2, v3
	v_mul_f32_e32 v3, v61, v65
	s_waitcnt lgkmcnt(0)
	v_mul_f32_e32 v91, v82, v87
	v_fmac_f32_e32 v91, v83, v86
	v_add_f32_e32 v90, v90, v91
	v_mul_f32_e32 v91, v84, v89
	v_fmac_f32_e32 v91, v85, v88
	v_add_f32_e32 v95, v90, v91
	ds_read_b128 v[90:93], v94 offset:848
	v_fma_f32 v3, v60, v64, -v3
	v_add_f32_e32 v2, v2, v3
	v_mul_f32_e32 v3, v67, v71
	v_fma_f32 v3, v66, v70, -v3
	s_waitcnt lgkmcnt(0)
	v_mul_f32_e32 v100, v90, v97
	v_fmac_f32_e32 v100, v91, v96
	v_add_f32_e32 v95, v95, v100
	v_mul_f32_e32 v100, v92, v99
	v_fmac_f32_e32 v100, v93, v98
	v_add_f32_e32 v95, v95, v100
	ds_read_b128 v[100:103], v94 offset:864
	v_add_f32_e32 v2, v2, v3
	v_mul_f32_e32 v3, v69, v73
	v_fma_f32 v3, v68, v72, -v3
	v_add_f32_e32 v2, v2, v3
	s_waitcnt lgkmcnt(0)
	v_mul_f32_e32 v108, v100, v105
	v_fmac_f32_e32 v108, v101, v104
	v_add_f32_e32 v95, v95, v108
	v_mul_f32_e32 v108, v102, v107
	v_fmac_f32_e32 v108, v103, v106
	v_add_f32_e32 v95, v95, v108
	ds_read_b128 v[108:111], v94 offset:880
	v_mul_f32_e32 v3, v75, v79
	v_fma_f32 v3, v74, v78, -v3
	v_add_f32_e32 v2, v2, v3
	v_mul_f32_e32 v3, v77, v81
	s_waitcnt lgkmcnt(0)
	v_mul_f32_e32 v116, v108, v113
	v_fmac_f32_e32 v116, v109, v112
	v_add_f32_e32 v95, v95, v116
	v_mul_f32_e32 v116, v110, v115
	v_fmac_f32_e32 v116, v111, v114
	v_add_f32_e32 v95, v95, v116
	ds_read_b128 v[116:119], v94 offset:896
	v_fma_f32 v3, v76, v80, -v3
	v_add_f32_e32 v2, v2, v3
	v_mul_f32_e32 v3, v83, v87
	v_fma_f32 v3, v82, v86, -v3
	s_waitcnt lgkmcnt(0)
	v_mul_f32_e32 v124, v116, v121
	v_fmac_f32_e32 v124, v117, v120
	v_add_f32_e32 v145, v95, v124
	ds_read_b128 v[124:127], v94 offset:912
	scratch_load_dwordx4 v[132:135], off, off offset:432
	scratch_load_dwordx4 v[136:139], off, off offset:448
	;; [unrolled: 1-line block ×3, first 2 shown]
	scratch_load_dwordx2 v[166:167], off, off offset:480
	v_add_f32_e32 v2, v2, v3
	v_mul_f32_e32 v3, v85, v89
	v_fma_f32 v3, v84, v88, -v3
	v_add_f32_e32 v2, v2, v3
	v_mul_f32_e32 v3, v91, v97
	v_fma_f32 v3, v90, v96, -v3
	v_add_f32_e32 v2, v2, v3
	v_mul_f32_e32 v3, v93, v99
	v_fma_f32 v3, v92, v98, -v3
	v_add_f32_e32 v2, v2, v3
	v_mul_f32_e32 v3, v101, v105
	v_fma_f32 v3, v100, v104, -v3
	v_add_f32_e32 v2, v2, v3
	v_mul_f32_e32 v3, v103, v107
	v_fma_f32 v3, v102, v106, -v3
	v_add_f32_e32 v2, v2, v3
	v_mul_f32_e32 v3, v109, v113
	v_fma_f32 v3, v108, v112, -v3
	v_add_f32_e32 v2, v2, v3
	v_mul_f32_e32 v3, v111, v115
	v_fma_f32 v3, v110, v114, -v3
	v_add_f32_e32 v2, v2, v3
	v_mul_f32_e32 v3, v117, v121
	v_fma_f32 v3, v116, v120, -v3
	v_add_f32_e32 v144, v2, v3
	v_mul_f32_e32 v2, v119, v123
	v_mul_f32_e32 v147, v118, v123
	v_fma_f32 v146, v118, v122, -v2
	s_waitcnt lgkmcnt(0)
	v_mul_f32_e32 v2, v125, v129
	v_fmac_f32_e32 v147, v119, v122
	v_mul_f32_e32 v149, v124, v129
	v_fma_f32 v148, v124, v128, -v2
	ds_read_b128 v[2:5], v94 offset:928
	ds_read_b128 v[6:9], v94 offset:944
	;; [unrolled: 1-line block ×3, first 2 shown]
	ds_read_b64 v[14:15], v94 offset:976
	v_pk_mul_f32 v[18:19], v[126:127], v[18:19] op_sel:[1,0] op_sel_hi:[0,0]
	v_fmac_f32_e32 v149, v125, v128
	v_pk_add_f32 v[16:17], v[144:145], v[146:147]
	v_pk_fma_f32 v[20:21], v[126:127], v[130:131], v[18:19] neg_lo:[0,0,1] neg_hi:[0,0,1]
	v_pk_fma_f32 v[18:19], v[126:127], v[130:131], v[18:19] op_sel_hi:[1,0,1]
	v_pk_add_f32 v[16:17], v[16:17], v[148:149]
	v_mov_b32_e32 v21, v19
	v_pk_add_f32 v[16:17], v[16:17], v[20:21]
	s_waitcnt vmcnt(3) lgkmcnt(3)
	v_pk_mul_f32 v[18:19], v[2:3], v[132:133] op_sel:[1,1] op_sel_hi:[0,1]
	v_pk_fma_f32 v[20:21], v[2:3], v[132:133], v[18:19] neg_lo:[0,0,1] neg_hi:[0,0,1]
	v_pk_fma_f32 v[2:3], v[2:3], v[132:133], v[18:19] op_sel_hi:[1,0,1]
	s_nop 0
	v_mov_b32_e32 v21, v3
	v_pk_add_f32 v[2:3], v[16:17], v[20:21]
	v_mov_b32_e32 v16, v135
	v_pk_mul_f32 v[16:17], v[4:5], v[16:17] op_sel:[1,0] op_sel_hi:[0,0]
	v_pk_fma_f32 v[18:19], v[4:5], v[134:135], v[16:17] neg_lo:[0,0,1] neg_hi:[0,0,1]
	v_pk_fma_f32 v[4:5], v[4:5], v[134:135], v[16:17] op_sel_hi:[1,0,1]
	s_nop 0
	v_mov_b32_e32 v19, v5
	s_waitcnt vmcnt(2) lgkmcnt(2)
	v_pk_mul_f32 v[4:5], v[6:7], v[136:137] op_sel:[1,1] op_sel_hi:[0,1]
	v_pk_fma_f32 v[16:17], v[6:7], v[136:137], v[4:5] neg_lo:[0,0,1] neg_hi:[0,0,1]
	v_pk_fma_f32 v[4:5], v[6:7], v[136:137], v[4:5] op_sel_hi:[1,0,1]
	v_pk_add_f32 v[2:3], v[2:3], v[18:19]
	v_mov_b32_e32 v4, v139
	v_mov_b32_e32 v17, v5
	v_pk_mul_f32 v[4:5], v[8:9], v[4:5] op_sel:[1,0] op_sel_hi:[0,0]
	v_pk_fma_f32 v[6:7], v[8:9], v[138:139], v[4:5] neg_lo:[0,0,1] neg_hi:[0,0,1]
	v_pk_fma_f32 v[4:5], v[8:9], v[138:139], v[4:5] op_sel_hi:[1,0,1]
	v_pk_add_f32 v[2:3], v[2:3], v[16:17]
	v_mov_b32_e32 v7, v5
	s_waitcnt vmcnt(1) lgkmcnt(1)
	v_pk_mul_f32 v[4:5], v[10:11], v[140:141] op_sel:[1,1] op_sel_hi:[0,1]
	v_pk_add_f32 v[2:3], v[2:3], v[6:7]
	v_pk_fma_f32 v[6:7], v[10:11], v[140:141], v[4:5] neg_lo:[0,0,1] neg_hi:[0,0,1]
	v_pk_fma_f32 v[4:5], v[10:11], v[140:141], v[4:5] op_sel_hi:[1,0,1]
	s_nop 0
	v_mov_b32_e32 v4, v143
	v_mov_b32_e32 v7, v5
	v_pk_mul_f32 v[4:5], v[12:13], v[4:5] op_sel:[1,0] op_sel_hi:[0,0]
	v_pk_add_f32 v[2:3], v[2:3], v[6:7]
	v_pk_fma_f32 v[6:7], v[12:13], v[142:143], v[4:5] neg_lo:[0,0,1] neg_hi:[0,0,1]
	v_pk_fma_f32 v[4:5], v[12:13], v[142:143], v[4:5] op_sel_hi:[1,0,1]
	s_nop 0
	v_mov_b32_e32 v7, v5
	s_waitcnt vmcnt(0) lgkmcnt(0)
	v_pk_mul_f32 v[4:5], v[14:15], v[166:167] op_sel:[1,1] op_sel_hi:[0,1]
	v_pk_add_f32 v[2:3], v[2:3], v[6:7]
	v_pk_fma_f32 v[6:7], v[14:15], v[166:167], v[4:5] neg_lo:[0,0,1] neg_hi:[0,0,1]
	v_pk_fma_f32 v[4:5], v[14:15], v[166:167], v[4:5] op_sel_hi:[1,0,1]
	s_nop 0
	v_mov_b32_e32 v7, v5
	scratch_load_dwordx2 v[4:5], off, off offset:168
	v_pk_add_f32 v[2:3], v[2:3], v[6:7]
	s_waitcnt vmcnt(0)
	v_pk_add_f32 v[2:3], v[4:5], v[2:3] neg_lo:[0,1] neg_hi:[0,1]
	scratch_store_dwordx2 off, v[2:3], off offset:168
	s_and_saveexec_b64 s[0:1], vcc
	s_cbranch_execz .LBB60_339
; %bb.338:
	scratch_load_dwordx2 v[2:3], off, off offset:160
	v_mov_b32_e32 v95, v94
	scratch_store_dwordx2 off, v[94:95], off offset:160
	s_waitcnt vmcnt(1)
	ds_write_b64 v1, v[2:3]
.LBB60_339:
	s_or_b64 exec, exec, s[0:1]
	s_waitcnt lgkmcnt(0)
	; wave barrier
	scratch_load_dwordx4 v[6:9], off, off offset:168
	scratch_load_dwordx4 v[14:17], off, off offset:184
	;; [unrolled: 1-line block ×10, first 2 shown]
	ds_read2_b64 v[2:5], v94 offset0:83 offset1:84
	scratch_load_dwordx4 v[86:89], off, off offset:328
	scratch_load_dwordx4 v[96:99], off, off offset:344
	;; [unrolled: 1-line block ×6, first 2 shown]
	v_cmp_lt_u32_e32 vcc, 19, v0
	s_waitcnt vmcnt(15) lgkmcnt(0)
	v_mul_f32_e32 v10, v2, v7
	v_fmac_f32_e32 v10, v3, v6
	v_mul_f32_e32 v11, v4, v9
	v_add_f32_e32 v10, 0, v10
	v_fmac_f32_e32 v11, v5, v8
	v_add_f32_e32 v18, v10, v11
	ds_read2_b64 v[10:13], v94 offset0:85 offset1:86
	v_mul_f32_e32 v3, v3, v7
	v_fma_f32 v2, v2, v6, -v3
	v_mul_f32_e32 v3, v5, v9
	v_add_f32_e32 v2, 0, v2
	s_waitcnt vmcnt(14) lgkmcnt(0)
	v_mul_f32_e32 v19, v10, v15
	v_fmac_f32_e32 v19, v11, v14
	v_add_f32_e32 v18, v18, v19
	v_mul_f32_e32 v19, v12, v17
	v_fmac_f32_e32 v19, v13, v16
	v_add_f32_e32 v26, v18, v19
	ds_read2_b64 v[18:21], v94 offset0:87 offset1:88
	v_fma_f32 v3, v4, v8, -v3
	v_add_f32_e32 v2, v2, v3
	v_mul_f32_e32 v3, v11, v15
	v_fma_f32 v3, v10, v14, -v3
	s_waitcnt vmcnt(13) lgkmcnt(0)
	v_mul_f32_e32 v27, v18, v23
	v_fmac_f32_e32 v27, v19, v22
	v_add_f32_e32 v26, v26, v27
	v_mul_f32_e32 v27, v20, v25
	v_fmac_f32_e32 v27, v21, v24
	v_add_f32_e32 v34, v26, v27
	ds_read2_b64 v[26:29], v94 offset0:89 offset1:90
	v_add_f32_e32 v2, v2, v3
	v_mul_f32_e32 v3, v13, v17
	v_fma_f32 v3, v12, v16, -v3
	v_add_f32_e32 v2, v2, v3
	s_waitcnt vmcnt(12) lgkmcnt(0)
	v_mul_f32_e32 v35, v26, v31
	v_fmac_f32_e32 v35, v27, v30
	v_add_f32_e32 v34, v34, v35
	v_mul_f32_e32 v35, v28, v33
	v_fmac_f32_e32 v35, v29, v32
	v_add_f32_e32 v42, v34, v35
	ds_read2_b64 v[34:37], v94 offset0:91 offset1:92
	v_mul_f32_e32 v3, v19, v23
	v_fma_f32 v3, v18, v22, -v3
	v_add_f32_e32 v2, v2, v3
	v_mul_f32_e32 v3, v21, v25
	s_waitcnt vmcnt(11) lgkmcnt(0)
	v_mul_f32_e32 v43, v34, v39
	v_fmac_f32_e32 v43, v35, v38
	v_add_f32_e32 v42, v42, v43
	v_mul_f32_e32 v43, v36, v41
	v_fmac_f32_e32 v43, v37, v40
	v_add_f32_e32 v50, v42, v43
	ds_read2_b64 v[42:45], v94 offset0:93 offset1:94
	v_fma_f32 v3, v20, v24, -v3
	v_add_f32_e32 v2, v2, v3
	v_mul_f32_e32 v3, v27, v31
	v_fma_f32 v3, v26, v30, -v3
	s_waitcnt vmcnt(10) lgkmcnt(0)
	v_mul_f32_e32 v51, v42, v47
	v_fmac_f32_e32 v51, v43, v46
	v_add_f32_e32 v50, v50, v51
	v_mul_f32_e32 v51, v44, v49
	v_fmac_f32_e32 v51, v45, v48
	v_add_f32_e32 v58, v50, v51
	ds_read2_b64 v[50:53], v94 offset0:95 offset1:96
	v_add_f32_e32 v2, v2, v3
	v_mul_f32_e32 v3, v29, v33
	v_fma_f32 v3, v28, v32, -v3
	v_add_f32_e32 v2, v2, v3
	s_waitcnt vmcnt(9) lgkmcnt(0)
	v_mul_f32_e32 v59, v50, v55
	v_fmac_f32_e32 v59, v51, v54
	v_add_f32_e32 v58, v58, v59
	v_mul_f32_e32 v59, v52, v57
	v_fmac_f32_e32 v59, v53, v56
	v_add_f32_e32 v66, v58, v59
	ds_read2_b64 v[58:61], v94 offset0:97 offset1:98
	v_mul_f32_e32 v3, v35, v39
	v_fma_f32 v3, v34, v38, -v3
	v_add_f32_e32 v2, v2, v3
	v_mul_f32_e32 v3, v37, v41
	;; [unrolled: 36-line block ×4, first 2 shown]
	s_waitcnt vmcnt(2) lgkmcnt(0)
	v_mul_f32_e32 v116, v108, v113
	v_fmac_f32_e32 v116, v109, v112
	v_add_f32_e32 v95, v95, v116
	v_mul_f32_e32 v116, v110, v115
	v_fmac_f32_e32 v116, v111, v114
	v_add_f32_e32 v95, v95, v116
	ds_read2_b64 v[116:119], v94 offset0:111 offset1:112
	v_fma_f32 v3, v68, v72, -v3
	v_add_f32_e32 v2, v2, v3
	v_mul_f32_e32 v3, v75, v79
	v_fma_f32 v3, v74, v78, -v3
	s_waitcnt vmcnt(1) lgkmcnt(0)
	v_mul_f32_e32 v124, v116, v121
	v_fmac_f32_e32 v124, v117, v120
	v_add_f32_e32 v95, v95, v124
	v_mul_f32_e32 v124, v118, v123
	v_fmac_f32_e32 v124, v119, v122
	v_add_f32_e32 v149, v95, v124
	ds_read2_b64 v[124:127], v94 offset0:113 offset1:114
	scratch_load_dwordx4 v[132:135], off, off offset:424
	scratch_load_dwordx4 v[136:139], off, off offset:440
	scratch_load_dwordx4 v[140:143], off, off offset:456
	scratch_load_dwordx4 v[144:147], off, off offset:472
	v_add_f32_e32 v2, v2, v3
	v_mul_f32_e32 v3, v77, v81
	v_fma_f32 v3, v76, v80, -v3
	v_add_f32_e32 v2, v2, v3
	v_mul_f32_e32 v3, v83, v87
	v_fma_f32 v3, v82, v86, -v3
	;; [unrolled: 3-line block ×11, first 2 shown]
	v_add_f32_e32 v148, v2, v3
	s_waitcnt vmcnt(4) lgkmcnt(0)
	v_mul_f32_e32 v2, v125, v129
	v_fma_f32 v166, v124, v128, -v2
	v_mul_f32_e32 v2, v127, v131
	v_fma_f32 v168, v126, v130, -v2
	ds_read2_b64 v[2:5], v94 offset0:115 offset1:116
	ds_read2_b64 v[6:9], v94 offset0:117 offset1:118
	;; [unrolled: 1-line block ×4, first 2 shown]
	v_mul_f32_e32 v167, v124, v129
	v_fmac_f32_e32 v167, v125, v128
	v_mul_f32_e32 v169, v126, v131
	v_fmac_f32_e32 v169, v127, v130
	v_pk_add_f32 v[18:19], v[148:149], v[166:167]
	s_waitcnt vmcnt(3) lgkmcnt(3)
	v_pk_mul_f32 v[20:21], v[2:3], v[132:133] op_sel:[1,1] op_sel_hi:[0,1]
	v_pk_fma_f32 v[22:23], v[2:3], v[132:133], v[20:21] neg_lo:[0,0,1] neg_hi:[0,0,1]
	v_pk_fma_f32 v[2:3], v[2:3], v[132:133], v[20:21] op_sel_hi:[1,0,1]
	v_pk_add_f32 v[18:19], v[18:19], v[168:169]
	v_mov_b32_e32 v23, v3
	v_pk_add_f32 v[2:3], v[18:19], v[22:23]
	v_mov_b32_e32 v18, v135
	v_pk_mul_f32 v[18:19], v[4:5], v[18:19] op_sel:[1,0] op_sel_hi:[0,0]
	v_pk_fma_f32 v[20:21], v[4:5], v[134:135], v[18:19] neg_lo:[0,0,1] neg_hi:[0,0,1]
	v_pk_fma_f32 v[4:5], v[4:5], v[134:135], v[18:19] op_sel_hi:[1,0,1]
	s_nop 0
	v_mov_b32_e32 v21, v5
	s_waitcnt vmcnt(2) lgkmcnt(2)
	v_pk_mul_f32 v[4:5], v[6:7], v[136:137] op_sel:[1,1] op_sel_hi:[0,1]
	v_pk_fma_f32 v[18:19], v[6:7], v[136:137], v[4:5] neg_lo:[0,0,1] neg_hi:[0,0,1]
	v_pk_fma_f32 v[4:5], v[6:7], v[136:137], v[4:5] op_sel_hi:[1,0,1]
	v_pk_add_f32 v[2:3], v[2:3], v[20:21]
	v_mov_b32_e32 v4, v139
	v_mov_b32_e32 v19, v5
	v_pk_mul_f32 v[4:5], v[8:9], v[4:5] op_sel:[1,0] op_sel_hi:[0,0]
	v_pk_fma_f32 v[6:7], v[8:9], v[138:139], v[4:5] neg_lo:[0,0,1] neg_hi:[0,0,1]
	v_pk_fma_f32 v[4:5], v[8:9], v[138:139], v[4:5] op_sel_hi:[1,0,1]
	v_pk_add_f32 v[2:3], v[2:3], v[18:19]
	v_mov_b32_e32 v7, v5
	s_waitcnt vmcnt(1) lgkmcnt(1)
	v_pk_mul_f32 v[4:5], v[10:11], v[140:141] op_sel:[1,1] op_sel_hi:[0,1]
	v_pk_add_f32 v[2:3], v[2:3], v[6:7]
	v_pk_fma_f32 v[6:7], v[10:11], v[140:141], v[4:5] neg_lo:[0,0,1] neg_hi:[0,0,1]
	v_pk_fma_f32 v[4:5], v[10:11], v[140:141], v[4:5] op_sel_hi:[1,0,1]
	s_nop 0
	v_mov_b32_e32 v4, v143
	v_mov_b32_e32 v7, v5
	v_pk_mul_f32 v[4:5], v[12:13], v[4:5] op_sel:[1,0] op_sel_hi:[0,0]
	v_pk_add_f32 v[2:3], v[2:3], v[6:7]
	v_pk_fma_f32 v[6:7], v[12:13], v[142:143], v[4:5] neg_lo:[0,0,1] neg_hi:[0,0,1]
	v_pk_fma_f32 v[4:5], v[12:13], v[142:143], v[4:5] op_sel_hi:[1,0,1]
	s_nop 0
	v_mov_b32_e32 v7, v5
	s_waitcnt vmcnt(0) lgkmcnt(0)
	v_pk_mul_f32 v[4:5], v[14:15], v[144:145] op_sel:[1,1] op_sel_hi:[0,1]
	v_pk_add_f32 v[2:3], v[2:3], v[6:7]
	v_pk_fma_f32 v[6:7], v[14:15], v[144:145], v[4:5] neg_lo:[0,0,1] neg_hi:[0,0,1]
	v_pk_fma_f32 v[4:5], v[14:15], v[144:145], v[4:5] op_sel_hi:[1,0,1]
	s_nop 0
	v_mov_b32_e32 v4, v147
	v_mov_b32_e32 v7, v5
	v_pk_mul_f32 v[4:5], v[16:17], v[4:5] op_sel:[1,0] op_sel_hi:[0,0]
	v_pk_add_f32 v[2:3], v[2:3], v[6:7]
	v_pk_fma_f32 v[6:7], v[16:17], v[146:147], v[4:5] neg_lo:[0,0,1] neg_hi:[0,0,1]
	v_pk_fma_f32 v[4:5], v[16:17], v[146:147], v[4:5] op_sel_hi:[1,0,1]
	s_nop 0
	v_mov_b32_e32 v7, v5
	scratch_load_dwordx2 v[4:5], off, off offset:160
	v_pk_add_f32 v[2:3], v[2:3], v[6:7]
	s_waitcnt vmcnt(0)
	v_pk_add_f32 v[2:3], v[4:5], v[2:3] neg_lo:[0,1] neg_hi:[0,1]
	scratch_store_dwordx2 off, v[2:3], off offset:160
	s_and_saveexec_b64 s[0:1], vcc
	s_cbranch_execz .LBB60_341
; %bb.340:
	scratch_load_dwordx2 v[2:3], off, off offset:152
	v_mov_b32_e32 v4, 0
	v_mov_b32_e32 v5, v4
	scratch_store_dwordx2 off, v[4:5], off offset:152
	s_waitcnt vmcnt(1)
	ds_write_b64 v1, v[2:3]
.LBB60_341:
	s_or_b64 exec, exec, s[0:1]
	v_mov_b32_e32 v102, 0
	s_waitcnt lgkmcnt(0)
	; wave barrier
	ds_read_b128 v[14:17], v102 offset:656
	ds_read_b128 v[10:13], v102 offset:672
	;; [unrolled: 1-line block ×4, first 2 shown]
	scratch_load_dwordx4 v[18:21], off, off offset:160
	scratch_load_dwordx4 v[38:41], off, off offset:224
	;; [unrolled: 1-line block ×11, first 2 shown]
	v_cmp_lt_u32_e32 vcc, 18, v0
	scratch_load_dwordx4 v[46:49], off, off offset:240
	scratch_load_dwordx4 v[54:57], off, off offset:256
	;; [unrolled: 1-line block ×3, first 2 shown]
	s_waitcnt vmcnt(13) lgkmcnt(3)
	v_mul_f32_e32 v22, v14, v19
	v_fmac_f32_e32 v22, v15, v18
	v_mul_f32_e32 v23, v16, v21
	v_add_f32_e32 v22, 0, v22
	v_fmac_f32_e32 v23, v17, v20
	v_add_f32_e32 v26, v22, v23
	scratch_load_dwordx4 v[22:25], off, off offset:176
	v_mul_f32_e32 v15, v15, v19
	v_fma_f32 v14, v14, v18, -v15
	v_mul_f32_e32 v15, v17, v21
	v_add_f32_e32 v14, 0, v14
	v_fma_f32 v15, v16, v20, -v15
	v_add_f32_e32 v14, v14, v15
	s_waitcnt vmcnt(4)
	v_mov_b32_e32 v18, v139
	s_waitcnt vmcnt(0) lgkmcnt(2)
	v_mul_f32_e32 v27, v10, v23
	v_fmac_f32_e32 v27, v11, v22
	v_add_f32_e32 v26, v26, v27
	v_mul_f32_e32 v27, v12, v25
	v_fmac_f32_e32 v27, v13, v24
	v_add_f32_e32 v30, v26, v27
	scratch_load_dwordx4 v[26:29], off, off offset:192
	v_mul_f32_e32 v11, v11, v23
	v_fma_f32 v10, v10, v22, -v11
	v_mul_f32_e32 v11, v13, v25
	v_add_f32_e32 v10, v14, v10
	v_fma_f32 v11, v12, v24, -v11
	v_add_f32_e32 v10, v10, v11
	s_waitcnt vmcnt(0) lgkmcnt(1)
	v_mul_f32_e32 v31, v6, v27
	v_fmac_f32_e32 v31, v7, v26
	v_add_f32_e32 v30, v30, v31
	v_mul_f32_e32 v31, v8, v29
	v_fmac_f32_e32 v31, v9, v28
	v_add_f32_e32 v34, v30, v31
	scratch_load_dwordx4 v[30:33], off, off offset:208
	v_mul_f32_e32 v7, v7, v27
	v_fma_f32 v6, v6, v26, -v7
	v_mul_f32_e32 v7, v9, v29
	v_add_f32_e32 v6, v10, v6
	v_fma_f32 v7, v8, v28, -v7
	v_add_f32_e32 v6, v6, v7
	s_waitcnt vmcnt(0) lgkmcnt(0)
	v_mul_f32_e32 v35, v2, v31
	v_fmac_f32_e32 v35, v3, v30
	v_add_f32_e32 v34, v34, v35
	v_mul_f32_e32 v35, v4, v33
	v_fmac_f32_e32 v35, v5, v32
	v_add_f32_e32 v42, v34, v35
	ds_read_b128 v[34:37], v102 offset:720
	v_mul_f32_e32 v3, v3, v31
	v_fma_f32 v2, v2, v30, -v3
	v_mul_f32_e32 v3, v5, v33
	v_add_f32_e32 v2, v6, v2
	s_waitcnt lgkmcnt(0)
	v_mul_f32_e32 v43, v34, v39
	v_fmac_f32_e32 v43, v35, v38
	v_add_f32_e32 v42, v42, v43
	v_mul_f32_e32 v43, v36, v41
	v_fmac_f32_e32 v43, v37, v40
	v_add_f32_e32 v50, v42, v43
	ds_read_b128 v[42:45], v102 offset:736
	v_fma_f32 v3, v4, v32, -v3
	v_add_f32_e32 v2, v2, v3
	v_mul_f32_e32 v3, v35, v39
	v_fma_f32 v3, v34, v38, -v3
	s_waitcnt lgkmcnt(0)
	v_mul_f32_e32 v51, v42, v47
	v_fmac_f32_e32 v51, v43, v46
	v_add_f32_e32 v50, v50, v51
	v_mul_f32_e32 v51, v44, v49
	v_fmac_f32_e32 v51, v45, v48
	v_add_f32_e32 v58, v50, v51
	ds_read_b128 v[50:53], v102 offset:752
	v_add_f32_e32 v2, v2, v3
	v_mul_f32_e32 v3, v37, v41
	v_fma_f32 v3, v36, v40, -v3
	v_add_f32_e32 v2, v2, v3
	s_waitcnt lgkmcnt(0)
	v_mul_f32_e32 v59, v50, v55
	v_fmac_f32_e32 v59, v51, v54
	v_add_f32_e32 v58, v58, v59
	v_mul_f32_e32 v59, v52, v57
	v_fmac_f32_e32 v59, v53, v56
	v_add_f32_e32 v66, v58, v59
	ds_read_b128 v[58:61], v102 offset:768
	v_mul_f32_e32 v3, v43, v47
	v_fma_f32 v3, v42, v46, -v3
	v_add_f32_e32 v2, v2, v3
	v_mul_f32_e32 v3, v45, v49
	s_waitcnt lgkmcnt(0)
	v_mul_f32_e32 v67, v58, v63
	v_fmac_f32_e32 v67, v59, v62
	v_add_f32_e32 v66, v66, v67
	v_mul_f32_e32 v67, v60, v65
	v_fmac_f32_e32 v67, v61, v64
	v_add_f32_e32 v74, v66, v67
	ds_read_b128 v[66:69], v102 offset:784
	v_fma_f32 v3, v44, v48, -v3
	v_add_f32_e32 v2, v2, v3
	v_mul_f32_e32 v3, v51, v55
	v_fma_f32 v3, v50, v54, -v3
	s_waitcnt lgkmcnt(0)
	v_mul_f32_e32 v75, v66, v71
	v_fmac_f32_e32 v75, v67, v70
	v_add_f32_e32 v74, v74, v75
	v_mul_f32_e32 v75, v68, v73
	v_fmac_f32_e32 v75, v69, v72
	v_add_f32_e32 v82, v74, v75
	ds_read_b128 v[74:77], v102 offset:800
	v_add_f32_e32 v2, v2, v3
	v_mul_f32_e32 v3, v53, v57
	v_fma_f32 v3, v52, v56, -v3
	v_add_f32_e32 v2, v2, v3
	s_waitcnt lgkmcnt(0)
	v_mul_f32_e32 v83, v74, v79
	v_fmac_f32_e32 v83, v75, v78
	v_add_f32_e32 v82, v82, v83
	v_mul_f32_e32 v83, v76, v81
	v_fmac_f32_e32 v83, v77, v80
	v_add_f32_e32 v90, v82, v83
	ds_read_b128 v[82:85], v102 offset:816
	v_mul_f32_e32 v3, v59, v63
	v_fma_f32 v3, v58, v62, -v3
	v_add_f32_e32 v2, v2, v3
	v_mul_f32_e32 v3, v61, v65
	;; [unrolled: 36-line block ×3, first 2 shown]
	s_waitcnt lgkmcnt(0)
	v_mul_f32_e32 v116, v108, v113
	v_fmac_f32_e32 v116, v109, v112
	v_add_f32_e32 v103, v103, v116
	v_mul_f32_e32 v116, v110, v115
	v_fmac_f32_e32 v116, v111, v114
	v_add_f32_e32 v103, v103, v116
	ds_read_b128 v[116:119], v102 offset:880
	v_fma_f32 v3, v76, v80, -v3
	v_add_f32_e32 v2, v2, v3
	v_mul_f32_e32 v3, v83, v87
	v_fma_f32 v3, v82, v86, -v3
	s_waitcnt lgkmcnt(0)
	v_mul_f32_e32 v124, v116, v121
	v_fmac_f32_e32 v124, v117, v120
	v_add_f32_e32 v103, v103, v124
	v_mul_f32_e32 v124, v118, v123
	v_fmac_f32_e32 v124, v119, v122
	v_add_f32_e32 v103, v103, v124
	ds_read_b128 v[124:127], v102 offset:896
	v_add_f32_e32 v2, v2, v3
	v_mul_f32_e32 v3, v85, v89
	v_fma_f32 v3, v84, v88, -v3
	v_add_f32_e32 v2, v2, v3
	s_waitcnt lgkmcnt(0)
	v_mul_f32_e32 v132, v124, v129
	v_fmac_f32_e32 v132, v125, v128
	v_add_f32_e32 v149, v103, v132
	ds_read_b128 v[132:135], v102 offset:912
	scratch_load_dwordx4 v[140:143], off, off offset:432
	scratch_load_dwordx4 v[144:147], off, off offset:448
	;; [unrolled: 1-line block ×3, first 2 shown]
	scratch_load_dwordx2 v[174:175], off, off offset:480
	v_mul_f32_e32 v3, v91, v95
	v_fma_f32 v3, v90, v94, -v3
	v_add_f32_e32 v2, v2, v3
	v_mul_f32_e32 v3, v93, v97
	v_fma_f32 v3, v92, v96, -v3
	v_add_f32_e32 v2, v2, v3
	;; [unrolled: 3-line block ×9, first 2 shown]
	v_mul_f32_e32 v2, v127, v131
	v_mul_f32_e32 v171, v126, v131
	v_fma_f32 v170, v126, v130, -v2
	s_waitcnt lgkmcnt(0)
	v_mul_f32_e32 v2, v133, v137
	v_fmac_f32_e32 v171, v127, v130
	v_mul_f32_e32 v173, v132, v137
	v_fma_f32 v172, v132, v136, -v2
	ds_read_b128 v[2:5], v102 offset:928
	ds_read_b128 v[6:9], v102 offset:944
	;; [unrolled: 1-line block ×3, first 2 shown]
	ds_read_b64 v[14:15], v102 offset:976
	v_pk_mul_f32 v[18:19], v[134:135], v[18:19] op_sel:[1,0] op_sel_hi:[0,0]
	v_fmac_f32_e32 v173, v133, v136
	v_pk_add_f32 v[16:17], v[148:149], v[170:171]
	v_pk_fma_f32 v[20:21], v[134:135], v[138:139], v[18:19] neg_lo:[0,0,1] neg_hi:[0,0,1]
	v_pk_fma_f32 v[18:19], v[134:135], v[138:139], v[18:19] op_sel_hi:[1,0,1]
	v_pk_add_f32 v[16:17], v[16:17], v[172:173]
	v_mov_b32_e32 v21, v19
	v_pk_add_f32 v[16:17], v[16:17], v[20:21]
	s_waitcnt vmcnt(3) lgkmcnt(3)
	v_pk_mul_f32 v[18:19], v[2:3], v[140:141] op_sel:[1,1] op_sel_hi:[0,1]
	v_pk_fma_f32 v[20:21], v[2:3], v[140:141], v[18:19] neg_lo:[0,0,1] neg_hi:[0,0,1]
	v_pk_fma_f32 v[2:3], v[2:3], v[140:141], v[18:19] op_sel_hi:[1,0,1]
	s_nop 0
	v_mov_b32_e32 v21, v3
	v_pk_add_f32 v[2:3], v[16:17], v[20:21]
	v_mov_b32_e32 v16, v143
	v_pk_mul_f32 v[16:17], v[4:5], v[16:17] op_sel:[1,0] op_sel_hi:[0,0]
	v_pk_fma_f32 v[18:19], v[4:5], v[142:143], v[16:17] neg_lo:[0,0,1] neg_hi:[0,0,1]
	v_pk_fma_f32 v[4:5], v[4:5], v[142:143], v[16:17] op_sel_hi:[1,0,1]
	s_nop 0
	v_mov_b32_e32 v19, v5
	s_waitcnt vmcnt(2) lgkmcnt(2)
	v_pk_mul_f32 v[4:5], v[6:7], v[144:145] op_sel:[1,1] op_sel_hi:[0,1]
	v_pk_fma_f32 v[16:17], v[6:7], v[144:145], v[4:5] neg_lo:[0,0,1] neg_hi:[0,0,1]
	v_pk_fma_f32 v[4:5], v[6:7], v[144:145], v[4:5] op_sel_hi:[1,0,1]
	v_pk_add_f32 v[2:3], v[2:3], v[18:19]
	v_mov_b32_e32 v4, v147
	v_mov_b32_e32 v17, v5
	v_pk_mul_f32 v[4:5], v[8:9], v[4:5] op_sel:[1,0] op_sel_hi:[0,0]
	v_pk_fma_f32 v[6:7], v[8:9], v[146:147], v[4:5] neg_lo:[0,0,1] neg_hi:[0,0,1]
	v_pk_fma_f32 v[4:5], v[8:9], v[146:147], v[4:5] op_sel_hi:[1,0,1]
	v_pk_add_f32 v[2:3], v[2:3], v[16:17]
	v_mov_b32_e32 v7, v5
	s_waitcnt vmcnt(1) lgkmcnt(1)
	v_pk_mul_f32 v[4:5], v[10:11], v[166:167] op_sel:[1,1] op_sel_hi:[0,1]
	v_pk_add_f32 v[2:3], v[2:3], v[6:7]
	v_pk_fma_f32 v[6:7], v[10:11], v[166:167], v[4:5] neg_lo:[0,0,1] neg_hi:[0,0,1]
	v_pk_fma_f32 v[4:5], v[10:11], v[166:167], v[4:5] op_sel_hi:[1,0,1]
	s_nop 0
	v_mov_b32_e32 v4, v169
	v_mov_b32_e32 v7, v5
	v_pk_mul_f32 v[4:5], v[12:13], v[4:5] op_sel:[1,0] op_sel_hi:[0,0]
	v_pk_add_f32 v[2:3], v[2:3], v[6:7]
	v_pk_fma_f32 v[6:7], v[12:13], v[168:169], v[4:5] neg_lo:[0,0,1] neg_hi:[0,0,1]
	v_pk_fma_f32 v[4:5], v[12:13], v[168:169], v[4:5] op_sel_hi:[1,0,1]
	s_nop 0
	v_mov_b32_e32 v7, v5
	s_waitcnt vmcnt(0) lgkmcnt(0)
	v_pk_mul_f32 v[4:5], v[14:15], v[174:175] op_sel:[1,1] op_sel_hi:[0,1]
	v_pk_add_f32 v[2:3], v[2:3], v[6:7]
	v_pk_fma_f32 v[6:7], v[14:15], v[174:175], v[4:5] neg_lo:[0,0,1] neg_hi:[0,0,1]
	v_pk_fma_f32 v[4:5], v[14:15], v[174:175], v[4:5] op_sel_hi:[1,0,1]
	s_nop 0
	v_mov_b32_e32 v7, v5
	scratch_load_dwordx2 v[4:5], off, off offset:152
	v_pk_add_f32 v[2:3], v[2:3], v[6:7]
	s_waitcnt vmcnt(0)
	v_pk_add_f32 v[2:3], v[4:5], v[2:3] neg_lo:[0,1] neg_hi:[0,1]
	scratch_store_dwordx2 off, v[2:3], off offset:152
	s_and_saveexec_b64 s[0:1], vcc
	s_cbranch_execz .LBB60_343
; %bb.342:
	scratch_load_dwordx2 v[2:3], off, off offset:144
	v_mov_b32_e32 v103, v102
	scratch_store_dwordx2 off, v[102:103], off offset:144
	s_waitcnt vmcnt(1)
	ds_write_b64 v1, v[2:3]
.LBB60_343:
	s_or_b64 exec, exec, s[0:1]
	s_waitcnt lgkmcnt(0)
	; wave barrier
	scratch_load_dwordx4 v[6:9], off, off offset:152
	scratch_load_dwordx4 v[14:17], off, off offset:168
	;; [unrolled: 1-line block ×10, first 2 shown]
	ds_read2_b64 v[2:5], v102 offset0:81 offset1:82
	scratch_load_dwordx4 v[86:89], off, off offset:312
	scratch_load_dwordx4 v[94:97], off, off offset:328
	;; [unrolled: 1-line block ×7, first 2 shown]
	v_cmp_lt_u32_e32 vcc, 17, v0
	s_waitcnt vmcnt(16) lgkmcnt(0)
	v_mul_f32_e32 v10, v2, v7
	v_fmac_f32_e32 v10, v3, v6
	v_mul_f32_e32 v11, v4, v9
	v_add_f32_e32 v10, 0, v10
	v_fmac_f32_e32 v11, v5, v8
	v_add_f32_e32 v18, v10, v11
	ds_read2_b64 v[10:13], v102 offset0:83 offset1:84
	v_mul_f32_e32 v3, v3, v7
	v_fma_f32 v2, v2, v6, -v3
	v_mul_f32_e32 v3, v5, v9
	v_add_f32_e32 v2, 0, v2
	s_waitcnt vmcnt(15) lgkmcnt(0)
	v_mul_f32_e32 v19, v10, v15
	v_fmac_f32_e32 v19, v11, v14
	v_add_f32_e32 v18, v18, v19
	v_mul_f32_e32 v19, v12, v17
	v_fmac_f32_e32 v19, v13, v16
	v_add_f32_e32 v26, v18, v19
	ds_read2_b64 v[18:21], v102 offset0:85 offset1:86
	v_fma_f32 v3, v4, v8, -v3
	v_add_f32_e32 v2, v2, v3
	v_mul_f32_e32 v3, v11, v15
	v_fma_f32 v3, v10, v14, -v3
	s_waitcnt vmcnt(14) lgkmcnt(0)
	v_mul_f32_e32 v27, v18, v23
	v_fmac_f32_e32 v27, v19, v22
	v_add_f32_e32 v26, v26, v27
	v_mul_f32_e32 v27, v20, v25
	v_fmac_f32_e32 v27, v21, v24
	v_add_f32_e32 v34, v26, v27
	ds_read2_b64 v[26:29], v102 offset0:87 offset1:88
	v_add_f32_e32 v2, v2, v3
	v_mul_f32_e32 v3, v13, v17
	v_fma_f32 v3, v12, v16, -v3
	v_add_f32_e32 v2, v2, v3
	s_waitcnt vmcnt(13) lgkmcnt(0)
	v_mul_f32_e32 v35, v26, v31
	v_fmac_f32_e32 v35, v27, v30
	v_add_f32_e32 v34, v34, v35
	v_mul_f32_e32 v35, v28, v33
	v_fmac_f32_e32 v35, v29, v32
	v_add_f32_e32 v42, v34, v35
	ds_read2_b64 v[34:37], v102 offset0:89 offset1:90
	v_mul_f32_e32 v3, v19, v23
	v_fma_f32 v3, v18, v22, -v3
	v_add_f32_e32 v2, v2, v3
	v_mul_f32_e32 v3, v21, v25
	s_waitcnt vmcnt(12) lgkmcnt(0)
	v_mul_f32_e32 v43, v34, v39
	v_fmac_f32_e32 v43, v35, v38
	v_add_f32_e32 v42, v42, v43
	v_mul_f32_e32 v43, v36, v41
	v_fmac_f32_e32 v43, v37, v40
	v_add_f32_e32 v50, v42, v43
	ds_read2_b64 v[42:45], v102 offset0:91 offset1:92
	v_fma_f32 v3, v20, v24, -v3
	v_add_f32_e32 v2, v2, v3
	v_mul_f32_e32 v3, v27, v31
	v_fma_f32 v3, v26, v30, -v3
	s_waitcnt vmcnt(11) lgkmcnt(0)
	v_mul_f32_e32 v51, v42, v47
	v_fmac_f32_e32 v51, v43, v46
	v_add_f32_e32 v50, v50, v51
	v_mul_f32_e32 v51, v44, v49
	v_fmac_f32_e32 v51, v45, v48
	v_add_f32_e32 v58, v50, v51
	ds_read2_b64 v[50:53], v102 offset0:93 offset1:94
	v_add_f32_e32 v2, v2, v3
	v_mul_f32_e32 v3, v29, v33
	v_fma_f32 v3, v28, v32, -v3
	v_add_f32_e32 v2, v2, v3
	s_waitcnt vmcnt(10) lgkmcnt(0)
	v_mul_f32_e32 v59, v50, v55
	v_fmac_f32_e32 v59, v51, v54
	v_add_f32_e32 v58, v58, v59
	v_mul_f32_e32 v59, v52, v57
	v_fmac_f32_e32 v59, v53, v56
	v_add_f32_e32 v66, v58, v59
	ds_read2_b64 v[58:61], v102 offset0:95 offset1:96
	v_mul_f32_e32 v3, v35, v39
	v_fma_f32 v3, v34, v38, -v3
	v_add_f32_e32 v2, v2, v3
	v_mul_f32_e32 v3, v37, v41
	;; [unrolled: 36-line block ×4, first 2 shown]
	s_waitcnt vmcnt(3) lgkmcnt(0)
	v_mul_f32_e32 v116, v108, v113
	v_fmac_f32_e32 v116, v109, v112
	v_add_f32_e32 v103, v103, v116
	v_mul_f32_e32 v116, v110, v115
	v_fmac_f32_e32 v116, v111, v114
	v_add_f32_e32 v103, v103, v116
	ds_read2_b64 v[116:119], v102 offset0:109 offset1:110
	v_fma_f32 v3, v68, v72, -v3
	v_add_f32_e32 v2, v2, v3
	v_mul_f32_e32 v3, v75, v79
	v_fma_f32 v3, v74, v78, -v3
	s_waitcnt vmcnt(2) lgkmcnt(0)
	v_mul_f32_e32 v124, v116, v121
	v_fmac_f32_e32 v124, v117, v120
	v_add_f32_e32 v103, v103, v124
	v_mul_f32_e32 v124, v118, v123
	v_fmac_f32_e32 v124, v119, v122
	v_add_f32_e32 v103, v103, v124
	ds_read2_b64 v[124:127], v102 offset0:111 offset1:112
	v_add_f32_e32 v2, v2, v3
	v_mul_f32_e32 v3, v77, v81
	v_fma_f32 v3, v76, v80, -v3
	v_add_f32_e32 v2, v2, v3
	s_waitcnt vmcnt(1) lgkmcnt(0)
	v_mul_f32_e32 v132, v124, v129
	v_fmac_f32_e32 v132, v125, v128
	v_add_f32_e32 v103, v103, v132
	v_mul_f32_e32 v132, v126, v131
	v_fmac_f32_e32 v132, v127, v130
	v_add_f32_e32 v149, v103, v132
	ds_read2_b64 v[132:135], v102 offset0:113 offset1:114
	scratch_load_dwordx4 v[140:143], off, off offset:424
	scratch_load_dwordx4 v[144:147], off, off offset:440
	;; [unrolled: 1-line block ×4, first 2 shown]
	v_mul_f32_e32 v3, v83, v87
	v_fma_f32 v3, v82, v86, -v3
	v_add_f32_e32 v2, v2, v3
	v_mul_f32_e32 v3, v85, v89
	v_fma_f32 v3, v84, v88, -v3
	v_add_f32_e32 v2, v2, v3
	;; [unrolled: 3-line block ×12, first 2 shown]
	s_waitcnt vmcnt(4) lgkmcnt(0)
	v_mul_f32_e32 v2, v133, v137
	v_fma_f32 v174, v132, v136, -v2
	v_mul_f32_e32 v2, v135, v139
	v_fma_f32 v176, v134, v138, -v2
	ds_read2_b64 v[2:5], v102 offset0:115 offset1:116
	ds_read2_b64 v[6:9], v102 offset0:117 offset1:118
	;; [unrolled: 1-line block ×4, first 2 shown]
	v_mul_f32_e32 v175, v132, v137
	v_fmac_f32_e32 v175, v133, v136
	v_mul_f32_e32 v177, v134, v139
	v_fmac_f32_e32 v177, v135, v138
	v_pk_add_f32 v[18:19], v[148:149], v[174:175]
	s_waitcnt vmcnt(3) lgkmcnt(3)
	v_pk_mul_f32 v[20:21], v[2:3], v[140:141] op_sel:[1,1] op_sel_hi:[0,1]
	v_pk_fma_f32 v[22:23], v[2:3], v[140:141], v[20:21] neg_lo:[0,0,1] neg_hi:[0,0,1]
	v_pk_fma_f32 v[2:3], v[2:3], v[140:141], v[20:21] op_sel_hi:[1,0,1]
	v_pk_add_f32 v[18:19], v[18:19], v[176:177]
	v_mov_b32_e32 v23, v3
	v_pk_add_f32 v[2:3], v[18:19], v[22:23]
	v_mov_b32_e32 v18, v143
	v_pk_mul_f32 v[18:19], v[4:5], v[18:19] op_sel:[1,0] op_sel_hi:[0,0]
	v_pk_fma_f32 v[20:21], v[4:5], v[142:143], v[18:19] neg_lo:[0,0,1] neg_hi:[0,0,1]
	v_pk_fma_f32 v[4:5], v[4:5], v[142:143], v[18:19] op_sel_hi:[1,0,1]
	s_nop 0
	v_mov_b32_e32 v21, v5
	s_waitcnt vmcnt(2) lgkmcnt(2)
	v_pk_mul_f32 v[4:5], v[6:7], v[144:145] op_sel:[1,1] op_sel_hi:[0,1]
	v_pk_fma_f32 v[18:19], v[6:7], v[144:145], v[4:5] neg_lo:[0,0,1] neg_hi:[0,0,1]
	v_pk_fma_f32 v[4:5], v[6:7], v[144:145], v[4:5] op_sel_hi:[1,0,1]
	v_pk_add_f32 v[2:3], v[2:3], v[20:21]
	v_mov_b32_e32 v4, v147
	v_mov_b32_e32 v19, v5
	v_pk_mul_f32 v[4:5], v[8:9], v[4:5] op_sel:[1,0] op_sel_hi:[0,0]
	v_pk_fma_f32 v[6:7], v[8:9], v[146:147], v[4:5] neg_lo:[0,0,1] neg_hi:[0,0,1]
	v_pk_fma_f32 v[4:5], v[8:9], v[146:147], v[4:5] op_sel_hi:[1,0,1]
	v_pk_add_f32 v[2:3], v[2:3], v[18:19]
	v_mov_b32_e32 v7, v5
	s_waitcnt vmcnt(1) lgkmcnt(1)
	v_pk_mul_f32 v[4:5], v[10:11], v[166:167] op_sel:[1,1] op_sel_hi:[0,1]
	v_pk_add_f32 v[2:3], v[2:3], v[6:7]
	v_pk_fma_f32 v[6:7], v[10:11], v[166:167], v[4:5] neg_lo:[0,0,1] neg_hi:[0,0,1]
	v_pk_fma_f32 v[4:5], v[10:11], v[166:167], v[4:5] op_sel_hi:[1,0,1]
	s_nop 0
	v_mov_b32_e32 v4, v169
	v_mov_b32_e32 v7, v5
	v_pk_mul_f32 v[4:5], v[12:13], v[4:5] op_sel:[1,0] op_sel_hi:[0,0]
	v_pk_add_f32 v[2:3], v[2:3], v[6:7]
	v_pk_fma_f32 v[6:7], v[12:13], v[168:169], v[4:5] neg_lo:[0,0,1] neg_hi:[0,0,1]
	v_pk_fma_f32 v[4:5], v[12:13], v[168:169], v[4:5] op_sel_hi:[1,0,1]
	s_nop 0
	v_mov_b32_e32 v7, v5
	s_waitcnt vmcnt(0) lgkmcnt(0)
	v_pk_mul_f32 v[4:5], v[14:15], v[170:171] op_sel:[1,1] op_sel_hi:[0,1]
	v_pk_add_f32 v[2:3], v[2:3], v[6:7]
	v_pk_fma_f32 v[6:7], v[14:15], v[170:171], v[4:5] neg_lo:[0,0,1] neg_hi:[0,0,1]
	v_pk_fma_f32 v[4:5], v[14:15], v[170:171], v[4:5] op_sel_hi:[1,0,1]
	s_nop 0
	v_mov_b32_e32 v4, v173
	v_mov_b32_e32 v7, v5
	v_pk_mul_f32 v[4:5], v[16:17], v[4:5] op_sel:[1,0] op_sel_hi:[0,0]
	v_pk_add_f32 v[2:3], v[2:3], v[6:7]
	v_pk_fma_f32 v[6:7], v[16:17], v[172:173], v[4:5] neg_lo:[0,0,1] neg_hi:[0,0,1]
	v_pk_fma_f32 v[4:5], v[16:17], v[172:173], v[4:5] op_sel_hi:[1,0,1]
	s_nop 0
	v_mov_b32_e32 v7, v5
	scratch_load_dwordx2 v[4:5], off, off offset:144
	v_pk_add_f32 v[2:3], v[2:3], v[6:7]
	s_waitcnt vmcnt(0)
	v_pk_add_f32 v[2:3], v[4:5], v[2:3] neg_lo:[0,1] neg_hi:[0,1]
	scratch_store_dwordx2 off, v[2:3], off offset:144
	s_and_saveexec_b64 s[0:1], vcc
	s_cbranch_execz .LBB60_345
; %bb.344:
	scratch_load_dwordx2 v[2:3], off, off offset:136
	v_mov_b32_e32 v4, 0
	v_mov_b32_e32 v5, v4
	scratch_store_dwordx2 off, v[4:5], off offset:136
	s_waitcnt vmcnt(1)
	ds_write_b64 v1, v[2:3]
.LBB60_345:
	s_or_b64 exec, exec, s[0:1]
	v_mov_b32_e32 v102, 0
	s_waitcnt lgkmcnt(0)
	; wave barrier
	ds_read_b128 v[14:17], v102 offset:640
	ds_read_b128 v[10:13], v102 offset:656
	;; [unrolled: 1-line block ×4, first 2 shown]
	scratch_load_dwordx4 v[18:21], off, off offset:144
	scratch_load_dwordx4 v[38:41], off, off offset:208
	;; [unrolled: 1-line block ×12, first 2 shown]
	v_cmp_lt_u32_e32 vcc, 16, v0
	scratch_load_dwordx4 v[46:49], off, off offset:224
	scratch_load_dwordx4 v[54:57], off, off offset:240
	;; [unrolled: 1-line block ×3, first 2 shown]
	s_waitcnt vmcnt(14) lgkmcnt(3)
	v_mul_f32_e32 v22, v14, v19
	v_fmac_f32_e32 v22, v15, v18
	v_mul_f32_e32 v23, v16, v21
	v_add_f32_e32 v22, 0, v22
	v_fmac_f32_e32 v23, v17, v20
	v_add_f32_e32 v26, v22, v23
	scratch_load_dwordx4 v[22:25], off, off offset:160
	v_mul_f32_e32 v15, v15, v19
	v_fma_f32 v14, v14, v18, -v15
	v_mul_f32_e32 v15, v17, v21
	v_add_f32_e32 v14, 0, v14
	v_fma_f32 v15, v16, v20, -v15
	v_add_f32_e32 v14, v14, v15
	s_waitcnt vmcnt(4)
	v_mov_b32_e32 v18, v147
	s_waitcnt vmcnt(0) lgkmcnt(2)
	v_mul_f32_e32 v27, v10, v23
	v_fmac_f32_e32 v27, v11, v22
	v_add_f32_e32 v26, v26, v27
	v_mul_f32_e32 v27, v12, v25
	v_fmac_f32_e32 v27, v13, v24
	v_add_f32_e32 v30, v26, v27
	scratch_load_dwordx4 v[26:29], off, off offset:176
	v_mul_f32_e32 v11, v11, v23
	v_fma_f32 v10, v10, v22, -v11
	v_mul_f32_e32 v11, v13, v25
	v_add_f32_e32 v10, v14, v10
	v_fma_f32 v11, v12, v24, -v11
	v_add_f32_e32 v10, v10, v11
	s_waitcnt vmcnt(0) lgkmcnt(1)
	v_mul_f32_e32 v31, v6, v27
	v_fmac_f32_e32 v31, v7, v26
	v_add_f32_e32 v30, v30, v31
	v_mul_f32_e32 v31, v8, v29
	v_fmac_f32_e32 v31, v9, v28
	v_add_f32_e32 v34, v30, v31
	scratch_load_dwordx4 v[30:33], off, off offset:192
	v_mul_f32_e32 v7, v7, v27
	v_fma_f32 v6, v6, v26, -v7
	v_mul_f32_e32 v7, v9, v29
	v_add_f32_e32 v6, v10, v6
	v_fma_f32 v7, v8, v28, -v7
	v_add_f32_e32 v6, v6, v7
	s_waitcnt vmcnt(0) lgkmcnt(0)
	v_mul_f32_e32 v35, v2, v31
	v_fmac_f32_e32 v35, v3, v30
	v_add_f32_e32 v34, v34, v35
	v_mul_f32_e32 v35, v4, v33
	v_fmac_f32_e32 v35, v5, v32
	v_add_f32_e32 v42, v34, v35
	ds_read_b128 v[34:37], v102 offset:704
	v_mul_f32_e32 v3, v3, v31
	v_fma_f32 v2, v2, v30, -v3
	v_mul_f32_e32 v3, v5, v33
	v_add_f32_e32 v2, v6, v2
	s_waitcnt lgkmcnt(0)
	v_mul_f32_e32 v43, v34, v39
	v_fmac_f32_e32 v43, v35, v38
	v_add_f32_e32 v42, v42, v43
	v_mul_f32_e32 v43, v36, v41
	v_fmac_f32_e32 v43, v37, v40
	v_add_f32_e32 v50, v42, v43
	ds_read_b128 v[42:45], v102 offset:720
	v_fma_f32 v3, v4, v32, -v3
	v_add_f32_e32 v2, v2, v3
	v_mul_f32_e32 v3, v35, v39
	v_fma_f32 v3, v34, v38, -v3
	s_waitcnt lgkmcnt(0)
	v_mul_f32_e32 v51, v42, v47
	v_fmac_f32_e32 v51, v43, v46
	v_add_f32_e32 v50, v50, v51
	v_mul_f32_e32 v51, v44, v49
	v_fmac_f32_e32 v51, v45, v48
	v_add_f32_e32 v58, v50, v51
	ds_read_b128 v[50:53], v102 offset:736
	v_add_f32_e32 v2, v2, v3
	v_mul_f32_e32 v3, v37, v41
	v_fma_f32 v3, v36, v40, -v3
	v_add_f32_e32 v2, v2, v3
	s_waitcnt lgkmcnt(0)
	v_mul_f32_e32 v59, v50, v55
	v_fmac_f32_e32 v59, v51, v54
	v_add_f32_e32 v58, v58, v59
	v_mul_f32_e32 v59, v52, v57
	v_fmac_f32_e32 v59, v53, v56
	v_add_f32_e32 v66, v58, v59
	ds_read_b128 v[58:61], v102 offset:752
	v_mul_f32_e32 v3, v43, v47
	v_fma_f32 v3, v42, v46, -v3
	v_add_f32_e32 v2, v2, v3
	v_mul_f32_e32 v3, v45, v49
	s_waitcnt lgkmcnt(0)
	v_mul_f32_e32 v67, v58, v63
	v_fmac_f32_e32 v67, v59, v62
	v_add_f32_e32 v66, v66, v67
	v_mul_f32_e32 v67, v60, v65
	v_fmac_f32_e32 v67, v61, v64
	v_add_f32_e32 v74, v66, v67
	ds_read_b128 v[66:69], v102 offset:768
	v_fma_f32 v3, v44, v48, -v3
	v_add_f32_e32 v2, v2, v3
	v_mul_f32_e32 v3, v51, v55
	v_fma_f32 v3, v50, v54, -v3
	s_waitcnt lgkmcnt(0)
	v_mul_f32_e32 v75, v66, v71
	v_fmac_f32_e32 v75, v67, v70
	v_add_f32_e32 v74, v74, v75
	v_mul_f32_e32 v75, v68, v73
	v_fmac_f32_e32 v75, v69, v72
	v_add_f32_e32 v82, v74, v75
	ds_read_b128 v[74:77], v102 offset:784
	v_add_f32_e32 v2, v2, v3
	v_mul_f32_e32 v3, v53, v57
	v_fma_f32 v3, v52, v56, -v3
	v_add_f32_e32 v2, v2, v3
	s_waitcnt lgkmcnt(0)
	v_mul_f32_e32 v83, v74, v79
	v_fmac_f32_e32 v83, v75, v78
	v_add_f32_e32 v82, v82, v83
	v_mul_f32_e32 v83, v76, v81
	v_fmac_f32_e32 v83, v77, v80
	v_add_f32_e32 v90, v82, v83
	ds_read_b128 v[82:85], v102 offset:800
	v_mul_f32_e32 v3, v59, v63
	v_fma_f32 v3, v58, v62, -v3
	v_add_f32_e32 v2, v2, v3
	v_mul_f32_e32 v3, v61, v65
	;; [unrolled: 36-line block ×4, first 2 shown]
	s_waitcnt lgkmcnt(0)
	v_mul_f32_e32 v140, v132, v137
	v_fmac_f32_e32 v140, v133, v136
	v_add_f32_e32 v149, v103, v140
	ds_read_b128 v[140:143], v102 offset:912
	scratch_load_dwordx4 v[166:169], off, off offset:432
	scratch_load_dwordx4 v[170:173], off, off offset:448
	;; [unrolled: 1-line block ×3, first 2 shown]
	scratch_load_dwordx2 v[182:183], off, off offset:480
	v_fma_f32 v3, v92, v96, -v3
	v_add_f32_e32 v2, v2, v3
	v_mul_f32_e32 v3, v99, v105
	v_fma_f32 v3, v98, v104, -v3
	v_add_f32_e32 v2, v2, v3
	v_mul_f32_e32 v3, v101, v107
	;; [unrolled: 3-line block ×10, first 2 shown]
	v_mul_f32_e32 v179, v134, v139
	v_fma_f32 v178, v134, v138, -v2
	s_waitcnt lgkmcnt(0)
	v_mul_f32_e32 v2, v141, v145
	v_fmac_f32_e32 v179, v135, v138
	v_mul_f32_e32 v181, v140, v145
	v_fma_f32 v180, v140, v144, -v2
	ds_read_b128 v[2:5], v102 offset:928
	ds_read_b128 v[6:9], v102 offset:944
	;; [unrolled: 1-line block ×3, first 2 shown]
	ds_read_b64 v[14:15], v102 offset:976
	v_pk_mul_f32 v[18:19], v[142:143], v[18:19] op_sel:[1,0] op_sel_hi:[0,0]
	v_fmac_f32_e32 v181, v141, v144
	v_pk_add_f32 v[16:17], v[148:149], v[178:179]
	v_pk_fma_f32 v[20:21], v[142:143], v[146:147], v[18:19] neg_lo:[0,0,1] neg_hi:[0,0,1]
	v_pk_fma_f32 v[18:19], v[142:143], v[146:147], v[18:19] op_sel_hi:[1,0,1]
	v_pk_add_f32 v[16:17], v[16:17], v[180:181]
	v_mov_b32_e32 v21, v19
	v_pk_add_f32 v[16:17], v[16:17], v[20:21]
	s_waitcnt vmcnt(3) lgkmcnt(3)
	v_pk_mul_f32 v[18:19], v[2:3], v[166:167] op_sel:[1,1] op_sel_hi:[0,1]
	v_pk_fma_f32 v[20:21], v[2:3], v[166:167], v[18:19] neg_lo:[0,0,1] neg_hi:[0,0,1]
	v_pk_fma_f32 v[2:3], v[2:3], v[166:167], v[18:19] op_sel_hi:[1,0,1]
	s_nop 0
	v_mov_b32_e32 v21, v3
	v_pk_add_f32 v[2:3], v[16:17], v[20:21]
	v_mov_b32_e32 v16, v169
	v_pk_mul_f32 v[16:17], v[4:5], v[16:17] op_sel:[1,0] op_sel_hi:[0,0]
	v_pk_fma_f32 v[18:19], v[4:5], v[168:169], v[16:17] neg_lo:[0,0,1] neg_hi:[0,0,1]
	v_pk_fma_f32 v[4:5], v[4:5], v[168:169], v[16:17] op_sel_hi:[1,0,1]
	s_nop 0
	v_mov_b32_e32 v19, v5
	s_waitcnt vmcnt(2) lgkmcnt(2)
	v_pk_mul_f32 v[4:5], v[6:7], v[170:171] op_sel:[1,1] op_sel_hi:[0,1]
	v_pk_fma_f32 v[16:17], v[6:7], v[170:171], v[4:5] neg_lo:[0,0,1] neg_hi:[0,0,1]
	v_pk_fma_f32 v[4:5], v[6:7], v[170:171], v[4:5] op_sel_hi:[1,0,1]
	v_pk_add_f32 v[2:3], v[2:3], v[18:19]
	v_mov_b32_e32 v4, v173
	v_mov_b32_e32 v17, v5
	v_pk_mul_f32 v[4:5], v[8:9], v[4:5] op_sel:[1,0] op_sel_hi:[0,0]
	v_pk_fma_f32 v[6:7], v[8:9], v[172:173], v[4:5] neg_lo:[0,0,1] neg_hi:[0,0,1]
	v_pk_fma_f32 v[4:5], v[8:9], v[172:173], v[4:5] op_sel_hi:[1,0,1]
	v_pk_add_f32 v[2:3], v[2:3], v[16:17]
	v_mov_b32_e32 v7, v5
	s_waitcnt vmcnt(1) lgkmcnt(1)
	v_pk_mul_f32 v[4:5], v[10:11], v[174:175] op_sel:[1,1] op_sel_hi:[0,1]
	v_pk_add_f32 v[2:3], v[2:3], v[6:7]
	v_pk_fma_f32 v[6:7], v[10:11], v[174:175], v[4:5] neg_lo:[0,0,1] neg_hi:[0,0,1]
	v_pk_fma_f32 v[4:5], v[10:11], v[174:175], v[4:5] op_sel_hi:[1,0,1]
	s_nop 0
	v_mov_b32_e32 v4, v177
	v_mov_b32_e32 v7, v5
	v_pk_mul_f32 v[4:5], v[12:13], v[4:5] op_sel:[1,0] op_sel_hi:[0,0]
	v_pk_add_f32 v[2:3], v[2:3], v[6:7]
	v_pk_fma_f32 v[6:7], v[12:13], v[176:177], v[4:5] neg_lo:[0,0,1] neg_hi:[0,0,1]
	v_pk_fma_f32 v[4:5], v[12:13], v[176:177], v[4:5] op_sel_hi:[1,0,1]
	s_nop 0
	v_mov_b32_e32 v7, v5
	s_waitcnt vmcnt(0) lgkmcnt(0)
	v_pk_mul_f32 v[4:5], v[14:15], v[182:183] op_sel:[1,1] op_sel_hi:[0,1]
	v_pk_add_f32 v[2:3], v[2:3], v[6:7]
	v_pk_fma_f32 v[6:7], v[14:15], v[182:183], v[4:5] neg_lo:[0,0,1] neg_hi:[0,0,1]
	v_pk_fma_f32 v[4:5], v[14:15], v[182:183], v[4:5] op_sel_hi:[1,0,1]
	s_nop 0
	v_mov_b32_e32 v7, v5
	scratch_load_dwordx2 v[4:5], off, off offset:136
	v_pk_add_f32 v[2:3], v[2:3], v[6:7]
	s_waitcnt vmcnt(0)
	v_pk_add_f32 v[2:3], v[4:5], v[2:3] neg_lo:[0,1] neg_hi:[0,1]
	scratch_store_dwordx2 off, v[2:3], off offset:136
	s_and_saveexec_b64 s[0:1], vcc
	s_cbranch_execz .LBB60_347
; %bb.346:
	scratch_load_dwordx2 v[2:3], off, off offset:128
	v_mov_b32_e32 v103, v102
	scratch_store_dwordx2 off, v[102:103], off offset:128
	s_waitcnt vmcnt(1)
	ds_write_b64 v1, v[2:3]
.LBB60_347:
	s_or_b64 exec, exec, s[0:1]
	s_waitcnt lgkmcnt(0)
	; wave barrier
	scratch_load_dwordx4 v[6:9], off, off offset:136
	scratch_load_dwordx4 v[14:17], off, off offset:152
	;; [unrolled: 1-line block ×10, first 2 shown]
	ds_read2_b64 v[2:5], v102 offset0:79 offset1:80
	scratch_load_dwordx4 v[86:89], off, off offset:296
	scratch_load_dwordx4 v[94:97], off, off offset:312
	;; [unrolled: 1-line block ×8, first 2 shown]
	v_cmp_lt_u32_e32 vcc, 15, v0
	s_waitcnt vmcnt(17) lgkmcnt(0)
	v_mul_f32_e32 v10, v2, v7
	v_fmac_f32_e32 v10, v3, v6
	v_mul_f32_e32 v11, v4, v9
	v_add_f32_e32 v10, 0, v10
	v_fmac_f32_e32 v11, v5, v8
	v_add_f32_e32 v18, v10, v11
	ds_read2_b64 v[10:13], v102 offset0:81 offset1:82
	v_mul_f32_e32 v3, v3, v7
	v_fma_f32 v2, v2, v6, -v3
	v_mul_f32_e32 v3, v5, v9
	v_add_f32_e32 v2, 0, v2
	s_waitcnt vmcnt(16) lgkmcnt(0)
	v_mul_f32_e32 v19, v10, v15
	v_fmac_f32_e32 v19, v11, v14
	v_add_f32_e32 v18, v18, v19
	v_mul_f32_e32 v19, v12, v17
	v_fmac_f32_e32 v19, v13, v16
	v_add_f32_e32 v26, v18, v19
	ds_read2_b64 v[18:21], v102 offset0:83 offset1:84
	v_fma_f32 v3, v4, v8, -v3
	v_add_f32_e32 v2, v2, v3
	v_mul_f32_e32 v3, v11, v15
	v_fma_f32 v3, v10, v14, -v3
	s_waitcnt vmcnt(15) lgkmcnt(0)
	v_mul_f32_e32 v27, v18, v23
	v_fmac_f32_e32 v27, v19, v22
	v_add_f32_e32 v26, v26, v27
	v_mul_f32_e32 v27, v20, v25
	v_fmac_f32_e32 v27, v21, v24
	v_add_f32_e32 v34, v26, v27
	ds_read2_b64 v[26:29], v102 offset0:85 offset1:86
	v_add_f32_e32 v2, v2, v3
	v_mul_f32_e32 v3, v13, v17
	v_fma_f32 v3, v12, v16, -v3
	v_add_f32_e32 v2, v2, v3
	s_waitcnt vmcnt(14) lgkmcnt(0)
	v_mul_f32_e32 v35, v26, v31
	v_fmac_f32_e32 v35, v27, v30
	v_add_f32_e32 v34, v34, v35
	v_mul_f32_e32 v35, v28, v33
	v_fmac_f32_e32 v35, v29, v32
	v_add_f32_e32 v42, v34, v35
	ds_read2_b64 v[34:37], v102 offset0:87 offset1:88
	v_mul_f32_e32 v3, v19, v23
	v_fma_f32 v3, v18, v22, -v3
	v_add_f32_e32 v2, v2, v3
	v_mul_f32_e32 v3, v21, v25
	s_waitcnt vmcnt(13) lgkmcnt(0)
	v_mul_f32_e32 v43, v34, v39
	v_fmac_f32_e32 v43, v35, v38
	v_add_f32_e32 v42, v42, v43
	v_mul_f32_e32 v43, v36, v41
	v_fmac_f32_e32 v43, v37, v40
	v_add_f32_e32 v50, v42, v43
	ds_read2_b64 v[42:45], v102 offset0:89 offset1:90
	v_fma_f32 v3, v20, v24, -v3
	v_add_f32_e32 v2, v2, v3
	v_mul_f32_e32 v3, v27, v31
	v_fma_f32 v3, v26, v30, -v3
	s_waitcnt vmcnt(12) lgkmcnt(0)
	v_mul_f32_e32 v51, v42, v47
	v_fmac_f32_e32 v51, v43, v46
	v_add_f32_e32 v50, v50, v51
	v_mul_f32_e32 v51, v44, v49
	v_fmac_f32_e32 v51, v45, v48
	v_add_f32_e32 v58, v50, v51
	ds_read2_b64 v[50:53], v102 offset0:91 offset1:92
	v_add_f32_e32 v2, v2, v3
	v_mul_f32_e32 v3, v29, v33
	v_fma_f32 v3, v28, v32, -v3
	v_add_f32_e32 v2, v2, v3
	s_waitcnt vmcnt(11) lgkmcnt(0)
	v_mul_f32_e32 v59, v50, v55
	v_fmac_f32_e32 v59, v51, v54
	v_add_f32_e32 v58, v58, v59
	v_mul_f32_e32 v59, v52, v57
	v_fmac_f32_e32 v59, v53, v56
	v_add_f32_e32 v66, v58, v59
	ds_read2_b64 v[58:61], v102 offset0:93 offset1:94
	v_mul_f32_e32 v3, v35, v39
	v_fma_f32 v3, v34, v38, -v3
	v_add_f32_e32 v2, v2, v3
	v_mul_f32_e32 v3, v37, v41
	;; [unrolled: 36-line block ×5, first 2 shown]
	s_waitcnt vmcnt(1) lgkmcnt(0)
	v_mul_f32_e32 v140, v132, v137
	v_fmac_f32_e32 v140, v133, v136
	v_add_f32_e32 v103, v103, v140
	v_mul_f32_e32 v140, v134, v139
	v_fmac_f32_e32 v140, v135, v138
	v_add_f32_e32 v149, v103, v140
	ds_read2_b64 v[140:143], v102 offset0:113 offset1:114
	scratch_load_dwordx4 v[166:169], off, off offset:424
	scratch_load_dwordx4 v[170:173], off, off offset:440
	;; [unrolled: 1-line block ×4, first 2 shown]
	v_fma_f32 v3, v84, v88, -v3
	v_add_f32_e32 v2, v2, v3
	v_mul_f32_e32 v3, v91, v95
	v_fma_f32 v3, v90, v94, -v3
	v_add_f32_e32 v2, v2, v3
	v_mul_f32_e32 v3, v93, v97
	;; [unrolled: 3-line block ×12, first 2 shown]
	v_fma_f32 v3, v134, v138, -v3
	v_add_f32_e32 v148, v2, v3
	s_waitcnt vmcnt(4) lgkmcnt(0)
	v_mul_f32_e32 v2, v141, v145
	v_fma_f32 v182, v140, v144, -v2
	v_mul_f32_e32 v2, v143, v147
	v_fma_f32 v184, v142, v146, -v2
	ds_read2_b64 v[2:5], v102 offset0:115 offset1:116
	ds_read2_b64 v[6:9], v102 offset0:117 offset1:118
	;; [unrolled: 1-line block ×4, first 2 shown]
	v_mul_f32_e32 v183, v140, v145
	v_fmac_f32_e32 v183, v141, v144
	v_mul_f32_e32 v185, v142, v147
	v_fmac_f32_e32 v185, v143, v146
	v_pk_add_f32 v[18:19], v[148:149], v[182:183]
	s_waitcnt vmcnt(3) lgkmcnt(3)
	v_pk_mul_f32 v[20:21], v[2:3], v[166:167] op_sel:[1,1] op_sel_hi:[0,1]
	v_pk_fma_f32 v[22:23], v[2:3], v[166:167], v[20:21] neg_lo:[0,0,1] neg_hi:[0,0,1]
	v_pk_fma_f32 v[2:3], v[2:3], v[166:167], v[20:21] op_sel_hi:[1,0,1]
	v_pk_add_f32 v[18:19], v[18:19], v[184:185]
	v_mov_b32_e32 v23, v3
	v_pk_add_f32 v[2:3], v[18:19], v[22:23]
	v_mov_b32_e32 v18, v169
	v_pk_mul_f32 v[18:19], v[4:5], v[18:19] op_sel:[1,0] op_sel_hi:[0,0]
	v_pk_fma_f32 v[20:21], v[4:5], v[168:169], v[18:19] neg_lo:[0,0,1] neg_hi:[0,0,1]
	v_pk_fma_f32 v[4:5], v[4:5], v[168:169], v[18:19] op_sel_hi:[1,0,1]
	s_nop 0
	v_mov_b32_e32 v21, v5
	s_waitcnt vmcnt(2) lgkmcnt(2)
	v_pk_mul_f32 v[4:5], v[6:7], v[170:171] op_sel:[1,1] op_sel_hi:[0,1]
	v_pk_fma_f32 v[18:19], v[6:7], v[170:171], v[4:5] neg_lo:[0,0,1] neg_hi:[0,0,1]
	v_pk_fma_f32 v[4:5], v[6:7], v[170:171], v[4:5] op_sel_hi:[1,0,1]
	v_pk_add_f32 v[2:3], v[2:3], v[20:21]
	v_mov_b32_e32 v4, v173
	v_mov_b32_e32 v19, v5
	v_pk_mul_f32 v[4:5], v[8:9], v[4:5] op_sel:[1,0] op_sel_hi:[0,0]
	v_pk_fma_f32 v[6:7], v[8:9], v[172:173], v[4:5] neg_lo:[0,0,1] neg_hi:[0,0,1]
	v_pk_fma_f32 v[4:5], v[8:9], v[172:173], v[4:5] op_sel_hi:[1,0,1]
	v_pk_add_f32 v[2:3], v[2:3], v[18:19]
	v_mov_b32_e32 v7, v5
	s_waitcnt vmcnt(1) lgkmcnt(1)
	v_pk_mul_f32 v[4:5], v[10:11], v[174:175] op_sel:[1,1] op_sel_hi:[0,1]
	v_pk_add_f32 v[2:3], v[2:3], v[6:7]
	v_pk_fma_f32 v[6:7], v[10:11], v[174:175], v[4:5] neg_lo:[0,0,1] neg_hi:[0,0,1]
	v_pk_fma_f32 v[4:5], v[10:11], v[174:175], v[4:5] op_sel_hi:[1,0,1]
	s_nop 0
	v_mov_b32_e32 v4, v177
	v_mov_b32_e32 v7, v5
	v_pk_mul_f32 v[4:5], v[12:13], v[4:5] op_sel:[1,0] op_sel_hi:[0,0]
	v_pk_add_f32 v[2:3], v[2:3], v[6:7]
	v_pk_fma_f32 v[6:7], v[12:13], v[176:177], v[4:5] neg_lo:[0,0,1] neg_hi:[0,0,1]
	v_pk_fma_f32 v[4:5], v[12:13], v[176:177], v[4:5] op_sel_hi:[1,0,1]
	s_nop 0
	v_mov_b32_e32 v7, v5
	s_waitcnt vmcnt(0) lgkmcnt(0)
	v_pk_mul_f32 v[4:5], v[14:15], v[178:179] op_sel:[1,1] op_sel_hi:[0,1]
	v_pk_add_f32 v[2:3], v[2:3], v[6:7]
	v_pk_fma_f32 v[6:7], v[14:15], v[178:179], v[4:5] neg_lo:[0,0,1] neg_hi:[0,0,1]
	v_pk_fma_f32 v[4:5], v[14:15], v[178:179], v[4:5] op_sel_hi:[1,0,1]
	s_nop 0
	v_mov_b32_e32 v4, v181
	v_mov_b32_e32 v7, v5
	v_pk_mul_f32 v[4:5], v[16:17], v[4:5] op_sel:[1,0] op_sel_hi:[0,0]
	v_pk_add_f32 v[2:3], v[2:3], v[6:7]
	v_pk_fma_f32 v[6:7], v[16:17], v[180:181], v[4:5] neg_lo:[0,0,1] neg_hi:[0,0,1]
	v_pk_fma_f32 v[4:5], v[16:17], v[180:181], v[4:5] op_sel_hi:[1,0,1]
	s_nop 0
	v_mov_b32_e32 v7, v5
	scratch_load_dwordx2 v[4:5], off, off offset:128
	v_pk_add_f32 v[2:3], v[2:3], v[6:7]
	s_waitcnt vmcnt(0)
	v_pk_add_f32 v[2:3], v[4:5], v[2:3] neg_lo:[0,1] neg_hi:[0,1]
	scratch_store_dwordx2 off, v[2:3], off offset:128
	s_and_saveexec_b64 s[0:1], vcc
	s_cbranch_execz .LBB60_349
; %bb.348:
	scratch_load_dwordx2 v[2:3], off, off offset:120
	v_mov_b32_e32 v4, 0
	v_mov_b32_e32 v5, v4
	scratch_store_dwordx2 off, v[4:5], off offset:120
	s_waitcnt vmcnt(1)
	ds_write_b64 v1, v[2:3]
.LBB60_349:
	s_or_b64 exec, exec, s[0:1]
	v_mov_b32_e32 v110, 0
	s_waitcnt lgkmcnt(0)
	; wave barrier
	ds_read_b128 v[14:17], v110 offset:624
	ds_read_b128 v[10:13], v110 offset:640
	;; [unrolled: 1-line block ×4, first 2 shown]
	scratch_load_dwordx4 v[18:21], off, off offset:128
	scratch_load_dwordx4 v[38:41], off, off offset:192
	scratch_load_dwordx4 v[70:73], off, off offset:256
	scratch_load_dwordx4 v[78:81], off, off offset:272
	scratch_load_dwordx4 v[86:89], off, off offset:288
	scratch_load_dwordx4 v[94:97], off, off offset:304
	scratch_load_dwordx4 v[102:105], off, off offset:320
	scratch_load_dwordx4 v[112:115], off, off offset:336
	scratch_load_dwordx4 v[120:123], off, off offset:352
	scratch_load_dwordx4 v[128:131], off, off offset:368
	scratch_load_dwordx4 v[136:139], off, off offset:384
	scratch_load_dwordx4 v[144:147], off, off offset:400
	scratch_load_dwordx4 v[170:173], off, off offset:416
	v_cmp_lt_u32_e32 vcc, 14, v0
	scratch_load_dwordx4 v[46:49], off, off offset:208
	scratch_load_dwordx4 v[54:57], off, off offset:224
	scratch_load_dwordx4 v[62:65], off, off offset:240
	ds_read_b128 v[166:169], v110 offset:912
	s_waitcnt vmcnt(15) lgkmcnt(4)
	v_mul_f32_e32 v22, v14, v19
	v_fmac_f32_e32 v22, v15, v18
	v_mul_f32_e32 v23, v16, v21
	v_add_f32_e32 v22, 0, v22
	v_fmac_f32_e32 v23, v17, v20
	v_add_f32_e32 v26, v22, v23
	scratch_load_dwordx4 v[22:25], off, off offset:144
	v_mul_f32_e32 v15, v15, v19
	v_fma_f32 v14, v14, v18, -v15
	v_mul_f32_e32 v15, v17, v21
	v_add_f32_e32 v14, 0, v14
	v_fma_f32 v15, v16, v20, -v15
	v_add_f32_e32 v14, v14, v15
	s_waitcnt vmcnt(4)
	v_mov_b32_e32 v18, v173
	s_waitcnt lgkmcnt(0)
	v_mul_f32_e32 v189, v166, v171
	v_pk_mul_f32 v[18:19], v[168:169], v[18:19] op_sel:[1,0] op_sel_hi:[0,0]
	v_fmac_f32_e32 v189, v167, v170
	v_pk_fma_f32 v[20:21], v[168:169], v[172:173], v[18:19] neg_lo:[0,0,1] neg_hi:[0,0,1]
	v_pk_fma_f32 v[18:19], v[168:169], v[172:173], v[18:19] op_sel_hi:[1,0,1]
	s_waitcnt vmcnt(0)
	v_mul_f32_e32 v27, v10, v23
	v_fmac_f32_e32 v27, v11, v22
	v_add_f32_e32 v26, v26, v27
	v_mul_f32_e32 v27, v12, v25
	v_fmac_f32_e32 v27, v13, v24
	v_add_f32_e32 v30, v26, v27
	scratch_load_dwordx4 v[26:29], off, off offset:160
	v_mul_f32_e32 v11, v11, v23
	v_fma_f32 v10, v10, v22, -v11
	v_mul_f32_e32 v11, v13, v25
	v_add_f32_e32 v10, v14, v10
	v_fma_f32 v11, v12, v24, -v11
	v_add_f32_e32 v10, v10, v11
	v_mov_b32_e32 v21, v19
	s_waitcnt vmcnt(0)
	v_mul_f32_e32 v31, v6, v27
	v_fmac_f32_e32 v31, v7, v26
	v_add_f32_e32 v30, v30, v31
	v_mul_f32_e32 v31, v8, v29
	v_fmac_f32_e32 v31, v9, v28
	v_add_f32_e32 v34, v30, v31
	scratch_load_dwordx4 v[30:33], off, off offset:176
	v_mul_f32_e32 v7, v7, v27
	v_fma_f32 v6, v6, v26, -v7
	v_mul_f32_e32 v7, v9, v29
	v_add_f32_e32 v6, v10, v6
	v_fma_f32 v7, v8, v28, -v7
	v_add_f32_e32 v6, v6, v7
	s_waitcnt vmcnt(0)
	v_mul_f32_e32 v35, v2, v31
	v_fmac_f32_e32 v35, v3, v30
	v_add_f32_e32 v34, v34, v35
	v_mul_f32_e32 v35, v4, v33
	v_fmac_f32_e32 v35, v5, v32
	v_add_f32_e32 v42, v34, v35
	ds_read_b128 v[34:37], v110 offset:688
	v_mul_f32_e32 v3, v3, v31
	v_fma_f32 v2, v2, v30, -v3
	v_mul_f32_e32 v3, v5, v33
	v_add_f32_e32 v2, v6, v2
	s_waitcnt lgkmcnt(0)
	v_mul_f32_e32 v43, v34, v39
	v_fmac_f32_e32 v43, v35, v38
	v_add_f32_e32 v42, v42, v43
	v_mul_f32_e32 v43, v36, v41
	v_fmac_f32_e32 v43, v37, v40
	v_add_f32_e32 v50, v42, v43
	ds_read_b128 v[42:45], v110 offset:704
	v_fma_f32 v3, v4, v32, -v3
	v_add_f32_e32 v2, v2, v3
	v_mul_f32_e32 v3, v35, v39
	v_fma_f32 v3, v34, v38, -v3
	s_waitcnt lgkmcnt(0)
	v_mul_f32_e32 v51, v42, v47
	v_fmac_f32_e32 v51, v43, v46
	v_add_f32_e32 v50, v50, v51
	v_mul_f32_e32 v51, v44, v49
	v_fmac_f32_e32 v51, v45, v48
	v_add_f32_e32 v58, v50, v51
	ds_read_b128 v[50:53], v110 offset:720
	v_add_f32_e32 v2, v2, v3
	v_mul_f32_e32 v3, v37, v41
	v_fma_f32 v3, v36, v40, -v3
	v_add_f32_e32 v2, v2, v3
	s_waitcnt lgkmcnt(0)
	v_mul_f32_e32 v59, v50, v55
	v_fmac_f32_e32 v59, v51, v54
	v_add_f32_e32 v58, v58, v59
	v_mul_f32_e32 v59, v52, v57
	v_fmac_f32_e32 v59, v53, v56
	v_add_f32_e32 v66, v58, v59
	ds_read_b128 v[58:61], v110 offset:736
	v_mul_f32_e32 v3, v43, v47
	v_fma_f32 v3, v42, v46, -v3
	v_add_f32_e32 v2, v2, v3
	v_mul_f32_e32 v3, v45, v49
	s_waitcnt lgkmcnt(0)
	v_mul_f32_e32 v67, v58, v63
	v_fmac_f32_e32 v67, v59, v62
	v_add_f32_e32 v66, v66, v67
	v_mul_f32_e32 v67, v60, v65
	v_fmac_f32_e32 v67, v61, v64
	v_add_f32_e32 v74, v66, v67
	ds_read_b128 v[66:69], v110 offset:752
	v_fma_f32 v3, v44, v48, -v3
	v_add_f32_e32 v2, v2, v3
	v_mul_f32_e32 v3, v51, v55
	v_fma_f32 v3, v50, v54, -v3
	s_waitcnt lgkmcnt(0)
	v_mul_f32_e32 v75, v66, v71
	v_fmac_f32_e32 v75, v67, v70
	v_add_f32_e32 v74, v74, v75
	v_mul_f32_e32 v75, v68, v73
	v_fmac_f32_e32 v75, v69, v72
	v_add_f32_e32 v82, v74, v75
	ds_read_b128 v[74:77], v110 offset:768
	v_add_f32_e32 v2, v2, v3
	v_mul_f32_e32 v3, v53, v57
	v_fma_f32 v3, v52, v56, -v3
	v_add_f32_e32 v2, v2, v3
	s_waitcnt lgkmcnt(0)
	v_mul_f32_e32 v83, v74, v79
	v_fmac_f32_e32 v83, v75, v78
	v_add_f32_e32 v82, v82, v83
	v_mul_f32_e32 v83, v76, v81
	v_fmac_f32_e32 v83, v77, v80
	v_add_f32_e32 v90, v82, v83
	ds_read_b128 v[82:85], v110 offset:784
	v_mul_f32_e32 v3, v59, v63
	v_fma_f32 v3, v58, v62, -v3
	v_add_f32_e32 v2, v2, v3
	v_mul_f32_e32 v3, v61, v65
	;; [unrolled: 36-line block ×4, first 2 shown]
	s_waitcnt lgkmcnt(0)
	v_mul_f32_e32 v140, v132, v137
	v_fmac_f32_e32 v140, v133, v136
	v_add_f32_e32 v111, v111, v140
	v_mul_f32_e32 v140, v134, v139
	v_fmac_f32_e32 v140, v135, v138
	v_add_f32_e32 v111, v111, v140
	ds_read_b128 v[140:143], v110 offset:896
	scratch_load_dwordx4 v[174:177], off, off offset:432
	scratch_load_dwordx4 v[178:181], off, off offset:448
	;; [unrolled: 1-line block ×3, first 2 shown]
	scratch_load_dwordx2 v[190:191], off, off offset:480
	v_fma_f32 v3, v92, v96, -v3
	v_add_f32_e32 v2, v2, v3
	v_mul_f32_e32 v3, v99, v103
	v_fma_f32 v3, v98, v102, -v3
	v_add_f32_e32 v2, v2, v3
	v_mul_f32_e32 v3, v101, v105
	;; [unrolled: 3-line block ×10, first 2 shown]
	v_fma_f32 v3, v134, v138, -v3
	s_waitcnt lgkmcnt(0)
	v_mul_f32_e32 v148, v140, v145
	v_add_f32_e32 v2, v2, v3
	v_mul_f32_e32 v3, v141, v145
	v_fmac_f32_e32 v148, v141, v144
	v_fma_f32 v3, v140, v144, -v3
	v_add_f32_e32 v149, v111, v148
	v_add_f32_e32 v148, v2, v3
	v_mul_f32_e32 v2, v143, v147
	v_mul_f32_e32 v187, v142, v147
	v_fma_f32 v186, v142, v146, -v2
	v_mul_f32_e32 v2, v167, v171
	v_fmac_f32_e32 v187, v143, v146
	v_fma_f32 v188, v166, v170, -v2
	ds_read_b128 v[2:5], v110 offset:928
	ds_read_b128 v[6:9], v110 offset:944
	;; [unrolled: 1-line block ×3, first 2 shown]
	ds_read_b64 v[14:15], v110 offset:976
	v_pk_add_f32 v[16:17], v[148:149], v[186:187]
	s_waitcnt vmcnt(3) lgkmcnt(3)
	v_pk_mul_f32 v[18:19], v[2:3], v[174:175] op_sel:[1,1] op_sel_hi:[0,1]
	v_pk_add_f32 v[16:17], v[16:17], v[188:189]
	s_nop 0
	v_pk_add_f32 v[16:17], v[16:17], v[20:21]
	v_pk_fma_f32 v[20:21], v[2:3], v[174:175], v[18:19] neg_lo:[0,0,1] neg_hi:[0,0,1]
	v_pk_fma_f32 v[2:3], v[2:3], v[174:175], v[18:19] op_sel_hi:[1,0,1]
	s_nop 0
	v_mov_b32_e32 v21, v3
	v_pk_add_f32 v[2:3], v[16:17], v[20:21]
	v_mov_b32_e32 v16, v177
	v_pk_mul_f32 v[16:17], v[4:5], v[16:17] op_sel:[1,0] op_sel_hi:[0,0]
	v_pk_fma_f32 v[18:19], v[4:5], v[176:177], v[16:17] neg_lo:[0,0,1] neg_hi:[0,0,1]
	v_pk_fma_f32 v[4:5], v[4:5], v[176:177], v[16:17] op_sel_hi:[1,0,1]
	s_nop 0
	v_mov_b32_e32 v19, v5
	s_waitcnt vmcnt(2) lgkmcnt(2)
	v_pk_mul_f32 v[4:5], v[6:7], v[178:179] op_sel:[1,1] op_sel_hi:[0,1]
	v_pk_fma_f32 v[16:17], v[6:7], v[178:179], v[4:5] neg_lo:[0,0,1] neg_hi:[0,0,1]
	v_pk_fma_f32 v[4:5], v[6:7], v[178:179], v[4:5] op_sel_hi:[1,0,1]
	v_pk_add_f32 v[2:3], v[2:3], v[18:19]
	v_mov_b32_e32 v4, v181
	v_mov_b32_e32 v17, v5
	v_pk_mul_f32 v[4:5], v[8:9], v[4:5] op_sel:[1,0] op_sel_hi:[0,0]
	v_pk_fma_f32 v[6:7], v[8:9], v[180:181], v[4:5] neg_lo:[0,0,1] neg_hi:[0,0,1]
	v_pk_fma_f32 v[4:5], v[8:9], v[180:181], v[4:5] op_sel_hi:[1,0,1]
	v_pk_add_f32 v[2:3], v[2:3], v[16:17]
	v_mov_b32_e32 v7, v5
	s_waitcnt vmcnt(1) lgkmcnt(1)
	v_pk_mul_f32 v[4:5], v[10:11], v[182:183] op_sel:[1,1] op_sel_hi:[0,1]
	v_pk_add_f32 v[2:3], v[2:3], v[6:7]
	v_pk_fma_f32 v[6:7], v[10:11], v[182:183], v[4:5] neg_lo:[0,0,1] neg_hi:[0,0,1]
	v_pk_fma_f32 v[4:5], v[10:11], v[182:183], v[4:5] op_sel_hi:[1,0,1]
	s_nop 0
	v_mov_b32_e32 v4, v185
	v_mov_b32_e32 v7, v5
	v_pk_mul_f32 v[4:5], v[12:13], v[4:5] op_sel:[1,0] op_sel_hi:[0,0]
	v_pk_add_f32 v[2:3], v[2:3], v[6:7]
	v_pk_fma_f32 v[6:7], v[12:13], v[184:185], v[4:5] neg_lo:[0,0,1] neg_hi:[0,0,1]
	v_pk_fma_f32 v[4:5], v[12:13], v[184:185], v[4:5] op_sel_hi:[1,0,1]
	s_nop 0
	v_mov_b32_e32 v7, v5
	s_waitcnt vmcnt(0) lgkmcnt(0)
	v_pk_mul_f32 v[4:5], v[14:15], v[190:191] op_sel:[1,1] op_sel_hi:[0,1]
	v_pk_add_f32 v[2:3], v[2:3], v[6:7]
	v_pk_fma_f32 v[6:7], v[14:15], v[190:191], v[4:5] neg_lo:[0,0,1] neg_hi:[0,0,1]
	v_pk_fma_f32 v[4:5], v[14:15], v[190:191], v[4:5] op_sel_hi:[1,0,1]
	s_nop 0
	v_mov_b32_e32 v7, v5
	scratch_load_dwordx2 v[4:5], off, off offset:120
	v_pk_add_f32 v[2:3], v[2:3], v[6:7]
	s_waitcnt vmcnt(0)
	v_pk_add_f32 v[2:3], v[4:5], v[2:3] neg_lo:[0,1] neg_hi:[0,1]
	scratch_store_dwordx2 off, v[2:3], off offset:120
	s_and_saveexec_b64 s[0:1], vcc
	s_cbranch_execz .LBB60_351
; %bb.350:
	scratch_load_dwordx2 v[2:3], off, off offset:112
	v_mov_b32_e32 v111, v110
	scratch_store_dwordx2 off, v[110:111], off offset:112
	s_waitcnt vmcnt(1)
	ds_write_b64 v1, v[2:3]
.LBB60_351:
	s_or_b64 exec, exec, s[0:1]
	s_waitcnt lgkmcnt(0)
	; wave barrier
	scratch_load_dwordx4 v[6:9], off, off offset:120
	scratch_load_dwordx4 v[14:17], off, off offset:136
	;; [unrolled: 1-line block ×10, first 2 shown]
	ds_read2_b64 v[2:5], v110 offset0:77 offset1:78
	ds_read2_b64 v[166:169], v110 offset0:113 offset1:114
	scratch_load_dwordx4 v[86:89], off, off offset:280
	scratch_load_dwordx4 v[94:97], off, off offset:296
	;; [unrolled: 1-line block ×9, first 2 shown]
	v_cmp_lt_u32_e32 vcc, 13, v0
	s_waitcnt vmcnt(18) lgkmcnt(1)
	v_mul_f32_e32 v10, v2, v7
	v_fmac_f32_e32 v10, v3, v6
	v_mul_f32_e32 v11, v4, v9
	v_add_f32_e32 v10, 0, v10
	v_fmac_f32_e32 v11, v5, v8
	v_add_f32_e32 v18, v10, v11
	ds_read2_b64 v[10:13], v110 offset0:79 offset1:80
	v_mul_f32_e32 v3, v3, v7
	v_fma_f32 v2, v2, v6, -v3
	v_mul_f32_e32 v3, v5, v9
	v_add_f32_e32 v2, 0, v2
	s_waitcnt vmcnt(17) lgkmcnt(0)
	v_mul_f32_e32 v19, v10, v15
	v_fmac_f32_e32 v19, v11, v14
	v_add_f32_e32 v18, v18, v19
	v_mul_f32_e32 v19, v12, v17
	v_fmac_f32_e32 v19, v13, v16
	v_add_f32_e32 v26, v18, v19
	ds_read2_b64 v[18:21], v110 offset0:81 offset1:82
	v_fma_f32 v3, v4, v8, -v3
	v_add_f32_e32 v2, v2, v3
	v_mul_f32_e32 v3, v11, v15
	v_fma_f32 v3, v10, v14, -v3
	s_waitcnt vmcnt(16) lgkmcnt(0)
	v_mul_f32_e32 v27, v18, v23
	v_fmac_f32_e32 v27, v19, v22
	v_add_f32_e32 v26, v26, v27
	v_mul_f32_e32 v27, v20, v25
	v_fmac_f32_e32 v27, v21, v24
	v_add_f32_e32 v34, v26, v27
	ds_read2_b64 v[26:29], v110 offset0:83 offset1:84
	v_add_f32_e32 v2, v2, v3
	v_mul_f32_e32 v3, v13, v17
	v_fma_f32 v3, v12, v16, -v3
	v_add_f32_e32 v2, v2, v3
	s_waitcnt vmcnt(15) lgkmcnt(0)
	v_mul_f32_e32 v35, v26, v31
	v_fmac_f32_e32 v35, v27, v30
	v_add_f32_e32 v34, v34, v35
	v_mul_f32_e32 v35, v28, v33
	v_fmac_f32_e32 v35, v29, v32
	v_add_f32_e32 v42, v34, v35
	ds_read2_b64 v[34:37], v110 offset0:85 offset1:86
	v_mul_f32_e32 v3, v19, v23
	v_fma_f32 v3, v18, v22, -v3
	v_add_f32_e32 v2, v2, v3
	v_mul_f32_e32 v3, v21, v25
	s_waitcnt vmcnt(14) lgkmcnt(0)
	v_mul_f32_e32 v43, v34, v39
	v_fmac_f32_e32 v43, v35, v38
	v_add_f32_e32 v42, v42, v43
	v_mul_f32_e32 v43, v36, v41
	v_fmac_f32_e32 v43, v37, v40
	v_add_f32_e32 v50, v42, v43
	ds_read2_b64 v[42:45], v110 offset0:87 offset1:88
	v_fma_f32 v3, v20, v24, -v3
	v_add_f32_e32 v2, v2, v3
	v_mul_f32_e32 v3, v27, v31
	v_fma_f32 v3, v26, v30, -v3
	s_waitcnt vmcnt(13) lgkmcnt(0)
	v_mul_f32_e32 v51, v42, v47
	v_fmac_f32_e32 v51, v43, v46
	v_add_f32_e32 v50, v50, v51
	v_mul_f32_e32 v51, v44, v49
	v_fmac_f32_e32 v51, v45, v48
	v_add_f32_e32 v58, v50, v51
	ds_read2_b64 v[50:53], v110 offset0:89 offset1:90
	v_add_f32_e32 v2, v2, v3
	v_mul_f32_e32 v3, v29, v33
	v_fma_f32 v3, v28, v32, -v3
	v_add_f32_e32 v2, v2, v3
	s_waitcnt vmcnt(12) lgkmcnt(0)
	v_mul_f32_e32 v59, v50, v55
	v_fmac_f32_e32 v59, v51, v54
	v_add_f32_e32 v58, v58, v59
	v_mul_f32_e32 v59, v52, v57
	v_fmac_f32_e32 v59, v53, v56
	v_add_f32_e32 v66, v58, v59
	ds_read2_b64 v[58:61], v110 offset0:91 offset1:92
	v_mul_f32_e32 v3, v35, v39
	v_fma_f32 v3, v34, v38, -v3
	v_add_f32_e32 v2, v2, v3
	v_mul_f32_e32 v3, v37, v41
	;; [unrolled: 36-line block ×5, first 2 shown]
	s_waitcnt vmcnt(2) lgkmcnt(0)
	v_mul_f32_e32 v140, v132, v137
	v_fmac_f32_e32 v140, v133, v136
	v_add_f32_e32 v111, v111, v140
	v_mul_f32_e32 v140, v134, v139
	v_fmac_f32_e32 v140, v135, v138
	v_add_f32_e32 v111, v111, v140
	ds_read2_b64 v[140:143], v110 offset0:111 offset1:112
	scratch_load_dwordx4 v[174:177], off, off offset:424
	scratch_load_dwordx4 v[178:181], off, off offset:440
	;; [unrolled: 1-line block ×4, first 2 shown]
	v_fma_f32 v3, v84, v88, -v3
	v_add_f32_e32 v2, v2, v3
	v_mul_f32_e32 v3, v91, v95
	v_fma_f32 v3, v90, v94, -v3
	v_add_f32_e32 v2, v2, v3
	v_mul_f32_e32 v3, v93, v97
	;; [unrolled: 3-line block ×12, first 2 shown]
	v_fma_f32 v3, v134, v138, -v3
	s_waitcnt vmcnt(5) lgkmcnt(0)
	v_mul_f32_e32 v148, v140, v145
	v_add_f32_e32 v2, v2, v3
	v_mul_f32_e32 v3, v141, v145
	v_fmac_f32_e32 v148, v141, v144
	v_fma_f32 v3, v140, v144, -v3
	v_add_f32_e32 v111, v111, v148
	v_mul_f32_e32 v148, v142, v147
	v_add_f32_e32 v2, v2, v3
	v_mul_f32_e32 v3, v143, v147
	v_fmac_f32_e32 v148, v143, v146
	v_fma_f32 v3, v142, v146, -v3
	v_add_f32_e32 v149, v111, v148
	v_add_f32_e32 v148, v2, v3
	s_waitcnt vmcnt(4)
	v_mul_f32_e32 v2, v167, v171
	v_fma_f32 v190, v166, v170, -v2
	v_mul_f32_e32 v2, v169, v173
	v_fma_f32 v192, v168, v172, -v2
	ds_read2_b64 v[2:5], v110 offset0:115 offset1:116
	ds_read2_b64 v[6:9], v110 offset0:117 offset1:118
	;; [unrolled: 1-line block ×4, first 2 shown]
	v_mul_f32_e32 v191, v166, v171
	v_fmac_f32_e32 v191, v167, v170
	v_mul_f32_e32 v193, v168, v173
	v_fmac_f32_e32 v193, v169, v172
	v_pk_add_f32 v[18:19], v[148:149], v[190:191]
	s_waitcnt vmcnt(3) lgkmcnt(3)
	v_pk_mul_f32 v[20:21], v[2:3], v[174:175] op_sel:[1,1] op_sel_hi:[0,1]
	v_pk_fma_f32 v[22:23], v[2:3], v[174:175], v[20:21] neg_lo:[0,0,1] neg_hi:[0,0,1]
	v_pk_fma_f32 v[2:3], v[2:3], v[174:175], v[20:21] op_sel_hi:[1,0,1]
	v_pk_add_f32 v[18:19], v[18:19], v[192:193]
	v_mov_b32_e32 v23, v3
	v_pk_add_f32 v[2:3], v[18:19], v[22:23]
	v_mov_b32_e32 v18, v177
	v_pk_mul_f32 v[18:19], v[4:5], v[18:19] op_sel:[1,0] op_sel_hi:[0,0]
	v_pk_fma_f32 v[20:21], v[4:5], v[176:177], v[18:19] neg_lo:[0,0,1] neg_hi:[0,0,1]
	v_pk_fma_f32 v[4:5], v[4:5], v[176:177], v[18:19] op_sel_hi:[1,0,1]
	s_nop 0
	v_mov_b32_e32 v21, v5
	s_waitcnt vmcnt(2) lgkmcnt(2)
	v_pk_mul_f32 v[4:5], v[6:7], v[178:179] op_sel:[1,1] op_sel_hi:[0,1]
	v_pk_fma_f32 v[18:19], v[6:7], v[178:179], v[4:5] neg_lo:[0,0,1] neg_hi:[0,0,1]
	v_pk_fma_f32 v[4:5], v[6:7], v[178:179], v[4:5] op_sel_hi:[1,0,1]
	v_pk_add_f32 v[2:3], v[2:3], v[20:21]
	v_mov_b32_e32 v4, v181
	v_mov_b32_e32 v19, v5
	v_pk_mul_f32 v[4:5], v[8:9], v[4:5] op_sel:[1,0] op_sel_hi:[0,0]
	v_pk_fma_f32 v[6:7], v[8:9], v[180:181], v[4:5] neg_lo:[0,0,1] neg_hi:[0,0,1]
	v_pk_fma_f32 v[4:5], v[8:9], v[180:181], v[4:5] op_sel_hi:[1,0,1]
	v_pk_add_f32 v[2:3], v[2:3], v[18:19]
	v_mov_b32_e32 v7, v5
	s_waitcnt vmcnt(1) lgkmcnt(1)
	v_pk_mul_f32 v[4:5], v[10:11], v[182:183] op_sel:[1,1] op_sel_hi:[0,1]
	v_pk_add_f32 v[2:3], v[2:3], v[6:7]
	v_pk_fma_f32 v[6:7], v[10:11], v[182:183], v[4:5] neg_lo:[0,0,1] neg_hi:[0,0,1]
	v_pk_fma_f32 v[4:5], v[10:11], v[182:183], v[4:5] op_sel_hi:[1,0,1]
	s_nop 0
	v_mov_b32_e32 v4, v185
	v_mov_b32_e32 v7, v5
	v_pk_mul_f32 v[4:5], v[12:13], v[4:5] op_sel:[1,0] op_sel_hi:[0,0]
	v_pk_add_f32 v[2:3], v[2:3], v[6:7]
	v_pk_fma_f32 v[6:7], v[12:13], v[184:185], v[4:5] neg_lo:[0,0,1] neg_hi:[0,0,1]
	v_pk_fma_f32 v[4:5], v[12:13], v[184:185], v[4:5] op_sel_hi:[1,0,1]
	s_nop 0
	v_mov_b32_e32 v7, v5
	s_waitcnt vmcnt(0) lgkmcnt(0)
	v_pk_mul_f32 v[4:5], v[14:15], v[186:187] op_sel:[1,1] op_sel_hi:[0,1]
	v_pk_add_f32 v[2:3], v[2:3], v[6:7]
	v_pk_fma_f32 v[6:7], v[14:15], v[186:187], v[4:5] neg_lo:[0,0,1] neg_hi:[0,0,1]
	v_pk_fma_f32 v[4:5], v[14:15], v[186:187], v[4:5] op_sel_hi:[1,0,1]
	s_nop 0
	v_mov_b32_e32 v4, v189
	v_mov_b32_e32 v7, v5
	v_pk_mul_f32 v[4:5], v[16:17], v[4:5] op_sel:[1,0] op_sel_hi:[0,0]
	v_pk_add_f32 v[2:3], v[2:3], v[6:7]
	v_pk_fma_f32 v[6:7], v[16:17], v[188:189], v[4:5] neg_lo:[0,0,1] neg_hi:[0,0,1]
	v_pk_fma_f32 v[4:5], v[16:17], v[188:189], v[4:5] op_sel_hi:[1,0,1]
	s_nop 0
	v_mov_b32_e32 v7, v5
	scratch_load_dwordx2 v[4:5], off, off offset:112
	v_pk_add_f32 v[2:3], v[2:3], v[6:7]
	s_waitcnt vmcnt(0)
	v_pk_add_f32 v[2:3], v[4:5], v[2:3] neg_lo:[0,1] neg_hi:[0,1]
	scratch_store_dwordx2 off, v[2:3], off offset:112
	s_and_saveexec_b64 s[0:1], vcc
	s_cbranch_execz .LBB60_353
; %bb.352:
	scratch_load_dwordx2 v[2:3], off, off offset:104
	v_mov_b32_e32 v4, 0
	v_mov_b32_e32 v5, v4
	scratch_store_dwordx2 off, v[4:5], off offset:104
	s_waitcnt vmcnt(1)
	ds_write_b64 v1, v[2:3]
.LBB60_353:
	s_or_b64 exec, exec, s[0:1]
	v_mov_b32_e32 v118, 0
	s_waitcnt lgkmcnt(0)
	; wave barrier
	ds_read_b128 v[14:17], v118 offset:608
	ds_read_b128 v[10:13], v118 offset:624
	;; [unrolled: 1-line block ×4, first 2 shown]
	scratch_load_dwordx4 v[18:21], off, off offset:112
	scratch_load_dwordx4 v[38:41], off, off offset:176
	;; [unrolled: 1-line block ×14, first 2 shown]
	v_cmp_lt_u32_e32 vcc, 12, v0
	scratch_load_dwordx4 v[46:49], off, off offset:192
	scratch_load_dwordx4 v[54:57], off, off offset:208
	;; [unrolled: 1-line block ×3, first 2 shown]
	ds_read_b128 v[166:169], v118 offset:896
	ds_read_b128 v[174:177], v118 offset:912
	s_waitcnt vmcnt(16) lgkmcnt(5)
	v_mul_f32_e32 v22, v14, v19
	v_fmac_f32_e32 v22, v15, v18
	v_mul_f32_e32 v23, v16, v21
	v_add_f32_e32 v22, 0, v22
	v_fmac_f32_e32 v23, v17, v20
	v_add_f32_e32 v26, v22, v23
	scratch_load_dwordx4 v[22:25], off, off offset:128
	v_mul_f32_e32 v15, v15, v19
	v_fma_f32 v14, v14, v18, -v15
	v_mul_f32_e32 v15, v17, v21
	v_add_f32_e32 v14, 0, v14
	v_fma_f32 v15, v16, v20, -v15
	v_add_f32_e32 v14, v14, v15
	s_waitcnt vmcnt(5) lgkmcnt(1)
	v_mul_f32_e32 v195, v168, v173
	s_waitcnt vmcnt(4)
	v_mov_b32_e32 v18, v181
	v_fmac_f32_e32 v195, v169, v172
	s_waitcnt lgkmcnt(0)
	v_mul_f32_e32 v197, v174, v179
	v_pk_mul_f32 v[18:19], v[176:177], v[18:19] op_sel:[1,0] op_sel_hi:[0,0]
	v_fmac_f32_e32 v197, v175, v178
	v_pk_fma_f32 v[20:21], v[176:177], v[180:181], v[18:19] neg_lo:[0,0,1] neg_hi:[0,0,1]
	v_pk_fma_f32 v[18:19], v[176:177], v[180:181], v[18:19] op_sel_hi:[1,0,1]
	s_waitcnt vmcnt(0)
	v_mul_f32_e32 v27, v10, v23
	v_fmac_f32_e32 v27, v11, v22
	v_add_f32_e32 v26, v26, v27
	v_mul_f32_e32 v27, v12, v25
	v_fmac_f32_e32 v27, v13, v24
	v_add_f32_e32 v30, v26, v27
	scratch_load_dwordx4 v[26:29], off, off offset:144
	v_mul_f32_e32 v11, v11, v23
	v_fma_f32 v10, v10, v22, -v11
	v_mul_f32_e32 v11, v13, v25
	v_add_f32_e32 v10, v14, v10
	v_fma_f32 v11, v12, v24, -v11
	v_add_f32_e32 v10, v10, v11
	v_mov_b32_e32 v21, v19
	s_waitcnt vmcnt(0)
	v_mul_f32_e32 v31, v6, v27
	v_fmac_f32_e32 v31, v7, v26
	v_add_f32_e32 v30, v30, v31
	v_mul_f32_e32 v31, v8, v29
	v_fmac_f32_e32 v31, v9, v28
	v_add_f32_e32 v34, v30, v31
	scratch_load_dwordx4 v[30:33], off, off offset:160
	v_mul_f32_e32 v7, v7, v27
	v_fma_f32 v6, v6, v26, -v7
	v_mul_f32_e32 v7, v9, v29
	v_add_f32_e32 v6, v10, v6
	v_fma_f32 v7, v8, v28, -v7
	v_add_f32_e32 v6, v6, v7
	s_waitcnt vmcnt(0)
	v_mul_f32_e32 v35, v2, v31
	v_fmac_f32_e32 v35, v3, v30
	v_add_f32_e32 v34, v34, v35
	v_mul_f32_e32 v35, v4, v33
	v_fmac_f32_e32 v35, v5, v32
	v_add_f32_e32 v42, v34, v35
	ds_read_b128 v[34:37], v118 offset:672
	v_mul_f32_e32 v3, v3, v31
	v_fma_f32 v2, v2, v30, -v3
	v_mul_f32_e32 v3, v5, v33
	v_add_f32_e32 v2, v6, v2
	s_waitcnt lgkmcnt(0)
	v_mul_f32_e32 v43, v34, v39
	v_fmac_f32_e32 v43, v35, v38
	v_add_f32_e32 v42, v42, v43
	v_mul_f32_e32 v43, v36, v41
	v_fmac_f32_e32 v43, v37, v40
	v_add_f32_e32 v50, v42, v43
	ds_read_b128 v[42:45], v118 offset:688
	v_fma_f32 v3, v4, v32, -v3
	v_add_f32_e32 v2, v2, v3
	v_mul_f32_e32 v3, v35, v39
	v_fma_f32 v3, v34, v38, -v3
	s_waitcnt lgkmcnt(0)
	v_mul_f32_e32 v51, v42, v47
	v_fmac_f32_e32 v51, v43, v46
	v_add_f32_e32 v50, v50, v51
	v_mul_f32_e32 v51, v44, v49
	v_fmac_f32_e32 v51, v45, v48
	v_add_f32_e32 v58, v50, v51
	ds_read_b128 v[50:53], v118 offset:704
	v_add_f32_e32 v2, v2, v3
	v_mul_f32_e32 v3, v37, v41
	v_fma_f32 v3, v36, v40, -v3
	v_add_f32_e32 v2, v2, v3
	s_waitcnt lgkmcnt(0)
	v_mul_f32_e32 v59, v50, v55
	v_fmac_f32_e32 v59, v51, v54
	v_add_f32_e32 v58, v58, v59
	v_mul_f32_e32 v59, v52, v57
	v_fmac_f32_e32 v59, v53, v56
	v_add_f32_e32 v66, v58, v59
	ds_read_b128 v[58:61], v118 offset:720
	v_mul_f32_e32 v3, v43, v47
	v_fma_f32 v3, v42, v46, -v3
	v_add_f32_e32 v2, v2, v3
	v_mul_f32_e32 v3, v45, v49
	s_waitcnt lgkmcnt(0)
	v_mul_f32_e32 v67, v58, v63
	v_fmac_f32_e32 v67, v59, v62
	v_add_f32_e32 v66, v66, v67
	v_mul_f32_e32 v67, v60, v65
	v_fmac_f32_e32 v67, v61, v64
	v_add_f32_e32 v74, v66, v67
	ds_read_b128 v[66:69], v118 offset:736
	v_fma_f32 v3, v44, v48, -v3
	v_add_f32_e32 v2, v2, v3
	v_mul_f32_e32 v3, v51, v55
	v_fma_f32 v3, v50, v54, -v3
	s_waitcnt lgkmcnt(0)
	v_mul_f32_e32 v75, v66, v71
	v_fmac_f32_e32 v75, v67, v70
	v_add_f32_e32 v74, v74, v75
	v_mul_f32_e32 v75, v68, v73
	v_fmac_f32_e32 v75, v69, v72
	v_add_f32_e32 v82, v74, v75
	ds_read_b128 v[74:77], v118 offset:752
	v_add_f32_e32 v2, v2, v3
	v_mul_f32_e32 v3, v53, v57
	v_fma_f32 v3, v52, v56, -v3
	v_add_f32_e32 v2, v2, v3
	s_waitcnt lgkmcnt(0)
	v_mul_f32_e32 v83, v74, v79
	v_fmac_f32_e32 v83, v75, v78
	v_add_f32_e32 v82, v82, v83
	v_mul_f32_e32 v83, v76, v81
	v_fmac_f32_e32 v83, v77, v80
	v_add_f32_e32 v90, v82, v83
	ds_read_b128 v[82:85], v118 offset:768
	v_mul_f32_e32 v3, v59, v63
	v_fma_f32 v3, v58, v62, -v3
	v_add_f32_e32 v2, v2, v3
	v_mul_f32_e32 v3, v61, v65
	;; [unrolled: 36-line block ×4, first 2 shown]
	s_waitcnt lgkmcnt(0)
	v_mul_f32_e32 v140, v132, v137
	v_fmac_f32_e32 v140, v133, v136
	v_add_f32_e32 v119, v119, v140
	v_mul_f32_e32 v140, v134, v139
	v_fmac_f32_e32 v140, v135, v138
	v_add_f32_e32 v119, v119, v140
	ds_read_b128 v[140:143], v118 offset:880
	scratch_load_dwordx4 v[182:185], off, off offset:432
	scratch_load_dwordx4 v[186:189], off, off offset:448
	scratch_load_dwordx4 v[190:193], off, off offset:464
	scratch_load_dwordx2 v[198:199], off, off offset:480
	v_fma_f32 v3, v92, v96, -v3
	v_add_f32_e32 v2, v2, v3
	v_mul_f32_e32 v3, v99, v103
	v_fma_f32 v3, v98, v102, -v3
	v_add_f32_e32 v2, v2, v3
	v_mul_f32_e32 v3, v101, v105
	;; [unrolled: 3-line block ×10, first 2 shown]
	v_fma_f32 v3, v134, v138, -v3
	s_waitcnt lgkmcnt(0)
	v_mul_f32_e32 v148, v140, v145
	v_add_f32_e32 v2, v2, v3
	v_mul_f32_e32 v3, v141, v145
	v_fmac_f32_e32 v148, v141, v144
	v_fma_f32 v3, v140, v144, -v3
	v_add_f32_e32 v119, v119, v148
	v_mul_f32_e32 v148, v142, v147
	v_add_f32_e32 v2, v2, v3
	v_mul_f32_e32 v3, v143, v147
	v_fmac_f32_e32 v148, v143, v146
	v_fma_f32 v3, v142, v146, -v3
	v_add_f32_e32 v119, v119, v148
	;; [unrolled: 6-line block ×3, first 2 shown]
	v_add_f32_e32 v148, v2, v3
	v_mul_f32_e32 v2, v169, v173
	v_fma_f32 v194, v168, v172, -v2
	v_mul_f32_e32 v2, v175, v179
	v_fma_f32 v196, v174, v178, -v2
	ds_read_b128 v[2:5], v118 offset:928
	ds_read_b128 v[6:9], v118 offset:944
	ds_read_b128 v[10:13], v118 offset:960
	ds_read_b64 v[14:15], v118 offset:976
	v_pk_add_f32 v[16:17], v[148:149], v[194:195]
	s_waitcnt vmcnt(3) lgkmcnt(3)
	v_pk_mul_f32 v[18:19], v[2:3], v[182:183] op_sel:[1,1] op_sel_hi:[0,1]
	v_pk_add_f32 v[16:17], v[16:17], v[196:197]
	s_nop 0
	v_pk_add_f32 v[16:17], v[16:17], v[20:21]
	v_pk_fma_f32 v[20:21], v[2:3], v[182:183], v[18:19] neg_lo:[0,0,1] neg_hi:[0,0,1]
	v_pk_fma_f32 v[2:3], v[2:3], v[182:183], v[18:19] op_sel_hi:[1,0,1]
	s_nop 0
	v_mov_b32_e32 v21, v3
	v_pk_add_f32 v[2:3], v[16:17], v[20:21]
	v_mov_b32_e32 v16, v185
	v_pk_mul_f32 v[16:17], v[4:5], v[16:17] op_sel:[1,0] op_sel_hi:[0,0]
	v_pk_fma_f32 v[18:19], v[4:5], v[184:185], v[16:17] neg_lo:[0,0,1] neg_hi:[0,0,1]
	v_pk_fma_f32 v[4:5], v[4:5], v[184:185], v[16:17] op_sel_hi:[1,0,1]
	s_nop 0
	v_mov_b32_e32 v19, v5
	s_waitcnt vmcnt(2) lgkmcnt(2)
	v_pk_mul_f32 v[4:5], v[6:7], v[186:187] op_sel:[1,1] op_sel_hi:[0,1]
	v_pk_fma_f32 v[16:17], v[6:7], v[186:187], v[4:5] neg_lo:[0,0,1] neg_hi:[0,0,1]
	v_pk_fma_f32 v[4:5], v[6:7], v[186:187], v[4:5] op_sel_hi:[1,0,1]
	v_pk_add_f32 v[2:3], v[2:3], v[18:19]
	v_mov_b32_e32 v4, v189
	v_mov_b32_e32 v17, v5
	v_pk_mul_f32 v[4:5], v[8:9], v[4:5] op_sel:[1,0] op_sel_hi:[0,0]
	v_pk_fma_f32 v[6:7], v[8:9], v[188:189], v[4:5] neg_lo:[0,0,1] neg_hi:[0,0,1]
	v_pk_fma_f32 v[4:5], v[8:9], v[188:189], v[4:5] op_sel_hi:[1,0,1]
	v_pk_add_f32 v[2:3], v[2:3], v[16:17]
	v_mov_b32_e32 v7, v5
	s_waitcnt vmcnt(1) lgkmcnt(1)
	v_pk_mul_f32 v[4:5], v[10:11], v[190:191] op_sel:[1,1] op_sel_hi:[0,1]
	v_pk_add_f32 v[2:3], v[2:3], v[6:7]
	v_pk_fma_f32 v[6:7], v[10:11], v[190:191], v[4:5] neg_lo:[0,0,1] neg_hi:[0,0,1]
	v_pk_fma_f32 v[4:5], v[10:11], v[190:191], v[4:5] op_sel_hi:[1,0,1]
	s_nop 0
	v_mov_b32_e32 v4, v193
	v_mov_b32_e32 v7, v5
	v_pk_mul_f32 v[4:5], v[12:13], v[4:5] op_sel:[1,0] op_sel_hi:[0,0]
	v_pk_add_f32 v[2:3], v[2:3], v[6:7]
	v_pk_fma_f32 v[6:7], v[12:13], v[192:193], v[4:5] neg_lo:[0,0,1] neg_hi:[0,0,1]
	v_pk_fma_f32 v[4:5], v[12:13], v[192:193], v[4:5] op_sel_hi:[1,0,1]
	s_nop 0
	v_mov_b32_e32 v7, v5
	s_waitcnt vmcnt(0) lgkmcnt(0)
	v_pk_mul_f32 v[4:5], v[14:15], v[198:199] op_sel:[1,1] op_sel_hi:[0,1]
	v_pk_add_f32 v[2:3], v[2:3], v[6:7]
	v_pk_fma_f32 v[6:7], v[14:15], v[198:199], v[4:5] neg_lo:[0,0,1] neg_hi:[0,0,1]
	v_pk_fma_f32 v[4:5], v[14:15], v[198:199], v[4:5] op_sel_hi:[1,0,1]
	s_nop 0
	v_mov_b32_e32 v7, v5
	scratch_load_dwordx2 v[4:5], off, off offset:104
	v_pk_add_f32 v[2:3], v[2:3], v[6:7]
	s_waitcnt vmcnt(0)
	v_pk_add_f32 v[2:3], v[4:5], v[2:3] neg_lo:[0,1] neg_hi:[0,1]
	scratch_store_dwordx2 off, v[2:3], off offset:104
	s_and_saveexec_b64 s[0:1], vcc
	s_cbranch_execz .LBB60_355
; %bb.354:
	scratch_load_dwordx2 v[2:3], off, off offset:96
	v_mov_b32_e32 v119, v118
	scratch_store_dwordx2 off, v[118:119], off offset:96
	s_waitcnt vmcnt(1)
	ds_write_b64 v1, v[2:3]
.LBB60_355:
	s_or_b64 exec, exec, s[0:1]
	s_waitcnt lgkmcnt(0)
	; wave barrier
	scratch_load_dwordx4 v[6:9], off, off offset:104
	scratch_load_dwordx4 v[14:17], off, off offset:120
	;; [unrolled: 1-line block ×10, first 2 shown]
	ds_read2_b64 v[2:5], v118 offset0:75 offset1:76
	ds_read2_b64 v[166:169], v118 offset0:111 offset1:112
	scratch_load_dwordx4 v[86:89], off, off offset:264
	scratch_load_dwordx4 v[94:97], off, off offset:280
	;; [unrolled: 1-line block ×10, first 2 shown]
	v_cmp_lt_u32_e32 vcc, 11, v0
	ds_read2_b64 v[174:177], v118 offset0:113 offset1:114
	s_waitcnt vmcnt(19) lgkmcnt(2)
	v_mul_f32_e32 v10, v2, v7
	v_fmac_f32_e32 v10, v3, v6
	v_mul_f32_e32 v11, v4, v9
	v_add_f32_e32 v10, 0, v10
	v_fmac_f32_e32 v11, v5, v8
	v_add_f32_e32 v18, v10, v11
	ds_read2_b64 v[10:13], v118 offset0:77 offset1:78
	v_mul_f32_e32 v3, v3, v7
	v_fma_f32 v2, v2, v6, -v3
	v_mul_f32_e32 v3, v5, v9
	v_add_f32_e32 v2, 0, v2
	s_waitcnt vmcnt(18) lgkmcnt(0)
	v_mul_f32_e32 v19, v10, v15
	v_fmac_f32_e32 v19, v11, v14
	v_add_f32_e32 v18, v18, v19
	v_mul_f32_e32 v19, v12, v17
	v_fmac_f32_e32 v19, v13, v16
	v_add_f32_e32 v26, v18, v19
	ds_read2_b64 v[18:21], v118 offset0:79 offset1:80
	v_fma_f32 v3, v4, v8, -v3
	v_add_f32_e32 v2, v2, v3
	v_mul_f32_e32 v3, v11, v15
	v_fma_f32 v3, v10, v14, -v3
	s_waitcnt vmcnt(17) lgkmcnt(0)
	v_mul_f32_e32 v27, v18, v23
	v_fmac_f32_e32 v27, v19, v22
	v_add_f32_e32 v26, v26, v27
	v_mul_f32_e32 v27, v20, v25
	v_fmac_f32_e32 v27, v21, v24
	v_add_f32_e32 v34, v26, v27
	ds_read2_b64 v[26:29], v118 offset0:81 offset1:82
	v_add_f32_e32 v2, v2, v3
	v_mul_f32_e32 v3, v13, v17
	v_fma_f32 v3, v12, v16, -v3
	v_add_f32_e32 v2, v2, v3
	s_waitcnt vmcnt(16) lgkmcnt(0)
	v_mul_f32_e32 v35, v26, v31
	v_fmac_f32_e32 v35, v27, v30
	v_add_f32_e32 v34, v34, v35
	v_mul_f32_e32 v35, v28, v33
	v_fmac_f32_e32 v35, v29, v32
	v_add_f32_e32 v42, v34, v35
	ds_read2_b64 v[34:37], v118 offset0:83 offset1:84
	v_mul_f32_e32 v3, v19, v23
	v_fma_f32 v3, v18, v22, -v3
	v_add_f32_e32 v2, v2, v3
	v_mul_f32_e32 v3, v21, v25
	s_waitcnt vmcnt(15) lgkmcnt(0)
	v_mul_f32_e32 v43, v34, v39
	v_fmac_f32_e32 v43, v35, v38
	v_add_f32_e32 v42, v42, v43
	v_mul_f32_e32 v43, v36, v41
	v_fmac_f32_e32 v43, v37, v40
	v_add_f32_e32 v50, v42, v43
	ds_read2_b64 v[42:45], v118 offset0:85 offset1:86
	v_fma_f32 v3, v20, v24, -v3
	v_add_f32_e32 v2, v2, v3
	v_mul_f32_e32 v3, v27, v31
	v_fma_f32 v3, v26, v30, -v3
	s_waitcnt vmcnt(14) lgkmcnt(0)
	v_mul_f32_e32 v51, v42, v47
	v_fmac_f32_e32 v51, v43, v46
	v_add_f32_e32 v50, v50, v51
	v_mul_f32_e32 v51, v44, v49
	v_fmac_f32_e32 v51, v45, v48
	v_add_f32_e32 v58, v50, v51
	ds_read2_b64 v[50:53], v118 offset0:87 offset1:88
	v_add_f32_e32 v2, v2, v3
	v_mul_f32_e32 v3, v29, v33
	v_fma_f32 v3, v28, v32, -v3
	v_add_f32_e32 v2, v2, v3
	s_waitcnt vmcnt(13) lgkmcnt(0)
	v_mul_f32_e32 v59, v50, v55
	v_fmac_f32_e32 v59, v51, v54
	v_add_f32_e32 v58, v58, v59
	v_mul_f32_e32 v59, v52, v57
	v_fmac_f32_e32 v59, v53, v56
	v_add_f32_e32 v66, v58, v59
	ds_read2_b64 v[58:61], v118 offset0:89 offset1:90
	v_mul_f32_e32 v3, v35, v39
	v_fma_f32 v3, v34, v38, -v3
	v_add_f32_e32 v2, v2, v3
	v_mul_f32_e32 v3, v37, v41
	;; [unrolled: 36-line block ×5, first 2 shown]
	s_waitcnt vmcnt(3) lgkmcnt(0)
	v_mul_f32_e32 v140, v132, v137
	v_fmac_f32_e32 v140, v133, v136
	v_add_f32_e32 v119, v119, v140
	v_mul_f32_e32 v140, v134, v139
	v_fmac_f32_e32 v140, v135, v138
	v_add_f32_e32 v119, v119, v140
	ds_read2_b64 v[140:143], v118 offset0:109 offset1:110
	scratch_load_dwordx4 v[182:185], off, off offset:424
	scratch_load_dwordx4 v[186:189], off, off offset:440
	;; [unrolled: 1-line block ×4, first 2 shown]
	v_fma_f32 v3, v84, v88, -v3
	v_add_f32_e32 v2, v2, v3
	v_mul_f32_e32 v3, v91, v95
	v_fma_f32 v3, v90, v94, -v3
	v_add_f32_e32 v2, v2, v3
	v_mul_f32_e32 v3, v93, v97
	;; [unrolled: 3-line block ×12, first 2 shown]
	v_fma_f32 v3, v134, v138, -v3
	s_waitcnt vmcnt(6) lgkmcnt(0)
	v_mul_f32_e32 v148, v140, v145
	v_add_f32_e32 v2, v2, v3
	v_mul_f32_e32 v3, v141, v145
	v_fmac_f32_e32 v148, v141, v144
	v_fma_f32 v3, v140, v144, -v3
	v_add_f32_e32 v119, v119, v148
	v_mul_f32_e32 v148, v142, v147
	v_add_f32_e32 v2, v2, v3
	v_mul_f32_e32 v3, v143, v147
	v_fmac_f32_e32 v148, v143, v146
	v_fma_f32 v3, v142, v146, -v3
	v_add_f32_e32 v119, v119, v148
	s_waitcnt vmcnt(5)
	v_mul_f32_e32 v148, v166, v171
	v_add_f32_e32 v2, v2, v3
	v_mul_f32_e32 v3, v167, v171
	v_fmac_f32_e32 v148, v167, v170
	v_fma_f32 v3, v166, v170, -v3
	v_add_f32_e32 v119, v119, v148
	v_mul_f32_e32 v148, v168, v173
	v_add_f32_e32 v2, v2, v3
	v_mul_f32_e32 v3, v169, v173
	v_fmac_f32_e32 v148, v169, v172
	v_fma_f32 v3, v168, v172, -v3
	v_add_f32_e32 v149, v119, v148
	v_add_f32_e32 v148, v2, v3
	s_waitcnt vmcnt(4)
	v_mul_f32_e32 v2, v175, v179
	v_fma_f32 v198, v174, v178, -v2
	v_mul_f32_e32 v2, v177, v181
	v_fma_f32 v200, v176, v180, -v2
	ds_read2_b64 v[2:5], v118 offset0:115 offset1:116
	ds_read2_b64 v[6:9], v118 offset0:117 offset1:118
	;; [unrolled: 1-line block ×4, first 2 shown]
	v_mul_f32_e32 v199, v174, v179
	v_fmac_f32_e32 v199, v175, v178
	v_mul_f32_e32 v201, v176, v181
	v_fmac_f32_e32 v201, v177, v180
	v_pk_add_f32 v[18:19], v[148:149], v[198:199]
	s_waitcnt vmcnt(3) lgkmcnt(3)
	v_pk_mul_f32 v[20:21], v[2:3], v[182:183] op_sel:[1,1] op_sel_hi:[0,1]
	v_pk_fma_f32 v[22:23], v[2:3], v[182:183], v[20:21] neg_lo:[0,0,1] neg_hi:[0,0,1]
	v_pk_fma_f32 v[2:3], v[2:3], v[182:183], v[20:21] op_sel_hi:[1,0,1]
	v_pk_add_f32 v[18:19], v[18:19], v[200:201]
	v_mov_b32_e32 v23, v3
	v_pk_add_f32 v[2:3], v[18:19], v[22:23]
	v_mov_b32_e32 v18, v185
	v_pk_mul_f32 v[18:19], v[4:5], v[18:19] op_sel:[1,0] op_sel_hi:[0,0]
	v_pk_fma_f32 v[20:21], v[4:5], v[184:185], v[18:19] neg_lo:[0,0,1] neg_hi:[0,0,1]
	v_pk_fma_f32 v[4:5], v[4:5], v[184:185], v[18:19] op_sel_hi:[1,0,1]
	s_nop 0
	v_mov_b32_e32 v21, v5
	s_waitcnt vmcnt(2) lgkmcnt(2)
	v_pk_mul_f32 v[4:5], v[6:7], v[186:187] op_sel:[1,1] op_sel_hi:[0,1]
	v_pk_fma_f32 v[18:19], v[6:7], v[186:187], v[4:5] neg_lo:[0,0,1] neg_hi:[0,0,1]
	v_pk_fma_f32 v[4:5], v[6:7], v[186:187], v[4:5] op_sel_hi:[1,0,1]
	v_pk_add_f32 v[2:3], v[2:3], v[20:21]
	v_mov_b32_e32 v4, v189
	v_mov_b32_e32 v19, v5
	v_pk_mul_f32 v[4:5], v[8:9], v[4:5] op_sel:[1,0] op_sel_hi:[0,0]
	v_pk_fma_f32 v[6:7], v[8:9], v[188:189], v[4:5] neg_lo:[0,0,1] neg_hi:[0,0,1]
	v_pk_fma_f32 v[4:5], v[8:9], v[188:189], v[4:5] op_sel_hi:[1,0,1]
	v_pk_add_f32 v[2:3], v[2:3], v[18:19]
	v_mov_b32_e32 v7, v5
	s_waitcnt vmcnt(1) lgkmcnt(1)
	v_pk_mul_f32 v[4:5], v[10:11], v[190:191] op_sel:[1,1] op_sel_hi:[0,1]
	v_pk_add_f32 v[2:3], v[2:3], v[6:7]
	v_pk_fma_f32 v[6:7], v[10:11], v[190:191], v[4:5] neg_lo:[0,0,1] neg_hi:[0,0,1]
	v_pk_fma_f32 v[4:5], v[10:11], v[190:191], v[4:5] op_sel_hi:[1,0,1]
	s_nop 0
	v_mov_b32_e32 v4, v193
	v_mov_b32_e32 v7, v5
	v_pk_mul_f32 v[4:5], v[12:13], v[4:5] op_sel:[1,0] op_sel_hi:[0,0]
	v_pk_add_f32 v[2:3], v[2:3], v[6:7]
	v_pk_fma_f32 v[6:7], v[12:13], v[192:193], v[4:5] neg_lo:[0,0,1] neg_hi:[0,0,1]
	v_pk_fma_f32 v[4:5], v[12:13], v[192:193], v[4:5] op_sel_hi:[1,0,1]
	s_nop 0
	v_mov_b32_e32 v7, v5
	s_waitcnt vmcnt(0) lgkmcnt(0)
	v_pk_mul_f32 v[4:5], v[14:15], v[194:195] op_sel:[1,1] op_sel_hi:[0,1]
	v_pk_add_f32 v[2:3], v[2:3], v[6:7]
	v_pk_fma_f32 v[6:7], v[14:15], v[194:195], v[4:5] neg_lo:[0,0,1] neg_hi:[0,0,1]
	v_pk_fma_f32 v[4:5], v[14:15], v[194:195], v[4:5] op_sel_hi:[1,0,1]
	s_nop 0
	v_mov_b32_e32 v4, v197
	v_mov_b32_e32 v7, v5
	v_pk_mul_f32 v[4:5], v[16:17], v[4:5] op_sel:[1,0] op_sel_hi:[0,0]
	v_pk_add_f32 v[2:3], v[2:3], v[6:7]
	v_pk_fma_f32 v[6:7], v[16:17], v[196:197], v[4:5] neg_lo:[0,0,1] neg_hi:[0,0,1]
	v_pk_fma_f32 v[4:5], v[16:17], v[196:197], v[4:5] op_sel_hi:[1,0,1]
	s_nop 0
	v_mov_b32_e32 v7, v5
	scratch_load_dwordx2 v[4:5], off, off offset:96
	v_pk_add_f32 v[2:3], v[2:3], v[6:7]
	s_waitcnt vmcnt(0)
	v_pk_add_f32 v[2:3], v[4:5], v[2:3] neg_lo:[0,1] neg_hi:[0,1]
	scratch_store_dwordx2 off, v[2:3], off offset:96
	s_and_saveexec_b64 s[0:1], vcc
	s_cbranch_execz .LBB60_357
; %bb.356:
	scratch_load_dwordx2 v[2:3], off, off offset:88
	v_mov_b32_e32 v4, 0
	v_mov_b32_e32 v5, v4
	scratch_store_dwordx2 off, v[4:5], off offset:88
	s_waitcnt vmcnt(1)
	ds_write_b64 v1, v[2:3]
.LBB60_357:
	s_or_b64 exec, exec, s[0:1]
	v_mov_b32_e32 v134, 0
	s_waitcnt lgkmcnt(0)
	; wave barrier
	ds_read_b128 v[14:17], v134 offset:592
	ds_read_b128 v[10:13], v134 offset:608
	;; [unrolled: 1-line block ×4, first 2 shown]
	scratch_load_dwordx4 v[18:21], off, off offset:96
	scratch_load_dwordx4 v[38:41], off, off offset:160
	;; [unrolled: 1-line block ×15, first 2 shown]
	v_cmp_lt_u32_e32 vcc, 10, v0
	scratch_load_dwordx4 v[46:49], off, off offset:176
	scratch_load_dwordx4 v[54:57], off, off offset:192
	;; [unrolled: 1-line block ×3, first 2 shown]
	ds_read_b128 v[166:169], v134 offset:880
	ds_read_b128 v[174:177], v134 offset:896
	;; [unrolled: 1-line block ×3, first 2 shown]
	s_waitcnt vmcnt(17) lgkmcnt(6)
	v_mul_f32_e32 v22, v14, v19
	v_fmac_f32_e32 v22, v15, v18
	v_mul_f32_e32 v23, v16, v21
	v_add_f32_e32 v22, 0, v22
	v_fmac_f32_e32 v23, v17, v20
	v_add_f32_e32 v26, v22, v23
	scratch_load_dwordx4 v[22:25], off, off offset:112
	v_mul_f32_e32 v15, v15, v19
	v_fma_f32 v14, v14, v18, -v15
	v_mul_f32_e32 v15, v17, v21
	v_add_f32_e32 v14, 0, v14
	v_fma_f32 v15, v16, v20, -v15
	v_add_f32_e32 v14, v14, v15
	s_waitcnt vmcnt(5) lgkmcnt(1)
	v_mul_f32_e32 v203, v176, v181
	s_waitcnt vmcnt(4)
	v_mov_b32_e32 v18, v189
	v_fmac_f32_e32 v203, v177, v180
	s_waitcnt lgkmcnt(0)
	v_mul_f32_e32 v205, v182, v187
	v_pk_mul_f32 v[18:19], v[184:185], v[18:19] op_sel:[1,0] op_sel_hi:[0,0]
	v_fmac_f32_e32 v205, v183, v186
	v_pk_fma_f32 v[20:21], v[184:185], v[188:189], v[18:19] neg_lo:[0,0,1] neg_hi:[0,0,1]
	v_pk_fma_f32 v[18:19], v[184:185], v[188:189], v[18:19] op_sel_hi:[1,0,1]
	s_waitcnt vmcnt(0)
	v_mul_f32_e32 v27, v10, v23
	v_fmac_f32_e32 v27, v11, v22
	v_add_f32_e32 v26, v26, v27
	v_mul_f32_e32 v27, v12, v25
	v_fmac_f32_e32 v27, v13, v24
	v_add_f32_e32 v30, v26, v27
	scratch_load_dwordx4 v[26:29], off, off offset:128
	v_mul_f32_e32 v11, v11, v23
	v_fma_f32 v10, v10, v22, -v11
	v_mul_f32_e32 v11, v13, v25
	v_add_f32_e32 v10, v14, v10
	v_fma_f32 v11, v12, v24, -v11
	v_add_f32_e32 v10, v10, v11
	v_mov_b32_e32 v21, v19
	s_waitcnt vmcnt(0)
	v_mul_f32_e32 v31, v6, v27
	v_fmac_f32_e32 v31, v7, v26
	v_add_f32_e32 v30, v30, v31
	v_mul_f32_e32 v31, v8, v29
	v_fmac_f32_e32 v31, v9, v28
	v_add_f32_e32 v34, v30, v31
	scratch_load_dwordx4 v[30:33], off, off offset:144
	v_mul_f32_e32 v7, v7, v27
	v_fma_f32 v6, v6, v26, -v7
	v_mul_f32_e32 v7, v9, v29
	v_add_f32_e32 v6, v10, v6
	v_fma_f32 v7, v8, v28, -v7
	v_add_f32_e32 v6, v6, v7
	s_waitcnt vmcnt(0)
	v_mul_f32_e32 v35, v2, v31
	v_fmac_f32_e32 v35, v3, v30
	v_add_f32_e32 v34, v34, v35
	v_mul_f32_e32 v35, v4, v33
	v_fmac_f32_e32 v35, v5, v32
	v_add_f32_e32 v42, v34, v35
	ds_read_b128 v[34:37], v134 offset:656
	v_mul_f32_e32 v3, v3, v31
	v_fma_f32 v2, v2, v30, -v3
	v_mul_f32_e32 v3, v5, v33
	v_add_f32_e32 v2, v6, v2
	s_waitcnt lgkmcnt(0)
	v_mul_f32_e32 v43, v34, v39
	v_fmac_f32_e32 v43, v35, v38
	v_add_f32_e32 v42, v42, v43
	v_mul_f32_e32 v43, v36, v41
	v_fmac_f32_e32 v43, v37, v40
	v_add_f32_e32 v50, v42, v43
	ds_read_b128 v[42:45], v134 offset:672
	v_fma_f32 v3, v4, v32, -v3
	v_add_f32_e32 v2, v2, v3
	v_mul_f32_e32 v3, v35, v39
	v_fma_f32 v3, v34, v38, -v3
	s_waitcnt lgkmcnt(0)
	v_mul_f32_e32 v51, v42, v47
	v_fmac_f32_e32 v51, v43, v46
	v_add_f32_e32 v50, v50, v51
	v_mul_f32_e32 v51, v44, v49
	v_fmac_f32_e32 v51, v45, v48
	v_add_f32_e32 v58, v50, v51
	ds_read_b128 v[50:53], v134 offset:688
	v_add_f32_e32 v2, v2, v3
	v_mul_f32_e32 v3, v37, v41
	v_fma_f32 v3, v36, v40, -v3
	v_add_f32_e32 v2, v2, v3
	s_waitcnt lgkmcnt(0)
	v_mul_f32_e32 v59, v50, v55
	v_fmac_f32_e32 v59, v51, v54
	v_add_f32_e32 v58, v58, v59
	v_mul_f32_e32 v59, v52, v57
	v_fmac_f32_e32 v59, v53, v56
	v_add_f32_e32 v66, v58, v59
	ds_read_b128 v[58:61], v134 offset:704
	v_mul_f32_e32 v3, v43, v47
	v_fma_f32 v3, v42, v46, -v3
	v_add_f32_e32 v2, v2, v3
	v_mul_f32_e32 v3, v45, v49
	s_waitcnt lgkmcnt(0)
	v_mul_f32_e32 v67, v58, v63
	v_fmac_f32_e32 v67, v59, v62
	v_add_f32_e32 v66, v66, v67
	v_mul_f32_e32 v67, v60, v65
	v_fmac_f32_e32 v67, v61, v64
	v_add_f32_e32 v74, v66, v67
	ds_read_b128 v[66:69], v134 offset:720
	v_fma_f32 v3, v44, v48, -v3
	v_add_f32_e32 v2, v2, v3
	v_mul_f32_e32 v3, v51, v55
	v_fma_f32 v3, v50, v54, -v3
	s_waitcnt lgkmcnt(0)
	v_mul_f32_e32 v75, v66, v71
	v_fmac_f32_e32 v75, v67, v70
	v_add_f32_e32 v74, v74, v75
	v_mul_f32_e32 v75, v68, v73
	v_fmac_f32_e32 v75, v69, v72
	v_add_f32_e32 v82, v74, v75
	ds_read_b128 v[74:77], v134 offset:736
	v_add_f32_e32 v2, v2, v3
	v_mul_f32_e32 v3, v53, v57
	v_fma_f32 v3, v52, v56, -v3
	v_add_f32_e32 v2, v2, v3
	s_waitcnt lgkmcnt(0)
	v_mul_f32_e32 v83, v74, v79
	v_fmac_f32_e32 v83, v75, v78
	v_add_f32_e32 v82, v82, v83
	v_mul_f32_e32 v83, v76, v81
	v_fmac_f32_e32 v83, v77, v80
	v_add_f32_e32 v90, v82, v83
	ds_read_b128 v[82:85], v134 offset:752
	v_mul_f32_e32 v3, v59, v63
	v_fma_f32 v3, v58, v62, -v3
	v_add_f32_e32 v2, v2, v3
	v_mul_f32_e32 v3, v61, v65
	;; [unrolled: 36-line block ×4, first 2 shown]
	s_waitcnt lgkmcnt(0)
	v_mul_f32_e32 v140, v130, v137
	v_fmac_f32_e32 v140, v131, v136
	v_add_f32_e32 v135, v135, v140
	v_mul_f32_e32 v140, v132, v139
	v_fmac_f32_e32 v140, v133, v138
	v_add_f32_e32 v135, v135, v140
	ds_read_b128 v[140:143], v134 offset:864
	scratch_load_dwordx4 v[190:193], off, off offset:432
	scratch_load_dwordx4 v[194:197], off, off offset:448
	;; [unrolled: 1-line block ×3, first 2 shown]
	scratch_load_dwordx2 v[206:207], off, off offset:480
	v_fma_f32 v3, v92, v96, -v3
	v_add_f32_e32 v2, v2, v3
	v_mul_f32_e32 v3, v99, v103
	v_fma_f32 v3, v98, v102, -v3
	v_add_f32_e32 v2, v2, v3
	v_mul_f32_e32 v3, v101, v105
	;; [unrolled: 3-line block ×10, first 2 shown]
	v_fma_f32 v3, v132, v138, -v3
	s_waitcnt lgkmcnt(0)
	v_mul_f32_e32 v148, v140, v145
	v_add_f32_e32 v2, v2, v3
	v_mul_f32_e32 v3, v141, v145
	v_fmac_f32_e32 v148, v141, v144
	v_fma_f32 v3, v140, v144, -v3
	v_add_f32_e32 v135, v135, v148
	v_mul_f32_e32 v148, v142, v147
	v_add_f32_e32 v2, v2, v3
	v_mul_f32_e32 v3, v143, v147
	v_fmac_f32_e32 v148, v143, v146
	v_fma_f32 v3, v142, v146, -v3
	v_add_f32_e32 v135, v135, v148
	;; [unrolled: 6-line block ×5, first 2 shown]
	v_add_f32_e32 v148, v2, v3
	v_mul_f32_e32 v2, v177, v181
	v_fma_f32 v202, v176, v180, -v2
	v_mul_f32_e32 v2, v183, v187
	v_fma_f32 v204, v182, v186, -v2
	ds_read_b128 v[2:5], v134 offset:928
	ds_read_b128 v[6:9], v134 offset:944
	;; [unrolled: 1-line block ×3, first 2 shown]
	ds_read_b64 v[14:15], v134 offset:976
	v_pk_add_f32 v[16:17], v[148:149], v[202:203]
	s_waitcnt vmcnt(3) lgkmcnt(3)
	v_pk_mul_f32 v[18:19], v[2:3], v[190:191] op_sel:[1,1] op_sel_hi:[0,1]
	v_pk_add_f32 v[16:17], v[16:17], v[204:205]
	s_nop 0
	v_pk_add_f32 v[16:17], v[16:17], v[20:21]
	v_pk_fma_f32 v[20:21], v[2:3], v[190:191], v[18:19] neg_lo:[0,0,1] neg_hi:[0,0,1]
	v_pk_fma_f32 v[2:3], v[2:3], v[190:191], v[18:19] op_sel_hi:[1,0,1]
	s_nop 0
	v_mov_b32_e32 v21, v3
	v_pk_add_f32 v[2:3], v[16:17], v[20:21]
	v_mov_b32_e32 v16, v193
	v_pk_mul_f32 v[16:17], v[4:5], v[16:17] op_sel:[1,0] op_sel_hi:[0,0]
	v_pk_fma_f32 v[18:19], v[4:5], v[192:193], v[16:17] neg_lo:[0,0,1] neg_hi:[0,0,1]
	v_pk_fma_f32 v[4:5], v[4:5], v[192:193], v[16:17] op_sel_hi:[1,0,1]
	s_nop 0
	v_mov_b32_e32 v19, v5
	s_waitcnt vmcnt(2) lgkmcnt(2)
	v_pk_mul_f32 v[4:5], v[6:7], v[194:195] op_sel:[1,1] op_sel_hi:[0,1]
	v_pk_fma_f32 v[16:17], v[6:7], v[194:195], v[4:5] neg_lo:[0,0,1] neg_hi:[0,0,1]
	v_pk_fma_f32 v[4:5], v[6:7], v[194:195], v[4:5] op_sel_hi:[1,0,1]
	v_pk_add_f32 v[2:3], v[2:3], v[18:19]
	v_mov_b32_e32 v4, v197
	v_mov_b32_e32 v17, v5
	v_pk_mul_f32 v[4:5], v[8:9], v[4:5] op_sel:[1,0] op_sel_hi:[0,0]
	v_pk_fma_f32 v[6:7], v[8:9], v[196:197], v[4:5] neg_lo:[0,0,1] neg_hi:[0,0,1]
	v_pk_fma_f32 v[4:5], v[8:9], v[196:197], v[4:5] op_sel_hi:[1,0,1]
	v_pk_add_f32 v[2:3], v[2:3], v[16:17]
	v_mov_b32_e32 v7, v5
	s_waitcnt vmcnt(1) lgkmcnt(1)
	v_pk_mul_f32 v[4:5], v[10:11], v[198:199] op_sel:[1,1] op_sel_hi:[0,1]
	v_pk_add_f32 v[2:3], v[2:3], v[6:7]
	v_pk_fma_f32 v[6:7], v[10:11], v[198:199], v[4:5] neg_lo:[0,0,1] neg_hi:[0,0,1]
	v_pk_fma_f32 v[4:5], v[10:11], v[198:199], v[4:5] op_sel_hi:[1,0,1]
	s_nop 0
	v_mov_b32_e32 v4, v201
	v_mov_b32_e32 v7, v5
	v_pk_mul_f32 v[4:5], v[12:13], v[4:5] op_sel:[1,0] op_sel_hi:[0,0]
	v_pk_add_f32 v[2:3], v[2:3], v[6:7]
	v_pk_fma_f32 v[6:7], v[12:13], v[200:201], v[4:5] neg_lo:[0,0,1] neg_hi:[0,0,1]
	v_pk_fma_f32 v[4:5], v[12:13], v[200:201], v[4:5] op_sel_hi:[1,0,1]
	s_nop 0
	v_mov_b32_e32 v7, v5
	s_waitcnt vmcnt(0) lgkmcnt(0)
	v_pk_mul_f32 v[4:5], v[14:15], v[206:207] op_sel:[1,1] op_sel_hi:[0,1]
	v_pk_add_f32 v[2:3], v[2:3], v[6:7]
	v_pk_fma_f32 v[6:7], v[14:15], v[206:207], v[4:5] neg_lo:[0,0,1] neg_hi:[0,0,1]
	v_pk_fma_f32 v[4:5], v[14:15], v[206:207], v[4:5] op_sel_hi:[1,0,1]
	s_nop 0
	v_mov_b32_e32 v7, v5
	scratch_load_dwordx2 v[4:5], off, off offset:88
	v_pk_add_f32 v[2:3], v[2:3], v[6:7]
	s_waitcnt vmcnt(0)
	v_pk_add_f32 v[2:3], v[4:5], v[2:3] neg_lo:[0,1] neg_hi:[0,1]
	scratch_store_dwordx2 off, v[2:3], off offset:88
	s_and_saveexec_b64 s[0:1], vcc
	s_cbranch_execz .LBB60_359
; %bb.358:
	scratch_load_dwordx2 v[2:3], off, off offset:80
	v_mov_b32_e32 v135, v134
	scratch_store_dwordx2 off, v[134:135], off offset:80
	s_waitcnt vmcnt(1)
	ds_write_b64 v1, v[2:3]
.LBB60_359:
	s_or_b64 exec, exec, s[0:1]
	s_waitcnt lgkmcnt(0)
	; wave barrier
	scratch_load_dwordx4 v[6:9], off, off offset:88
	scratch_load_dwordx4 v[14:17], off, off offset:104
	;; [unrolled: 1-line block ×10, first 2 shown]
	ds_read2_b64 v[2:5], v134 offset0:73 offset1:74
	ds_read2_b64 v[166:169], v134 offset0:109 offset1:110
	scratch_load_dwordx4 v[86:89], off, off offset:248
	scratch_load_dwordx4 v[94:97], off, off offset:264
	;; [unrolled: 1-line block ×11, first 2 shown]
	v_cmp_lt_u32_e32 vcc, 9, v0
	ds_read2_b64 v[174:177], v134 offset0:111 offset1:112
	ds_read2_b64 v[182:185], v134 offset0:113 offset1:114
	s_waitcnt vmcnt(20) lgkmcnt(3)
	v_mul_f32_e32 v10, v2, v7
	v_fmac_f32_e32 v10, v3, v6
	v_mul_f32_e32 v11, v4, v9
	v_add_f32_e32 v10, 0, v10
	v_fmac_f32_e32 v11, v5, v8
	v_add_f32_e32 v18, v10, v11
	ds_read2_b64 v[10:13], v134 offset0:75 offset1:76
	v_mul_f32_e32 v3, v3, v7
	v_fma_f32 v2, v2, v6, -v3
	v_mul_f32_e32 v3, v5, v9
	v_add_f32_e32 v2, 0, v2
	s_waitcnt vmcnt(19) lgkmcnt(0)
	v_mul_f32_e32 v19, v10, v15
	v_fmac_f32_e32 v19, v11, v14
	v_add_f32_e32 v18, v18, v19
	v_mul_f32_e32 v19, v12, v17
	v_fmac_f32_e32 v19, v13, v16
	v_add_f32_e32 v26, v18, v19
	ds_read2_b64 v[18:21], v134 offset0:77 offset1:78
	v_fma_f32 v3, v4, v8, -v3
	v_add_f32_e32 v2, v2, v3
	v_mul_f32_e32 v3, v11, v15
	v_fma_f32 v3, v10, v14, -v3
	s_waitcnt vmcnt(18) lgkmcnt(0)
	v_mul_f32_e32 v27, v18, v23
	v_fmac_f32_e32 v27, v19, v22
	v_add_f32_e32 v26, v26, v27
	v_mul_f32_e32 v27, v20, v25
	v_fmac_f32_e32 v27, v21, v24
	v_add_f32_e32 v34, v26, v27
	ds_read2_b64 v[26:29], v134 offset0:79 offset1:80
	v_add_f32_e32 v2, v2, v3
	v_mul_f32_e32 v3, v13, v17
	v_fma_f32 v3, v12, v16, -v3
	v_add_f32_e32 v2, v2, v3
	s_waitcnt vmcnt(17) lgkmcnt(0)
	v_mul_f32_e32 v35, v26, v31
	v_fmac_f32_e32 v35, v27, v30
	v_add_f32_e32 v34, v34, v35
	v_mul_f32_e32 v35, v28, v33
	v_fmac_f32_e32 v35, v29, v32
	v_add_f32_e32 v42, v34, v35
	ds_read2_b64 v[34:37], v134 offset0:81 offset1:82
	v_mul_f32_e32 v3, v19, v23
	v_fma_f32 v3, v18, v22, -v3
	v_add_f32_e32 v2, v2, v3
	v_mul_f32_e32 v3, v21, v25
	s_waitcnt vmcnt(16) lgkmcnt(0)
	v_mul_f32_e32 v43, v34, v39
	v_fmac_f32_e32 v43, v35, v38
	v_add_f32_e32 v42, v42, v43
	v_mul_f32_e32 v43, v36, v41
	v_fmac_f32_e32 v43, v37, v40
	v_add_f32_e32 v50, v42, v43
	ds_read2_b64 v[42:45], v134 offset0:83 offset1:84
	v_fma_f32 v3, v20, v24, -v3
	v_add_f32_e32 v2, v2, v3
	v_mul_f32_e32 v3, v27, v31
	v_fma_f32 v3, v26, v30, -v3
	s_waitcnt vmcnt(15) lgkmcnt(0)
	v_mul_f32_e32 v51, v42, v47
	v_fmac_f32_e32 v51, v43, v46
	v_add_f32_e32 v50, v50, v51
	v_mul_f32_e32 v51, v44, v49
	v_fmac_f32_e32 v51, v45, v48
	v_add_f32_e32 v58, v50, v51
	ds_read2_b64 v[50:53], v134 offset0:85 offset1:86
	v_add_f32_e32 v2, v2, v3
	v_mul_f32_e32 v3, v29, v33
	v_fma_f32 v3, v28, v32, -v3
	v_add_f32_e32 v2, v2, v3
	s_waitcnt vmcnt(14) lgkmcnt(0)
	v_mul_f32_e32 v59, v50, v55
	v_fmac_f32_e32 v59, v51, v54
	v_add_f32_e32 v58, v58, v59
	v_mul_f32_e32 v59, v52, v57
	v_fmac_f32_e32 v59, v53, v56
	v_add_f32_e32 v66, v58, v59
	ds_read2_b64 v[58:61], v134 offset0:87 offset1:88
	v_mul_f32_e32 v3, v35, v39
	v_fma_f32 v3, v34, v38, -v3
	v_add_f32_e32 v2, v2, v3
	v_mul_f32_e32 v3, v37, v41
	;; [unrolled: 36-line block ×5, first 2 shown]
	s_waitcnt vmcnt(4) lgkmcnt(0)
	v_mul_f32_e32 v140, v130, v137
	v_fmac_f32_e32 v140, v131, v136
	v_add_f32_e32 v135, v135, v140
	v_mul_f32_e32 v140, v132, v139
	v_fmac_f32_e32 v140, v133, v138
	v_add_f32_e32 v135, v135, v140
	ds_read2_b64 v[140:143], v134 offset0:107 offset1:108
	scratch_load_dwordx4 v[190:193], off, off offset:424
	scratch_load_dwordx4 v[194:197], off, off offset:440
	;; [unrolled: 1-line block ×4, first 2 shown]
	v_fma_f32 v3, v84, v88, -v3
	v_add_f32_e32 v2, v2, v3
	v_mul_f32_e32 v3, v91, v95
	v_fma_f32 v3, v90, v94, -v3
	v_add_f32_e32 v2, v2, v3
	v_mul_f32_e32 v3, v93, v97
	;; [unrolled: 3-line block ×12, first 2 shown]
	v_fma_f32 v3, v132, v138, -v3
	s_waitcnt vmcnt(7) lgkmcnt(0)
	v_mul_f32_e32 v148, v140, v145
	v_add_f32_e32 v2, v2, v3
	v_mul_f32_e32 v3, v141, v145
	v_fmac_f32_e32 v148, v141, v144
	v_fma_f32 v3, v140, v144, -v3
	v_add_f32_e32 v135, v135, v148
	v_mul_f32_e32 v148, v142, v147
	v_add_f32_e32 v2, v2, v3
	v_mul_f32_e32 v3, v143, v147
	v_fmac_f32_e32 v148, v143, v146
	v_fma_f32 v3, v142, v146, -v3
	v_add_f32_e32 v135, v135, v148
	s_waitcnt vmcnt(6)
	v_mul_f32_e32 v148, v166, v171
	v_add_f32_e32 v2, v2, v3
	v_mul_f32_e32 v3, v167, v171
	v_fmac_f32_e32 v148, v167, v170
	v_fma_f32 v3, v166, v170, -v3
	v_add_f32_e32 v135, v135, v148
	v_mul_f32_e32 v148, v168, v173
	v_add_f32_e32 v2, v2, v3
	v_mul_f32_e32 v3, v169, v173
	v_fmac_f32_e32 v148, v169, v172
	v_fma_f32 v3, v168, v172, -v3
	v_add_f32_e32 v135, v135, v148
	s_waitcnt vmcnt(5)
	v_mul_f32_e32 v148, v174, v179
	v_add_f32_e32 v2, v2, v3
	v_mul_f32_e32 v3, v175, v179
	v_fmac_f32_e32 v148, v175, v178
	v_fma_f32 v3, v174, v178, -v3
	v_add_f32_e32 v135, v135, v148
	v_mul_f32_e32 v148, v176, v181
	v_add_f32_e32 v2, v2, v3
	v_mul_f32_e32 v3, v177, v181
	v_fmac_f32_e32 v148, v177, v180
	v_fma_f32 v3, v176, v180, -v3
	v_add_f32_e32 v149, v135, v148
	v_add_f32_e32 v148, v2, v3
	s_waitcnt vmcnt(4)
	v_mul_f32_e32 v2, v183, v187
	v_fma_f32 v206, v182, v186, -v2
	v_mul_f32_e32 v2, v185, v189
	v_fma_f32 v208, v184, v188, -v2
	ds_read2_b64 v[2:5], v134 offset0:115 offset1:116
	ds_read2_b64 v[6:9], v134 offset0:117 offset1:118
	;; [unrolled: 1-line block ×4, first 2 shown]
	v_mul_f32_e32 v207, v182, v187
	v_fmac_f32_e32 v207, v183, v186
	v_mul_f32_e32 v209, v184, v189
	s_waitcnt vmcnt(3) lgkmcnt(3)
	v_pk_mul_f32 v[20:21], v[2:3], v[190:191] op_sel:[1,1] op_sel_hi:[0,1]
	v_fmac_f32_e32 v209, v185, v188
	v_pk_add_f32 v[18:19], v[148:149], v[206:207]
	v_pk_fma_f32 v[22:23], v[2:3], v[190:191], v[20:21] neg_lo:[0,0,1] neg_hi:[0,0,1]
	v_pk_fma_f32 v[2:3], v[2:3], v[190:191], v[20:21] op_sel_hi:[1,0,1]
	v_pk_add_f32 v[18:19], v[18:19], v[208:209]
	v_mov_b32_e32 v23, v3
	v_pk_add_f32 v[2:3], v[18:19], v[22:23]
	v_mov_b32_e32 v18, v193
	v_pk_mul_f32 v[18:19], v[4:5], v[18:19] op_sel:[1,0] op_sel_hi:[0,0]
	v_pk_fma_f32 v[20:21], v[4:5], v[192:193], v[18:19] neg_lo:[0,0,1] neg_hi:[0,0,1]
	v_pk_fma_f32 v[4:5], v[4:5], v[192:193], v[18:19] op_sel_hi:[1,0,1]
	s_nop 0
	v_mov_b32_e32 v21, v5
	s_waitcnt vmcnt(2) lgkmcnt(2)
	v_pk_mul_f32 v[4:5], v[6:7], v[194:195] op_sel:[1,1] op_sel_hi:[0,1]
	v_pk_fma_f32 v[18:19], v[6:7], v[194:195], v[4:5] neg_lo:[0,0,1] neg_hi:[0,0,1]
	v_pk_fma_f32 v[4:5], v[6:7], v[194:195], v[4:5] op_sel_hi:[1,0,1]
	v_pk_add_f32 v[2:3], v[2:3], v[20:21]
	v_mov_b32_e32 v4, v197
	v_mov_b32_e32 v19, v5
	v_pk_mul_f32 v[4:5], v[8:9], v[4:5] op_sel:[1,0] op_sel_hi:[0,0]
	v_pk_fma_f32 v[6:7], v[8:9], v[196:197], v[4:5] neg_lo:[0,0,1] neg_hi:[0,0,1]
	v_pk_fma_f32 v[4:5], v[8:9], v[196:197], v[4:5] op_sel_hi:[1,0,1]
	v_pk_add_f32 v[2:3], v[2:3], v[18:19]
	v_mov_b32_e32 v7, v5
	s_waitcnt vmcnt(1) lgkmcnt(1)
	v_pk_mul_f32 v[4:5], v[10:11], v[198:199] op_sel:[1,1] op_sel_hi:[0,1]
	v_pk_add_f32 v[2:3], v[2:3], v[6:7]
	v_pk_fma_f32 v[6:7], v[10:11], v[198:199], v[4:5] neg_lo:[0,0,1] neg_hi:[0,0,1]
	v_pk_fma_f32 v[4:5], v[10:11], v[198:199], v[4:5] op_sel_hi:[1,0,1]
	s_nop 0
	v_mov_b32_e32 v4, v201
	v_mov_b32_e32 v7, v5
	v_pk_mul_f32 v[4:5], v[12:13], v[4:5] op_sel:[1,0] op_sel_hi:[0,0]
	v_pk_add_f32 v[2:3], v[2:3], v[6:7]
	v_pk_fma_f32 v[6:7], v[12:13], v[200:201], v[4:5] neg_lo:[0,0,1] neg_hi:[0,0,1]
	v_pk_fma_f32 v[4:5], v[12:13], v[200:201], v[4:5] op_sel_hi:[1,0,1]
	s_nop 0
	v_mov_b32_e32 v7, v5
	s_waitcnt vmcnt(0) lgkmcnt(0)
	v_pk_mul_f32 v[4:5], v[14:15], v[202:203] op_sel:[1,1] op_sel_hi:[0,1]
	v_pk_add_f32 v[2:3], v[2:3], v[6:7]
	v_pk_fma_f32 v[6:7], v[14:15], v[202:203], v[4:5] neg_lo:[0,0,1] neg_hi:[0,0,1]
	v_pk_fma_f32 v[4:5], v[14:15], v[202:203], v[4:5] op_sel_hi:[1,0,1]
	s_nop 0
	v_mov_b32_e32 v4, v205
	v_mov_b32_e32 v7, v5
	v_pk_mul_f32 v[4:5], v[16:17], v[4:5] op_sel:[1,0] op_sel_hi:[0,0]
	v_pk_add_f32 v[2:3], v[2:3], v[6:7]
	v_pk_fma_f32 v[6:7], v[16:17], v[204:205], v[4:5] neg_lo:[0,0,1] neg_hi:[0,0,1]
	v_pk_fma_f32 v[4:5], v[16:17], v[204:205], v[4:5] op_sel_hi:[1,0,1]
	s_nop 0
	v_mov_b32_e32 v7, v5
	scratch_load_dwordx2 v[4:5], off, off offset:80
	v_pk_add_f32 v[2:3], v[2:3], v[6:7]
	s_waitcnt vmcnt(0)
	v_pk_add_f32 v[2:3], v[4:5], v[2:3] neg_lo:[0,1] neg_hi:[0,1]
	scratch_store_dwordx2 off, v[2:3], off offset:80
	s_and_saveexec_b64 s[0:1], vcc
	s_cbranch_execz .LBB60_361
; %bb.360:
	scratch_load_dwordx2 v[2:3], off, off offset:72
	v_mov_b32_e32 v4, 0
	v_mov_b32_e32 v5, v4
	scratch_store_dwordx2 off, v[4:5], off offset:72
	s_waitcnt vmcnt(1)
	ds_write_b64 v1, v[2:3]
.LBB60_361:
	s_or_b64 exec, exec, s[0:1]
	v_mov_b32_e32 v142, 0
	s_waitcnt lgkmcnt(0)
	; wave barrier
	ds_read_b128 v[14:17], v142 offset:576
	ds_read_b128 v[10:13], v142 offset:592
	;; [unrolled: 1-line block ×4, first 2 shown]
	scratch_load_dwordx4 v[18:21], off, off offset:80
	scratch_load_dwordx4 v[38:41], off, off offset:144
	scratch_load_dwordx4 v[70:73], off, off offset:208
	scratch_load_dwordx4 v[78:81], off, off offset:224
	scratch_load_dwordx4 v[86:89], off, off offset:240
	scratch_load_dwordx4 v[94:97], off, off offset:256
	scratch_load_dwordx4 v[102:105], off, off offset:272
	scratch_load_dwordx4 v[110:113], off, off offset:288
	scratch_load_dwordx4 v[118:121], off, off offset:304
	scratch_load_dwordx4 v[126:129], off, off offset:320
	scratch_load_dwordx4 v[134:137], off, off offset:336
	scratch_load_dwordx4 v[144:147], off, off offset:352
	scratch_load_dwordx4 v[170:173], off, off offset:368
	scratch_load_dwordx4 v[178:181], off, off offset:384
	scratch_load_dwordx4 v[186:189], off, off offset:400
	scratch_load_dwordx4 v[194:197], off, off offset:416
	v_cmp_lt_u32_e32 vcc, 8, v0
	scratch_load_dwordx4 v[46:49], off, off offset:160
	scratch_load_dwordx4 v[54:57], off, off offset:176
	;; [unrolled: 1-line block ×3, first 2 shown]
	ds_read_b128 v[166:169], v142 offset:864
	ds_read_b128 v[174:177], v142 offset:880
	;; [unrolled: 1-line block ×4, first 2 shown]
	s_waitcnt vmcnt(18) lgkmcnt(7)
	v_mul_f32_e32 v22, v14, v19
	v_fmac_f32_e32 v22, v15, v18
	v_mul_f32_e32 v23, v16, v21
	v_add_f32_e32 v22, 0, v22
	v_fmac_f32_e32 v23, v17, v20
	v_add_f32_e32 v26, v22, v23
	scratch_load_dwordx4 v[22:25], off, off offset:96
	v_mul_f32_e32 v15, v15, v19
	v_fma_f32 v14, v14, v18, -v15
	v_mul_f32_e32 v15, v17, v21
	v_add_f32_e32 v14, 0, v14
	v_fma_f32 v15, v16, v20, -v15
	v_add_f32_e32 v14, v14, v15
	s_waitcnt vmcnt(5) lgkmcnt(1)
	v_mul_f32_e32 v211, v184, v189
	s_waitcnt vmcnt(4)
	v_mov_b32_e32 v18, v197
	v_fmac_f32_e32 v211, v185, v188
	s_waitcnt lgkmcnt(0)
	v_mul_f32_e32 v213, v190, v195
	v_pk_mul_f32 v[18:19], v[192:193], v[18:19] op_sel:[1,0] op_sel_hi:[0,0]
	v_fmac_f32_e32 v213, v191, v194
	v_pk_fma_f32 v[20:21], v[192:193], v[196:197], v[18:19] neg_lo:[0,0,1] neg_hi:[0,0,1]
	v_pk_fma_f32 v[18:19], v[192:193], v[196:197], v[18:19] op_sel_hi:[1,0,1]
	s_waitcnt vmcnt(0)
	v_mul_f32_e32 v27, v10, v23
	v_fmac_f32_e32 v27, v11, v22
	v_add_f32_e32 v26, v26, v27
	v_mul_f32_e32 v27, v12, v25
	v_fmac_f32_e32 v27, v13, v24
	v_add_f32_e32 v30, v26, v27
	scratch_load_dwordx4 v[26:29], off, off offset:112
	v_mul_f32_e32 v11, v11, v23
	v_fma_f32 v10, v10, v22, -v11
	v_mul_f32_e32 v11, v13, v25
	v_add_f32_e32 v10, v14, v10
	v_fma_f32 v11, v12, v24, -v11
	v_add_f32_e32 v10, v10, v11
	v_mov_b32_e32 v21, v19
	s_waitcnt vmcnt(0)
	v_mul_f32_e32 v31, v6, v27
	v_fmac_f32_e32 v31, v7, v26
	v_add_f32_e32 v30, v30, v31
	v_mul_f32_e32 v31, v8, v29
	v_fmac_f32_e32 v31, v9, v28
	v_add_f32_e32 v34, v30, v31
	scratch_load_dwordx4 v[30:33], off, off offset:128
	v_mul_f32_e32 v7, v7, v27
	v_fma_f32 v6, v6, v26, -v7
	v_mul_f32_e32 v7, v9, v29
	v_add_f32_e32 v6, v10, v6
	v_fma_f32 v7, v8, v28, -v7
	v_add_f32_e32 v6, v6, v7
	s_waitcnt vmcnt(0)
	v_mul_f32_e32 v35, v2, v31
	v_fmac_f32_e32 v35, v3, v30
	v_add_f32_e32 v34, v34, v35
	v_mul_f32_e32 v35, v4, v33
	v_fmac_f32_e32 v35, v5, v32
	v_add_f32_e32 v42, v34, v35
	ds_read_b128 v[34:37], v142 offset:640
	v_mul_f32_e32 v3, v3, v31
	v_fma_f32 v2, v2, v30, -v3
	v_mul_f32_e32 v3, v5, v33
	v_add_f32_e32 v2, v6, v2
	s_waitcnt lgkmcnt(0)
	v_mul_f32_e32 v43, v34, v39
	v_fmac_f32_e32 v43, v35, v38
	v_add_f32_e32 v42, v42, v43
	v_mul_f32_e32 v43, v36, v41
	v_fmac_f32_e32 v43, v37, v40
	v_add_f32_e32 v50, v42, v43
	ds_read_b128 v[42:45], v142 offset:656
	v_fma_f32 v3, v4, v32, -v3
	v_add_f32_e32 v2, v2, v3
	v_mul_f32_e32 v3, v35, v39
	v_fma_f32 v3, v34, v38, -v3
	s_waitcnt lgkmcnt(0)
	v_mul_f32_e32 v51, v42, v47
	v_fmac_f32_e32 v51, v43, v46
	v_add_f32_e32 v50, v50, v51
	v_mul_f32_e32 v51, v44, v49
	v_fmac_f32_e32 v51, v45, v48
	v_add_f32_e32 v58, v50, v51
	ds_read_b128 v[50:53], v142 offset:672
	v_add_f32_e32 v2, v2, v3
	v_mul_f32_e32 v3, v37, v41
	v_fma_f32 v3, v36, v40, -v3
	v_add_f32_e32 v2, v2, v3
	s_waitcnt lgkmcnt(0)
	v_mul_f32_e32 v59, v50, v55
	v_fmac_f32_e32 v59, v51, v54
	v_add_f32_e32 v58, v58, v59
	v_mul_f32_e32 v59, v52, v57
	v_fmac_f32_e32 v59, v53, v56
	v_add_f32_e32 v66, v58, v59
	ds_read_b128 v[58:61], v142 offset:688
	v_mul_f32_e32 v3, v43, v47
	v_fma_f32 v3, v42, v46, -v3
	v_add_f32_e32 v2, v2, v3
	v_mul_f32_e32 v3, v45, v49
	s_waitcnt lgkmcnt(0)
	v_mul_f32_e32 v67, v58, v63
	v_fmac_f32_e32 v67, v59, v62
	v_add_f32_e32 v66, v66, v67
	v_mul_f32_e32 v67, v60, v65
	v_fmac_f32_e32 v67, v61, v64
	v_add_f32_e32 v74, v66, v67
	ds_read_b128 v[66:69], v142 offset:704
	v_fma_f32 v3, v44, v48, -v3
	v_add_f32_e32 v2, v2, v3
	v_mul_f32_e32 v3, v51, v55
	v_fma_f32 v3, v50, v54, -v3
	s_waitcnt lgkmcnt(0)
	v_mul_f32_e32 v75, v66, v71
	v_fmac_f32_e32 v75, v67, v70
	v_add_f32_e32 v74, v74, v75
	v_mul_f32_e32 v75, v68, v73
	v_fmac_f32_e32 v75, v69, v72
	v_add_f32_e32 v82, v74, v75
	ds_read_b128 v[74:77], v142 offset:720
	v_add_f32_e32 v2, v2, v3
	v_mul_f32_e32 v3, v53, v57
	v_fma_f32 v3, v52, v56, -v3
	v_add_f32_e32 v2, v2, v3
	s_waitcnt lgkmcnt(0)
	v_mul_f32_e32 v83, v74, v79
	v_fmac_f32_e32 v83, v75, v78
	v_add_f32_e32 v82, v82, v83
	v_mul_f32_e32 v83, v76, v81
	v_fmac_f32_e32 v83, v77, v80
	v_add_f32_e32 v90, v82, v83
	ds_read_b128 v[82:85], v142 offset:736
	v_mul_f32_e32 v3, v59, v63
	v_fma_f32 v3, v58, v62, -v3
	v_add_f32_e32 v2, v2, v3
	v_mul_f32_e32 v3, v61, v65
	;; [unrolled: 36-line block ×4, first 2 shown]
	s_waitcnt lgkmcnt(0)
	v_mul_f32_e32 v139, v130, v135
	v_fmac_f32_e32 v139, v131, v134
	v_add_f32_e32 v138, v138, v139
	v_mul_f32_e32 v139, v132, v137
	v_fmac_f32_e32 v139, v133, v136
	v_add_f32_e32 v143, v138, v139
	ds_read_b128 v[138:141], v142 offset:848
	scratch_load_dwordx4 v[198:201], off, off offset:432
	scratch_load_dwordx4 v[202:205], off, off offset:448
	;; [unrolled: 1-line block ×3, first 2 shown]
	scratch_load_dwordx2 v[214:215], off, off offset:480
	v_fma_f32 v3, v92, v96, -v3
	v_add_f32_e32 v2, v2, v3
	v_mul_f32_e32 v3, v99, v103
	v_fma_f32 v3, v98, v102, -v3
	v_add_f32_e32 v2, v2, v3
	v_mul_f32_e32 v3, v101, v105
	;; [unrolled: 3-line block ×10, first 2 shown]
	v_fma_f32 v3, v132, v136, -v3
	s_waitcnt lgkmcnt(0)
	v_mul_f32_e32 v148, v138, v145
	v_add_f32_e32 v2, v2, v3
	v_mul_f32_e32 v3, v139, v145
	v_fmac_f32_e32 v148, v139, v144
	v_fma_f32 v3, v138, v144, -v3
	v_add_f32_e32 v143, v143, v148
	v_mul_f32_e32 v148, v140, v147
	v_add_f32_e32 v2, v2, v3
	v_mul_f32_e32 v3, v141, v147
	v_fmac_f32_e32 v148, v141, v146
	v_fma_f32 v3, v140, v146, -v3
	v_add_f32_e32 v143, v143, v148
	;; [unrolled: 6-line block ×7, first 2 shown]
	v_add_f32_e32 v148, v2, v3
	v_mul_f32_e32 v2, v185, v189
	v_fma_f32 v210, v184, v188, -v2
	v_mul_f32_e32 v2, v191, v195
	v_fma_f32 v212, v190, v194, -v2
	ds_read_b128 v[2:5], v142 offset:928
	ds_read_b128 v[6:9], v142 offset:944
	;; [unrolled: 1-line block ×3, first 2 shown]
	ds_read_b64 v[14:15], v142 offset:976
	v_pk_add_f32 v[16:17], v[148:149], v[210:211]
	s_waitcnt vmcnt(3) lgkmcnt(3)
	v_pk_mul_f32 v[18:19], v[2:3], v[198:199] op_sel:[1,1] op_sel_hi:[0,1]
	v_pk_add_f32 v[16:17], v[16:17], v[212:213]
	s_nop 0
	v_pk_add_f32 v[16:17], v[16:17], v[20:21]
	v_pk_fma_f32 v[20:21], v[2:3], v[198:199], v[18:19] neg_lo:[0,0,1] neg_hi:[0,0,1]
	v_pk_fma_f32 v[2:3], v[2:3], v[198:199], v[18:19] op_sel_hi:[1,0,1]
	s_nop 0
	v_mov_b32_e32 v21, v3
	v_pk_add_f32 v[2:3], v[16:17], v[20:21]
	v_mov_b32_e32 v16, v201
	v_pk_mul_f32 v[16:17], v[4:5], v[16:17] op_sel:[1,0] op_sel_hi:[0,0]
	v_pk_fma_f32 v[18:19], v[4:5], v[200:201], v[16:17] neg_lo:[0,0,1] neg_hi:[0,0,1]
	v_pk_fma_f32 v[4:5], v[4:5], v[200:201], v[16:17] op_sel_hi:[1,0,1]
	s_nop 0
	v_mov_b32_e32 v19, v5
	s_waitcnt vmcnt(2) lgkmcnt(2)
	v_pk_mul_f32 v[4:5], v[6:7], v[202:203] op_sel:[1,1] op_sel_hi:[0,1]
	v_pk_fma_f32 v[16:17], v[6:7], v[202:203], v[4:5] neg_lo:[0,0,1] neg_hi:[0,0,1]
	v_pk_fma_f32 v[4:5], v[6:7], v[202:203], v[4:5] op_sel_hi:[1,0,1]
	v_pk_add_f32 v[2:3], v[2:3], v[18:19]
	v_mov_b32_e32 v4, v205
	v_mov_b32_e32 v17, v5
	v_pk_mul_f32 v[4:5], v[8:9], v[4:5] op_sel:[1,0] op_sel_hi:[0,0]
	v_pk_fma_f32 v[6:7], v[8:9], v[204:205], v[4:5] neg_lo:[0,0,1] neg_hi:[0,0,1]
	v_pk_fma_f32 v[4:5], v[8:9], v[204:205], v[4:5] op_sel_hi:[1,0,1]
	v_pk_add_f32 v[2:3], v[2:3], v[16:17]
	v_mov_b32_e32 v7, v5
	s_waitcnt vmcnt(1) lgkmcnt(1)
	v_pk_mul_f32 v[4:5], v[10:11], v[206:207] op_sel:[1,1] op_sel_hi:[0,1]
	v_pk_add_f32 v[2:3], v[2:3], v[6:7]
	v_pk_fma_f32 v[6:7], v[10:11], v[206:207], v[4:5] neg_lo:[0,0,1] neg_hi:[0,0,1]
	v_pk_fma_f32 v[4:5], v[10:11], v[206:207], v[4:5] op_sel_hi:[1,0,1]
	s_nop 0
	v_mov_b32_e32 v4, v209
	v_mov_b32_e32 v7, v5
	v_pk_mul_f32 v[4:5], v[12:13], v[4:5] op_sel:[1,0] op_sel_hi:[0,0]
	v_pk_add_f32 v[2:3], v[2:3], v[6:7]
	v_pk_fma_f32 v[6:7], v[12:13], v[208:209], v[4:5] neg_lo:[0,0,1] neg_hi:[0,0,1]
	v_pk_fma_f32 v[4:5], v[12:13], v[208:209], v[4:5] op_sel_hi:[1,0,1]
	s_nop 0
	v_mov_b32_e32 v7, v5
	s_waitcnt vmcnt(0) lgkmcnt(0)
	v_pk_mul_f32 v[4:5], v[14:15], v[214:215] op_sel:[1,1] op_sel_hi:[0,1]
	v_pk_add_f32 v[2:3], v[2:3], v[6:7]
	v_pk_fma_f32 v[6:7], v[14:15], v[214:215], v[4:5] neg_lo:[0,0,1] neg_hi:[0,0,1]
	v_pk_fma_f32 v[4:5], v[14:15], v[214:215], v[4:5] op_sel_hi:[1,0,1]
	s_nop 0
	v_mov_b32_e32 v7, v5
	scratch_load_dwordx2 v[4:5], off, off offset:72
	v_pk_add_f32 v[2:3], v[2:3], v[6:7]
	s_waitcnt vmcnt(0)
	v_pk_add_f32 v[2:3], v[4:5], v[2:3] neg_lo:[0,1] neg_hi:[0,1]
	scratch_store_dwordx2 off, v[2:3], off offset:72
	s_and_saveexec_b64 s[0:1], vcc
	s_cbranch_execz .LBB60_363
; %bb.362:
	scratch_load_dwordx2 v[2:3], off, off offset:64
	v_mov_b32_e32 v143, v142
	scratch_store_dwordx2 off, v[142:143], off offset:64
	s_waitcnt vmcnt(1)
	ds_write_b64 v1, v[2:3]
.LBB60_363:
	s_or_b64 exec, exec, s[0:1]
	s_waitcnt lgkmcnt(0)
	; wave barrier
	scratch_load_dwordx4 v[6:9], off, off offset:72
	scratch_load_dwordx4 v[14:17], off, off offset:88
	;; [unrolled: 1-line block ×10, first 2 shown]
	ds_read2_b64 v[2:5], v142 offset0:71 offset1:72
	ds_read2_b64 v[166:169], v142 offset0:107 offset1:108
	scratch_load_dwordx4 v[86:89], off, off offset:232
	scratch_load_dwordx4 v[94:97], off, off offset:248
	;; [unrolled: 1-line block ×12, first 2 shown]
	v_cmp_lt_u32_e32 vcc, 7, v0
	ds_read2_b64 v[174:177], v142 offset0:109 offset1:110
	ds_read2_b64 v[182:185], v142 offset0:111 offset1:112
	ds_read2_b64 v[190:193], v142 offset0:113 offset1:114
	s_waitcnt vmcnt(21) lgkmcnt(4)
	v_mul_f32_e32 v10, v2, v7
	v_fmac_f32_e32 v10, v3, v6
	v_mul_f32_e32 v11, v4, v9
	v_add_f32_e32 v10, 0, v10
	v_fmac_f32_e32 v11, v5, v8
	v_add_f32_e32 v18, v10, v11
	ds_read2_b64 v[10:13], v142 offset0:73 offset1:74
	v_mul_f32_e32 v3, v3, v7
	v_fma_f32 v2, v2, v6, -v3
	v_mul_f32_e32 v3, v5, v9
	v_add_f32_e32 v2, 0, v2
	s_waitcnt vmcnt(20) lgkmcnt(0)
	v_mul_f32_e32 v19, v10, v15
	v_fmac_f32_e32 v19, v11, v14
	v_add_f32_e32 v18, v18, v19
	v_mul_f32_e32 v19, v12, v17
	v_fmac_f32_e32 v19, v13, v16
	v_add_f32_e32 v26, v18, v19
	ds_read2_b64 v[18:21], v142 offset0:75 offset1:76
	v_fma_f32 v3, v4, v8, -v3
	v_add_f32_e32 v2, v2, v3
	v_mul_f32_e32 v3, v11, v15
	v_fma_f32 v3, v10, v14, -v3
	s_waitcnt vmcnt(19) lgkmcnt(0)
	v_mul_f32_e32 v27, v18, v23
	v_fmac_f32_e32 v27, v19, v22
	v_add_f32_e32 v26, v26, v27
	v_mul_f32_e32 v27, v20, v25
	v_fmac_f32_e32 v27, v21, v24
	v_add_f32_e32 v34, v26, v27
	ds_read2_b64 v[26:29], v142 offset0:77 offset1:78
	v_add_f32_e32 v2, v2, v3
	v_mul_f32_e32 v3, v13, v17
	v_fma_f32 v3, v12, v16, -v3
	v_add_f32_e32 v2, v2, v3
	s_waitcnt vmcnt(18) lgkmcnt(0)
	v_mul_f32_e32 v35, v26, v31
	v_fmac_f32_e32 v35, v27, v30
	v_add_f32_e32 v34, v34, v35
	v_mul_f32_e32 v35, v28, v33
	v_fmac_f32_e32 v35, v29, v32
	v_add_f32_e32 v42, v34, v35
	ds_read2_b64 v[34:37], v142 offset0:79 offset1:80
	v_mul_f32_e32 v3, v19, v23
	v_fma_f32 v3, v18, v22, -v3
	v_add_f32_e32 v2, v2, v3
	v_mul_f32_e32 v3, v21, v25
	s_waitcnt vmcnt(17) lgkmcnt(0)
	v_mul_f32_e32 v43, v34, v39
	v_fmac_f32_e32 v43, v35, v38
	v_add_f32_e32 v42, v42, v43
	v_mul_f32_e32 v43, v36, v41
	v_fmac_f32_e32 v43, v37, v40
	v_add_f32_e32 v50, v42, v43
	ds_read2_b64 v[42:45], v142 offset0:81 offset1:82
	v_fma_f32 v3, v20, v24, -v3
	v_add_f32_e32 v2, v2, v3
	v_mul_f32_e32 v3, v27, v31
	v_fma_f32 v3, v26, v30, -v3
	s_waitcnt vmcnt(16) lgkmcnt(0)
	v_mul_f32_e32 v51, v42, v47
	v_fmac_f32_e32 v51, v43, v46
	v_add_f32_e32 v50, v50, v51
	v_mul_f32_e32 v51, v44, v49
	v_fmac_f32_e32 v51, v45, v48
	v_add_f32_e32 v58, v50, v51
	ds_read2_b64 v[50:53], v142 offset0:83 offset1:84
	v_add_f32_e32 v2, v2, v3
	v_mul_f32_e32 v3, v29, v33
	v_fma_f32 v3, v28, v32, -v3
	v_add_f32_e32 v2, v2, v3
	s_waitcnt vmcnt(15) lgkmcnt(0)
	v_mul_f32_e32 v59, v50, v55
	v_fmac_f32_e32 v59, v51, v54
	v_add_f32_e32 v58, v58, v59
	v_mul_f32_e32 v59, v52, v57
	v_fmac_f32_e32 v59, v53, v56
	v_add_f32_e32 v66, v58, v59
	ds_read2_b64 v[58:61], v142 offset0:85 offset1:86
	v_mul_f32_e32 v3, v35, v39
	v_fma_f32 v3, v34, v38, -v3
	v_add_f32_e32 v2, v2, v3
	v_mul_f32_e32 v3, v37, v41
	s_waitcnt vmcnt(14) lgkmcnt(0)
	v_mul_f32_e32 v67, v58, v63
	v_fmac_f32_e32 v67, v59, v62
	v_add_f32_e32 v66, v66, v67
	v_mul_f32_e32 v67, v60, v65
	v_fmac_f32_e32 v67, v61, v64
	v_add_f32_e32 v74, v66, v67
	ds_read2_b64 v[66:69], v142 offset0:87 offset1:88
	v_fma_f32 v3, v36, v40, -v3
	v_add_f32_e32 v2, v2, v3
	v_mul_f32_e32 v3, v43, v47
	v_fma_f32 v3, v42, v46, -v3
	s_waitcnt vmcnt(13) lgkmcnt(0)
	v_mul_f32_e32 v75, v66, v71
	v_fmac_f32_e32 v75, v67, v70
	v_add_f32_e32 v74, v74, v75
	v_mul_f32_e32 v75, v68, v73
	v_fmac_f32_e32 v75, v69, v72
	v_add_f32_e32 v82, v74, v75
	ds_read2_b64 v[74:77], v142 offset0:89 offset1:90
	v_add_f32_e32 v2, v2, v3
	v_mul_f32_e32 v3, v45, v49
	v_fma_f32 v3, v44, v48, -v3
	v_add_f32_e32 v2, v2, v3
	s_waitcnt vmcnt(12) lgkmcnt(0)
	v_mul_f32_e32 v83, v74, v79
	v_fmac_f32_e32 v83, v75, v78
	v_add_f32_e32 v82, v82, v83
	v_mul_f32_e32 v83, v76, v81
	v_fmac_f32_e32 v83, v77, v80
	v_add_f32_e32 v90, v82, v83
	ds_read2_b64 v[82:85], v142 offset0:91 offset1:92
	v_mul_f32_e32 v3, v51, v55
	v_fma_f32 v3, v50, v54, -v3
	v_add_f32_e32 v2, v2, v3
	v_mul_f32_e32 v3, v53, v57
	s_waitcnt vmcnt(11) lgkmcnt(0)
	v_mul_f32_e32 v91, v82, v87
	v_fmac_f32_e32 v91, v83, v86
	v_add_f32_e32 v90, v90, v91
	v_mul_f32_e32 v91, v84, v89
	v_fmac_f32_e32 v91, v85, v88
	v_add_f32_e32 v98, v90, v91
	ds_read2_b64 v[90:93], v142 offset0:93 offset1:94
	v_fma_f32 v3, v52, v56, -v3
	v_add_f32_e32 v2, v2, v3
	v_mul_f32_e32 v3, v59, v63
	v_fma_f32 v3, v58, v62, -v3
	s_waitcnt vmcnt(10) lgkmcnt(0)
	v_mul_f32_e32 v99, v90, v95
	v_fmac_f32_e32 v99, v91, v94
	v_add_f32_e32 v98, v98, v99
	v_mul_f32_e32 v99, v92, v97
	v_fmac_f32_e32 v99, v93, v96
	v_add_f32_e32 v106, v98, v99
	ds_read2_b64 v[98:101], v142 offset0:95 offset1:96
	v_add_f32_e32 v2, v2, v3
	v_mul_f32_e32 v3, v61, v65
	v_fma_f32 v3, v60, v64, -v3
	v_add_f32_e32 v2, v2, v3
	s_waitcnt vmcnt(9) lgkmcnt(0)
	v_mul_f32_e32 v107, v98, v103
	v_fmac_f32_e32 v107, v99, v102
	v_add_f32_e32 v106, v106, v107
	v_mul_f32_e32 v107, v100, v105
	v_fmac_f32_e32 v107, v101, v104
	v_add_f32_e32 v114, v106, v107
	ds_read2_b64 v[106:109], v142 offset0:97 offset1:98
	v_mul_f32_e32 v3, v67, v71
	v_fma_f32 v3, v66, v70, -v3
	v_add_f32_e32 v2, v2, v3
	v_mul_f32_e32 v3, v69, v73
	s_waitcnt vmcnt(8) lgkmcnt(0)
	v_mul_f32_e32 v115, v106, v111
	v_fmac_f32_e32 v115, v107, v110
	v_add_f32_e32 v114, v114, v115
	v_mul_f32_e32 v115, v108, v113
	v_fmac_f32_e32 v115, v109, v112
	v_add_f32_e32 v122, v114, v115
	ds_read2_b64 v[114:117], v142 offset0:99 offset1:100
	v_fma_f32 v3, v68, v72, -v3
	v_add_f32_e32 v2, v2, v3
	v_mul_f32_e32 v3, v75, v79
	v_fma_f32 v3, v74, v78, -v3
	s_waitcnt vmcnt(7) lgkmcnt(0)
	v_mul_f32_e32 v123, v114, v119
	v_fmac_f32_e32 v123, v115, v118
	v_add_f32_e32 v122, v122, v123
	v_mul_f32_e32 v123, v116, v121
	v_fmac_f32_e32 v123, v117, v120
	v_add_f32_e32 v130, v122, v123
	ds_read2_b64 v[122:125], v142 offset0:101 offset1:102
	v_add_f32_e32 v2, v2, v3
	v_mul_f32_e32 v3, v77, v81
	v_fma_f32 v3, v76, v80, -v3
	v_add_f32_e32 v2, v2, v3
	s_waitcnt vmcnt(6) lgkmcnt(0)
	v_mul_f32_e32 v131, v122, v127
	v_fmac_f32_e32 v131, v123, v126
	v_add_f32_e32 v130, v130, v131
	v_mul_f32_e32 v131, v124, v129
	v_fmac_f32_e32 v131, v125, v128
	v_add_f32_e32 v138, v130, v131
	ds_read2_b64 v[130:133], v142 offset0:103 offset1:104
	v_mul_f32_e32 v3, v83, v87
	v_fma_f32 v3, v82, v86, -v3
	v_add_f32_e32 v2, v2, v3
	v_mul_f32_e32 v3, v85, v89
	s_waitcnt vmcnt(5) lgkmcnt(0)
	v_mul_f32_e32 v139, v130, v135
	v_fmac_f32_e32 v139, v131, v134
	v_add_f32_e32 v138, v138, v139
	v_mul_f32_e32 v139, v132, v137
	v_fmac_f32_e32 v139, v133, v136
	v_add_f32_e32 v143, v138, v139
	ds_read2_b64 v[138:141], v142 offset0:105 offset1:106
	scratch_load_dwordx4 v[198:201], off, off offset:424
	scratch_load_dwordx4 v[202:205], off, off offset:440
	;; [unrolled: 1-line block ×4, first 2 shown]
	v_fma_f32 v3, v84, v88, -v3
	v_add_f32_e32 v2, v2, v3
	v_mul_f32_e32 v3, v91, v95
	v_fma_f32 v3, v90, v94, -v3
	v_add_f32_e32 v2, v2, v3
	v_mul_f32_e32 v3, v93, v97
	;; [unrolled: 3-line block ×12, first 2 shown]
	v_fma_f32 v3, v132, v136, -v3
	s_waitcnt vmcnt(8) lgkmcnt(0)
	v_mul_f32_e32 v148, v138, v145
	v_add_f32_e32 v2, v2, v3
	v_mul_f32_e32 v3, v139, v145
	v_fmac_f32_e32 v148, v139, v144
	v_fma_f32 v3, v138, v144, -v3
	v_add_f32_e32 v143, v143, v148
	v_mul_f32_e32 v148, v140, v147
	v_add_f32_e32 v2, v2, v3
	v_mul_f32_e32 v3, v141, v147
	v_fmac_f32_e32 v148, v141, v146
	v_fma_f32 v3, v140, v146, -v3
	v_add_f32_e32 v143, v143, v148
	s_waitcnt vmcnt(7)
	v_mul_f32_e32 v148, v166, v171
	v_add_f32_e32 v2, v2, v3
	v_mul_f32_e32 v3, v167, v171
	v_fmac_f32_e32 v148, v167, v170
	v_fma_f32 v3, v166, v170, -v3
	v_add_f32_e32 v143, v143, v148
	v_mul_f32_e32 v148, v168, v173
	v_add_f32_e32 v2, v2, v3
	v_mul_f32_e32 v3, v169, v173
	v_fmac_f32_e32 v148, v169, v172
	v_fma_f32 v3, v168, v172, -v3
	v_add_f32_e32 v143, v143, v148
	s_waitcnt vmcnt(6)
	;; [unrolled: 13-line block ×3, first 2 shown]
	v_mul_f32_e32 v148, v182, v187
	v_add_f32_e32 v2, v2, v3
	v_mul_f32_e32 v3, v183, v187
	v_fmac_f32_e32 v148, v183, v186
	v_fma_f32 v3, v182, v186, -v3
	v_add_f32_e32 v143, v143, v148
	v_mul_f32_e32 v148, v184, v189
	v_add_f32_e32 v2, v2, v3
	v_mul_f32_e32 v3, v185, v189
	v_fmac_f32_e32 v148, v185, v188
	v_fma_f32 v3, v184, v188, -v3
	v_add_f32_e32 v149, v143, v148
	v_add_f32_e32 v148, v2, v3
	s_waitcnt vmcnt(4)
	v_mul_f32_e32 v2, v191, v195
	v_fma_f32 v214, v190, v194, -v2
	v_mul_f32_e32 v2, v193, v197
	v_fma_f32 v216, v192, v196, -v2
	ds_read2_b64 v[2:5], v142 offset0:115 offset1:116
	ds_read2_b64 v[6:9], v142 offset0:117 offset1:118
	ds_read2_b64 v[10:13], v142 offset0:119 offset1:120
	ds_read2_b64 v[14:17], v142 offset0:121 offset1:122
	v_mul_f32_e32 v215, v190, v195
	v_fmac_f32_e32 v215, v191, v194
	v_mul_f32_e32 v217, v192, v197
	s_waitcnt vmcnt(3) lgkmcnt(3)
	v_pk_mul_f32 v[20:21], v[2:3], v[198:199] op_sel:[1,1] op_sel_hi:[0,1]
	v_fmac_f32_e32 v217, v193, v196
	v_pk_add_f32 v[18:19], v[148:149], v[214:215]
	v_pk_fma_f32 v[22:23], v[2:3], v[198:199], v[20:21] neg_lo:[0,0,1] neg_hi:[0,0,1]
	v_pk_fma_f32 v[2:3], v[2:3], v[198:199], v[20:21] op_sel_hi:[1,0,1]
	v_pk_add_f32 v[18:19], v[18:19], v[216:217]
	v_mov_b32_e32 v23, v3
	v_pk_add_f32 v[2:3], v[18:19], v[22:23]
	v_mov_b32_e32 v18, v201
	v_pk_mul_f32 v[18:19], v[4:5], v[18:19] op_sel:[1,0] op_sel_hi:[0,0]
	v_pk_fma_f32 v[20:21], v[4:5], v[200:201], v[18:19] neg_lo:[0,0,1] neg_hi:[0,0,1]
	v_pk_fma_f32 v[4:5], v[4:5], v[200:201], v[18:19] op_sel_hi:[1,0,1]
	s_nop 0
	v_mov_b32_e32 v21, v5
	s_waitcnt vmcnt(2) lgkmcnt(2)
	v_pk_mul_f32 v[4:5], v[6:7], v[202:203] op_sel:[1,1] op_sel_hi:[0,1]
	v_pk_fma_f32 v[18:19], v[6:7], v[202:203], v[4:5] neg_lo:[0,0,1] neg_hi:[0,0,1]
	v_pk_fma_f32 v[4:5], v[6:7], v[202:203], v[4:5] op_sel_hi:[1,0,1]
	v_pk_add_f32 v[2:3], v[2:3], v[20:21]
	v_mov_b32_e32 v4, v205
	v_mov_b32_e32 v19, v5
	v_pk_mul_f32 v[4:5], v[8:9], v[4:5] op_sel:[1,0] op_sel_hi:[0,0]
	v_pk_fma_f32 v[6:7], v[8:9], v[204:205], v[4:5] neg_lo:[0,0,1] neg_hi:[0,0,1]
	v_pk_fma_f32 v[4:5], v[8:9], v[204:205], v[4:5] op_sel_hi:[1,0,1]
	v_pk_add_f32 v[2:3], v[2:3], v[18:19]
	v_mov_b32_e32 v7, v5
	s_waitcnt vmcnt(1) lgkmcnt(1)
	v_pk_mul_f32 v[4:5], v[10:11], v[206:207] op_sel:[1,1] op_sel_hi:[0,1]
	v_pk_add_f32 v[2:3], v[2:3], v[6:7]
	v_pk_fma_f32 v[6:7], v[10:11], v[206:207], v[4:5] neg_lo:[0,0,1] neg_hi:[0,0,1]
	v_pk_fma_f32 v[4:5], v[10:11], v[206:207], v[4:5] op_sel_hi:[1,0,1]
	s_nop 0
	v_mov_b32_e32 v4, v209
	v_mov_b32_e32 v7, v5
	v_pk_mul_f32 v[4:5], v[12:13], v[4:5] op_sel:[1,0] op_sel_hi:[0,0]
	v_pk_add_f32 v[2:3], v[2:3], v[6:7]
	v_pk_fma_f32 v[6:7], v[12:13], v[208:209], v[4:5] neg_lo:[0,0,1] neg_hi:[0,0,1]
	v_pk_fma_f32 v[4:5], v[12:13], v[208:209], v[4:5] op_sel_hi:[1,0,1]
	s_nop 0
	v_mov_b32_e32 v7, v5
	s_waitcnt vmcnt(0) lgkmcnt(0)
	v_pk_mul_f32 v[4:5], v[14:15], v[210:211] op_sel:[1,1] op_sel_hi:[0,1]
	v_pk_add_f32 v[2:3], v[2:3], v[6:7]
	v_pk_fma_f32 v[6:7], v[14:15], v[210:211], v[4:5] neg_lo:[0,0,1] neg_hi:[0,0,1]
	v_pk_fma_f32 v[4:5], v[14:15], v[210:211], v[4:5] op_sel_hi:[1,0,1]
	s_nop 0
	v_mov_b32_e32 v4, v213
	v_mov_b32_e32 v7, v5
	v_pk_mul_f32 v[4:5], v[16:17], v[4:5] op_sel:[1,0] op_sel_hi:[0,0]
	v_pk_add_f32 v[2:3], v[2:3], v[6:7]
	v_pk_fma_f32 v[6:7], v[16:17], v[212:213], v[4:5] neg_lo:[0,0,1] neg_hi:[0,0,1]
	v_pk_fma_f32 v[4:5], v[16:17], v[212:213], v[4:5] op_sel_hi:[1,0,1]
	s_nop 0
	v_mov_b32_e32 v7, v5
	scratch_load_dwordx2 v[4:5], off, off offset:64
	v_pk_add_f32 v[2:3], v[2:3], v[6:7]
	s_waitcnt vmcnt(0)
	v_pk_add_f32 v[2:3], v[4:5], v[2:3] neg_lo:[0,1] neg_hi:[0,1]
	scratch_store_dwordx2 off, v[2:3], off offset:64
	s_and_saveexec_b64 s[0:1], vcc
	s_cbranch_execz .LBB60_365
; %bb.364:
	scratch_load_dwordx2 v[2:3], off, off offset:56
	v_mov_b32_e32 v4, 0
	v_mov_b32_e32 v5, v4
	scratch_store_dwordx2 off, v[4:5], off offset:56
	s_waitcnt vmcnt(1)
	ds_write_b64 v1, v[2:3]
.LBB60_365:
	s_or_b64 exec, exec, s[0:1]
	v_mov_b32_e32 v166, 0
	s_waitcnt lgkmcnt(0)
	; wave barrier
	ds_read_b128 v[14:17], v166 offset:560
	ds_read_b128 v[10:13], v166 offset:576
	;; [unrolled: 1-line block ×4, first 2 shown]
	scratch_load_dwordx4 v[18:21], off, off offset:64
	scratch_load_dwordx4 v[38:41], off, off offset:128
	;; [unrolled: 1-line block ×17, first 2 shown]
	v_cmp_lt_u32_e32 vcc, 6, v0
	scratch_load_dwordx4 v[46:49], off, off offset:144
	scratch_load_dwordx4 v[54:57], off, off offset:160
	;; [unrolled: 1-line block ×3, first 2 shown]
	s_waitcnt vmcnt(19) lgkmcnt(3)
	v_mul_f32_e32 v22, v14, v19
	v_fmac_f32_e32 v22, v15, v18
	v_mul_f32_e32 v23, v16, v21
	v_add_f32_e32 v22, 0, v22
	v_fmac_f32_e32 v23, v17, v20
	v_add_f32_e32 v26, v22, v23
	scratch_load_dwordx4 v[22:25], off, off offset:80
	v_mul_f32_e32 v15, v15, v19
	v_fma_f32 v14, v14, v18, -v15
	v_mul_f32_e32 v15, v17, v21
	v_add_f32_e32 v14, 0, v14
	v_fma_f32 v15, v16, v20, -v15
	v_add_f32_e32 v14, v14, v15
	s_waitcnt vmcnt(4)
	v_mov_b32_e32 v18, v203
	s_waitcnt vmcnt(0) lgkmcnt(2)
	v_mul_f32_e32 v27, v10, v23
	v_fmac_f32_e32 v27, v11, v22
	v_add_f32_e32 v26, v26, v27
	v_mul_f32_e32 v27, v12, v25
	v_fmac_f32_e32 v27, v13, v24
	v_add_f32_e32 v30, v26, v27
	scratch_load_dwordx4 v[26:29], off, off offset:96
	v_mul_f32_e32 v11, v11, v23
	v_fma_f32 v10, v10, v22, -v11
	v_mul_f32_e32 v11, v13, v25
	v_add_f32_e32 v10, v14, v10
	v_fma_f32 v11, v12, v24, -v11
	v_add_f32_e32 v10, v10, v11
	s_waitcnt vmcnt(0) lgkmcnt(1)
	v_mul_f32_e32 v31, v6, v27
	v_fmac_f32_e32 v31, v7, v26
	v_add_f32_e32 v30, v30, v31
	v_mul_f32_e32 v31, v8, v29
	v_fmac_f32_e32 v31, v9, v28
	v_add_f32_e32 v34, v30, v31
	scratch_load_dwordx4 v[30:33], off, off offset:112
	v_mul_f32_e32 v7, v7, v27
	v_fma_f32 v6, v6, v26, -v7
	v_mul_f32_e32 v7, v9, v29
	v_add_f32_e32 v6, v10, v6
	v_fma_f32 v7, v8, v28, -v7
	v_add_f32_e32 v6, v6, v7
	s_waitcnt vmcnt(0) lgkmcnt(0)
	v_mul_f32_e32 v35, v2, v31
	v_fmac_f32_e32 v35, v3, v30
	v_add_f32_e32 v34, v34, v35
	v_mul_f32_e32 v35, v4, v33
	v_fmac_f32_e32 v35, v5, v32
	v_add_f32_e32 v42, v34, v35
	ds_read_b128 v[34:37], v166 offset:624
	v_mul_f32_e32 v3, v3, v31
	v_fma_f32 v2, v2, v30, -v3
	v_mul_f32_e32 v3, v5, v33
	v_add_f32_e32 v2, v6, v2
	s_waitcnt lgkmcnt(0)
	v_mul_f32_e32 v43, v34, v39
	v_fmac_f32_e32 v43, v35, v38
	v_add_f32_e32 v42, v42, v43
	v_mul_f32_e32 v43, v36, v41
	v_fmac_f32_e32 v43, v37, v40
	v_add_f32_e32 v50, v42, v43
	ds_read_b128 v[42:45], v166 offset:640
	v_fma_f32 v3, v4, v32, -v3
	v_add_f32_e32 v2, v2, v3
	v_mul_f32_e32 v3, v35, v39
	v_fma_f32 v3, v34, v38, -v3
	s_waitcnt lgkmcnt(0)
	v_mul_f32_e32 v51, v42, v47
	v_fmac_f32_e32 v51, v43, v46
	v_add_f32_e32 v50, v50, v51
	v_mul_f32_e32 v51, v44, v49
	v_fmac_f32_e32 v51, v45, v48
	v_add_f32_e32 v58, v50, v51
	ds_read_b128 v[50:53], v166 offset:656
	v_add_f32_e32 v2, v2, v3
	v_mul_f32_e32 v3, v37, v41
	v_fma_f32 v3, v36, v40, -v3
	v_add_f32_e32 v2, v2, v3
	s_waitcnt lgkmcnt(0)
	v_mul_f32_e32 v59, v50, v55
	v_fmac_f32_e32 v59, v51, v54
	v_add_f32_e32 v58, v58, v59
	v_mul_f32_e32 v59, v52, v57
	v_fmac_f32_e32 v59, v53, v56
	v_add_f32_e32 v66, v58, v59
	ds_read_b128 v[58:61], v166 offset:672
	v_mul_f32_e32 v3, v43, v47
	v_fma_f32 v3, v42, v46, -v3
	v_add_f32_e32 v2, v2, v3
	v_mul_f32_e32 v3, v45, v49
	s_waitcnt lgkmcnt(0)
	v_mul_f32_e32 v67, v58, v63
	v_fmac_f32_e32 v67, v59, v62
	v_add_f32_e32 v66, v66, v67
	v_mul_f32_e32 v67, v60, v65
	v_fmac_f32_e32 v67, v61, v64
	v_add_f32_e32 v74, v66, v67
	ds_read_b128 v[66:69], v166 offset:688
	v_fma_f32 v3, v44, v48, -v3
	v_add_f32_e32 v2, v2, v3
	v_mul_f32_e32 v3, v51, v55
	v_fma_f32 v3, v50, v54, -v3
	s_waitcnt lgkmcnt(0)
	v_mul_f32_e32 v75, v66, v71
	v_fmac_f32_e32 v75, v67, v70
	v_add_f32_e32 v74, v74, v75
	v_mul_f32_e32 v75, v68, v73
	v_fmac_f32_e32 v75, v69, v72
	v_add_f32_e32 v82, v74, v75
	ds_read_b128 v[74:77], v166 offset:704
	v_add_f32_e32 v2, v2, v3
	v_mul_f32_e32 v3, v53, v57
	v_fma_f32 v3, v52, v56, -v3
	v_add_f32_e32 v2, v2, v3
	s_waitcnt lgkmcnt(0)
	v_mul_f32_e32 v83, v74, v79
	v_fmac_f32_e32 v83, v75, v78
	v_add_f32_e32 v82, v82, v83
	v_mul_f32_e32 v83, v76, v81
	v_fmac_f32_e32 v83, v77, v80
	v_add_f32_e32 v90, v82, v83
	ds_read_b128 v[82:85], v166 offset:720
	v_mul_f32_e32 v3, v59, v63
	v_fma_f32 v3, v58, v62, -v3
	v_add_f32_e32 v2, v2, v3
	v_mul_f32_e32 v3, v61, v65
	;; [unrolled: 36-line block ×5, first 2 shown]
	s_waitcnt lgkmcnt(0)
	v_mul_f32_e32 v180, v172, v177
	v_fmac_f32_e32 v180, v173, v176
	v_add_f32_e32 v167, v167, v180
	v_mul_f32_e32 v180, v174, v179
	v_fmac_f32_e32 v180, v175, v178
	v_add_f32_e32 v167, v167, v180
	ds_read_b128 v[180:183], v166 offset:880
	v_fma_f32 v3, v108, v112, -v3
	v_add_f32_e32 v2, v2, v3
	v_mul_f32_e32 v3, v115, v119
	v_fma_f32 v3, v114, v118, -v3
	s_waitcnt lgkmcnt(0)
	v_mul_f32_e32 v188, v180, v185
	v_fmac_f32_e32 v188, v181, v184
	v_add_f32_e32 v167, v167, v188
	v_mul_f32_e32 v188, v182, v187
	v_fmac_f32_e32 v188, v183, v186
	v_add_f32_e32 v167, v167, v188
	ds_read_b128 v[188:191], v166 offset:896
	v_add_f32_e32 v2, v2, v3
	v_mul_f32_e32 v3, v117, v121
	v_fma_f32 v3, v116, v120, -v3
	v_add_f32_e32 v2, v2, v3
	s_waitcnt lgkmcnt(0)
	v_mul_f32_e32 v196, v188, v193
	v_fmac_f32_e32 v196, v189, v192
	v_add_f32_e32 v217, v167, v196
	ds_read_b128 v[196:199], v166 offset:912
	scratch_load_dwordx4 v[204:207], off, off offset:432
	scratch_load_dwordx4 v[208:211], off, off offset:448
	;; [unrolled: 1-line block ×3, first 2 shown]
	scratch_load_dwordx2 v[222:223], off, off offset:480
	v_mul_f32_e32 v3, v123, v127
	v_fma_f32 v3, v122, v126, -v3
	v_add_f32_e32 v2, v2, v3
	v_mul_f32_e32 v3, v125, v129
	v_fma_f32 v3, v124, v128, -v3
	v_add_f32_e32 v2, v2, v3
	;; [unrolled: 3-line block ×13, first 2 shown]
	v_mul_f32_e32 v2, v191, v195
	v_mul_f32_e32 v219, v190, v195
	v_fma_f32 v218, v190, v194, -v2
	s_waitcnt lgkmcnt(0)
	v_mul_f32_e32 v2, v197, v201
	v_fmac_f32_e32 v219, v191, v194
	v_mul_f32_e32 v221, v196, v201
	v_fma_f32 v220, v196, v200, -v2
	ds_read_b128 v[2:5], v166 offset:928
	ds_read_b128 v[6:9], v166 offset:944
	;; [unrolled: 1-line block ×3, first 2 shown]
	ds_read_b64 v[14:15], v166 offset:976
	v_pk_mul_f32 v[18:19], v[198:199], v[18:19] op_sel:[1,0] op_sel_hi:[0,0]
	v_fmac_f32_e32 v221, v197, v200
	v_pk_add_f32 v[16:17], v[216:217], v[218:219]
	v_pk_fma_f32 v[20:21], v[198:199], v[202:203], v[18:19] neg_lo:[0,0,1] neg_hi:[0,0,1]
	v_pk_fma_f32 v[18:19], v[198:199], v[202:203], v[18:19] op_sel_hi:[1,0,1]
	v_pk_add_f32 v[16:17], v[16:17], v[220:221]
	v_mov_b32_e32 v21, v19
	v_pk_add_f32 v[16:17], v[16:17], v[20:21]
	s_waitcnt vmcnt(3) lgkmcnt(3)
	v_pk_mul_f32 v[18:19], v[2:3], v[204:205] op_sel:[1,1] op_sel_hi:[0,1]
	v_pk_fma_f32 v[20:21], v[2:3], v[204:205], v[18:19] neg_lo:[0,0,1] neg_hi:[0,0,1]
	v_pk_fma_f32 v[2:3], v[2:3], v[204:205], v[18:19] op_sel_hi:[1,0,1]
	s_nop 0
	v_mov_b32_e32 v21, v3
	v_pk_add_f32 v[2:3], v[16:17], v[20:21]
	v_mov_b32_e32 v16, v207
	v_pk_mul_f32 v[16:17], v[4:5], v[16:17] op_sel:[1,0] op_sel_hi:[0,0]
	v_pk_fma_f32 v[18:19], v[4:5], v[206:207], v[16:17] neg_lo:[0,0,1] neg_hi:[0,0,1]
	v_pk_fma_f32 v[4:5], v[4:5], v[206:207], v[16:17] op_sel_hi:[1,0,1]
	s_nop 0
	v_mov_b32_e32 v19, v5
	s_waitcnt vmcnt(2) lgkmcnt(2)
	v_pk_mul_f32 v[4:5], v[6:7], v[208:209] op_sel:[1,1] op_sel_hi:[0,1]
	v_pk_fma_f32 v[16:17], v[6:7], v[208:209], v[4:5] neg_lo:[0,0,1] neg_hi:[0,0,1]
	v_pk_fma_f32 v[4:5], v[6:7], v[208:209], v[4:5] op_sel_hi:[1,0,1]
	v_pk_add_f32 v[2:3], v[2:3], v[18:19]
	v_mov_b32_e32 v4, v211
	v_mov_b32_e32 v17, v5
	v_pk_mul_f32 v[4:5], v[8:9], v[4:5] op_sel:[1,0] op_sel_hi:[0,0]
	v_pk_fma_f32 v[6:7], v[8:9], v[210:211], v[4:5] neg_lo:[0,0,1] neg_hi:[0,0,1]
	v_pk_fma_f32 v[4:5], v[8:9], v[210:211], v[4:5] op_sel_hi:[1,0,1]
	v_pk_add_f32 v[2:3], v[2:3], v[16:17]
	v_mov_b32_e32 v7, v5
	s_waitcnt vmcnt(1) lgkmcnt(1)
	v_pk_mul_f32 v[4:5], v[10:11], v[212:213] op_sel:[1,1] op_sel_hi:[0,1]
	v_pk_add_f32 v[2:3], v[2:3], v[6:7]
	v_pk_fma_f32 v[6:7], v[10:11], v[212:213], v[4:5] neg_lo:[0,0,1] neg_hi:[0,0,1]
	v_pk_fma_f32 v[4:5], v[10:11], v[212:213], v[4:5] op_sel_hi:[1,0,1]
	s_nop 0
	v_mov_b32_e32 v4, v215
	v_mov_b32_e32 v7, v5
	v_pk_mul_f32 v[4:5], v[12:13], v[4:5] op_sel:[1,0] op_sel_hi:[0,0]
	v_pk_add_f32 v[2:3], v[2:3], v[6:7]
	v_pk_fma_f32 v[6:7], v[12:13], v[214:215], v[4:5] neg_lo:[0,0,1] neg_hi:[0,0,1]
	v_pk_fma_f32 v[4:5], v[12:13], v[214:215], v[4:5] op_sel_hi:[1,0,1]
	s_nop 0
	v_mov_b32_e32 v7, v5
	s_waitcnt vmcnt(0) lgkmcnt(0)
	v_pk_mul_f32 v[4:5], v[14:15], v[222:223] op_sel:[1,1] op_sel_hi:[0,1]
	v_pk_add_f32 v[2:3], v[2:3], v[6:7]
	v_pk_fma_f32 v[6:7], v[14:15], v[222:223], v[4:5] neg_lo:[0,0,1] neg_hi:[0,0,1]
	v_pk_fma_f32 v[4:5], v[14:15], v[222:223], v[4:5] op_sel_hi:[1,0,1]
	s_nop 0
	v_mov_b32_e32 v7, v5
	scratch_load_dwordx2 v[4:5], off, off offset:56
	v_pk_add_f32 v[2:3], v[2:3], v[6:7]
	s_waitcnt vmcnt(0)
	v_pk_add_f32 v[2:3], v[4:5], v[2:3] neg_lo:[0,1] neg_hi:[0,1]
	scratch_store_dwordx2 off, v[2:3], off offset:56
	s_and_saveexec_b64 s[0:1], vcc
	s_cbranch_execz .LBB60_367
; %bb.366:
	scratch_load_dwordx2 v[2:3], off, off offset:48
	v_mov_b32_e32 v167, v166
	scratch_store_dwordx2 off, v[166:167], off offset:48
	s_waitcnt vmcnt(1)
	ds_write_b64 v1, v[2:3]
.LBB60_367:
	s_or_b64 exec, exec, s[0:1]
	s_waitcnt lgkmcnt(0)
	; wave barrier
	scratch_load_dwordx4 v[6:9], off, off offset:56
	scratch_load_dwordx4 v[14:17], off, off offset:72
	scratch_load_dwordx4 v[22:25], off, off offset:88
	scratch_load_dwordx4 v[30:33], off, off offset:104
	scratch_load_dwordx4 v[38:41], off, off offset:120
	scratch_load_dwordx4 v[46:49], off, off offset:136
	scratch_load_dwordx4 v[54:57], off, off offset:152
	scratch_load_dwordx4 v[62:65], off, off offset:168
	scratch_load_dwordx4 v[70:73], off, off offset:184
	scratch_load_dwordx4 v[78:81], off, off offset:200
	ds_read2_b64 v[2:5], v166 offset0:69 offset1:70
	scratch_load_dwordx4 v[86:89], off, off offset:216
	scratch_load_dwordx4 v[94:97], off, off offset:232
	;; [unrolled: 1-line block ×13, first 2 shown]
	v_cmp_lt_u32_e32 vcc, 5, v0
	s_waitcnt vmcnt(22) lgkmcnt(0)
	v_mul_f32_e32 v10, v2, v7
	v_fmac_f32_e32 v10, v3, v6
	v_mul_f32_e32 v11, v4, v9
	v_add_f32_e32 v10, 0, v10
	v_fmac_f32_e32 v11, v5, v8
	v_add_f32_e32 v18, v10, v11
	ds_read2_b64 v[10:13], v166 offset0:71 offset1:72
	v_mul_f32_e32 v3, v3, v7
	v_fma_f32 v2, v2, v6, -v3
	v_mul_f32_e32 v3, v5, v9
	v_add_f32_e32 v2, 0, v2
	s_waitcnt vmcnt(21) lgkmcnt(0)
	v_mul_f32_e32 v19, v10, v15
	v_fmac_f32_e32 v19, v11, v14
	v_add_f32_e32 v18, v18, v19
	v_mul_f32_e32 v19, v12, v17
	v_fmac_f32_e32 v19, v13, v16
	v_add_f32_e32 v26, v18, v19
	ds_read2_b64 v[18:21], v166 offset0:73 offset1:74
	v_fma_f32 v3, v4, v8, -v3
	v_add_f32_e32 v2, v2, v3
	v_mul_f32_e32 v3, v11, v15
	v_fma_f32 v3, v10, v14, -v3
	s_waitcnt vmcnt(20) lgkmcnt(0)
	v_mul_f32_e32 v27, v18, v23
	v_fmac_f32_e32 v27, v19, v22
	v_add_f32_e32 v26, v26, v27
	v_mul_f32_e32 v27, v20, v25
	v_fmac_f32_e32 v27, v21, v24
	v_add_f32_e32 v34, v26, v27
	ds_read2_b64 v[26:29], v166 offset0:75 offset1:76
	v_add_f32_e32 v2, v2, v3
	v_mul_f32_e32 v3, v13, v17
	v_fma_f32 v3, v12, v16, -v3
	v_add_f32_e32 v2, v2, v3
	s_waitcnt vmcnt(19) lgkmcnt(0)
	v_mul_f32_e32 v35, v26, v31
	v_fmac_f32_e32 v35, v27, v30
	v_add_f32_e32 v34, v34, v35
	v_mul_f32_e32 v35, v28, v33
	v_fmac_f32_e32 v35, v29, v32
	v_add_f32_e32 v42, v34, v35
	ds_read2_b64 v[34:37], v166 offset0:77 offset1:78
	v_mul_f32_e32 v3, v19, v23
	v_fma_f32 v3, v18, v22, -v3
	v_add_f32_e32 v2, v2, v3
	v_mul_f32_e32 v3, v21, v25
	s_waitcnt vmcnt(18) lgkmcnt(0)
	v_mul_f32_e32 v43, v34, v39
	v_fmac_f32_e32 v43, v35, v38
	v_add_f32_e32 v42, v42, v43
	v_mul_f32_e32 v43, v36, v41
	v_fmac_f32_e32 v43, v37, v40
	v_add_f32_e32 v50, v42, v43
	ds_read2_b64 v[42:45], v166 offset0:79 offset1:80
	v_fma_f32 v3, v20, v24, -v3
	v_add_f32_e32 v2, v2, v3
	v_mul_f32_e32 v3, v27, v31
	v_fma_f32 v3, v26, v30, -v3
	s_waitcnt vmcnt(17) lgkmcnt(0)
	v_mul_f32_e32 v51, v42, v47
	v_fmac_f32_e32 v51, v43, v46
	v_add_f32_e32 v50, v50, v51
	v_mul_f32_e32 v51, v44, v49
	v_fmac_f32_e32 v51, v45, v48
	v_add_f32_e32 v58, v50, v51
	ds_read2_b64 v[50:53], v166 offset0:81 offset1:82
	v_add_f32_e32 v2, v2, v3
	v_mul_f32_e32 v3, v29, v33
	v_fma_f32 v3, v28, v32, -v3
	v_add_f32_e32 v2, v2, v3
	s_waitcnt vmcnt(16) lgkmcnt(0)
	v_mul_f32_e32 v59, v50, v55
	v_fmac_f32_e32 v59, v51, v54
	v_add_f32_e32 v58, v58, v59
	v_mul_f32_e32 v59, v52, v57
	v_fmac_f32_e32 v59, v53, v56
	v_add_f32_e32 v66, v58, v59
	ds_read2_b64 v[58:61], v166 offset0:83 offset1:84
	v_mul_f32_e32 v3, v35, v39
	v_fma_f32 v3, v34, v38, -v3
	v_add_f32_e32 v2, v2, v3
	v_mul_f32_e32 v3, v37, v41
	;; [unrolled: 36-line block ×6, first 2 shown]
	s_waitcnt vmcnt(3) lgkmcnt(0)
	v_mul_f32_e32 v180, v172, v177
	v_fmac_f32_e32 v180, v173, v176
	v_add_f32_e32 v167, v167, v180
	v_mul_f32_e32 v180, v174, v179
	v_fmac_f32_e32 v180, v175, v178
	v_add_f32_e32 v167, v167, v180
	ds_read2_b64 v[180:183], v166 offset0:109 offset1:110
	v_fma_f32 v3, v100, v104, -v3
	v_add_f32_e32 v2, v2, v3
	v_mul_f32_e32 v3, v107, v111
	v_fma_f32 v3, v106, v110, -v3
	s_waitcnt vmcnt(2) lgkmcnt(0)
	v_mul_f32_e32 v188, v180, v185
	v_fmac_f32_e32 v188, v181, v184
	v_add_f32_e32 v167, v167, v188
	v_mul_f32_e32 v188, v182, v187
	v_fmac_f32_e32 v188, v183, v186
	v_add_f32_e32 v167, v167, v188
	ds_read2_b64 v[188:191], v166 offset0:111 offset1:112
	v_add_f32_e32 v2, v2, v3
	v_mul_f32_e32 v3, v109, v113
	v_fma_f32 v3, v108, v112, -v3
	v_add_f32_e32 v2, v2, v3
	s_waitcnt vmcnt(1) lgkmcnt(0)
	v_mul_f32_e32 v196, v188, v193
	v_fmac_f32_e32 v196, v189, v192
	v_add_f32_e32 v167, v167, v196
	v_mul_f32_e32 v196, v190, v195
	v_fmac_f32_e32 v196, v191, v194
	v_add_f32_e32 v221, v167, v196
	ds_read2_b64 v[196:199], v166 offset0:113 offset1:114
	scratch_load_dwordx4 v[204:207], off, off offset:424
	scratch_load_dwordx4 v[208:211], off, off offset:440
	;; [unrolled: 1-line block ×4, first 2 shown]
	v_mul_f32_e32 v3, v115, v119
	v_fma_f32 v3, v114, v118, -v3
	v_add_f32_e32 v2, v2, v3
	v_mul_f32_e32 v3, v117, v121
	v_fma_f32 v3, v116, v120, -v3
	v_add_f32_e32 v2, v2, v3
	;; [unrolled: 3-line block ×16, first 2 shown]
	s_waitcnt vmcnt(4) lgkmcnt(0)
	v_mul_f32_e32 v2, v197, v201
	v_fma_f32 v222, v196, v200, -v2
	v_mul_f32_e32 v2, v199, v203
	v_fma_f32 v224, v198, v202, -v2
	ds_read2_b64 v[2:5], v166 offset0:115 offset1:116
	ds_read2_b64 v[6:9], v166 offset0:117 offset1:118
	;; [unrolled: 1-line block ×4, first 2 shown]
	v_mul_f32_e32 v223, v196, v201
	v_fmac_f32_e32 v223, v197, v200
	v_mul_f32_e32 v225, v198, v203
	v_fmac_f32_e32 v225, v199, v202
	v_pk_add_f32 v[18:19], v[220:221], v[222:223]
	s_waitcnt vmcnt(3) lgkmcnt(3)
	v_pk_mul_f32 v[20:21], v[2:3], v[204:205] op_sel:[1,1] op_sel_hi:[0,1]
	v_pk_fma_f32 v[22:23], v[2:3], v[204:205], v[20:21] neg_lo:[0,0,1] neg_hi:[0,0,1]
	v_pk_fma_f32 v[2:3], v[2:3], v[204:205], v[20:21] op_sel_hi:[1,0,1]
	v_pk_add_f32 v[18:19], v[18:19], v[224:225]
	v_mov_b32_e32 v23, v3
	v_pk_add_f32 v[2:3], v[18:19], v[22:23]
	v_mov_b32_e32 v18, v207
	v_pk_mul_f32 v[18:19], v[4:5], v[18:19] op_sel:[1,0] op_sel_hi:[0,0]
	v_pk_fma_f32 v[20:21], v[4:5], v[206:207], v[18:19] neg_lo:[0,0,1] neg_hi:[0,0,1]
	v_pk_fma_f32 v[4:5], v[4:5], v[206:207], v[18:19] op_sel_hi:[1,0,1]
	s_nop 0
	v_mov_b32_e32 v21, v5
	s_waitcnt vmcnt(2) lgkmcnt(2)
	v_pk_mul_f32 v[4:5], v[6:7], v[208:209] op_sel:[1,1] op_sel_hi:[0,1]
	v_pk_fma_f32 v[18:19], v[6:7], v[208:209], v[4:5] neg_lo:[0,0,1] neg_hi:[0,0,1]
	v_pk_fma_f32 v[4:5], v[6:7], v[208:209], v[4:5] op_sel_hi:[1,0,1]
	v_pk_add_f32 v[2:3], v[2:3], v[20:21]
	v_mov_b32_e32 v4, v211
	v_mov_b32_e32 v19, v5
	v_pk_mul_f32 v[4:5], v[8:9], v[4:5] op_sel:[1,0] op_sel_hi:[0,0]
	v_pk_fma_f32 v[6:7], v[8:9], v[210:211], v[4:5] neg_lo:[0,0,1] neg_hi:[0,0,1]
	v_pk_fma_f32 v[4:5], v[8:9], v[210:211], v[4:5] op_sel_hi:[1,0,1]
	v_pk_add_f32 v[2:3], v[2:3], v[18:19]
	v_mov_b32_e32 v7, v5
	s_waitcnt vmcnt(1) lgkmcnt(1)
	v_pk_mul_f32 v[4:5], v[10:11], v[212:213] op_sel:[1,1] op_sel_hi:[0,1]
	v_pk_add_f32 v[2:3], v[2:3], v[6:7]
	v_pk_fma_f32 v[6:7], v[10:11], v[212:213], v[4:5] neg_lo:[0,0,1] neg_hi:[0,0,1]
	v_pk_fma_f32 v[4:5], v[10:11], v[212:213], v[4:5] op_sel_hi:[1,0,1]
	s_nop 0
	v_mov_b32_e32 v4, v215
	v_mov_b32_e32 v7, v5
	v_pk_mul_f32 v[4:5], v[12:13], v[4:5] op_sel:[1,0] op_sel_hi:[0,0]
	v_pk_add_f32 v[2:3], v[2:3], v[6:7]
	v_pk_fma_f32 v[6:7], v[12:13], v[214:215], v[4:5] neg_lo:[0,0,1] neg_hi:[0,0,1]
	v_pk_fma_f32 v[4:5], v[12:13], v[214:215], v[4:5] op_sel_hi:[1,0,1]
	s_nop 0
	v_mov_b32_e32 v7, v5
	s_waitcnt vmcnt(0) lgkmcnt(0)
	v_pk_mul_f32 v[4:5], v[14:15], v[216:217] op_sel:[1,1] op_sel_hi:[0,1]
	v_pk_add_f32 v[2:3], v[2:3], v[6:7]
	v_pk_fma_f32 v[6:7], v[14:15], v[216:217], v[4:5] neg_lo:[0,0,1] neg_hi:[0,0,1]
	v_pk_fma_f32 v[4:5], v[14:15], v[216:217], v[4:5] op_sel_hi:[1,0,1]
	s_nop 0
	v_mov_b32_e32 v4, v219
	v_mov_b32_e32 v7, v5
	v_pk_mul_f32 v[4:5], v[16:17], v[4:5] op_sel:[1,0] op_sel_hi:[0,0]
	v_pk_add_f32 v[2:3], v[2:3], v[6:7]
	v_pk_fma_f32 v[6:7], v[16:17], v[218:219], v[4:5] neg_lo:[0,0,1] neg_hi:[0,0,1]
	v_pk_fma_f32 v[4:5], v[16:17], v[218:219], v[4:5] op_sel_hi:[1,0,1]
	s_nop 0
	v_mov_b32_e32 v7, v5
	scratch_load_dwordx2 v[4:5], off, off offset:48
	v_pk_add_f32 v[2:3], v[2:3], v[6:7]
	s_waitcnt vmcnt(0)
	v_pk_add_f32 v[2:3], v[4:5], v[2:3] neg_lo:[0,1] neg_hi:[0,1]
	scratch_store_dwordx2 off, v[2:3], off offset:48
	s_and_saveexec_b64 s[0:1], vcc
	s_cbranch_execz .LBB60_369
; %bb.368:
	scratch_load_dwordx2 v[2:3], off, off offset:40
	v_mov_b32_e32 v4, 0
	v_mov_b32_e32 v5, v4
	scratch_store_dwordx2 off, v[4:5], off offset:40
	s_waitcnt vmcnt(1)
	ds_write_b64 v1, v[2:3]
.LBB60_369:
	s_or_b64 exec, exec, s[0:1]
	v_mov_b32_e32 v166, 0
	s_waitcnt lgkmcnt(0)
	; wave barrier
	ds_read_b128 v[14:17], v166 offset:544
	ds_read_b128 v[10:13], v166 offset:560
	;; [unrolled: 1-line block ×4, first 2 shown]
	scratch_load_dwordx4 v[18:21], off, off offset:48
	scratch_load_dwordx4 v[38:41], off, off offset:112
	;; [unrolled: 1-line block ×18, first 2 shown]
	v_cmp_lt_u32_e32 vcc, 4, v0
	scratch_load_dwordx4 v[46:49], off, off offset:128
	scratch_load_dwordx4 v[54:57], off, off offset:144
	;; [unrolled: 1-line block ×3, first 2 shown]
	s_waitcnt vmcnt(20) lgkmcnt(3)
	v_mul_f32_e32 v22, v14, v19
	v_fmac_f32_e32 v22, v15, v18
	v_mul_f32_e32 v23, v16, v21
	v_add_f32_e32 v22, 0, v22
	v_fmac_f32_e32 v23, v17, v20
	v_add_f32_e32 v26, v22, v23
	scratch_load_dwordx4 v[22:25], off, off offset:64
	v_mul_f32_e32 v15, v15, v19
	v_fma_f32 v14, v14, v18, -v15
	v_mul_f32_e32 v15, v17, v21
	v_add_f32_e32 v14, 0, v14
	v_fma_f32 v15, v16, v20, -v15
	v_add_f32_e32 v14, v14, v15
	s_waitcnt vmcnt(4)
	v_mov_b32_e32 v18, v211
	s_waitcnt vmcnt(0) lgkmcnt(2)
	v_mul_f32_e32 v27, v10, v23
	v_fmac_f32_e32 v27, v11, v22
	v_add_f32_e32 v26, v26, v27
	v_mul_f32_e32 v27, v12, v25
	v_fmac_f32_e32 v27, v13, v24
	v_add_f32_e32 v30, v26, v27
	scratch_load_dwordx4 v[26:29], off, off offset:80
	v_mul_f32_e32 v11, v11, v23
	v_fma_f32 v10, v10, v22, -v11
	v_mul_f32_e32 v11, v13, v25
	v_add_f32_e32 v10, v14, v10
	v_fma_f32 v11, v12, v24, -v11
	v_add_f32_e32 v10, v10, v11
	s_waitcnt vmcnt(0) lgkmcnt(1)
	v_mul_f32_e32 v31, v6, v27
	v_fmac_f32_e32 v31, v7, v26
	v_add_f32_e32 v30, v30, v31
	v_mul_f32_e32 v31, v8, v29
	v_fmac_f32_e32 v31, v9, v28
	v_add_f32_e32 v34, v30, v31
	scratch_load_dwordx4 v[30:33], off, off offset:96
	v_mul_f32_e32 v7, v7, v27
	v_fma_f32 v6, v6, v26, -v7
	v_mul_f32_e32 v7, v9, v29
	v_add_f32_e32 v6, v10, v6
	v_fma_f32 v7, v8, v28, -v7
	v_add_f32_e32 v6, v6, v7
	s_waitcnt vmcnt(0) lgkmcnt(0)
	v_mul_f32_e32 v35, v2, v31
	v_fmac_f32_e32 v35, v3, v30
	v_add_f32_e32 v34, v34, v35
	v_mul_f32_e32 v35, v4, v33
	v_fmac_f32_e32 v35, v5, v32
	v_add_f32_e32 v42, v34, v35
	ds_read_b128 v[34:37], v166 offset:608
	v_mul_f32_e32 v3, v3, v31
	v_fma_f32 v2, v2, v30, -v3
	v_mul_f32_e32 v3, v5, v33
	v_add_f32_e32 v2, v6, v2
	s_waitcnt lgkmcnt(0)
	v_mul_f32_e32 v43, v34, v39
	v_fmac_f32_e32 v43, v35, v38
	v_add_f32_e32 v42, v42, v43
	v_mul_f32_e32 v43, v36, v41
	v_fmac_f32_e32 v43, v37, v40
	v_add_f32_e32 v50, v42, v43
	ds_read_b128 v[42:45], v166 offset:624
	v_fma_f32 v3, v4, v32, -v3
	v_add_f32_e32 v2, v2, v3
	v_mul_f32_e32 v3, v35, v39
	v_fma_f32 v3, v34, v38, -v3
	s_waitcnt lgkmcnt(0)
	v_mul_f32_e32 v51, v42, v47
	v_fmac_f32_e32 v51, v43, v46
	v_add_f32_e32 v50, v50, v51
	v_mul_f32_e32 v51, v44, v49
	v_fmac_f32_e32 v51, v45, v48
	v_add_f32_e32 v58, v50, v51
	ds_read_b128 v[50:53], v166 offset:640
	v_add_f32_e32 v2, v2, v3
	v_mul_f32_e32 v3, v37, v41
	v_fma_f32 v3, v36, v40, -v3
	v_add_f32_e32 v2, v2, v3
	s_waitcnt lgkmcnt(0)
	v_mul_f32_e32 v59, v50, v55
	v_fmac_f32_e32 v59, v51, v54
	v_add_f32_e32 v58, v58, v59
	v_mul_f32_e32 v59, v52, v57
	v_fmac_f32_e32 v59, v53, v56
	v_add_f32_e32 v66, v58, v59
	ds_read_b128 v[58:61], v166 offset:656
	v_mul_f32_e32 v3, v43, v47
	v_fma_f32 v3, v42, v46, -v3
	v_add_f32_e32 v2, v2, v3
	v_mul_f32_e32 v3, v45, v49
	s_waitcnt lgkmcnt(0)
	v_mul_f32_e32 v67, v58, v63
	v_fmac_f32_e32 v67, v59, v62
	v_add_f32_e32 v66, v66, v67
	v_mul_f32_e32 v67, v60, v65
	v_fmac_f32_e32 v67, v61, v64
	v_add_f32_e32 v74, v66, v67
	ds_read_b128 v[66:69], v166 offset:672
	v_fma_f32 v3, v44, v48, -v3
	v_add_f32_e32 v2, v2, v3
	v_mul_f32_e32 v3, v51, v55
	v_fma_f32 v3, v50, v54, -v3
	s_waitcnt lgkmcnt(0)
	v_mul_f32_e32 v75, v66, v71
	v_fmac_f32_e32 v75, v67, v70
	v_add_f32_e32 v74, v74, v75
	v_mul_f32_e32 v75, v68, v73
	v_fmac_f32_e32 v75, v69, v72
	v_add_f32_e32 v82, v74, v75
	ds_read_b128 v[74:77], v166 offset:688
	v_add_f32_e32 v2, v2, v3
	v_mul_f32_e32 v3, v53, v57
	v_fma_f32 v3, v52, v56, -v3
	v_add_f32_e32 v2, v2, v3
	s_waitcnt lgkmcnt(0)
	v_mul_f32_e32 v83, v74, v79
	v_fmac_f32_e32 v83, v75, v78
	v_add_f32_e32 v82, v82, v83
	v_mul_f32_e32 v83, v76, v81
	v_fmac_f32_e32 v83, v77, v80
	v_add_f32_e32 v90, v82, v83
	ds_read_b128 v[82:85], v166 offset:704
	v_mul_f32_e32 v3, v59, v63
	v_fma_f32 v3, v58, v62, -v3
	v_add_f32_e32 v2, v2, v3
	v_mul_f32_e32 v3, v61, v65
	;; [unrolled: 36-line block ×6, first 2 shown]
	s_waitcnt lgkmcnt(0)
	v_mul_f32_e32 v204, v196, v201
	v_fmac_f32_e32 v204, v197, v200
	v_add_f32_e32 v225, v167, v204
	ds_read_b128 v[204:207], v166 offset:912
	scratch_load_dwordx4 v[212:215], off, off offset:432
	scratch_load_dwordx4 v[216:219], off, off offset:448
	;; [unrolled: 1-line block ×3, first 2 shown]
	scratch_load_dwordx2 v[230:231], off, off offset:480
	v_fma_f32 v3, v124, v128, -v3
	v_add_f32_e32 v2, v2, v3
	v_mul_f32_e32 v3, v131, v135
	v_fma_f32 v3, v130, v134, -v3
	v_add_f32_e32 v2, v2, v3
	v_mul_f32_e32 v3, v133, v137
	;; [unrolled: 3-line block ×14, first 2 shown]
	v_mul_f32_e32 v227, v198, v203
	v_fma_f32 v226, v198, v202, -v2
	s_waitcnt lgkmcnt(0)
	v_mul_f32_e32 v2, v205, v209
	v_fmac_f32_e32 v227, v199, v202
	v_mul_f32_e32 v229, v204, v209
	v_fma_f32 v228, v204, v208, -v2
	ds_read_b128 v[2:5], v166 offset:928
	ds_read_b128 v[6:9], v166 offset:944
	;; [unrolled: 1-line block ×3, first 2 shown]
	ds_read_b64 v[14:15], v166 offset:976
	v_pk_mul_f32 v[18:19], v[206:207], v[18:19] op_sel:[1,0] op_sel_hi:[0,0]
	v_fmac_f32_e32 v229, v205, v208
	v_pk_add_f32 v[16:17], v[224:225], v[226:227]
	v_pk_fma_f32 v[20:21], v[206:207], v[210:211], v[18:19] neg_lo:[0,0,1] neg_hi:[0,0,1]
	v_pk_fma_f32 v[18:19], v[206:207], v[210:211], v[18:19] op_sel_hi:[1,0,1]
	v_pk_add_f32 v[16:17], v[16:17], v[228:229]
	v_mov_b32_e32 v21, v19
	v_pk_add_f32 v[16:17], v[16:17], v[20:21]
	s_waitcnt vmcnt(3) lgkmcnt(3)
	v_pk_mul_f32 v[18:19], v[2:3], v[212:213] op_sel:[1,1] op_sel_hi:[0,1]
	v_pk_fma_f32 v[20:21], v[2:3], v[212:213], v[18:19] neg_lo:[0,0,1] neg_hi:[0,0,1]
	v_pk_fma_f32 v[2:3], v[2:3], v[212:213], v[18:19] op_sel_hi:[1,0,1]
	s_nop 0
	v_mov_b32_e32 v21, v3
	v_pk_add_f32 v[2:3], v[16:17], v[20:21]
	v_mov_b32_e32 v16, v215
	v_pk_mul_f32 v[16:17], v[4:5], v[16:17] op_sel:[1,0] op_sel_hi:[0,0]
	v_pk_fma_f32 v[18:19], v[4:5], v[214:215], v[16:17] neg_lo:[0,0,1] neg_hi:[0,0,1]
	v_pk_fma_f32 v[4:5], v[4:5], v[214:215], v[16:17] op_sel_hi:[1,0,1]
	s_nop 0
	v_mov_b32_e32 v19, v5
	s_waitcnt vmcnt(2) lgkmcnt(2)
	v_pk_mul_f32 v[4:5], v[6:7], v[216:217] op_sel:[1,1] op_sel_hi:[0,1]
	v_pk_fma_f32 v[16:17], v[6:7], v[216:217], v[4:5] neg_lo:[0,0,1] neg_hi:[0,0,1]
	v_pk_fma_f32 v[4:5], v[6:7], v[216:217], v[4:5] op_sel_hi:[1,0,1]
	v_pk_add_f32 v[2:3], v[2:3], v[18:19]
	v_mov_b32_e32 v4, v219
	v_mov_b32_e32 v17, v5
	v_pk_mul_f32 v[4:5], v[8:9], v[4:5] op_sel:[1,0] op_sel_hi:[0,0]
	v_pk_fma_f32 v[6:7], v[8:9], v[218:219], v[4:5] neg_lo:[0,0,1] neg_hi:[0,0,1]
	v_pk_fma_f32 v[4:5], v[8:9], v[218:219], v[4:5] op_sel_hi:[1,0,1]
	v_pk_add_f32 v[2:3], v[2:3], v[16:17]
	v_mov_b32_e32 v7, v5
	s_waitcnt vmcnt(1) lgkmcnt(1)
	v_pk_mul_f32 v[4:5], v[10:11], v[220:221] op_sel:[1,1] op_sel_hi:[0,1]
	v_pk_add_f32 v[2:3], v[2:3], v[6:7]
	v_pk_fma_f32 v[6:7], v[10:11], v[220:221], v[4:5] neg_lo:[0,0,1] neg_hi:[0,0,1]
	v_pk_fma_f32 v[4:5], v[10:11], v[220:221], v[4:5] op_sel_hi:[1,0,1]
	s_nop 0
	v_mov_b32_e32 v4, v223
	v_mov_b32_e32 v7, v5
	v_pk_mul_f32 v[4:5], v[12:13], v[4:5] op_sel:[1,0] op_sel_hi:[0,0]
	v_pk_add_f32 v[2:3], v[2:3], v[6:7]
	v_pk_fma_f32 v[6:7], v[12:13], v[222:223], v[4:5] neg_lo:[0,0,1] neg_hi:[0,0,1]
	v_pk_fma_f32 v[4:5], v[12:13], v[222:223], v[4:5] op_sel_hi:[1,0,1]
	s_nop 0
	v_mov_b32_e32 v7, v5
	s_waitcnt vmcnt(0) lgkmcnt(0)
	v_pk_mul_f32 v[4:5], v[14:15], v[230:231] op_sel:[1,1] op_sel_hi:[0,1]
	v_pk_add_f32 v[2:3], v[2:3], v[6:7]
	v_pk_fma_f32 v[6:7], v[14:15], v[230:231], v[4:5] neg_lo:[0,0,1] neg_hi:[0,0,1]
	v_pk_fma_f32 v[4:5], v[14:15], v[230:231], v[4:5] op_sel_hi:[1,0,1]
	s_nop 0
	v_mov_b32_e32 v7, v5
	scratch_load_dwordx2 v[4:5], off, off offset:40
	v_pk_add_f32 v[2:3], v[2:3], v[6:7]
	s_waitcnt vmcnt(0)
	v_pk_add_f32 v[2:3], v[4:5], v[2:3] neg_lo:[0,1] neg_hi:[0,1]
	scratch_store_dwordx2 off, v[2:3], off offset:40
	s_and_saveexec_b64 s[0:1], vcc
	s_cbranch_execz .LBB60_371
; %bb.370:
	scratch_load_dwordx2 v[2:3], off, off offset:32
	v_mov_b32_e32 v167, v166
	scratch_store_dwordx2 off, v[166:167], off offset:32
	s_waitcnt vmcnt(1)
	ds_write_b64 v1, v[2:3]
.LBB60_371:
	s_or_b64 exec, exec, s[0:1]
	s_waitcnt lgkmcnt(0)
	; wave barrier
	scratch_load_dwordx4 v[6:9], off, off offset:40
	scratch_load_dwordx4 v[14:17], off, off offset:56
	;; [unrolled: 1-line block ×10, first 2 shown]
	ds_read2_b64 v[2:5], v166 offset0:67 offset1:68
	scratch_load_dwordx4 v[86:89], off, off offset:200
	scratch_load_dwordx4 v[94:97], off, off offset:216
	;; [unrolled: 1-line block ×14, first 2 shown]
	v_cmp_lt_u32_e32 vcc, 3, v0
	s_waitcnt vmcnt(23) lgkmcnt(0)
	v_mul_f32_e32 v10, v2, v7
	v_fmac_f32_e32 v10, v3, v6
	v_mul_f32_e32 v11, v4, v9
	v_add_f32_e32 v10, 0, v10
	v_fmac_f32_e32 v11, v5, v8
	v_add_f32_e32 v18, v10, v11
	ds_read2_b64 v[10:13], v166 offset0:69 offset1:70
	v_mul_f32_e32 v3, v3, v7
	v_fma_f32 v2, v2, v6, -v3
	v_mul_f32_e32 v3, v5, v9
	v_add_f32_e32 v2, 0, v2
	s_waitcnt vmcnt(22) lgkmcnt(0)
	v_mul_f32_e32 v19, v10, v15
	v_fmac_f32_e32 v19, v11, v14
	v_add_f32_e32 v18, v18, v19
	v_mul_f32_e32 v19, v12, v17
	v_fmac_f32_e32 v19, v13, v16
	v_add_f32_e32 v26, v18, v19
	ds_read2_b64 v[18:21], v166 offset0:71 offset1:72
	v_fma_f32 v3, v4, v8, -v3
	v_add_f32_e32 v2, v2, v3
	v_mul_f32_e32 v3, v11, v15
	v_fma_f32 v3, v10, v14, -v3
	s_waitcnt vmcnt(21) lgkmcnt(0)
	v_mul_f32_e32 v27, v18, v23
	v_fmac_f32_e32 v27, v19, v22
	v_add_f32_e32 v26, v26, v27
	v_mul_f32_e32 v27, v20, v25
	v_fmac_f32_e32 v27, v21, v24
	v_add_f32_e32 v34, v26, v27
	ds_read2_b64 v[26:29], v166 offset0:73 offset1:74
	v_add_f32_e32 v2, v2, v3
	v_mul_f32_e32 v3, v13, v17
	v_fma_f32 v3, v12, v16, -v3
	v_add_f32_e32 v2, v2, v3
	s_waitcnt vmcnt(20) lgkmcnt(0)
	v_mul_f32_e32 v35, v26, v31
	v_fmac_f32_e32 v35, v27, v30
	v_add_f32_e32 v34, v34, v35
	v_mul_f32_e32 v35, v28, v33
	v_fmac_f32_e32 v35, v29, v32
	v_add_f32_e32 v42, v34, v35
	ds_read2_b64 v[34:37], v166 offset0:75 offset1:76
	v_mul_f32_e32 v3, v19, v23
	v_fma_f32 v3, v18, v22, -v3
	v_add_f32_e32 v2, v2, v3
	v_mul_f32_e32 v3, v21, v25
	s_waitcnt vmcnt(19) lgkmcnt(0)
	v_mul_f32_e32 v43, v34, v39
	v_fmac_f32_e32 v43, v35, v38
	v_add_f32_e32 v42, v42, v43
	v_mul_f32_e32 v43, v36, v41
	v_fmac_f32_e32 v43, v37, v40
	v_add_f32_e32 v50, v42, v43
	ds_read2_b64 v[42:45], v166 offset0:77 offset1:78
	v_fma_f32 v3, v20, v24, -v3
	v_add_f32_e32 v2, v2, v3
	v_mul_f32_e32 v3, v27, v31
	v_fma_f32 v3, v26, v30, -v3
	s_waitcnt vmcnt(18) lgkmcnt(0)
	v_mul_f32_e32 v51, v42, v47
	v_fmac_f32_e32 v51, v43, v46
	v_add_f32_e32 v50, v50, v51
	v_mul_f32_e32 v51, v44, v49
	v_fmac_f32_e32 v51, v45, v48
	v_add_f32_e32 v58, v50, v51
	ds_read2_b64 v[50:53], v166 offset0:79 offset1:80
	v_add_f32_e32 v2, v2, v3
	v_mul_f32_e32 v3, v29, v33
	v_fma_f32 v3, v28, v32, -v3
	v_add_f32_e32 v2, v2, v3
	s_waitcnt vmcnt(17) lgkmcnt(0)
	v_mul_f32_e32 v59, v50, v55
	v_fmac_f32_e32 v59, v51, v54
	v_add_f32_e32 v58, v58, v59
	v_mul_f32_e32 v59, v52, v57
	v_fmac_f32_e32 v59, v53, v56
	v_add_f32_e32 v66, v58, v59
	ds_read2_b64 v[58:61], v166 offset0:81 offset1:82
	v_mul_f32_e32 v3, v35, v39
	v_fma_f32 v3, v34, v38, -v3
	v_add_f32_e32 v2, v2, v3
	v_mul_f32_e32 v3, v37, v41
	;; [unrolled: 36-line block ×7, first 2 shown]
	s_waitcnt vmcnt(1) lgkmcnt(0)
	v_mul_f32_e32 v204, v196, v201
	v_fmac_f32_e32 v204, v197, v200
	v_add_f32_e32 v167, v167, v204
	v_mul_f32_e32 v204, v198, v203
	v_fmac_f32_e32 v204, v199, v202
	v_add_f32_e32 v229, v167, v204
	ds_read2_b64 v[204:207], v166 offset0:113 offset1:114
	scratch_load_dwordx4 v[212:215], off, off offset:424
	scratch_load_dwordx4 v[216:219], off, off offset:440
	;; [unrolled: 1-line block ×4, first 2 shown]
	v_fma_f32 v3, v116, v120, -v3
	v_add_f32_e32 v2, v2, v3
	v_mul_f32_e32 v3, v123, v127
	v_fma_f32 v3, v122, v126, -v3
	v_add_f32_e32 v2, v2, v3
	v_mul_f32_e32 v3, v125, v129
	;; [unrolled: 3-line block ×16, first 2 shown]
	v_fma_f32 v3, v198, v202, -v3
	v_add_f32_e32 v228, v2, v3
	s_waitcnt vmcnt(4) lgkmcnt(0)
	v_mul_f32_e32 v2, v205, v209
	v_fma_f32 v230, v204, v208, -v2
	v_mul_f32_e32 v2, v207, v211
	v_fma_f32 v232, v206, v210, -v2
	ds_read2_b64 v[2:5], v166 offset0:115 offset1:116
	ds_read2_b64 v[6:9], v166 offset0:117 offset1:118
	;; [unrolled: 1-line block ×4, first 2 shown]
	v_mul_f32_e32 v231, v204, v209
	v_fmac_f32_e32 v231, v205, v208
	v_mul_f32_e32 v233, v206, v211
	v_fmac_f32_e32 v233, v207, v210
	v_pk_add_f32 v[18:19], v[228:229], v[230:231]
	s_waitcnt vmcnt(3) lgkmcnt(3)
	v_pk_mul_f32 v[20:21], v[2:3], v[212:213] op_sel:[1,1] op_sel_hi:[0,1]
	v_pk_fma_f32 v[22:23], v[2:3], v[212:213], v[20:21] neg_lo:[0,0,1] neg_hi:[0,0,1]
	v_pk_fma_f32 v[2:3], v[2:3], v[212:213], v[20:21] op_sel_hi:[1,0,1]
	v_pk_add_f32 v[18:19], v[18:19], v[232:233]
	v_mov_b32_e32 v23, v3
	v_pk_add_f32 v[2:3], v[18:19], v[22:23]
	v_mov_b32_e32 v18, v215
	v_pk_mul_f32 v[18:19], v[4:5], v[18:19] op_sel:[1,0] op_sel_hi:[0,0]
	v_pk_fma_f32 v[20:21], v[4:5], v[214:215], v[18:19] neg_lo:[0,0,1] neg_hi:[0,0,1]
	v_pk_fma_f32 v[4:5], v[4:5], v[214:215], v[18:19] op_sel_hi:[1,0,1]
	s_nop 0
	v_mov_b32_e32 v21, v5
	s_waitcnt vmcnt(2) lgkmcnt(2)
	v_pk_mul_f32 v[4:5], v[6:7], v[216:217] op_sel:[1,1] op_sel_hi:[0,1]
	v_pk_fma_f32 v[18:19], v[6:7], v[216:217], v[4:5] neg_lo:[0,0,1] neg_hi:[0,0,1]
	v_pk_fma_f32 v[4:5], v[6:7], v[216:217], v[4:5] op_sel_hi:[1,0,1]
	v_pk_add_f32 v[2:3], v[2:3], v[20:21]
	v_mov_b32_e32 v4, v219
	v_mov_b32_e32 v19, v5
	v_pk_mul_f32 v[4:5], v[8:9], v[4:5] op_sel:[1,0] op_sel_hi:[0,0]
	v_pk_fma_f32 v[6:7], v[8:9], v[218:219], v[4:5] neg_lo:[0,0,1] neg_hi:[0,0,1]
	v_pk_fma_f32 v[4:5], v[8:9], v[218:219], v[4:5] op_sel_hi:[1,0,1]
	v_pk_add_f32 v[2:3], v[2:3], v[18:19]
	v_mov_b32_e32 v7, v5
	s_waitcnt vmcnt(1) lgkmcnt(1)
	v_pk_mul_f32 v[4:5], v[10:11], v[220:221] op_sel:[1,1] op_sel_hi:[0,1]
	v_pk_add_f32 v[2:3], v[2:3], v[6:7]
	v_pk_fma_f32 v[6:7], v[10:11], v[220:221], v[4:5] neg_lo:[0,0,1] neg_hi:[0,0,1]
	v_pk_fma_f32 v[4:5], v[10:11], v[220:221], v[4:5] op_sel_hi:[1,0,1]
	s_nop 0
	v_mov_b32_e32 v4, v223
	v_mov_b32_e32 v7, v5
	v_pk_mul_f32 v[4:5], v[12:13], v[4:5] op_sel:[1,0] op_sel_hi:[0,0]
	v_pk_add_f32 v[2:3], v[2:3], v[6:7]
	v_pk_fma_f32 v[6:7], v[12:13], v[222:223], v[4:5] neg_lo:[0,0,1] neg_hi:[0,0,1]
	v_pk_fma_f32 v[4:5], v[12:13], v[222:223], v[4:5] op_sel_hi:[1,0,1]
	s_nop 0
	v_mov_b32_e32 v7, v5
	s_waitcnt vmcnt(0) lgkmcnt(0)
	v_pk_mul_f32 v[4:5], v[14:15], v[224:225] op_sel:[1,1] op_sel_hi:[0,1]
	v_pk_add_f32 v[2:3], v[2:3], v[6:7]
	v_pk_fma_f32 v[6:7], v[14:15], v[224:225], v[4:5] neg_lo:[0,0,1] neg_hi:[0,0,1]
	v_pk_fma_f32 v[4:5], v[14:15], v[224:225], v[4:5] op_sel_hi:[1,0,1]
	s_nop 0
	v_mov_b32_e32 v4, v227
	v_mov_b32_e32 v7, v5
	v_pk_mul_f32 v[4:5], v[16:17], v[4:5] op_sel:[1,0] op_sel_hi:[0,0]
	v_pk_add_f32 v[2:3], v[2:3], v[6:7]
	v_pk_fma_f32 v[6:7], v[16:17], v[226:227], v[4:5] neg_lo:[0,0,1] neg_hi:[0,0,1]
	v_pk_fma_f32 v[4:5], v[16:17], v[226:227], v[4:5] op_sel_hi:[1,0,1]
	s_nop 0
	v_mov_b32_e32 v7, v5
	scratch_load_dwordx2 v[4:5], off, off offset:32
	v_pk_add_f32 v[2:3], v[2:3], v[6:7]
	s_waitcnt vmcnt(0)
	v_pk_add_f32 v[2:3], v[4:5], v[2:3] neg_lo:[0,1] neg_hi:[0,1]
	scratch_store_dwordx2 off, v[2:3], off offset:32
	s_and_saveexec_b64 s[0:1], vcc
	s_cbranch_execz .LBB60_373
; %bb.372:
	scratch_load_dwordx2 v[2:3], off, off offset:24
	v_mov_b32_e32 v4, 0
	v_mov_b32_e32 v5, v4
	scratch_store_dwordx2 off, v[4:5], off offset:24
	s_waitcnt vmcnt(1)
	ds_write_b64 v1, v[2:3]
.LBB60_373:
	s_or_b64 exec, exec, s[0:1]
	v_mov_b32_e32 v166, 0
	s_waitcnt lgkmcnt(0)
	; wave barrier
	ds_read_b128 v[14:17], v166 offset:528
	ds_read_b128 v[10:13], v166 offset:544
	;; [unrolled: 1-line block ×4, first 2 shown]
	scratch_load_dwordx4 v[18:21], off, off offset:32
	scratch_load_dwordx4 v[38:41], off, off offset:96
	scratch_load_dwordx4 v[70:73], off, off offset:160
	scratch_load_dwordx4 v[78:81], off, off offset:176
	scratch_load_dwordx4 v[86:89], off, off offset:192
	scratch_load_dwordx4 v[94:97], off, off offset:208
	scratch_load_dwordx4 v[102:105], off, off offset:224
	scratch_load_dwordx4 v[110:113], off, off offset:240
	scratch_load_dwordx4 v[118:121], off, off offset:256
	scratch_load_dwordx4 v[126:129], off, off offset:272
	scratch_load_dwordx4 v[134:137], off, off offset:288
	scratch_load_dwordx4 v[142:145], off, off offset:304
	scratch_load_dwordx4 v[168:171], off, off offset:320
	scratch_load_dwordx4 v[176:179], off, off offset:336
	scratch_load_dwordx4 v[184:187], off, off offset:352
	scratch_load_dwordx4 v[192:195], off, off offset:368
	scratch_load_dwordx4 v[200:203], off, off offset:384
	scratch_load_dwordx4 v[208:211], off, off offset:400
	scratch_load_dwordx4 v[216:219], off, off offset:416
	v_cmp_lt_u32_e32 vcc, 2, v0
	scratch_load_dwordx4 v[46:49], off, off offset:112
	scratch_load_dwordx4 v[54:57], off, off offset:128
	;; [unrolled: 1-line block ×3, first 2 shown]
	s_waitcnt vmcnt(21) lgkmcnt(3)
	v_mul_f32_e32 v22, v14, v19
	v_fmac_f32_e32 v22, v15, v18
	v_mul_f32_e32 v23, v16, v21
	v_add_f32_e32 v22, 0, v22
	v_fmac_f32_e32 v23, v17, v20
	v_add_f32_e32 v26, v22, v23
	scratch_load_dwordx4 v[22:25], off, off offset:48
	v_mul_f32_e32 v15, v15, v19
	v_fma_f32 v14, v14, v18, -v15
	v_mul_f32_e32 v15, v17, v21
	v_add_f32_e32 v14, 0, v14
	v_fma_f32 v15, v16, v20, -v15
	v_add_f32_e32 v14, v14, v15
	s_waitcnt vmcnt(4)
	v_mov_b32_e32 v18, v219
	s_waitcnt vmcnt(0) lgkmcnt(2)
	v_mul_f32_e32 v27, v10, v23
	v_fmac_f32_e32 v27, v11, v22
	v_add_f32_e32 v26, v26, v27
	v_mul_f32_e32 v27, v12, v25
	v_fmac_f32_e32 v27, v13, v24
	v_add_f32_e32 v30, v26, v27
	scratch_load_dwordx4 v[26:29], off, off offset:64
	v_mul_f32_e32 v11, v11, v23
	v_fma_f32 v10, v10, v22, -v11
	v_mul_f32_e32 v11, v13, v25
	v_add_f32_e32 v10, v14, v10
	v_fma_f32 v11, v12, v24, -v11
	v_add_f32_e32 v10, v10, v11
	s_waitcnt vmcnt(0) lgkmcnt(1)
	v_mul_f32_e32 v31, v6, v27
	v_fmac_f32_e32 v31, v7, v26
	v_add_f32_e32 v30, v30, v31
	v_mul_f32_e32 v31, v8, v29
	v_fmac_f32_e32 v31, v9, v28
	v_add_f32_e32 v34, v30, v31
	scratch_load_dwordx4 v[30:33], off, off offset:80
	v_mul_f32_e32 v7, v7, v27
	v_fma_f32 v6, v6, v26, -v7
	v_mul_f32_e32 v7, v9, v29
	v_add_f32_e32 v6, v10, v6
	v_fma_f32 v7, v8, v28, -v7
	v_add_f32_e32 v6, v6, v7
	s_waitcnt vmcnt(0) lgkmcnt(0)
	v_mul_f32_e32 v35, v2, v31
	v_fmac_f32_e32 v35, v3, v30
	v_add_f32_e32 v34, v34, v35
	v_mul_f32_e32 v35, v4, v33
	v_fmac_f32_e32 v35, v5, v32
	v_add_f32_e32 v42, v34, v35
	ds_read_b128 v[34:37], v166 offset:592
	v_mul_f32_e32 v3, v3, v31
	v_fma_f32 v2, v2, v30, -v3
	v_mul_f32_e32 v3, v5, v33
	v_add_f32_e32 v2, v6, v2
	s_waitcnt lgkmcnt(0)
	v_mul_f32_e32 v43, v34, v39
	v_fmac_f32_e32 v43, v35, v38
	v_add_f32_e32 v42, v42, v43
	v_mul_f32_e32 v43, v36, v41
	v_fmac_f32_e32 v43, v37, v40
	v_add_f32_e32 v50, v42, v43
	ds_read_b128 v[42:45], v166 offset:608
	v_fma_f32 v3, v4, v32, -v3
	v_add_f32_e32 v2, v2, v3
	v_mul_f32_e32 v3, v35, v39
	v_fma_f32 v3, v34, v38, -v3
	s_waitcnt lgkmcnt(0)
	v_mul_f32_e32 v51, v42, v47
	v_fmac_f32_e32 v51, v43, v46
	v_add_f32_e32 v50, v50, v51
	v_mul_f32_e32 v51, v44, v49
	v_fmac_f32_e32 v51, v45, v48
	v_add_f32_e32 v58, v50, v51
	ds_read_b128 v[50:53], v166 offset:624
	v_add_f32_e32 v2, v2, v3
	v_mul_f32_e32 v3, v37, v41
	v_fma_f32 v3, v36, v40, -v3
	v_add_f32_e32 v2, v2, v3
	s_waitcnt lgkmcnt(0)
	v_mul_f32_e32 v59, v50, v55
	v_fmac_f32_e32 v59, v51, v54
	v_add_f32_e32 v58, v58, v59
	v_mul_f32_e32 v59, v52, v57
	v_fmac_f32_e32 v59, v53, v56
	v_add_f32_e32 v66, v58, v59
	ds_read_b128 v[58:61], v166 offset:640
	v_mul_f32_e32 v3, v43, v47
	v_fma_f32 v3, v42, v46, -v3
	v_add_f32_e32 v2, v2, v3
	v_mul_f32_e32 v3, v45, v49
	s_waitcnt lgkmcnt(0)
	v_mul_f32_e32 v67, v58, v63
	v_fmac_f32_e32 v67, v59, v62
	v_add_f32_e32 v66, v66, v67
	v_mul_f32_e32 v67, v60, v65
	v_fmac_f32_e32 v67, v61, v64
	v_add_f32_e32 v74, v66, v67
	ds_read_b128 v[66:69], v166 offset:656
	v_fma_f32 v3, v44, v48, -v3
	v_add_f32_e32 v2, v2, v3
	v_mul_f32_e32 v3, v51, v55
	v_fma_f32 v3, v50, v54, -v3
	s_waitcnt lgkmcnt(0)
	v_mul_f32_e32 v75, v66, v71
	v_fmac_f32_e32 v75, v67, v70
	v_add_f32_e32 v74, v74, v75
	v_mul_f32_e32 v75, v68, v73
	v_fmac_f32_e32 v75, v69, v72
	v_add_f32_e32 v82, v74, v75
	ds_read_b128 v[74:77], v166 offset:672
	v_add_f32_e32 v2, v2, v3
	v_mul_f32_e32 v3, v53, v57
	v_fma_f32 v3, v52, v56, -v3
	v_add_f32_e32 v2, v2, v3
	s_waitcnt lgkmcnt(0)
	v_mul_f32_e32 v83, v74, v79
	v_fmac_f32_e32 v83, v75, v78
	v_add_f32_e32 v82, v82, v83
	v_mul_f32_e32 v83, v76, v81
	v_fmac_f32_e32 v83, v77, v80
	v_add_f32_e32 v90, v82, v83
	ds_read_b128 v[82:85], v166 offset:688
	v_mul_f32_e32 v3, v59, v63
	v_fma_f32 v3, v58, v62, -v3
	v_add_f32_e32 v2, v2, v3
	v_mul_f32_e32 v3, v61, v65
	;; [unrolled: 36-line block ×6, first 2 shown]
	s_waitcnt lgkmcnt(0)
	v_mul_f32_e32 v204, v196, v201
	v_fmac_f32_e32 v204, v197, v200
	v_add_f32_e32 v167, v167, v204
	v_mul_f32_e32 v204, v198, v203
	v_fmac_f32_e32 v204, v199, v202
	v_add_f32_e32 v167, v167, v204
	ds_read_b128 v[204:207], v166 offset:896
	v_fma_f32 v3, v124, v128, -v3
	v_add_f32_e32 v2, v2, v3
	v_mul_f32_e32 v3, v131, v135
	v_fma_f32 v3, v130, v134, -v3
	s_waitcnt lgkmcnt(0)
	v_mul_f32_e32 v212, v204, v209
	v_fmac_f32_e32 v212, v205, v208
	v_add_f32_e32 v233, v167, v212
	ds_read_b128 v[212:215], v166 offset:912
	scratch_load_dwordx4 v[220:223], off, off offset:432
	scratch_load_dwordx4 v[224:227], off, off offset:448
	;; [unrolled: 1-line block ×3, first 2 shown]
	scratch_load_dwordx2 v[238:239], off, off offset:480
	v_add_f32_e32 v2, v2, v3
	v_mul_f32_e32 v3, v133, v137
	v_fma_f32 v3, v132, v136, -v3
	v_add_f32_e32 v2, v2, v3
	v_mul_f32_e32 v3, v139, v143
	v_fma_f32 v3, v138, v142, -v3
	;; [unrolled: 3-line block ×14, first 2 shown]
	v_add_f32_e32 v232, v2, v3
	v_mul_f32_e32 v2, v207, v211
	v_mul_f32_e32 v235, v206, v211
	v_fma_f32 v234, v206, v210, -v2
	s_waitcnt lgkmcnt(0)
	v_mul_f32_e32 v2, v213, v217
	v_fmac_f32_e32 v235, v207, v210
	v_mul_f32_e32 v237, v212, v217
	v_fma_f32 v236, v212, v216, -v2
	ds_read_b128 v[2:5], v166 offset:928
	ds_read_b128 v[6:9], v166 offset:944
	;; [unrolled: 1-line block ×3, first 2 shown]
	ds_read_b64 v[14:15], v166 offset:976
	v_pk_mul_f32 v[18:19], v[214:215], v[18:19] op_sel:[1,0] op_sel_hi:[0,0]
	v_fmac_f32_e32 v237, v213, v216
	v_pk_add_f32 v[16:17], v[232:233], v[234:235]
	v_pk_fma_f32 v[20:21], v[214:215], v[218:219], v[18:19] neg_lo:[0,0,1] neg_hi:[0,0,1]
	v_pk_fma_f32 v[18:19], v[214:215], v[218:219], v[18:19] op_sel_hi:[1,0,1]
	v_pk_add_f32 v[16:17], v[16:17], v[236:237]
	v_mov_b32_e32 v21, v19
	v_pk_add_f32 v[16:17], v[16:17], v[20:21]
	s_waitcnt vmcnt(3) lgkmcnt(3)
	v_pk_mul_f32 v[18:19], v[2:3], v[220:221] op_sel:[1,1] op_sel_hi:[0,1]
	v_pk_fma_f32 v[20:21], v[2:3], v[220:221], v[18:19] neg_lo:[0,0,1] neg_hi:[0,0,1]
	v_pk_fma_f32 v[2:3], v[2:3], v[220:221], v[18:19] op_sel_hi:[1,0,1]
	s_nop 0
	v_mov_b32_e32 v21, v3
	v_pk_add_f32 v[2:3], v[16:17], v[20:21]
	v_mov_b32_e32 v16, v223
	v_pk_mul_f32 v[16:17], v[4:5], v[16:17] op_sel:[1,0] op_sel_hi:[0,0]
	v_pk_fma_f32 v[18:19], v[4:5], v[222:223], v[16:17] neg_lo:[0,0,1] neg_hi:[0,0,1]
	v_pk_fma_f32 v[4:5], v[4:5], v[222:223], v[16:17] op_sel_hi:[1,0,1]
	s_nop 0
	v_mov_b32_e32 v19, v5
	s_waitcnt vmcnt(2) lgkmcnt(2)
	v_pk_mul_f32 v[4:5], v[6:7], v[224:225] op_sel:[1,1] op_sel_hi:[0,1]
	v_pk_fma_f32 v[16:17], v[6:7], v[224:225], v[4:5] neg_lo:[0,0,1] neg_hi:[0,0,1]
	v_pk_fma_f32 v[4:5], v[6:7], v[224:225], v[4:5] op_sel_hi:[1,0,1]
	v_pk_add_f32 v[2:3], v[2:3], v[18:19]
	v_mov_b32_e32 v4, v227
	v_mov_b32_e32 v17, v5
	v_pk_mul_f32 v[4:5], v[8:9], v[4:5] op_sel:[1,0] op_sel_hi:[0,0]
	v_pk_fma_f32 v[6:7], v[8:9], v[226:227], v[4:5] neg_lo:[0,0,1] neg_hi:[0,0,1]
	v_pk_fma_f32 v[4:5], v[8:9], v[226:227], v[4:5] op_sel_hi:[1,0,1]
	v_pk_add_f32 v[2:3], v[2:3], v[16:17]
	v_mov_b32_e32 v7, v5
	s_waitcnt vmcnt(1) lgkmcnt(1)
	v_pk_mul_f32 v[4:5], v[10:11], v[228:229] op_sel:[1,1] op_sel_hi:[0,1]
	v_pk_add_f32 v[2:3], v[2:3], v[6:7]
	v_pk_fma_f32 v[6:7], v[10:11], v[228:229], v[4:5] neg_lo:[0,0,1] neg_hi:[0,0,1]
	v_pk_fma_f32 v[4:5], v[10:11], v[228:229], v[4:5] op_sel_hi:[1,0,1]
	s_nop 0
	v_mov_b32_e32 v4, v231
	v_mov_b32_e32 v7, v5
	v_pk_mul_f32 v[4:5], v[12:13], v[4:5] op_sel:[1,0] op_sel_hi:[0,0]
	v_pk_add_f32 v[2:3], v[2:3], v[6:7]
	v_pk_fma_f32 v[6:7], v[12:13], v[230:231], v[4:5] neg_lo:[0,0,1] neg_hi:[0,0,1]
	v_pk_fma_f32 v[4:5], v[12:13], v[230:231], v[4:5] op_sel_hi:[1,0,1]
	s_nop 0
	v_mov_b32_e32 v7, v5
	s_waitcnt vmcnt(0) lgkmcnt(0)
	v_pk_mul_f32 v[4:5], v[14:15], v[238:239] op_sel:[1,1] op_sel_hi:[0,1]
	v_pk_add_f32 v[2:3], v[2:3], v[6:7]
	v_pk_fma_f32 v[6:7], v[14:15], v[238:239], v[4:5] neg_lo:[0,0,1] neg_hi:[0,0,1]
	v_pk_fma_f32 v[4:5], v[14:15], v[238:239], v[4:5] op_sel_hi:[1,0,1]
	s_nop 0
	v_mov_b32_e32 v7, v5
	scratch_load_dwordx2 v[4:5], off, off offset:24
	v_pk_add_f32 v[2:3], v[2:3], v[6:7]
	s_waitcnt vmcnt(0)
	v_pk_add_f32 v[2:3], v[4:5], v[2:3] neg_lo:[0,1] neg_hi:[0,1]
	scratch_store_dwordx2 off, v[2:3], off offset:24
	s_and_saveexec_b64 s[0:1], vcc
	s_cbranch_execz .LBB60_375
; %bb.374:
	scratch_load_dwordx2 v[2:3], off, off offset:16
	v_mov_b32_e32 v167, v166
	scratch_store_dwordx2 off, v[166:167], off offset:16
	s_waitcnt vmcnt(1)
	ds_write_b64 v1, v[2:3]
.LBB60_375:
	s_or_b64 exec, exec, s[0:1]
	s_waitcnt lgkmcnt(0)
	; wave barrier
	scratch_load_dwordx4 v[6:9], off, off offset:24
	scratch_load_dwordx4 v[14:17], off, off offset:40
	;; [unrolled: 1-line block ×10, first 2 shown]
	ds_read2_b64 v[2:5], v166 offset0:65 offset1:66
	scratch_load_dwordx4 v[86:89], off, off offset:184
	scratch_load_dwordx4 v[94:97], off, off offset:200
	scratch_load_dwordx4 v[102:105], off, off offset:216
	scratch_load_dwordx4 v[110:113], off, off offset:232
	scratch_load_dwordx4 v[118:121], off, off offset:248
	scratch_load_dwordx4 v[126:129], off, off offset:264
	scratch_load_dwordx4 v[134:137], off, off offset:280
	scratch_load_dwordx4 v[142:145], off, off offset:296
	scratch_load_dwordx4 v[168:171], off, off offset:312
	scratch_load_dwordx4 v[176:179], off, off offset:328
	scratch_load_dwordx4 v[184:187], off, off offset:344
	scratch_load_dwordx4 v[192:195], off, off offset:360
	scratch_load_dwordx4 v[200:203], off, off offset:376
	scratch_load_dwordx4 v[208:211], off, off offset:392
	scratch_load_dwordx4 v[216:219], off, off offset:408
	v_cmp_lt_u32_e32 vcc, 1, v0
	s_waitcnt vmcnt(24) lgkmcnt(0)
	v_mul_f32_e32 v10, v2, v7
	v_fmac_f32_e32 v10, v3, v6
	v_mul_f32_e32 v11, v4, v9
	v_add_f32_e32 v10, 0, v10
	v_fmac_f32_e32 v11, v5, v8
	v_add_f32_e32 v18, v10, v11
	ds_read2_b64 v[10:13], v166 offset0:67 offset1:68
	v_mul_f32_e32 v3, v3, v7
	v_fma_f32 v2, v2, v6, -v3
	v_mul_f32_e32 v3, v5, v9
	v_add_f32_e32 v2, 0, v2
	s_waitcnt vmcnt(23) lgkmcnt(0)
	v_mul_f32_e32 v19, v10, v15
	v_fmac_f32_e32 v19, v11, v14
	v_add_f32_e32 v18, v18, v19
	v_mul_f32_e32 v19, v12, v17
	v_fmac_f32_e32 v19, v13, v16
	v_add_f32_e32 v26, v18, v19
	ds_read2_b64 v[18:21], v166 offset0:69 offset1:70
	v_fma_f32 v3, v4, v8, -v3
	v_add_f32_e32 v2, v2, v3
	v_mul_f32_e32 v3, v11, v15
	v_fma_f32 v3, v10, v14, -v3
	s_waitcnt vmcnt(22) lgkmcnt(0)
	v_mul_f32_e32 v27, v18, v23
	v_fmac_f32_e32 v27, v19, v22
	v_add_f32_e32 v26, v26, v27
	v_mul_f32_e32 v27, v20, v25
	v_fmac_f32_e32 v27, v21, v24
	v_add_f32_e32 v34, v26, v27
	ds_read2_b64 v[26:29], v166 offset0:71 offset1:72
	v_add_f32_e32 v2, v2, v3
	v_mul_f32_e32 v3, v13, v17
	v_fma_f32 v3, v12, v16, -v3
	v_add_f32_e32 v2, v2, v3
	s_waitcnt vmcnt(21) lgkmcnt(0)
	v_mul_f32_e32 v35, v26, v31
	v_fmac_f32_e32 v35, v27, v30
	v_add_f32_e32 v34, v34, v35
	v_mul_f32_e32 v35, v28, v33
	v_fmac_f32_e32 v35, v29, v32
	v_add_f32_e32 v42, v34, v35
	ds_read2_b64 v[34:37], v166 offset0:73 offset1:74
	v_mul_f32_e32 v3, v19, v23
	v_fma_f32 v3, v18, v22, -v3
	v_add_f32_e32 v2, v2, v3
	v_mul_f32_e32 v3, v21, v25
	s_waitcnt vmcnt(20) lgkmcnt(0)
	v_mul_f32_e32 v43, v34, v39
	v_fmac_f32_e32 v43, v35, v38
	v_add_f32_e32 v42, v42, v43
	v_mul_f32_e32 v43, v36, v41
	v_fmac_f32_e32 v43, v37, v40
	v_add_f32_e32 v50, v42, v43
	ds_read2_b64 v[42:45], v166 offset0:75 offset1:76
	v_fma_f32 v3, v20, v24, -v3
	v_add_f32_e32 v2, v2, v3
	v_mul_f32_e32 v3, v27, v31
	v_fma_f32 v3, v26, v30, -v3
	s_waitcnt vmcnt(19) lgkmcnt(0)
	v_mul_f32_e32 v51, v42, v47
	v_fmac_f32_e32 v51, v43, v46
	v_add_f32_e32 v50, v50, v51
	v_mul_f32_e32 v51, v44, v49
	v_fmac_f32_e32 v51, v45, v48
	v_add_f32_e32 v58, v50, v51
	ds_read2_b64 v[50:53], v166 offset0:77 offset1:78
	v_add_f32_e32 v2, v2, v3
	v_mul_f32_e32 v3, v29, v33
	v_fma_f32 v3, v28, v32, -v3
	v_add_f32_e32 v2, v2, v3
	s_waitcnt vmcnt(18) lgkmcnt(0)
	v_mul_f32_e32 v59, v50, v55
	v_fmac_f32_e32 v59, v51, v54
	v_add_f32_e32 v58, v58, v59
	v_mul_f32_e32 v59, v52, v57
	v_fmac_f32_e32 v59, v53, v56
	v_add_f32_e32 v66, v58, v59
	ds_read2_b64 v[58:61], v166 offset0:79 offset1:80
	v_mul_f32_e32 v3, v35, v39
	v_fma_f32 v3, v34, v38, -v3
	v_add_f32_e32 v2, v2, v3
	v_mul_f32_e32 v3, v37, v41
	;; [unrolled: 36-line block ×7, first 2 shown]
	s_waitcnt vmcnt(2) lgkmcnt(0)
	v_mul_f32_e32 v204, v196, v201
	v_fmac_f32_e32 v204, v197, v200
	v_add_f32_e32 v167, v167, v204
	v_mul_f32_e32 v204, v198, v203
	v_fmac_f32_e32 v204, v199, v202
	v_add_f32_e32 v167, v167, v204
	ds_read2_b64 v[204:207], v166 offset0:111 offset1:112
	v_fma_f32 v3, v116, v120, -v3
	v_add_f32_e32 v2, v2, v3
	v_mul_f32_e32 v3, v123, v127
	v_fma_f32 v3, v122, v126, -v3
	s_waitcnt vmcnt(1) lgkmcnt(0)
	v_mul_f32_e32 v212, v204, v209
	v_fmac_f32_e32 v212, v205, v208
	v_add_f32_e32 v167, v167, v212
	v_mul_f32_e32 v212, v206, v211
	v_fmac_f32_e32 v212, v207, v210
	v_add_f32_e32 v237, v167, v212
	ds_read2_b64 v[212:215], v166 offset0:113 offset1:114
	scratch_load_dwordx4 v[220:223], off, off offset:424
	scratch_load_dwordx4 v[224:227], off, off offset:440
	;; [unrolled: 1-line block ×4, first 2 shown]
	v_add_f32_e32 v2, v2, v3
	v_mul_f32_e32 v3, v125, v129
	v_fma_f32 v3, v124, v128, -v3
	v_add_f32_e32 v2, v2, v3
	v_mul_f32_e32 v3, v131, v135
	v_fma_f32 v3, v130, v134, -v3
	;; [unrolled: 3-line block ×17, first 2 shown]
	v_add_f32_e32 v236, v2, v3
	s_waitcnt vmcnt(4) lgkmcnt(0)
	v_mul_f32_e32 v2, v213, v217
	v_fma_f32 v238, v212, v216, -v2
	v_mul_f32_e32 v2, v215, v219
	v_fma_f32 v240, v214, v218, -v2
	ds_read2_b64 v[2:5], v166 offset0:115 offset1:116
	ds_read2_b64 v[6:9], v166 offset0:117 offset1:118
	;; [unrolled: 1-line block ×4, first 2 shown]
	v_mul_f32_e32 v239, v212, v217
	v_fmac_f32_e32 v239, v213, v216
	v_mul_f32_e32 v241, v214, v219
	v_fmac_f32_e32 v241, v215, v218
	v_pk_add_f32 v[18:19], v[236:237], v[238:239]
	s_waitcnt vmcnt(3) lgkmcnt(3)
	v_pk_mul_f32 v[20:21], v[2:3], v[220:221] op_sel:[1,1] op_sel_hi:[0,1]
	v_pk_fma_f32 v[22:23], v[2:3], v[220:221], v[20:21] neg_lo:[0,0,1] neg_hi:[0,0,1]
	v_pk_fma_f32 v[2:3], v[2:3], v[220:221], v[20:21] op_sel_hi:[1,0,1]
	v_pk_add_f32 v[18:19], v[18:19], v[240:241]
	v_mov_b32_e32 v23, v3
	v_pk_add_f32 v[2:3], v[18:19], v[22:23]
	v_mov_b32_e32 v18, v223
	v_pk_mul_f32 v[18:19], v[4:5], v[18:19] op_sel:[1,0] op_sel_hi:[0,0]
	v_pk_fma_f32 v[20:21], v[4:5], v[222:223], v[18:19] neg_lo:[0,0,1] neg_hi:[0,0,1]
	v_pk_fma_f32 v[4:5], v[4:5], v[222:223], v[18:19] op_sel_hi:[1,0,1]
	s_nop 0
	v_mov_b32_e32 v21, v5
	s_waitcnt vmcnt(2) lgkmcnt(2)
	v_pk_mul_f32 v[4:5], v[6:7], v[224:225] op_sel:[1,1] op_sel_hi:[0,1]
	v_pk_fma_f32 v[18:19], v[6:7], v[224:225], v[4:5] neg_lo:[0,0,1] neg_hi:[0,0,1]
	v_pk_fma_f32 v[4:5], v[6:7], v[224:225], v[4:5] op_sel_hi:[1,0,1]
	v_pk_add_f32 v[2:3], v[2:3], v[20:21]
	v_mov_b32_e32 v4, v227
	v_mov_b32_e32 v19, v5
	v_pk_mul_f32 v[4:5], v[8:9], v[4:5] op_sel:[1,0] op_sel_hi:[0,0]
	v_pk_fma_f32 v[6:7], v[8:9], v[226:227], v[4:5] neg_lo:[0,0,1] neg_hi:[0,0,1]
	v_pk_fma_f32 v[4:5], v[8:9], v[226:227], v[4:5] op_sel_hi:[1,0,1]
	v_pk_add_f32 v[2:3], v[2:3], v[18:19]
	v_mov_b32_e32 v7, v5
	s_waitcnt vmcnt(1) lgkmcnt(1)
	v_pk_mul_f32 v[4:5], v[10:11], v[228:229] op_sel:[1,1] op_sel_hi:[0,1]
	v_pk_add_f32 v[2:3], v[2:3], v[6:7]
	v_pk_fma_f32 v[6:7], v[10:11], v[228:229], v[4:5] neg_lo:[0,0,1] neg_hi:[0,0,1]
	v_pk_fma_f32 v[4:5], v[10:11], v[228:229], v[4:5] op_sel_hi:[1,0,1]
	s_nop 0
	v_mov_b32_e32 v4, v231
	v_mov_b32_e32 v7, v5
	v_pk_mul_f32 v[4:5], v[12:13], v[4:5] op_sel:[1,0] op_sel_hi:[0,0]
	v_pk_add_f32 v[2:3], v[2:3], v[6:7]
	v_pk_fma_f32 v[6:7], v[12:13], v[230:231], v[4:5] neg_lo:[0,0,1] neg_hi:[0,0,1]
	v_pk_fma_f32 v[4:5], v[12:13], v[230:231], v[4:5] op_sel_hi:[1,0,1]
	s_nop 0
	v_mov_b32_e32 v7, v5
	s_waitcnt vmcnt(0) lgkmcnt(0)
	v_pk_mul_f32 v[4:5], v[14:15], v[232:233] op_sel:[1,1] op_sel_hi:[0,1]
	v_pk_add_f32 v[2:3], v[2:3], v[6:7]
	v_pk_fma_f32 v[6:7], v[14:15], v[232:233], v[4:5] neg_lo:[0,0,1] neg_hi:[0,0,1]
	v_pk_fma_f32 v[4:5], v[14:15], v[232:233], v[4:5] op_sel_hi:[1,0,1]
	s_nop 0
	v_mov_b32_e32 v4, v235
	v_mov_b32_e32 v7, v5
	v_pk_mul_f32 v[4:5], v[16:17], v[4:5] op_sel:[1,0] op_sel_hi:[0,0]
	v_pk_add_f32 v[2:3], v[2:3], v[6:7]
	v_pk_fma_f32 v[6:7], v[16:17], v[234:235], v[4:5] neg_lo:[0,0,1] neg_hi:[0,0,1]
	v_pk_fma_f32 v[4:5], v[16:17], v[234:235], v[4:5] op_sel_hi:[1,0,1]
	s_nop 0
	v_mov_b32_e32 v7, v5
	scratch_load_dwordx2 v[4:5], off, off offset:16
	v_pk_add_f32 v[2:3], v[2:3], v[6:7]
	s_waitcnt vmcnt(0)
	v_pk_add_f32 v[2:3], v[4:5], v[2:3] neg_lo:[0,1] neg_hi:[0,1]
	scratch_store_dwordx2 off, v[2:3], off offset:16
	s_and_saveexec_b64 s[0:1], vcc
	s_cbranch_execz .LBB60_377
; %bb.376:
	scratch_load_dwordx2 v[2:3], off, off offset:8
	v_mov_b32_e32 v4, 0
	v_mov_b32_e32 v5, v4
	scratch_store_dwordx2 off, v[4:5], off offset:8
	s_waitcnt vmcnt(1)
	ds_write_b64 v1, v[2:3]
.LBB60_377:
	s_or_b64 exec, exec, s[0:1]
	v_mov_b32_e32 v166, 0
	s_waitcnt lgkmcnt(0)
	; wave barrier
	ds_read_b128 v[14:17], v166 offset:512
	ds_read_b128 v[10:13], v166 offset:528
	;; [unrolled: 1-line block ×4, first 2 shown]
	scratch_load_dwordx4 v[18:21], off, off offset:16
	scratch_load_dwordx4 v[38:41], off, off offset:80
	;; [unrolled: 1-line block ×20, first 2 shown]
	v_cmp_ne_u32_e32 vcc, 0, v0
	scratch_load_dwordx4 v[46:49], off, off offset:96
	scratch_load_dwordx4 v[54:57], off, off offset:112
	;; [unrolled: 1-line block ×3, first 2 shown]
	s_waitcnt vmcnt(22) lgkmcnt(3)
	v_mul_f32_e32 v22, v14, v19
	v_fmac_f32_e32 v22, v15, v18
	v_mul_f32_e32 v23, v16, v21
	v_add_f32_e32 v22, 0, v22
	v_fmac_f32_e32 v23, v17, v20
	v_add_f32_e32 v26, v22, v23
	scratch_load_dwordx4 v[22:25], off, off offset:32
	v_mul_f32_e32 v15, v15, v19
	v_fma_f32 v14, v14, v18, -v15
	v_mul_f32_e32 v15, v17, v21
	v_add_f32_e32 v14, 0, v14
	v_fma_f32 v15, v16, v20, -v15
	v_add_f32_e32 v14, v14, v15
	s_waitcnt vmcnt(4)
	v_mov_b32_e32 v18, v227
	s_waitcnt vmcnt(0) lgkmcnt(2)
	v_mul_f32_e32 v27, v10, v23
	v_fmac_f32_e32 v27, v11, v22
	v_add_f32_e32 v26, v26, v27
	v_mul_f32_e32 v27, v12, v25
	v_fmac_f32_e32 v27, v13, v24
	v_add_f32_e32 v30, v26, v27
	scratch_load_dwordx4 v[26:29], off, off offset:48
	v_mul_f32_e32 v11, v11, v23
	v_fma_f32 v10, v10, v22, -v11
	v_mul_f32_e32 v11, v13, v25
	v_add_f32_e32 v10, v14, v10
	v_fma_f32 v11, v12, v24, -v11
	v_add_f32_e32 v10, v10, v11
	s_waitcnt vmcnt(0) lgkmcnt(1)
	v_mul_f32_e32 v31, v6, v27
	v_fmac_f32_e32 v31, v7, v26
	v_add_f32_e32 v30, v30, v31
	v_mul_f32_e32 v31, v8, v29
	v_fmac_f32_e32 v31, v9, v28
	v_add_f32_e32 v34, v30, v31
	scratch_load_dwordx4 v[30:33], off, off offset:64
	v_mul_f32_e32 v7, v7, v27
	v_fma_f32 v6, v6, v26, -v7
	v_mul_f32_e32 v7, v9, v29
	v_add_f32_e32 v6, v10, v6
	v_fma_f32 v7, v8, v28, -v7
	v_add_f32_e32 v6, v6, v7
	s_waitcnt vmcnt(0) lgkmcnt(0)
	v_mul_f32_e32 v35, v2, v31
	v_fmac_f32_e32 v35, v3, v30
	v_add_f32_e32 v34, v34, v35
	v_mul_f32_e32 v35, v4, v33
	v_fmac_f32_e32 v35, v5, v32
	v_add_f32_e32 v42, v34, v35
	ds_read_b128 v[34:37], v166 offset:576
	v_mul_f32_e32 v3, v3, v31
	v_fma_f32 v2, v2, v30, -v3
	v_mul_f32_e32 v3, v5, v33
	v_add_f32_e32 v2, v6, v2
	s_waitcnt lgkmcnt(0)
	v_mul_f32_e32 v43, v34, v39
	v_fmac_f32_e32 v43, v35, v38
	v_add_f32_e32 v42, v42, v43
	v_mul_f32_e32 v43, v36, v41
	v_fmac_f32_e32 v43, v37, v40
	v_add_f32_e32 v50, v42, v43
	ds_read_b128 v[42:45], v166 offset:592
	v_fma_f32 v3, v4, v32, -v3
	v_add_f32_e32 v2, v2, v3
	v_mul_f32_e32 v3, v35, v39
	v_fma_f32 v3, v34, v38, -v3
	s_waitcnt lgkmcnt(0)
	v_mul_f32_e32 v51, v42, v47
	v_fmac_f32_e32 v51, v43, v46
	v_add_f32_e32 v50, v50, v51
	v_mul_f32_e32 v51, v44, v49
	v_fmac_f32_e32 v51, v45, v48
	v_add_f32_e32 v58, v50, v51
	ds_read_b128 v[50:53], v166 offset:608
	v_add_f32_e32 v2, v2, v3
	v_mul_f32_e32 v3, v37, v41
	v_fma_f32 v3, v36, v40, -v3
	v_add_f32_e32 v2, v2, v3
	s_waitcnt lgkmcnt(0)
	v_mul_f32_e32 v59, v50, v55
	v_fmac_f32_e32 v59, v51, v54
	v_add_f32_e32 v58, v58, v59
	v_mul_f32_e32 v59, v52, v57
	v_fmac_f32_e32 v59, v53, v56
	v_add_f32_e32 v66, v58, v59
	ds_read_b128 v[58:61], v166 offset:624
	v_mul_f32_e32 v3, v43, v47
	v_fma_f32 v3, v42, v46, -v3
	v_add_f32_e32 v2, v2, v3
	v_mul_f32_e32 v3, v45, v49
	s_waitcnt lgkmcnt(0)
	v_mul_f32_e32 v67, v58, v63
	v_fmac_f32_e32 v67, v59, v62
	v_add_f32_e32 v66, v66, v67
	v_mul_f32_e32 v67, v60, v65
	v_fmac_f32_e32 v67, v61, v64
	v_add_f32_e32 v74, v66, v67
	ds_read_b128 v[66:69], v166 offset:640
	v_fma_f32 v3, v44, v48, -v3
	v_add_f32_e32 v2, v2, v3
	v_mul_f32_e32 v3, v51, v55
	v_fma_f32 v3, v50, v54, -v3
	s_waitcnt lgkmcnt(0)
	v_mul_f32_e32 v75, v66, v71
	v_fmac_f32_e32 v75, v67, v70
	v_add_f32_e32 v74, v74, v75
	v_mul_f32_e32 v75, v68, v73
	v_fmac_f32_e32 v75, v69, v72
	v_add_f32_e32 v82, v74, v75
	ds_read_b128 v[74:77], v166 offset:656
	v_add_f32_e32 v2, v2, v3
	v_mul_f32_e32 v3, v53, v57
	v_fma_f32 v3, v52, v56, -v3
	v_add_f32_e32 v2, v2, v3
	s_waitcnt lgkmcnt(0)
	v_mul_f32_e32 v83, v74, v79
	v_fmac_f32_e32 v83, v75, v78
	v_add_f32_e32 v82, v82, v83
	v_mul_f32_e32 v83, v76, v81
	v_fmac_f32_e32 v83, v77, v80
	v_add_f32_e32 v90, v82, v83
	ds_read_b128 v[82:85], v166 offset:672
	v_mul_f32_e32 v3, v59, v63
	v_fma_f32 v3, v58, v62, -v3
	v_add_f32_e32 v2, v2, v3
	v_mul_f32_e32 v3, v61, v65
	;; [unrolled: 36-line block ×6, first 2 shown]
	s_waitcnt lgkmcnt(0)
	v_mul_f32_e32 v204, v196, v201
	v_fmac_f32_e32 v204, v197, v200
	v_add_f32_e32 v167, v167, v204
	v_mul_f32_e32 v204, v198, v203
	v_fmac_f32_e32 v204, v199, v202
	v_add_f32_e32 v167, v167, v204
	ds_read_b128 v[204:207], v166 offset:880
	v_fma_f32 v3, v124, v128, -v3
	v_add_f32_e32 v2, v2, v3
	v_mul_f32_e32 v3, v131, v135
	v_fma_f32 v3, v130, v134, -v3
	s_waitcnt lgkmcnt(0)
	v_mul_f32_e32 v212, v204, v209
	v_fmac_f32_e32 v212, v205, v208
	v_add_f32_e32 v167, v167, v212
	v_mul_f32_e32 v212, v206, v211
	v_fmac_f32_e32 v212, v207, v210
	v_add_f32_e32 v167, v167, v212
	ds_read_b128 v[212:215], v166 offset:896
	v_add_f32_e32 v2, v2, v3
	v_mul_f32_e32 v3, v133, v137
	v_fma_f32 v3, v132, v136, -v3
	v_add_f32_e32 v2, v2, v3
	s_waitcnt lgkmcnt(0)
	v_mul_f32_e32 v220, v212, v217
	v_fmac_f32_e32 v220, v213, v216
	v_add_f32_e32 v241, v167, v220
	ds_read_b128 v[220:223], v166 offset:912
	scratch_load_dwordx4 v[228:231], off, off offset:432
	scratch_load_dwordx4 v[232:235], off, off offset:448
	;; [unrolled: 1-line block ×3, first 2 shown]
	scratch_load_dwordx2 v[246:247], off, off offset:480
	v_mul_f32_e32 v3, v139, v143
	v_fma_f32 v3, v138, v142, -v3
	v_add_f32_e32 v2, v2, v3
	v_mul_f32_e32 v3, v141, v145
	v_fma_f32 v3, v140, v144, -v3
	v_add_f32_e32 v2, v2, v3
	;; [unrolled: 3-line block ×15, first 2 shown]
	v_mul_f32_e32 v2, v215, v219
	v_mul_f32_e32 v243, v214, v219
	v_fma_f32 v242, v214, v218, -v2
	s_waitcnt lgkmcnt(0)
	v_mul_f32_e32 v2, v221, v225
	v_fmac_f32_e32 v243, v215, v218
	v_mul_f32_e32 v245, v220, v225
	v_fma_f32 v244, v220, v224, -v2
	ds_read_b128 v[2:5], v166 offset:928
	ds_read_b128 v[6:9], v166 offset:944
	;; [unrolled: 1-line block ×3, first 2 shown]
	ds_read_b64 v[14:15], v166 offset:976
	v_pk_mul_f32 v[18:19], v[222:223], v[18:19] op_sel:[1,0] op_sel_hi:[0,0]
	v_fmac_f32_e32 v245, v221, v224
	v_pk_add_f32 v[16:17], v[240:241], v[242:243]
	v_pk_fma_f32 v[20:21], v[222:223], v[226:227], v[18:19] neg_lo:[0,0,1] neg_hi:[0,0,1]
	v_pk_fma_f32 v[18:19], v[222:223], v[226:227], v[18:19] op_sel_hi:[1,0,1]
	v_pk_add_f32 v[16:17], v[16:17], v[244:245]
	v_mov_b32_e32 v21, v19
	v_pk_add_f32 v[16:17], v[16:17], v[20:21]
	s_waitcnt vmcnt(3) lgkmcnt(3)
	v_pk_mul_f32 v[18:19], v[2:3], v[228:229] op_sel:[1,1] op_sel_hi:[0,1]
	v_pk_fma_f32 v[20:21], v[2:3], v[228:229], v[18:19] neg_lo:[0,0,1] neg_hi:[0,0,1]
	v_pk_fma_f32 v[2:3], v[2:3], v[228:229], v[18:19] op_sel_hi:[1,0,1]
	s_nop 0
	v_mov_b32_e32 v21, v3
	v_pk_add_f32 v[2:3], v[16:17], v[20:21]
	v_mov_b32_e32 v16, v231
	v_pk_mul_f32 v[16:17], v[4:5], v[16:17] op_sel:[1,0] op_sel_hi:[0,0]
	v_pk_fma_f32 v[18:19], v[4:5], v[230:231], v[16:17] neg_lo:[0,0,1] neg_hi:[0,0,1]
	v_pk_fma_f32 v[4:5], v[4:5], v[230:231], v[16:17] op_sel_hi:[1,0,1]
	s_nop 0
	v_mov_b32_e32 v19, v5
	s_waitcnt vmcnt(2) lgkmcnt(2)
	v_pk_mul_f32 v[4:5], v[6:7], v[232:233] op_sel:[1,1] op_sel_hi:[0,1]
	v_pk_fma_f32 v[16:17], v[6:7], v[232:233], v[4:5] neg_lo:[0,0,1] neg_hi:[0,0,1]
	v_pk_fma_f32 v[4:5], v[6:7], v[232:233], v[4:5] op_sel_hi:[1,0,1]
	v_pk_add_f32 v[2:3], v[2:3], v[18:19]
	v_mov_b32_e32 v4, v235
	v_mov_b32_e32 v17, v5
	v_pk_mul_f32 v[4:5], v[8:9], v[4:5] op_sel:[1,0] op_sel_hi:[0,0]
	v_pk_fma_f32 v[6:7], v[8:9], v[234:235], v[4:5] neg_lo:[0,0,1] neg_hi:[0,0,1]
	v_pk_fma_f32 v[4:5], v[8:9], v[234:235], v[4:5] op_sel_hi:[1,0,1]
	v_pk_add_f32 v[2:3], v[2:3], v[16:17]
	v_mov_b32_e32 v7, v5
	s_waitcnt vmcnt(1) lgkmcnt(1)
	v_pk_mul_f32 v[4:5], v[10:11], v[236:237] op_sel:[1,1] op_sel_hi:[0,1]
	v_pk_add_f32 v[2:3], v[2:3], v[6:7]
	v_pk_fma_f32 v[6:7], v[10:11], v[236:237], v[4:5] neg_lo:[0,0,1] neg_hi:[0,0,1]
	v_pk_fma_f32 v[4:5], v[10:11], v[236:237], v[4:5] op_sel_hi:[1,0,1]
	s_nop 0
	v_mov_b32_e32 v4, v239
	v_mov_b32_e32 v7, v5
	v_pk_mul_f32 v[4:5], v[12:13], v[4:5] op_sel:[1,0] op_sel_hi:[0,0]
	v_pk_add_f32 v[2:3], v[2:3], v[6:7]
	v_pk_fma_f32 v[6:7], v[12:13], v[238:239], v[4:5] neg_lo:[0,0,1] neg_hi:[0,0,1]
	v_pk_fma_f32 v[4:5], v[12:13], v[238:239], v[4:5] op_sel_hi:[1,0,1]
	s_nop 0
	v_mov_b32_e32 v7, v5
	s_waitcnt vmcnt(0) lgkmcnt(0)
	v_pk_mul_f32 v[4:5], v[14:15], v[246:247] op_sel:[1,1] op_sel_hi:[0,1]
	v_pk_add_f32 v[2:3], v[2:3], v[6:7]
	v_pk_fma_f32 v[6:7], v[14:15], v[246:247], v[4:5] neg_lo:[0,0,1] neg_hi:[0,0,1]
	v_pk_fma_f32 v[4:5], v[14:15], v[246:247], v[4:5] op_sel_hi:[1,0,1]
	s_nop 0
	v_mov_b32_e32 v7, v5
	scratch_load_dwordx2 v[4:5], off, off offset:8
	v_pk_add_f32 v[2:3], v[2:3], v[6:7]
	s_waitcnt vmcnt(0)
	v_pk_add_f32 v[2:3], v[4:5], v[2:3] neg_lo:[0,1] neg_hi:[0,1]
	scratch_store_dwordx2 off, v[2:3], off offset:8
	s_and_saveexec_b64 s[0:1], vcc
	s_cbranch_execz .LBB60_379
; %bb.378:
	scratch_load_dwordx2 v[2:3], off, off
	v_mov_b32_e32 v167, v166
	scratch_store_dwordx2 off, v[166:167], off
	s_waitcnt vmcnt(1)
	ds_write_b64 v1, v[2:3]
.LBB60_379:
	s_or_b64 exec, exec, s[0:1]
	s_waitcnt lgkmcnt(0)
	; wave barrier
	scratch_load_dwordx4 v[4:7], off, off offset:8
	scratch_load_dwordx4 v[12:15], off, off offset:24
	;; [unrolled: 1-line block ×10, first 2 shown]
	ds_read2_b64 v[0:3], v166 offset0:63 offset1:64
	ds_read2_b64 v[172:175], v166 offset0:101 offset1:102
	scratch_load_dwordx4 v[84:87], off, off offset:168
	scratch_load_dwordx4 v[92:95], off, off offset:184
	;; [unrolled: 1-line block ×16, first 2 shown]
	s_and_b64 vcc, exec, s[18:19]
	ds_read2_b64 v[180:183], v166 offset0:103 offset1:104
	ds_read2_b64 v[188:191], v166 offset0:105 offset1:106
	;; [unrolled: 1-line block ×6, first 2 shown]
	s_waitcnt vmcnt(25) lgkmcnt(7)
	v_mul_f32_e32 v8, v0, v5
	v_fmac_f32_e32 v8, v1, v4
	v_mul_f32_e32 v9, v2, v7
	v_add_f32_e32 v8, 0, v8
	v_fmac_f32_e32 v9, v3, v6
	v_add_f32_e32 v16, v8, v9
	ds_read2_b64 v[8:11], v166 offset0:65 offset1:66
	v_mul_f32_e32 v1, v1, v5
	v_fma_f32 v0, v0, v4, -v1
	v_mul_f32_e32 v1, v3, v7
	v_add_f32_e32 v0, 0, v0
	s_waitcnt vmcnt(24) lgkmcnt(0)
	v_mul_f32_e32 v17, v8, v13
	v_fmac_f32_e32 v17, v9, v12
	v_add_f32_e32 v16, v16, v17
	v_mul_f32_e32 v17, v10, v15
	v_fmac_f32_e32 v17, v11, v14
	v_add_f32_e32 v24, v16, v17
	ds_read2_b64 v[16:19], v166 offset0:67 offset1:68
	v_fma_f32 v1, v2, v6, -v1
	v_add_f32_e32 v0, v0, v1
	v_mul_f32_e32 v1, v9, v13
	v_fma_f32 v1, v8, v12, -v1
	s_waitcnt vmcnt(23) lgkmcnt(0)
	v_mul_f32_e32 v25, v16, v21
	v_fmac_f32_e32 v25, v17, v20
	v_add_f32_e32 v24, v24, v25
	v_mul_f32_e32 v25, v18, v23
	v_fmac_f32_e32 v25, v19, v22
	v_add_f32_e32 v32, v24, v25
	ds_read2_b64 v[24:27], v166 offset0:69 offset1:70
	v_add_f32_e32 v0, v0, v1
	v_mul_f32_e32 v1, v11, v15
	v_fma_f32 v1, v10, v14, -v1
	v_add_f32_e32 v0, v0, v1
	s_waitcnt vmcnt(22) lgkmcnt(0)
	v_mul_f32_e32 v33, v24, v29
	v_fmac_f32_e32 v33, v25, v28
	v_add_f32_e32 v32, v32, v33
	v_mul_f32_e32 v33, v26, v31
	v_fmac_f32_e32 v33, v27, v30
	v_add_f32_e32 v40, v32, v33
	ds_read2_b64 v[32:35], v166 offset0:71 offset1:72
	v_mul_f32_e32 v1, v17, v21
	v_fma_f32 v1, v16, v20, -v1
	v_add_f32_e32 v0, v0, v1
	v_mul_f32_e32 v1, v19, v23
	s_waitcnt vmcnt(21) lgkmcnt(0)
	v_mul_f32_e32 v41, v32, v37
	v_fmac_f32_e32 v41, v33, v36
	v_add_f32_e32 v40, v40, v41
	v_mul_f32_e32 v41, v34, v39
	v_fmac_f32_e32 v41, v35, v38
	v_add_f32_e32 v48, v40, v41
	ds_read2_b64 v[40:43], v166 offset0:73 offset1:74
	v_fma_f32 v1, v18, v22, -v1
	v_add_f32_e32 v0, v0, v1
	v_mul_f32_e32 v1, v25, v29
	v_fma_f32 v1, v24, v28, -v1
	s_waitcnt vmcnt(20) lgkmcnt(0)
	v_mul_f32_e32 v49, v40, v45
	v_fmac_f32_e32 v49, v41, v44
	v_add_f32_e32 v48, v48, v49
	v_mul_f32_e32 v49, v42, v47
	v_fmac_f32_e32 v49, v43, v46
	v_add_f32_e32 v56, v48, v49
	ds_read2_b64 v[48:51], v166 offset0:75 offset1:76
	v_add_f32_e32 v0, v0, v1
	v_mul_f32_e32 v1, v27, v31
	v_fma_f32 v1, v26, v30, -v1
	v_add_f32_e32 v0, v0, v1
	s_waitcnt vmcnt(19) lgkmcnt(0)
	v_mul_f32_e32 v57, v48, v53
	v_fmac_f32_e32 v57, v49, v52
	v_add_f32_e32 v56, v56, v57
	v_mul_f32_e32 v57, v50, v55
	v_fmac_f32_e32 v57, v51, v54
	v_add_f32_e32 v64, v56, v57
	ds_read2_b64 v[56:59], v166 offset0:77 offset1:78
	v_mul_f32_e32 v1, v33, v37
	v_fma_f32 v1, v32, v36, -v1
	v_add_f32_e32 v0, v0, v1
	v_mul_f32_e32 v1, v35, v39
	;; [unrolled: 36-line block ×5, first 2 shown]
	s_waitcnt vmcnt(9) lgkmcnt(0)
	v_mul_f32_e32 v137, v128, v133
	v_fmac_f32_e32 v137, v129, v132
	v_add_f32_e32 v136, v136, v137
	v_mul_f32_e32 v137, v130, v135
	v_fmac_f32_e32 v137, v131, v134
	v_add_f32_e32 v144, v136, v137
	ds_read2_b64 v[136:139], v166 offset0:97 offset1:98
	v_fma_f32 v1, v82, v86, -v1
	v_add_f32_e32 v0, v0, v1
	v_mul_f32_e32 v1, v89, v93
	v_fma_f32 v1, v88, v92, -v1
	s_waitcnt vmcnt(8) lgkmcnt(0)
	v_mul_f32_e32 v145, v136, v141
	v_fmac_f32_e32 v145, v137, v140
	v_add_f32_e32 v144, v144, v145
	v_mul_f32_e32 v145, v138, v143
	v_fmac_f32_e32 v145, v139, v142
	v_add_f32_e32 v148, v144, v145
	ds_read2_b64 v[144:147], v166 offset0:99 offset1:100
	scratch_load_dwordx4 v[228:231], off, off offset:424
	scratch_load_dwordx4 v[232:235], off, off offset:440
	;; [unrolled: 1-line block ×4, first 2 shown]
	v_add_f32_e32 v0, v0, v1
	v_mul_f32_e32 v1, v91, v95
	v_fma_f32 v1, v90, v94, -v1
	v_add_f32_e32 v0, v0, v1
	v_mul_f32_e32 v1, v97, v101
	v_fma_f32 v1, v96, v100, -v1
	;; [unrolled: 3-line block ×13, first 2 shown]
	s_waitcnt vmcnt(11) lgkmcnt(0)
	v_mul_f32_e32 v149, v144, v169
	v_add_f32_e32 v0, v0, v1
	v_mul_f32_e32 v1, v145, v169
	v_fmac_f32_e32 v149, v145, v168
	v_fma_f32 v1, v144, v168, -v1
	v_add_f32_e32 v148, v148, v149
	v_mul_f32_e32 v149, v146, v171
	v_add_f32_e32 v0, v0, v1
	v_mul_f32_e32 v1, v147, v171
	v_fmac_f32_e32 v149, v147, v170
	v_fma_f32 v1, v146, v170, -v1
	v_add_f32_e32 v148, v148, v149
	s_waitcnt vmcnt(10)
	v_mul_f32_e32 v149, v172, v177
	v_add_f32_e32 v0, v0, v1
	v_mul_f32_e32 v1, v173, v177
	v_fmac_f32_e32 v149, v173, v176
	v_fma_f32 v1, v172, v176, -v1
	v_add_f32_e32 v148, v148, v149
	v_mul_f32_e32 v149, v174, v179
	v_add_f32_e32 v0, v0, v1
	v_mul_f32_e32 v1, v175, v179
	v_fmac_f32_e32 v149, v175, v178
	v_fma_f32 v1, v174, v178, -v1
	v_add_f32_e32 v148, v148, v149
	s_waitcnt vmcnt(9)
	;; [unrolled: 13-line block ×6, first 2 shown]
	v_mul_f32_e32 v149, v212, v217
	v_add_f32_e32 v0, v0, v1
	v_mul_f32_e32 v1, v213, v217
	v_fmac_f32_e32 v149, v213, v216
	v_fma_f32 v1, v212, v216, -v1
	v_add_f32_e32 v148, v148, v149
	v_mul_f32_e32 v149, v214, v219
	v_add_f32_e32 v0, v0, v1
	v_mul_f32_e32 v1, v215, v219
	v_fmac_f32_e32 v149, v215, v218
	v_fma_f32 v1, v214, v218, -v1
	v_add_f32_e32 v149, v148, v149
	v_add_f32_e32 v148, v0, v1
	s_waitcnt vmcnt(4)
	v_mul_f32_e32 v0, v221, v225
	v_fma_f32 v244, v220, v224, -v0
	v_mul_f32_e32 v0, v223, v227
	v_fma_f32 v246, v222, v226, -v0
	ds_read2_b64 v[0:3], v166 offset0:115 offset1:116
	ds_read2_b64 v[4:7], v166 offset0:117 offset1:118
	;; [unrolled: 1-line block ×4, first 2 shown]
	v_mul_f32_e32 v245, v220, v225
	v_fmac_f32_e32 v245, v221, v224
	v_mul_f32_e32 v247, v222, v227
	s_waitcnt vmcnt(3) lgkmcnt(3)
	v_pk_mul_f32 v[18:19], v[0:1], v[228:229] op_sel:[1,1] op_sel_hi:[0,1]
	v_fmac_f32_e32 v247, v223, v226
	v_pk_add_f32 v[16:17], v[148:149], v[244:245]
	v_pk_fma_f32 v[20:21], v[0:1], v[228:229], v[18:19] neg_lo:[0,0,1] neg_hi:[0,0,1]
	v_pk_fma_f32 v[0:1], v[0:1], v[228:229], v[18:19] op_sel_hi:[1,0,1]
	v_pk_add_f32 v[16:17], v[16:17], v[246:247]
	v_mov_b32_e32 v21, v1
	v_pk_add_f32 v[0:1], v[16:17], v[20:21]
	v_mov_b32_e32 v16, v231
	v_pk_mul_f32 v[16:17], v[2:3], v[16:17] op_sel:[1,0] op_sel_hi:[0,0]
	v_pk_fma_f32 v[18:19], v[2:3], v[230:231], v[16:17] neg_lo:[0,0,1] neg_hi:[0,0,1]
	v_pk_fma_f32 v[2:3], v[2:3], v[230:231], v[16:17] op_sel_hi:[1,0,1]
	s_nop 0
	v_mov_b32_e32 v19, v3
	s_waitcnt vmcnt(2) lgkmcnt(2)
	v_pk_mul_f32 v[2:3], v[4:5], v[232:233] op_sel:[1,1] op_sel_hi:[0,1]
	v_pk_fma_f32 v[16:17], v[4:5], v[232:233], v[2:3] neg_lo:[0,0,1] neg_hi:[0,0,1]
	v_pk_fma_f32 v[2:3], v[4:5], v[232:233], v[2:3] op_sel_hi:[1,0,1]
	v_pk_add_f32 v[0:1], v[0:1], v[18:19]
	v_mov_b32_e32 v2, v235
	v_mov_b32_e32 v17, v3
	v_pk_mul_f32 v[2:3], v[6:7], v[2:3] op_sel:[1,0] op_sel_hi:[0,0]
	v_pk_fma_f32 v[4:5], v[6:7], v[234:235], v[2:3] neg_lo:[0,0,1] neg_hi:[0,0,1]
	v_pk_fma_f32 v[2:3], v[6:7], v[234:235], v[2:3] op_sel_hi:[1,0,1]
	v_pk_add_f32 v[0:1], v[0:1], v[16:17]
	v_mov_b32_e32 v5, v3
	s_waitcnt vmcnt(1) lgkmcnt(1)
	v_pk_mul_f32 v[2:3], v[8:9], v[236:237] op_sel:[1,1] op_sel_hi:[0,1]
	v_pk_add_f32 v[0:1], v[0:1], v[4:5]
	v_pk_fma_f32 v[4:5], v[8:9], v[236:237], v[2:3] neg_lo:[0,0,1] neg_hi:[0,0,1]
	v_pk_fma_f32 v[2:3], v[8:9], v[236:237], v[2:3] op_sel_hi:[1,0,1]
	s_nop 0
	v_mov_b32_e32 v2, v239
	v_mov_b32_e32 v5, v3
	v_pk_mul_f32 v[2:3], v[10:11], v[2:3] op_sel:[1,0] op_sel_hi:[0,0]
	v_pk_add_f32 v[0:1], v[0:1], v[4:5]
	v_pk_fma_f32 v[4:5], v[10:11], v[238:239], v[2:3] neg_lo:[0,0,1] neg_hi:[0,0,1]
	v_pk_fma_f32 v[2:3], v[10:11], v[238:239], v[2:3] op_sel_hi:[1,0,1]
	s_nop 0
	v_mov_b32_e32 v5, v3
	s_waitcnt vmcnt(0) lgkmcnt(0)
	v_pk_mul_f32 v[2:3], v[12:13], v[240:241] op_sel:[1,1] op_sel_hi:[0,1]
	v_pk_add_f32 v[0:1], v[0:1], v[4:5]
	v_pk_fma_f32 v[4:5], v[12:13], v[240:241], v[2:3] neg_lo:[0,0,1] neg_hi:[0,0,1]
	v_pk_fma_f32 v[2:3], v[12:13], v[240:241], v[2:3] op_sel_hi:[1,0,1]
	s_nop 0
	v_mov_b32_e32 v2, v243
	v_mov_b32_e32 v5, v3
	v_pk_mul_f32 v[2:3], v[14:15], v[2:3] op_sel:[1,0] op_sel_hi:[0,0]
	v_pk_add_f32 v[0:1], v[0:1], v[4:5]
	v_pk_fma_f32 v[4:5], v[14:15], v[242:243], v[2:3] neg_lo:[0,0,1] neg_hi:[0,0,1]
	v_pk_fma_f32 v[2:3], v[14:15], v[242:243], v[2:3] op_sel_hi:[1,0,1]
	s_nop 0
	v_mov_b32_e32 v5, v3
	scratch_load_dwordx2 v[2:3], off, off
	v_pk_add_f32 v[0:1], v[0:1], v[4:5]
	s_waitcnt vmcnt(0)
	v_pk_add_f32 v[0:1], v[2:3], v[0:1] neg_lo:[0,1] neg_hi:[0,1]
	scratch_store_dwordx2 off, v[0:1], off
	s_cbranch_vccz .LBB60_500
; %bb.380:
	v_mov_b32_e32 v0, 0
	global_load_dword v1, v0, s[16:17] offset:236
	s_waitcnt vmcnt(0)
	v_readfirstlane_b32 s0, v1
	s_add_i32 s0, s0, -1
	s_cmp_lg_u32 s0, 59
	s_cbranch_scc0 .LBB60_382
; %bb.381:
	s_lshl_b32 s0, s0, 3
	s_nop 0
	scratch_load_dwordx2 v[2:3], off, s0
	scratch_load_dwordx2 v[4:5], off, off offset:472
	s_waitcnt vmcnt(1)
	scratch_store_dwordx2 off, v[2:3], off offset:472
	s_waitcnt vmcnt(1)
	scratch_store_dwordx2 off, v[4:5], s0
.LBB60_382:
	global_load_dword v0, v0, s[16:17] offset:232
	s_waitcnt vmcnt(0)
	v_readfirstlane_b32 s0, v0
	s_add_i32 s0, s0, -1
	s_cmp_eq_u32 s0, 58
	s_cbranch_scc1 .LBB60_384
; %bb.383:
	s_lshl_b32 s0, s0, 3
	s_nop 0
	scratch_load_dwordx2 v[0:1], off, s0
	scratch_load_dwordx2 v[2:3], off, off offset:464
	s_waitcnt vmcnt(1)
	scratch_store_dwordx2 off, v[0:1], off offset:464
	s_waitcnt vmcnt(1)
	scratch_store_dwordx2 off, v[2:3], s0
.LBB60_384:
	v_mov_b32_e32 v0, 0
	global_load_dword v1, v0, s[16:17] offset:228
	s_waitcnt vmcnt(0)
	v_readfirstlane_b32 s0, v1
	s_add_i32 s0, s0, -1
	s_cmp_eq_u32 s0, 57
	s_cbranch_scc1 .LBB60_386
; %bb.385:
	s_lshl_b32 s0, s0, 3
	s_nop 0
	scratch_load_dwordx2 v[2:3], off, s0
	scratch_load_dwordx2 v[4:5], off, off offset:456
	s_waitcnt vmcnt(1)
	scratch_store_dwordx2 off, v[2:3], off offset:456
	s_waitcnt vmcnt(1)
	scratch_store_dwordx2 off, v[4:5], s0
.LBB60_386:
	global_load_dword v0, v0, s[16:17] offset:224
	s_waitcnt vmcnt(0)
	v_readfirstlane_b32 s0, v0
	s_add_i32 s0, s0, -1
	s_cmp_eq_u32 s0, 56
	s_cbranch_scc1 .LBB60_388
; %bb.387:
	s_lshl_b32 s0, s0, 3
	s_nop 0
	scratch_load_dwordx2 v[0:1], off, s0
	scratch_load_dwordx2 v[2:3], off, off offset:448
	s_waitcnt vmcnt(1)
	scratch_store_dwordx2 off, v[0:1], off offset:448
	s_waitcnt vmcnt(1)
	scratch_store_dwordx2 off, v[2:3], s0
.LBB60_388:
	v_mov_b32_e32 v0, 0
	global_load_dword v1, v0, s[16:17] offset:220
	s_waitcnt vmcnt(0)
	v_readfirstlane_b32 s0, v1
	s_add_i32 s0, s0, -1
	s_cmp_eq_u32 s0, 55
	s_cbranch_scc1 .LBB60_390
; %bb.389:
	s_lshl_b32 s0, s0, 3
	s_nop 0
	scratch_load_dwordx2 v[2:3], off, s0
	scratch_load_dwordx2 v[4:5], off, off offset:440
	s_waitcnt vmcnt(1)
	scratch_store_dwordx2 off, v[2:3], off offset:440
	s_waitcnt vmcnt(1)
	scratch_store_dwordx2 off, v[4:5], s0
.LBB60_390:
	;; [unrolled: 33-line block ×29, first 2 shown]
	global_load_dword v2, v0, s[16:17]
	s_nop 0
	scratch_load_dwordx2 v[0:1], off, off
	s_waitcnt vmcnt(1)
	v_readfirstlane_b32 s0, v2
	s_add_i32 s0, s0, -1
	s_cmp_eq_u32 s0, 0
	s_cbranch_scc1 .LBB60_500
; %bb.499:
	s_lshl_b32 s0, s0, 3
	s_nop 0
	scratch_load_dwordx2 v[2:3], off, s0
	s_waitcnt vmcnt(0)
	scratch_store_dwordx2 off, v[2:3], off
	scratch_store_dwordx2 off, v[0:1], s0
	scratch_load_dwordx2 v[0:1], off, off
.LBB60_500:
	s_nop 0
	scratch_load_dwordx4 v[2:5], off, off offset:8
	scratch_load_dwordx4 v[6:9], off, off offset:24
	;; [unrolled: 1-line block ×30, first 2 shown]
	v_accvgpr_read_b32 v123, a1
	v_accvgpr_read_b32 v122, a0
	s_waitcnt vmcnt(30)
	global_store_dwordx2 v[122:123], v[0:1], off
	v_accvgpr_read_b32 v0, a2
	v_accvgpr_read_b32 v1, a3
	s_waitcnt vmcnt(30)
	global_store_dwordx2 v[0:1], v[2:3], off
	v_accvgpr_read_b32 v0, a4
	v_accvgpr_read_b32 v1, a5
	global_store_dwordx2 v[0:1], v[4:5], off
	v_accvgpr_read_b32 v0, a6
	v_accvgpr_read_b32 v1, a7
	s_waitcnt vmcnt(31)
	global_store_dwordx2 v[0:1], v[6:7], off
	v_accvgpr_read_b32 v0, a8
	v_accvgpr_read_b32 v1, a9
	;; [unrolled: 7-line block ×24, first 2 shown]
	global_store_dwordx2 v[0:1], v[96:97], off
	s_waitcnt vmcnt(54)
	global_store_dwordx2 v[248:249], v[98:99], off
	global_store_dwordx2 v[250:251], v[100:101], off
	s_waitcnt vmcnt(55)
	global_store_dwordx2 v[252:253], v[102:103], off
	global_store_dwordx2 v[254:255], v[104:105], off
	s_waitcnt vmcnt(56)
	global_store_dwordx2 v[150:151], v[106:107], off
	global_store_dwordx2 v[152:153], v[108:109], off
	s_waitcnt vmcnt(57)
	global_store_dwordx2 v[154:155], v[110:111], off
	global_store_dwordx2 v[156:157], v[112:113], off
	s_waitcnt vmcnt(58)
	global_store_dwordx2 v[158:159], v[114:115], off
	global_store_dwordx2 v[160:161], v[116:117], off
	s_waitcnt vmcnt(59)
	global_store_dwordx2 v[162:163], v[118:119], off
	global_store_dwordx2 v[164:165], v[120:121], off
	s_endpgm
	.section	.rodata,"a",@progbits
	.p2align	6, 0x0
	.amdhsa_kernel _ZN9rocsolver6v33100L18getri_kernel_smallILi61E19rocblas_complex_numIfEPS3_EEvT1_iilPiilS6_bb
		.amdhsa_group_segment_fixed_size 984
		.amdhsa_private_segment_fixed_size 496
		.amdhsa_kernarg_size 60
		.amdhsa_user_sgpr_count 2
		.amdhsa_user_sgpr_dispatch_ptr 0
		.amdhsa_user_sgpr_queue_ptr 0
		.amdhsa_user_sgpr_kernarg_segment_ptr 1
		.amdhsa_user_sgpr_dispatch_id 0
		.amdhsa_user_sgpr_kernarg_preload_length 0
		.amdhsa_user_sgpr_kernarg_preload_offset 0
		.amdhsa_user_sgpr_private_segment_size 0
		.amdhsa_uses_dynamic_stack 0
		.amdhsa_enable_private_segment 1
		.amdhsa_system_sgpr_workgroup_id_x 1
		.amdhsa_system_sgpr_workgroup_id_y 0
		.amdhsa_system_sgpr_workgroup_id_z 0
		.amdhsa_system_sgpr_workgroup_info 0
		.amdhsa_system_vgpr_workitem_id 0
		.amdhsa_next_free_vgpr 354
		.amdhsa_next_free_sgpr 20
		.amdhsa_accum_offset 256
		.amdhsa_reserve_vcc 1
		.amdhsa_float_round_mode_32 0
		.amdhsa_float_round_mode_16_64 0
		.amdhsa_float_denorm_mode_32 3
		.amdhsa_float_denorm_mode_16_64 3
		.amdhsa_dx10_clamp 1
		.amdhsa_ieee_mode 1
		.amdhsa_fp16_overflow 0
		.amdhsa_tg_split 0
		.amdhsa_exception_fp_ieee_invalid_op 0
		.amdhsa_exception_fp_denorm_src 0
		.amdhsa_exception_fp_ieee_div_zero 0
		.amdhsa_exception_fp_ieee_overflow 0
		.amdhsa_exception_fp_ieee_underflow 0
		.amdhsa_exception_fp_ieee_inexact 0
		.amdhsa_exception_int_div_zero 0
	.end_amdhsa_kernel
	.section	.text._ZN9rocsolver6v33100L18getri_kernel_smallILi61E19rocblas_complex_numIfEPS3_EEvT1_iilPiilS6_bb,"axG",@progbits,_ZN9rocsolver6v33100L18getri_kernel_smallILi61E19rocblas_complex_numIfEPS3_EEvT1_iilPiilS6_bb,comdat
.Lfunc_end60:
	.size	_ZN9rocsolver6v33100L18getri_kernel_smallILi61E19rocblas_complex_numIfEPS3_EEvT1_iilPiilS6_bb, .Lfunc_end60-_ZN9rocsolver6v33100L18getri_kernel_smallILi61E19rocblas_complex_numIfEPS3_EEvT1_iilPiilS6_bb
                                        ; -- End function
	.set _ZN9rocsolver6v33100L18getri_kernel_smallILi61E19rocblas_complex_numIfEPS3_EEvT1_iilPiilS6_bb.num_vgpr, 256
	.set _ZN9rocsolver6v33100L18getri_kernel_smallILi61E19rocblas_complex_numIfEPS3_EEvT1_iilPiilS6_bb.num_agpr, 98
	.set _ZN9rocsolver6v33100L18getri_kernel_smallILi61E19rocblas_complex_numIfEPS3_EEvT1_iilPiilS6_bb.numbered_sgpr, 20
	.set _ZN9rocsolver6v33100L18getri_kernel_smallILi61E19rocblas_complex_numIfEPS3_EEvT1_iilPiilS6_bb.num_named_barrier, 0
	.set _ZN9rocsolver6v33100L18getri_kernel_smallILi61E19rocblas_complex_numIfEPS3_EEvT1_iilPiilS6_bb.private_seg_size, 496
	.set _ZN9rocsolver6v33100L18getri_kernel_smallILi61E19rocblas_complex_numIfEPS3_EEvT1_iilPiilS6_bb.uses_vcc, 1
	.set _ZN9rocsolver6v33100L18getri_kernel_smallILi61E19rocblas_complex_numIfEPS3_EEvT1_iilPiilS6_bb.uses_flat_scratch, 0
	.set _ZN9rocsolver6v33100L18getri_kernel_smallILi61E19rocblas_complex_numIfEPS3_EEvT1_iilPiilS6_bb.has_dyn_sized_stack, 0
	.set _ZN9rocsolver6v33100L18getri_kernel_smallILi61E19rocblas_complex_numIfEPS3_EEvT1_iilPiilS6_bb.has_recursion, 0
	.set _ZN9rocsolver6v33100L18getri_kernel_smallILi61E19rocblas_complex_numIfEPS3_EEvT1_iilPiilS6_bb.has_indirect_call, 0
	.section	.AMDGPU.csdata,"",@progbits
; Kernel info:
; codeLenInByte = 103208
; TotalNumSgprs: 26
; NumVgprs: 256
; NumAgprs: 98
; TotalNumVgprs: 354
; ScratchSize: 496
; MemoryBound: 0
; FloatMode: 240
; IeeeMode: 1
; LDSByteSize: 984 bytes/workgroup (compile time only)
; SGPRBlocks: 3
; VGPRBlocks: 44
; NumSGPRsForWavesPerEU: 26
; NumVGPRsForWavesPerEU: 354
; AccumOffset: 256
; Occupancy: 1
; WaveLimiterHint : 1
; COMPUTE_PGM_RSRC2:SCRATCH_EN: 1
; COMPUTE_PGM_RSRC2:USER_SGPR: 2
; COMPUTE_PGM_RSRC2:TRAP_HANDLER: 0
; COMPUTE_PGM_RSRC2:TGID_X_EN: 1
; COMPUTE_PGM_RSRC2:TGID_Y_EN: 0
; COMPUTE_PGM_RSRC2:TGID_Z_EN: 0
; COMPUTE_PGM_RSRC2:TIDIG_COMP_CNT: 0
; COMPUTE_PGM_RSRC3_GFX90A:ACCUM_OFFSET: 63
; COMPUTE_PGM_RSRC3_GFX90A:TG_SPLIT: 0
	.section	.text._ZN9rocsolver6v33100L18getri_kernel_smallILi62E19rocblas_complex_numIfEPS3_EEvT1_iilPiilS6_bb,"axG",@progbits,_ZN9rocsolver6v33100L18getri_kernel_smallILi62E19rocblas_complex_numIfEPS3_EEvT1_iilPiilS6_bb,comdat
	.globl	_ZN9rocsolver6v33100L18getri_kernel_smallILi62E19rocblas_complex_numIfEPS3_EEvT1_iilPiilS6_bb ; -- Begin function _ZN9rocsolver6v33100L18getri_kernel_smallILi62E19rocblas_complex_numIfEPS3_EEvT1_iilPiilS6_bb
	.p2align	8
	.type	_ZN9rocsolver6v33100L18getri_kernel_smallILi62E19rocblas_complex_numIfEPS3_EEvT1_iilPiilS6_bb,@function
_ZN9rocsolver6v33100L18getri_kernel_smallILi62E19rocblas_complex_numIfEPS3_EEvT1_iilPiilS6_bb: ; @_ZN9rocsolver6v33100L18getri_kernel_smallILi62E19rocblas_complex_numIfEPS3_EEvT1_iilPiilS6_bb
; %bb.0:
	v_cmp_gt_u32_e32 vcc, 62, v0
	s_and_saveexec_b64 s[4:5], vcc
	s_cbranch_execz .LBB61_262
; %bb.1:
	s_load_dword s8, s[0:1], 0x38
	s_load_dwordx4 s[12:15], s[0:1], 0x10
	s_load_dwordx4 s[4:7], s[0:1], 0x28
                                        ; implicit-def: $sgpr16_sgpr17
	s_waitcnt lgkmcnt(0)
	s_bitcmp1_b32 s8, 8
	s_cselect_b64 s[18:19], -1, 0
	s_ashr_i32 s3, s2, 31
	s_bfe_u32 s8, s8, 0x10008
	s_cmp_eq_u32 s8, 0
	s_cbranch_scc1 .LBB61_3
; %bb.2:
	s_load_dword s8, s[0:1], 0x20
	s_mul_i32 s9, s4, s3
	s_mul_hi_u32 s10, s4, s2
	s_mul_i32 s5, s5, s2
	s_add_i32 s10, s10, s9
	s_add_i32 s5, s10, s5
	s_mul_i32 s4, s4, s2
	s_waitcnt lgkmcnt(0)
	s_ashr_i32 s9, s8, 31
	s_lshl_b64 s[4:5], s[4:5], 2
	s_add_u32 s10, s14, s4
	s_addc_u32 s11, s15, s5
	s_lshl_b64 s[4:5], s[8:9], 2
	s_add_u32 s16, s10, s4
	s_addc_u32 s17, s11, s5
.LBB61_3:
	s_load_dwordx4 s[8:11], s[0:1], 0x0
	s_load_dword s4, s[0:1], 0x38
	s_mul_i32 s5, s12, s3
	s_mul_hi_u32 s14, s12, s2
	s_add_i32 s5, s14, s5
	s_waitcnt lgkmcnt(0)
	s_ashr_i32 s1, s10, 31
	s_mov_b32 s0, s10
	s_mul_i32 s10, s13, s2
	s_add_i32 s13, s5, s10
	s_mul_i32 s12, s12, s2
	s_lshl_b64 s[12:13], s[12:13], 3
	s_add_u32 s5, s8, s12
	s_addc_u32 s8, s9, s13
	s_lshl_b64 s[0:1], s[0:1], 3
	s_add_u32 s0, s5, s0
	s_addc_u32 s1, s8, s1
	v_lshlrev_b32_e32 v2, 3, v0
	v_mov_b32_e32 v3, 0
	v_lshl_add_u64 v[6:7], s[0:1], 0, v[2:3]
	s_ashr_i32 s9, s11, 31
	s_mov_b32 s8, s11
	v_accvgpr_write_b32 a0, v6
	s_add_i32 s5, s11, s11
	v_accvgpr_write_b32 a1, v7
	v_lshl_add_u64 v[8:9], s[8:9], 3, v[6:7]
	v_add_u32_e32 v6, s5, v0
	v_ashrrev_i32_e32 v7, 31, v6
	v_lshl_add_u64 v[10:11], v[6:7], 3, s[0:1]
	v_add_u32_e32 v6, s11, v6
	v_add_u32_e32 v14, s11, v6
	v_ashrrev_i32_e32 v7, 31, v6
	v_ashrrev_i32_e32 v15, 31, v14
	v_lshl_add_u64 v[12:13], v[6:7], 3, s[0:1]
	v_lshl_add_u64 v[16:17], v[14:15], 3, s[0:1]
	v_add_u32_e32 v14, s11, v14
	v_accvgpr_write_b32 a2, v8
	v_accvgpr_write_b32 a4, v10
	;; [unrolled: 1-line block ×4, first 2 shown]
	v_ashrrev_i32_e32 v15, 31, v14
	global_load_dwordx2 v[4:5], v2, s[0:1]
	global_load_dwordx2 v[6:7], v[8:9], off
	v_accvgpr_write_b32 a3, v9
	v_accvgpr_write_b32 a5, v11
	global_load_dwordx2 v[8:9], v[10:11], off
	v_accvgpr_write_b32 a7, v13
	global_load_dwordx2 v[10:11], v[12:13], off
	;; [unrolled: 2-line block ×3, first 2 shown]
	v_lshl_add_u64 v[16:17], v[14:15], 3, s[0:1]
	v_add_u32_e32 v14, s11, v14
	v_ashrrev_i32_e32 v15, 31, v14
	v_lshl_add_u64 v[18:19], v[14:15], 3, s[0:1]
	v_add_u32_e32 v14, s11, v14
	v_add_u32_e32 v22, s11, v14
	v_ashrrev_i32_e32 v23, 31, v22
	v_lshl_add_u64 v[24:25], v[22:23], 3, s[0:1]
	v_add_u32_e32 v22, s11, v22
	v_ashrrev_i32_e32 v23, 31, v22
	v_ashrrev_i32_e32 v15, 31, v14
	v_lshl_add_u64 v[26:27], v[22:23], 3, s[0:1]
	v_add_u32_e32 v22, s11, v22
	v_lshl_add_u64 v[20:21], v[14:15], 3, s[0:1]
	v_ashrrev_i32_e32 v23, 31, v22
	v_accvgpr_write_b32 a10, v16
	v_accvgpr_write_b32 a12, v18
	;; [unrolled: 1-line block ×4, first 2 shown]
	v_lshl_add_u64 v[28:29], v[22:23], 3, s[0:1]
	v_add_u32_e32 v22, s11, v22
	v_accvgpr_write_b32 a11, v17
	global_load_dwordx2 v[14:15], v[16:17], off
	v_accvgpr_write_b32 a13, v19
	global_load_dwordx2 v[16:17], v[18:19], off
	;; [unrolled: 2-line block ×4, first 2 shown]
	v_add_u32_e32 v24, s11, v22
	v_ashrrev_i32_e32 v23, 31, v22
	v_ashrrev_i32_e32 v25, 31, v24
	v_lshl_add_u64 v[30:31], v[22:23], 3, s[0:1]
	v_lshl_add_u64 v[32:33], v[24:25], 3, s[0:1]
	v_add_u32_e32 v24, s11, v24
	v_accvgpr_write_b32 a18, v26
	v_accvgpr_write_b32 a20, v28
	;; [unrolled: 1-line block ×4, first 2 shown]
	v_ashrrev_i32_e32 v25, 31, v24
	v_accvgpr_write_b32 a19, v27
	global_load_dwordx2 v[22:23], v[26:27], off
	v_accvgpr_write_b32 a21, v29
	global_load_dwordx2 v[26:27], v[28:29], off
	;; [unrolled: 2-line block ×4, first 2 shown]
	v_lshl_add_u64 v[32:33], v[24:25], 3, s[0:1]
	v_add_u32_e32 v24, s11, v24
	v_ashrrev_i32_e32 v25, 31, v24
	v_lshl_add_u64 v[34:35], v[24:25], 3, s[0:1]
	v_add_u32_e32 v24, s11, v24
	v_ashrrev_i32_e32 v25, 31, v24
	;; [unrolled: 3-line block ×46, first 2 shown]
	v_lshl_add_u64 v[162:163], v[24:25], 3, s[0:1]
	v_add_u32_e32 v24, s11, v24
	v_accvgpr_write_b32 a26, v32
	v_accvgpr_write_b32 a28, v34
	;; [unrolled: 1-line block ×40, first 2 shown]
	v_ashrrev_i32_e32 v25, 31, v24
	v_accvgpr_write_b32 a27, v33
	global_load_dwordx2 v[32:33], v[32:33], off
	v_accvgpr_write_b32 a29, v35
	global_load_dwordx2 v[34:35], v[34:35], off
	;; [unrolled: 2-line block ×40, first 2 shown]
	s_nop 0
	global_load_dwordx2 v[112:113], v[150:151], off
	global_load_dwordx2 v[114:115], v[152:153], off
	;; [unrolled: 1-line block ×4, first 2 shown]
	v_lshl_add_u64 v[164:165], v[24:25], 3, s[0:1]
	global_load_dwordx2 v[120:121], v[158:159], off
	global_load_dwordx2 v[122:123], v[160:161], off
	;; [unrolled: 1-line block ×4, first 2 shown]
	v_add_u32_e32 v24, s11, v24
	v_ashrrev_i32_e32 v25, 31, v24
	v_lshl_add_u64 v[166:167], v[24:25], 3, s[0:1]
	global_load_dwordx2 v[128:129], v[166:167], off
	s_bitcmp0_b32 s4, 0
	s_mov_b64 s[4:5], -1
	s_waitcnt vmcnt(60)
	scratch_store_dwordx4 off, v[4:7], off
	s_waitcnt vmcnt(59)
	scratch_store_dwordx4 off, v[8:11], off offset:16
	s_waitcnt vmcnt(58)
	scratch_store_dwordx4 off, v[12:15], off offset:32
	;; [unrolled: 2-line block ×30, first 2 shown]
	s_cbranch_scc1 .LBB61_260
; %bb.4:
	v_cmp_eq_u32_e64 s[0:1], 0, v0
	s_and_saveexec_b64 s[4:5], s[0:1]
; %bb.5:
	v_mov_b32_e32 v1, 0
	ds_write_b32 v1, v1 offset:992
; %bb.6:
	s_or_b64 exec, exec, s[4:5]
	s_waitcnt lgkmcnt(0)
	; wave barrier
	scratch_load_dwordx2 v[4:5], v2, off
	s_waitcnt vmcnt(0)
	v_cmp_eq_f32_e32 vcc, 0, v4
	v_cmp_eq_f32_e64 s[4:5], 0, v5
	s_and_b64 s[4:5], vcc, s[4:5]
	s_and_saveexec_b64 s[8:9], s[4:5]
	s_cbranch_execz .LBB61_10
; %bb.7:
	v_mov_b32_e32 v1, 0
	ds_read_b32 v4, v1 offset:992
	v_add_u32_e32 v3, 1, v0
	s_waitcnt lgkmcnt(0)
	v_readfirstlane_b32 s4, v4
	s_cmp_eq_u32 s4, 0
	s_cselect_b64 s[10:11], -1, 0
	v_cmp_gt_i32_e32 vcc, s4, v3
	s_or_b64 s[10:11], s[10:11], vcc
	s_and_b64 exec, exec, s[10:11]
	s_cbranch_execz .LBB61_10
; %bb.8:
	s_mov_b64 s[10:11], 0
	v_mov_b32_e32 v4, s4
.LBB61_9:                               ; =>This Inner Loop Header: Depth=1
	ds_cmpst_rtn_b32 v4, v1, v4, v3 offset:992
	s_waitcnt lgkmcnt(0)
	v_cmp_ne_u32_e32 vcc, 0, v4
	v_cmp_le_i32_e64 s[4:5], v4, v3
	s_and_b64 s[4:5], vcc, s[4:5]
	s_and_b64 s[4:5], exec, s[4:5]
	s_or_b64 s[10:11], s[4:5], s[10:11]
	s_andn2_b64 exec, exec, s[10:11]
	s_cbranch_execnz .LBB61_9
.LBB61_10:
	s_or_b64 exec, exec, s[8:9]
	v_mov_b32_e32 v3, 0
	; wave barrier
	ds_read_b32 v1, v3 offset:992
	s_and_saveexec_b64 s[4:5], s[0:1]
	s_cbranch_execz .LBB61_12
; %bb.11:
	s_lshl_b64 s[8:9], s[2:3], 2
	s_add_u32 s8, s6, s8
	s_addc_u32 s9, s7, s9
	s_waitcnt lgkmcnt(0)
	global_store_dword v3, v1, s[8:9]
.LBB61_12:
	s_or_b64 exec, exec, s[4:5]
	s_waitcnt lgkmcnt(0)
	v_cmp_ne_u32_e32 vcc, 0, v1
	s_mov_b64 s[4:5], 0
	s_cbranch_vccnz .LBB61_260
; %bb.13:
	v_mov_b32_e32 v3, v2
	scratch_load_dwordx2 v[4:5], v3, off
                                        ; implicit-def: $vgpr7
                                        ; implicit-def: $vgpr8
	s_waitcnt vmcnt(0)
	v_cmp_ngt_f32_e64 s[4:5], |v4|, |v5|
	s_and_saveexec_b64 s[8:9], s[4:5]
	s_xor_b64 s[4:5], exec, s[8:9]
	s_cbranch_execz .LBB61_15
; %bb.14:
	v_div_scale_f32 v1, s[8:9], v5, v5, v4
	v_rcp_f32_e32 v6, v1
	v_div_scale_f32 v7, vcc, v4, v5, v4
	v_fma_f32 v8, -v1, v6, 1.0
	v_fmac_f32_e32 v6, v8, v6
	v_mul_f32_e32 v8, v7, v6
	v_fma_f32 v9, -v1, v8, v7
	v_fmac_f32_e32 v8, v9, v6
	v_fma_f32 v1, -v1, v8, v7
	v_div_fmas_f32 v1, v1, v6, v8
	v_div_fixup_f32 v1, v1, v5, v4
	v_fmac_f32_e32 v5, v4, v1
	v_div_scale_f32 v4, s[8:9], v5, v5, -1.0
	v_rcp_f32_e32 v6, v4
	s_nop 0
	v_fma_f32 v7, -v4, v6, 1.0
	v_fmac_f32_e32 v6, v7, v6
	v_div_scale_f32 v7, vcc, -1.0, v5, -1.0
	v_mul_f32_e32 v8, v7, v6
	v_fma_f32 v9, -v4, v8, v7
	v_fmac_f32_e32 v8, v9, v6
	v_fma_f32 v4, -v4, v8, v7
	v_div_fmas_f32 v4, v4, v6, v8
	v_div_fixup_f32 v7, v4, v5, -1.0
	v_mul_f32_e32 v8, v1, v7
	v_xor_b32_e32 v6, 0x80000000, v8
                                        ; implicit-def: $vgpr4_vgpr5
.LBB61_15:
	s_andn2_saveexec_b64 s[4:5], s[4:5]
	s_cbranch_execz .LBB61_17
; %bb.16:
	v_div_scale_f32 v1, s[8:9], v4, v4, v5
	v_rcp_f32_e32 v6, v1
	v_div_scale_f32 v7, vcc, v5, v4, v5
	v_fma_f32 v8, -v1, v6, 1.0
	v_fmac_f32_e32 v6, v8, v6
	v_mul_f32_e32 v8, v7, v6
	v_fma_f32 v9, -v1, v8, v7
	v_fmac_f32_e32 v8, v9, v6
	v_fma_f32 v1, -v1, v8, v7
	v_div_fmas_f32 v1, v1, v6, v8
	v_div_fixup_f32 v1, v1, v4, v5
	v_fmac_f32_e32 v4, v5, v1
	v_div_scale_f32 v5, s[8:9], v4, v4, 1.0
	v_rcp_f32_e32 v6, v5
	s_nop 0
	v_fma_f32 v7, -v5, v6, 1.0
	v_fmac_f32_e32 v6, v7, v6
	v_div_scale_f32 v7, vcc, 1.0, v4, 1.0
	v_mul_f32_e32 v8, v7, v6
	v_fma_f32 v9, -v5, v8, v7
	v_fmac_f32_e32 v8, v9, v6
	v_fma_f32 v5, -v5, v8, v7
	v_div_fmas_f32 v5, v5, v6, v8
	v_div_fixup_f32 v6, v5, v4, 1.0
	v_xor_b32_e32 v8, 0x80000000, v6
	v_mul_f32_e64 v7, v1, -v6
.LBB61_17:
	s_or_b64 exec, exec, s[4:5]
	scratch_store_dwordx2 v3, v[6:7], off
	scratch_load_dwordx2 v[4:5], off, off offset:8
	v_xor_b32_e32 v9, 0x80000000, v7
	v_add_u32_e32 v1, 0x1f0, v2
	s_waitcnt vmcnt(0)
	ds_write2_b64 v2, v[8:9], v[4:5] offset1:62
	s_waitcnt lgkmcnt(0)
	; wave barrier
	s_and_saveexec_b64 s[4:5], s[0:1]
	s_cbranch_execz .LBB61_19
; %bb.18:
	scratch_load_dwordx2 v[4:5], v3, off
	ds_read_b64 v[6:7], v1
	v_mov_b32_e32 v8, 0
	ds_read_b64 v[8:9], v8 offset:8
	s_waitcnt vmcnt(0) lgkmcnt(1)
	v_pk_mul_f32 v[10:11], v[6:7], v[4:5] op_sel:[1,1] op_sel_hi:[0,1]
	v_pk_fma_f32 v[12:13], v[6:7], v[4:5], v[10:11] neg_lo:[0,0,1] neg_hi:[0,0,1]
	v_pk_fma_f32 v[4:5], v[6:7], v[4:5], v[10:11] op_sel_hi:[1,0,1]
	s_nop 0
	v_mov_b32_e32 v13, v5
	v_pk_add_f32 v[4:5], v[12:13], 0 op_sel_hi:[1,0]
	s_waitcnt lgkmcnt(0)
	v_pk_mul_f32 v[6:7], v[4:5], v[8:9] op_sel:[1,1] op_sel_hi:[0,1]
	v_pk_fma_f32 v[10:11], v[4:5], v[8:9], v[6:7] neg_lo:[0,0,1] neg_hi:[0,0,1]
	v_pk_fma_f32 v[4:5], v[4:5], v[8:9], v[6:7] op_sel_hi:[1,0,1]
	s_nop 0
	v_mov_b32_e32 v11, v5
	scratch_store_dwordx2 off, v[10:11], off offset:8
.LBB61_19:
	s_or_b64 exec, exec, s[4:5]
	; wave barrier
	scratch_load_dwordx2 v[4:5], off, off offset:16
	v_cmp_gt_u32_e32 vcc, 2, v0
	s_waitcnt vmcnt(0)
	ds_write_b64 v1, v[4:5]
	s_waitcnt lgkmcnt(0)
	; wave barrier
	s_and_saveexec_b64 s[4:5], vcc
	s_cbranch_execz .LBB61_23
; %bb.20:
	scratch_load_dwordx2 v[4:5], v3, off
	ds_read_b64 v[6:7], v1
	s_waitcnt vmcnt(0) lgkmcnt(0)
	v_pk_mul_f32 v[8:9], v[6:7], v[4:5] op_sel:[1,1] op_sel_hi:[0,1]
	v_pk_fma_f32 v[10:11], v[6:7], v[4:5], v[8:9] neg_lo:[0,0,1] neg_hi:[0,0,1]
	v_pk_fma_f32 v[4:5], v[6:7], v[4:5], v[8:9] op_sel_hi:[1,0,1]
	s_nop 0
	v_mov_b32_e32 v11, v5
	v_pk_add_f32 v[4:5], v[10:11], 0 op_sel_hi:[1,0]
	s_and_saveexec_b64 s[8:9], s[0:1]
	s_cbranch_execz .LBB61_22
; %bb.21:
	scratch_load_dwordx2 v[6:7], off, off offset:8
	v_mov_b32_e32 v3, 0
	ds_read_b64 v[8:9], v3 offset:504
	s_waitcnt vmcnt(0) lgkmcnt(0)
	v_pk_mul_f32 v[10:11], v[8:9], v[6:7] op_sel:[1,1] op_sel_hi:[0,1]
	v_pk_fma_f32 v[12:13], v[8:9], v[6:7], v[10:11] neg_lo:[0,0,1] neg_hi:[0,0,1]
	v_pk_fma_f32 v[6:7], v[8:9], v[6:7], v[10:11] op_sel_hi:[1,0,1]
	s_nop 0
	v_mov_b32_e32 v13, v7
	v_pk_add_f32 v[4:5], v[4:5], v[12:13]
.LBB61_22:
	s_or_b64 exec, exec, s[8:9]
	v_mov_b32_e32 v3, 0
	ds_read_b64 v[6:7], v3 offset:16
	s_waitcnt lgkmcnt(0)
	v_pk_mul_f32 v[8:9], v[4:5], v[6:7] op_sel:[1,1] op_sel_hi:[0,1]
	v_pk_fma_f32 v[10:11], v[4:5], v[6:7], v[8:9] neg_lo:[0,0,1] neg_hi:[0,0,1]
	v_pk_fma_f32 v[4:5], v[4:5], v[6:7], v[8:9] op_sel_hi:[1,0,1]
	s_nop 0
	v_mov_b32_e32 v11, v5
	scratch_store_dwordx2 off, v[10:11], off offset:16
.LBB61_23:
	s_or_b64 exec, exec, s[4:5]
	; wave barrier
	scratch_load_dwordx2 v[4:5], off, off offset:24
	v_cmp_gt_u32_e32 vcc, 3, v0
	v_add_u32_e32 v6, -1, v0
	s_waitcnt vmcnt(0)
	ds_write_b64 v1, v[4:5]
	s_waitcnt lgkmcnt(0)
	; wave barrier
	s_and_saveexec_b64 s[0:1], vcc
	s_cbranch_execz .LBB61_27
; %bb.24:
	v_mov_b32_e32 v4, 0
	v_add_u32_e32 v3, -1, v0
	v_add_u32_e32 v7, 0x1f0, v2
	v_mov_b32_e32 v8, v2
	s_mov_b64 s[4:5], 0
	v_mov_b32_e32 v5, v4
.LBB61_25:                              ; =>This Inner Loop Header: Depth=1
	scratch_load_dwordx2 v[10:11], v8, off
	ds_read_b64 v[12:13], v7
	v_add_u32_e32 v3, 1, v3
	v_cmp_lt_u32_e32 vcc, 1, v3
	v_add_u32_e32 v7, 8, v7
	v_add_u32_e32 v8, 8, v8
	s_or_b64 s[4:5], vcc, s[4:5]
	s_waitcnt vmcnt(0) lgkmcnt(0)
	v_pk_mul_f32 v[14:15], v[12:13], v[10:11] op_sel:[1,1] op_sel_hi:[0,1]
	v_pk_fma_f32 v[16:17], v[12:13], v[10:11], v[14:15] neg_lo:[0,0,1] neg_hi:[0,0,1]
	v_pk_fma_f32 v[10:11], v[12:13], v[10:11], v[14:15] op_sel_hi:[1,0,1]
	s_nop 0
	v_mov_b32_e32 v17, v11
	v_pk_add_f32 v[4:5], v[4:5], v[16:17]
	s_andn2_b64 exec, exec, s[4:5]
	s_cbranch_execnz .LBB61_25
; %bb.26:
	s_or_b64 exec, exec, s[4:5]
	v_mov_b32_e32 v3, 0
	ds_read_b64 v[8:9], v3 offset:24
	s_waitcnt lgkmcnt(0)
	v_pk_mul_f32 v[10:11], v[4:5], v[8:9] op_sel:[1,1] op_sel_hi:[0,1]
	v_pk_fma_f32 v[12:13], v[4:5], v[8:9], v[10:11] neg_lo:[0,0,1] neg_hi:[0,0,1]
	v_pk_fma_f32 v[4:5], v[4:5], v[8:9], v[10:11] op_sel_hi:[1,0,1]
	s_nop 0
	v_mov_b32_e32 v13, v5
	scratch_store_dwordx2 off, v[12:13], off offset:24
.LBB61_27:
	s_or_b64 exec, exec, s[0:1]
	; wave barrier
	scratch_load_dwordx2 v[4:5], off, off offset:32
	v_cmp_gt_u32_e32 vcc, 4, v0
	s_waitcnt vmcnt(0)
	ds_write_b64 v1, v[4:5]
	s_waitcnt lgkmcnt(0)
	; wave barrier
	s_and_saveexec_b64 s[0:1], vcc
	s_cbranch_execz .LBB61_31
; %bb.28:
	v_mov_b32_e32 v4, 0
	v_add_u32_e32 v3, -1, v0
	v_add_u32_e32 v7, 0x1f0, v2
	v_mov_b32_e32 v8, v2
	s_mov_b64 s[4:5], 0
	v_mov_b32_e32 v5, v4
.LBB61_29:                              ; =>This Inner Loop Header: Depth=1
	scratch_load_dwordx2 v[10:11], v8, off
	ds_read_b64 v[12:13], v7
	v_add_u32_e32 v3, 1, v3
	v_cmp_lt_u32_e32 vcc, 2, v3
	v_add_u32_e32 v7, 8, v7
	v_add_u32_e32 v8, 8, v8
	s_or_b64 s[4:5], vcc, s[4:5]
	s_waitcnt vmcnt(0) lgkmcnt(0)
	v_pk_mul_f32 v[14:15], v[12:13], v[10:11] op_sel:[1,1] op_sel_hi:[0,1]
	v_pk_fma_f32 v[16:17], v[12:13], v[10:11], v[14:15] neg_lo:[0,0,1] neg_hi:[0,0,1]
	v_pk_fma_f32 v[10:11], v[12:13], v[10:11], v[14:15] op_sel_hi:[1,0,1]
	s_nop 0
	v_mov_b32_e32 v17, v11
	v_pk_add_f32 v[4:5], v[4:5], v[16:17]
	s_andn2_b64 exec, exec, s[4:5]
	s_cbranch_execnz .LBB61_29
; %bb.30:
	s_or_b64 exec, exec, s[4:5]
	v_mov_b32_e32 v3, 0
	ds_read_b64 v[8:9], v3 offset:32
	s_waitcnt lgkmcnt(0)
	v_pk_mul_f32 v[10:11], v[4:5], v[8:9] op_sel:[1,1] op_sel_hi:[0,1]
	v_pk_fma_f32 v[12:13], v[4:5], v[8:9], v[10:11] neg_lo:[0,0,1] neg_hi:[0,0,1]
	v_pk_fma_f32 v[4:5], v[4:5], v[8:9], v[10:11] op_sel_hi:[1,0,1]
	s_nop 0
	v_mov_b32_e32 v13, v5
	scratch_store_dwordx2 off, v[12:13], off offset:32
.LBB61_31:
	s_or_b64 exec, exec, s[0:1]
	; wave barrier
	scratch_load_dwordx2 v[4:5], off, off offset:40
	v_cmp_gt_u32_e32 vcc, 5, v0
	;; [unrolled: 46-line block ×19, first 2 shown]
	s_waitcnt vmcnt(0)
	ds_write_b64 v1, v[4:5]
	s_waitcnt lgkmcnt(0)
	; wave barrier
	s_and_saveexec_b64 s[0:1], vcc
	s_cbranch_execz .LBB61_103
; %bb.100:
	v_mov_b32_e32 v4, 0
	v_add_u32_e32 v3, -1, v0
	v_add_u32_e32 v7, 0x1f0, v2
	v_mov_b32_e32 v8, v2
	s_mov_b64 s[4:5], 0
	v_mov_b32_e32 v5, v4
.LBB61_101:                             ; =>This Inner Loop Header: Depth=1
	scratch_load_dwordx2 v[10:11], v8, off
	ds_read_b64 v[12:13], v7
	v_add_u32_e32 v3, 1, v3
	v_cmp_lt_u32_e32 vcc, 20, v3
	v_add_u32_e32 v7, 8, v7
	v_add_u32_e32 v8, 8, v8
	s_or_b64 s[4:5], vcc, s[4:5]
	s_waitcnt vmcnt(0) lgkmcnt(0)
	v_pk_mul_f32 v[14:15], v[12:13], v[10:11] op_sel:[1,1] op_sel_hi:[0,1]
	v_pk_fma_f32 v[16:17], v[12:13], v[10:11], v[14:15] neg_lo:[0,0,1] neg_hi:[0,0,1]
	v_pk_fma_f32 v[10:11], v[12:13], v[10:11], v[14:15] op_sel_hi:[1,0,1]
	s_nop 0
	v_mov_b32_e32 v17, v11
	v_pk_add_f32 v[4:5], v[4:5], v[16:17]
	s_andn2_b64 exec, exec, s[4:5]
	s_cbranch_execnz .LBB61_101
; %bb.102:
	s_or_b64 exec, exec, s[4:5]
	v_mov_b32_e32 v3, 0
	ds_read_b64 v[8:9], v3 offset:176
	s_waitcnt lgkmcnt(0)
	v_pk_mul_f32 v[10:11], v[4:5], v[8:9] op_sel:[1,1] op_sel_hi:[0,1]
	v_pk_fma_f32 v[12:13], v[4:5], v[8:9], v[10:11] neg_lo:[0,0,1] neg_hi:[0,0,1]
	v_pk_fma_f32 v[4:5], v[4:5], v[8:9], v[10:11] op_sel_hi:[1,0,1]
	s_nop 0
	v_mov_b32_e32 v13, v5
	scratch_store_dwordx2 off, v[12:13], off offset:176
.LBB61_103:
	s_or_b64 exec, exec, s[0:1]
	; wave barrier
	scratch_load_dwordx2 v[4:5], off, off offset:184
	v_cmp_gt_u32_e32 vcc, 23, v0
	s_waitcnt vmcnt(0)
	ds_write_b64 v1, v[4:5]
	s_waitcnt lgkmcnt(0)
	; wave barrier
	s_and_saveexec_b64 s[0:1], vcc
	s_cbranch_execz .LBB61_107
; %bb.104:
	v_mov_b32_e32 v4, 0
	v_add_u32_e32 v3, -1, v0
	v_add_u32_e32 v7, 0x1f0, v2
	v_mov_b32_e32 v8, v2
	s_mov_b64 s[4:5], 0
	v_mov_b32_e32 v5, v4
.LBB61_105:                             ; =>This Inner Loop Header: Depth=1
	scratch_load_dwordx2 v[10:11], v8, off
	ds_read_b64 v[12:13], v7
	v_add_u32_e32 v3, 1, v3
	v_cmp_lt_u32_e32 vcc, 21, v3
	v_add_u32_e32 v7, 8, v7
	v_add_u32_e32 v8, 8, v8
	s_or_b64 s[4:5], vcc, s[4:5]
	s_waitcnt vmcnt(0) lgkmcnt(0)
	v_pk_mul_f32 v[14:15], v[12:13], v[10:11] op_sel:[1,1] op_sel_hi:[0,1]
	v_pk_fma_f32 v[16:17], v[12:13], v[10:11], v[14:15] neg_lo:[0,0,1] neg_hi:[0,0,1]
	v_pk_fma_f32 v[10:11], v[12:13], v[10:11], v[14:15] op_sel_hi:[1,0,1]
	s_nop 0
	v_mov_b32_e32 v17, v11
	v_pk_add_f32 v[4:5], v[4:5], v[16:17]
	s_andn2_b64 exec, exec, s[4:5]
	s_cbranch_execnz .LBB61_105
; %bb.106:
	s_or_b64 exec, exec, s[4:5]
	v_mov_b32_e32 v3, 0
	ds_read_b64 v[8:9], v3 offset:184
	s_waitcnt lgkmcnt(0)
	v_pk_mul_f32 v[10:11], v[4:5], v[8:9] op_sel:[1,1] op_sel_hi:[0,1]
	v_pk_fma_f32 v[12:13], v[4:5], v[8:9], v[10:11] neg_lo:[0,0,1] neg_hi:[0,0,1]
	v_pk_fma_f32 v[4:5], v[4:5], v[8:9], v[10:11] op_sel_hi:[1,0,1]
	s_nop 0
	v_mov_b32_e32 v13, v5
	scratch_store_dwordx2 off, v[12:13], off offset:184
.LBB61_107:
	s_or_b64 exec, exec, s[0:1]
	; wave barrier
	scratch_load_dwordx2 v[4:5], off, off offset:192
	v_cmp_gt_u32_e32 vcc, 24, v0
	;; [unrolled: 46-line block ×38, first 2 shown]
	s_waitcnt vmcnt(0)
	ds_write_b64 v1, v[4:5]
	s_waitcnt lgkmcnt(0)
	; wave barrier
	s_and_saveexec_b64 s[0:1], vcc
	s_cbranch_execz .LBB61_255
; %bb.252:
	v_mov_b32_e32 v4, 0
	v_add_u32_e32 v3, -1, v0
	v_add_u32_e32 v7, 0x1f0, v2
	v_mov_b32_e32 v8, v2
	s_mov_b64 s[4:5], 0
	v_mov_b32_e32 v5, v4
.LBB61_253:                             ; =>This Inner Loop Header: Depth=1
	scratch_load_dwordx2 v[10:11], v8, off
	ds_read_b64 v[12:13], v7
	v_add_u32_e32 v3, 1, v3
	v_cmp_lt_u32_e32 vcc, 58, v3
	v_add_u32_e32 v7, 8, v7
	v_add_u32_e32 v8, 8, v8
	s_or_b64 s[4:5], vcc, s[4:5]
	s_waitcnt vmcnt(0) lgkmcnt(0)
	v_pk_mul_f32 v[14:15], v[12:13], v[10:11] op_sel:[1,1] op_sel_hi:[0,1]
	v_pk_fma_f32 v[16:17], v[12:13], v[10:11], v[14:15] neg_lo:[0,0,1] neg_hi:[0,0,1]
	v_pk_fma_f32 v[10:11], v[12:13], v[10:11], v[14:15] op_sel_hi:[1,0,1]
	s_nop 0
	v_mov_b32_e32 v17, v11
	v_pk_add_f32 v[4:5], v[4:5], v[16:17]
	s_andn2_b64 exec, exec, s[4:5]
	s_cbranch_execnz .LBB61_253
; %bb.254:
	s_or_b64 exec, exec, s[4:5]
	v_mov_b32_e32 v3, 0
	ds_read_b64 v[8:9], v3 offset:480
	s_waitcnt lgkmcnt(0)
	v_pk_mul_f32 v[10:11], v[4:5], v[8:9] op_sel:[1,1] op_sel_hi:[0,1]
	v_pk_fma_f32 v[12:13], v[4:5], v[8:9], v[10:11] neg_lo:[0,0,1] neg_hi:[0,0,1]
	v_pk_fma_f32 v[4:5], v[4:5], v[8:9], v[10:11] op_sel_hi:[1,0,1]
	s_nop 0
	v_mov_b32_e32 v13, v5
	scratch_store_dwordx2 off, v[12:13], off offset:480
.LBB61_255:
	s_or_b64 exec, exec, s[0:1]
	; wave barrier
	scratch_load_dwordx2 v[4:5], off, off offset:488
	v_cmp_ne_u32_e32 vcc, 61, v0
	s_waitcnt vmcnt(0)
	ds_write_b64 v1, v[4:5]
	s_waitcnt lgkmcnt(0)
	; wave barrier
	s_and_saveexec_b64 s[0:1], vcc
	s_cbranch_execz .LBB61_259
; %bb.256:
	v_add_u32_e32 v1, 0x1f0, v2
	v_mov_b32_e32 v4, v2
	v_mov_b32_e32 v2, 0
	s_mov_b64 s[4:5], 0
	v_mov_b32_e32 v3, v2
.LBB61_257:                             ; =>This Inner Loop Header: Depth=1
	scratch_load_dwordx2 v[8:9], v4, off
	ds_read_b64 v[10:11], v1
	v_add_u32_e32 v6, 1, v6
	v_cmp_lt_u32_e32 vcc, 59, v6
	v_add_u32_e32 v1, 8, v1
	v_add_u32_e32 v4, 8, v4
	s_or_b64 s[4:5], vcc, s[4:5]
	s_waitcnt vmcnt(0) lgkmcnt(0)
	v_pk_mul_f32 v[12:13], v[10:11], v[8:9] op_sel:[1,1] op_sel_hi:[0,1]
	v_pk_fma_f32 v[14:15], v[10:11], v[8:9], v[12:13] neg_lo:[0,0,1] neg_hi:[0,0,1]
	v_pk_fma_f32 v[8:9], v[10:11], v[8:9], v[12:13] op_sel_hi:[1,0,1]
	s_nop 0
	v_mov_b32_e32 v15, v9
	v_pk_add_f32 v[2:3], v[2:3], v[14:15]
	s_andn2_b64 exec, exec, s[4:5]
	s_cbranch_execnz .LBB61_257
; %bb.258:
	s_or_b64 exec, exec, s[4:5]
	v_mov_b32_e32 v1, 0
	ds_read_b64 v[4:5], v1 offset:488
	s_waitcnt lgkmcnt(0)
	v_pk_mul_f32 v[6:7], v[2:3], v[4:5] op_sel:[1,1] op_sel_hi:[0,1]
	v_pk_fma_f32 v[8:9], v[2:3], v[4:5], v[6:7] neg_lo:[0,0,1] neg_hi:[0,0,1]
	v_pk_fma_f32 v[2:3], v[2:3], v[4:5], v[6:7] op_sel_hi:[1,0,1]
	s_nop 0
	v_mov_b32_e32 v9, v3
	scratch_store_dwordx2 off, v[8:9], off offset:488
.LBB61_259:
	s_or_b64 exec, exec, s[0:1]
	s_mov_b64 s[4:5], -1
	; wave barrier
.LBB61_260:
	s_and_b64 vcc, exec, s[4:5]
	s_cbranch_vccz .LBB61_262
; %bb.261:
	s_lshl_b64 s[0:1], s[2:3], 2
	s_add_u32 s0, s6, s0
	s_addc_u32 s1, s7, s1
	v_mov_b32_e32 v1, 0
	global_load_dword v1, v1, s[0:1]
	s_waitcnt vmcnt(0)
	v_cmp_ne_u32_e32 vcc, 0, v1
	s_cbranch_vccz .LBB61_263
.LBB61_262:
	s_endpgm
.LBB61_263:
	v_mov_b32_e32 v1, 0x1f0
	v_lshl_add_u32 v1, v0, 3, v1
	v_cmp_eq_u32_e32 vcc, 61, v0
	s_and_saveexec_b64 s[0:1], vcc
	s_cbranch_execz .LBB61_265
; %bb.264:
	scratch_load_dwordx2 v[2:3], off, off offset:480
	v_mov_b32_e32 v4, 0
	v_mov_b32_e32 v5, v4
	scratch_store_dwordx2 off, v[4:5], off offset:480
	s_waitcnt vmcnt(1)
	ds_write_b64 v1, v[2:3]
.LBB61_265:
	s_or_b64 exec, exec, s[0:1]
	s_waitcnt lgkmcnt(0)
	; wave barrier
	scratch_load_dwordx2 v[4:5], off, off offset:488
	scratch_load_dwordx2 v[6:7], off, off offset:480
	v_mov_b32_e32 v2, 0
	ds_read_b64 v[8:9], v2 offset:984
	v_cmp_lt_u32_e32 vcc, 59, v0
	s_waitcnt vmcnt(1) lgkmcnt(0)
	v_pk_mul_f32 v[10:11], v[8:9], v[4:5] op_sel:[1,1] op_sel_hi:[0,1]
	v_pk_fma_f32 v[12:13], v[8:9], v[4:5], v[10:11] neg_lo:[0,0,1] neg_hi:[0,0,1]
	v_pk_fma_f32 v[4:5], v[8:9], v[4:5], v[10:11] op_sel_hi:[1,0,1]
	s_nop 0
	v_mov_b32_e32 v13, v5
	v_pk_add_f32 v[4:5], v[12:13], 0 op_sel_hi:[1,0]
	s_waitcnt vmcnt(0)
	v_pk_add_f32 v[4:5], v[6:7], v[4:5] neg_lo:[0,1] neg_hi:[0,1]
	scratch_store_dwordx2 off, v[4:5], off offset:480
	s_and_saveexec_b64 s[0:1], vcc
	s_cbranch_execz .LBB61_267
; %bb.266:
	scratch_load_dwordx2 v[4:5], off, off offset:472
	v_mov_b32_e32 v3, v2
	scratch_store_dwordx2 off, v[2:3], off offset:472
	s_waitcnt vmcnt(1)
	ds_write_b64 v1, v[4:5]
.LBB61_267:
	s_or_b64 exec, exec, s[0:1]
	s_waitcnt lgkmcnt(0)
	; wave barrier
	scratch_load_dwordx4 v[4:7], off, off offset:480
	scratch_load_dwordx2 v[12:13], off, off offset:472
	ds_read_b128 v[8:11], v2 offset:976
	v_cmp_lt_u32_e32 vcc, 58, v0
	s_waitcnt vmcnt(1) lgkmcnt(0)
	v_pk_mul_f32 v[2:3], v[8:9], v[4:5] op_sel:[1,1] op_sel_hi:[0,1]
	v_mov_b32_e32 v14, v7
	v_pk_fma_f32 v[16:17], v[8:9], v[4:5], v[2:3] neg_lo:[0,0,1] neg_hi:[0,0,1]
	v_pk_fma_f32 v[2:3], v[8:9], v[4:5], v[2:3] op_sel_hi:[1,0,1]
	v_pk_mul_f32 v[4:5], v[10:11], v[14:15] op_sel:[1,0] op_sel_hi:[0,0]
	v_mov_b32_e32 v17, v3
	v_pk_fma_f32 v[2:3], v[10:11], v[6:7], v[4:5] neg_lo:[0,0,1] neg_hi:[0,0,1]
	v_pk_fma_f32 v[4:5], v[10:11], v[6:7], v[4:5] op_sel_hi:[1,0,1]
	v_pk_add_f32 v[6:7], v[16:17], 0 op_sel_hi:[1,0]
	v_mov_b32_e32 v3, v5
	v_pk_add_f32 v[2:3], v[6:7], v[2:3]
	s_waitcnt vmcnt(0)
	v_pk_add_f32 v[2:3], v[12:13], v[2:3] neg_lo:[0,1] neg_hi:[0,1]
	scratch_store_dwordx2 off, v[2:3], off offset:472
	s_and_saveexec_b64 s[0:1], vcc
	s_cbranch_execz .LBB61_269
; %bb.268:
	scratch_load_dwordx2 v[2:3], off, off offset:464
	v_mov_b32_e32 v4, 0
	v_mov_b32_e32 v5, v4
	scratch_store_dwordx2 off, v[4:5], off offset:464
	s_waitcnt vmcnt(1)
	ds_write_b64 v1, v[2:3]
.LBB61_269:
	s_or_b64 exec, exec, s[0:1]
	s_waitcnt lgkmcnt(0)
	; wave barrier
	scratch_load_dwordx4 v[4:7], off, off offset:472
	scratch_load_dwordx2 v[12:13], off, off offset:488
	scratch_load_dwordx2 v[14:15], off, off offset:464
	v_mov_b32_e32 v2, 0
	ds_read2_b64 v[8:11], v2 offset0:121 offset1:122
	ds_read_b64 v[16:17], v2 offset:984
	v_cmp_lt_u32_e32 vcc, 57, v0
	s_waitcnt vmcnt(2) lgkmcnt(1)
	v_pk_mul_f32 v[18:19], v[8:9], v[4:5] op_sel:[1,1] op_sel_hi:[0,1]
	v_mov_b32_e32 v20, v7
	v_pk_fma_f32 v[24:25], v[8:9], v[4:5], v[18:19] neg_lo:[0,0,1] neg_hi:[0,0,1]
	v_pk_fma_f32 v[4:5], v[8:9], v[4:5], v[18:19] op_sel_hi:[1,0,1]
	v_pk_mul_f32 v[8:9], v[10:11], v[20:21] op_sel:[1,0] op_sel_hi:[0,0]
	s_waitcnt vmcnt(1) lgkmcnt(0)
	v_pk_mul_f32 v[22:23], v[16:17], v[12:13] op_sel:[1,1] op_sel_hi:[0,1]
	v_mov_b32_e32 v25, v5
	v_pk_fma_f32 v[4:5], v[10:11], v[6:7], v[8:9] neg_lo:[0,0,1] neg_hi:[0,0,1]
	v_pk_fma_f32 v[6:7], v[10:11], v[6:7], v[8:9] op_sel_hi:[1,0,1]
	v_pk_fma_f32 v[18:19], v[16:17], v[12:13], v[22:23] neg_lo:[0,0,1] neg_hi:[0,0,1]
	v_pk_fma_f32 v[12:13], v[16:17], v[12:13], v[22:23] op_sel_hi:[1,0,1]
	v_pk_add_f32 v[8:9], v[24:25], 0 op_sel_hi:[1,0]
	v_mov_b32_e32 v5, v7
	v_mov_b32_e32 v19, v13
	v_pk_add_f32 v[4:5], v[8:9], v[4:5]
	s_nop 0
	v_pk_add_f32 v[4:5], v[4:5], v[18:19]
	s_waitcnt vmcnt(0)
	v_pk_add_f32 v[4:5], v[14:15], v[4:5] neg_lo:[0,1] neg_hi:[0,1]
	scratch_store_dwordx2 off, v[4:5], off offset:464
	s_and_saveexec_b64 s[0:1], vcc
	s_cbranch_execz .LBB61_271
; %bb.270:
	scratch_load_dwordx2 v[4:5], off, off offset:456
	v_mov_b32_e32 v3, v2
	scratch_store_dwordx2 off, v[2:3], off offset:456
	s_waitcnt vmcnt(1)
	ds_write_b64 v1, v[4:5]
.LBB61_271:
	s_or_b64 exec, exec, s[0:1]
	s_waitcnt lgkmcnt(0)
	; wave barrier
	scratch_load_dwordx4 v[4:7], off, off offset:464
	scratch_load_dwordx4 v[8:11], off, off offset:480
	scratch_load_dwordx2 v[20:21], off, off offset:456
	ds_read_b128 v[12:15], v2 offset:960
	ds_read_b128 v[16:19], v2 offset:976
	v_cmp_lt_u32_e32 vcc, 56, v0
	s_waitcnt vmcnt(2) lgkmcnt(1)
	v_pk_mul_f32 v[2:3], v[12:13], v[4:5] op_sel:[1,1] op_sel_hi:[0,1]
	v_mov_b32_e32 v22, v7
	s_waitcnt vmcnt(1) lgkmcnt(0)
	v_pk_mul_f32 v[24:25], v[16:17], v[8:9] op_sel:[1,1] op_sel_hi:[0,1]
	v_mov_b32_e32 v26, v11
	v_pk_fma_f32 v[28:29], v[12:13], v[4:5], v[2:3] neg_lo:[0,0,1] neg_hi:[0,0,1]
	v_pk_fma_f32 v[2:3], v[12:13], v[4:5], v[2:3] op_sel_hi:[1,0,1]
	v_pk_mul_f32 v[4:5], v[14:15], v[22:23] op_sel:[1,0] op_sel_hi:[0,0]
	v_pk_fma_f32 v[12:13], v[16:17], v[8:9], v[24:25] neg_lo:[0,0,1] neg_hi:[0,0,1]
	v_pk_fma_f32 v[8:9], v[16:17], v[8:9], v[24:25] op_sel_hi:[1,0,1]
	v_pk_mul_f32 v[16:17], v[18:19], v[26:27] op_sel:[1,0] op_sel_hi:[0,0]
	v_mov_b32_e32 v29, v3
	v_pk_fma_f32 v[2:3], v[14:15], v[6:7], v[4:5] neg_lo:[0,0,1] neg_hi:[0,0,1]
	v_pk_fma_f32 v[4:5], v[14:15], v[6:7], v[4:5] op_sel_hi:[1,0,1]
	v_mov_b32_e32 v13, v9
	v_pk_fma_f32 v[6:7], v[18:19], v[10:11], v[16:17] neg_lo:[0,0,1] neg_hi:[0,0,1]
	v_pk_fma_f32 v[8:9], v[18:19], v[10:11], v[16:17] op_sel_hi:[1,0,1]
	v_pk_add_f32 v[10:11], v[28:29], 0 op_sel_hi:[1,0]
	v_mov_b32_e32 v3, v5
	v_pk_add_f32 v[2:3], v[10:11], v[2:3]
	v_mov_b32_e32 v7, v9
	v_pk_add_f32 v[2:3], v[2:3], v[12:13]
	s_nop 0
	v_pk_add_f32 v[2:3], v[2:3], v[6:7]
	s_waitcnt vmcnt(0)
	v_pk_add_f32 v[2:3], v[20:21], v[2:3] neg_lo:[0,1] neg_hi:[0,1]
	scratch_store_dwordx2 off, v[2:3], off offset:456
	s_and_saveexec_b64 s[0:1], vcc
	s_cbranch_execz .LBB61_273
; %bb.272:
	scratch_load_dwordx2 v[2:3], off, off offset:448
	v_mov_b32_e32 v4, 0
	v_mov_b32_e32 v5, v4
	scratch_store_dwordx2 off, v[4:5], off offset:448
	s_waitcnt vmcnt(1)
	ds_write_b64 v1, v[2:3]
.LBB61_273:
	s_or_b64 exec, exec, s[0:1]
	s_waitcnt lgkmcnt(0)
	; wave barrier
	scratch_load_dwordx4 v[4:7], off, off offset:456
	scratch_load_dwordx4 v[8:11], off, off offset:472
	scratch_load_dwordx2 v[20:21], off, off offset:488
	scratch_load_dwordx2 v[22:23], off, off offset:448
	v_mov_b32_e32 v2, 0
	ds_read2_b64 v[12:15], v2 offset0:119 offset1:120
	ds_read2_b64 v[16:19], v2 offset0:121 offset1:122
	ds_read_b64 v[24:25], v2 offset:984
	v_cmp_lt_u32_e32 vcc, 55, v0
	s_waitcnt vmcnt(3) lgkmcnt(2)
	v_pk_mul_f32 v[26:27], v[12:13], v[4:5] op_sel:[1,1] op_sel_hi:[0,1]
	v_mov_b32_e32 v28, v7
	v_pk_fma_f32 v[36:37], v[12:13], v[4:5], v[26:27] neg_lo:[0,0,1] neg_hi:[0,0,1]
	v_pk_fma_f32 v[4:5], v[12:13], v[4:5], v[26:27] op_sel_hi:[1,0,1]
	v_pk_mul_f32 v[12:13], v[14:15], v[28:29] op_sel:[1,0] op_sel_hi:[0,0]
	s_waitcnt vmcnt(2) lgkmcnt(1)
	v_pk_mul_f32 v[30:31], v[16:17], v[8:9] op_sel:[1,1] op_sel_hi:[0,1]
	v_mov_b32_e32 v32, v11
	v_mov_b32_e32 v37, v5
	v_pk_fma_f32 v[4:5], v[14:15], v[6:7], v[12:13] neg_lo:[0,0,1] neg_hi:[0,0,1]
	v_pk_fma_f32 v[6:7], v[14:15], v[6:7], v[12:13] op_sel_hi:[1,0,1]
	v_pk_fma_f32 v[26:27], v[16:17], v[8:9], v[30:31] neg_lo:[0,0,1] neg_hi:[0,0,1]
	v_pk_fma_f32 v[8:9], v[16:17], v[8:9], v[30:31] op_sel_hi:[1,0,1]
	v_pk_mul_f32 v[16:17], v[18:19], v[32:33] op_sel:[1,0] op_sel_hi:[0,0]
	v_pk_add_f32 v[12:13], v[36:37], 0 op_sel_hi:[1,0]
	v_mov_b32_e32 v5, v7
	s_waitcnt vmcnt(1) lgkmcnt(0)
	v_pk_mul_f32 v[34:35], v[24:25], v[20:21] op_sel:[1,1] op_sel_hi:[0,1]
	v_mov_b32_e32 v27, v9
	v_pk_fma_f32 v[8:9], v[18:19], v[10:11], v[16:17] neg_lo:[0,0,1] neg_hi:[0,0,1]
	v_pk_fma_f32 v[10:11], v[18:19], v[10:11], v[16:17] op_sel_hi:[1,0,1]
	v_pk_add_f32 v[4:5], v[12:13], v[4:5]
	v_pk_fma_f32 v[28:29], v[24:25], v[20:21], v[34:35] neg_lo:[0,0,1] neg_hi:[0,0,1]
	v_pk_fma_f32 v[20:21], v[24:25], v[20:21], v[34:35] op_sel_hi:[1,0,1]
	v_mov_b32_e32 v9, v11
	v_pk_add_f32 v[4:5], v[4:5], v[26:27]
	v_mov_b32_e32 v29, v21
	v_pk_add_f32 v[4:5], v[4:5], v[8:9]
	s_nop 0
	v_pk_add_f32 v[4:5], v[4:5], v[28:29]
	s_waitcnt vmcnt(0)
	v_pk_add_f32 v[4:5], v[22:23], v[4:5] neg_lo:[0,1] neg_hi:[0,1]
	scratch_store_dwordx2 off, v[4:5], off offset:448
	s_and_saveexec_b64 s[0:1], vcc
	s_cbranch_execz .LBB61_275
; %bb.274:
	scratch_load_dwordx2 v[4:5], off, off offset:440
	v_mov_b32_e32 v3, v2
	scratch_store_dwordx2 off, v[2:3], off offset:440
	s_waitcnt vmcnt(1)
	ds_write_b64 v1, v[4:5]
.LBB61_275:
	s_or_b64 exec, exec, s[0:1]
	s_waitcnt lgkmcnt(0)
	; wave barrier
	scratch_load_dwordx4 v[4:7], off, off offset:448
	scratch_load_dwordx4 v[8:11], off, off offset:464
	;; [unrolled: 1-line block ×3, first 2 shown]
	scratch_load_dwordx2 v[28:29], off, off offset:440
	ds_read_b128 v[16:19], v2 offset:944
	ds_read_b128 v[20:23], v2 offset:960
	;; [unrolled: 1-line block ×3, first 2 shown]
	v_cmp_lt_u32_e32 vcc, 54, v0
	s_waitcnt vmcnt(3) lgkmcnt(2)
	v_pk_mul_f32 v[2:3], v[16:17], v[4:5] op_sel:[1,1] op_sel_hi:[0,1]
	v_mov_b32_e32 v30, v7
	s_waitcnt vmcnt(2) lgkmcnt(1)
	v_pk_mul_f32 v[32:33], v[20:21], v[8:9] op_sel:[1,1] op_sel_hi:[0,1]
	v_mov_b32_e32 v34, v11
	;; [unrolled: 3-line block ×3, first 2 shown]
	v_pk_fma_f32 v[40:41], v[16:17], v[4:5], v[2:3] neg_lo:[0,0,1] neg_hi:[0,0,1]
	v_pk_fma_f32 v[2:3], v[16:17], v[4:5], v[2:3] op_sel_hi:[1,0,1]
	v_pk_mul_f32 v[4:5], v[18:19], v[30:31] op_sel:[1,0] op_sel_hi:[0,0]
	v_pk_fma_f32 v[16:17], v[20:21], v[8:9], v[32:33] neg_lo:[0,0,1] neg_hi:[0,0,1]
	v_pk_fma_f32 v[8:9], v[20:21], v[8:9], v[32:33] op_sel_hi:[1,0,1]
	v_pk_mul_f32 v[20:21], v[22:23], v[34:35] op_sel:[1,0] op_sel_hi:[0,0]
	;; [unrolled: 3-line block ×3, first 2 shown]
	v_mov_b32_e32 v41, v3
	v_pk_fma_f32 v[2:3], v[18:19], v[6:7], v[4:5] neg_lo:[0,0,1] neg_hi:[0,0,1]
	v_pk_fma_f32 v[4:5], v[18:19], v[6:7], v[4:5] op_sel_hi:[1,0,1]
	v_mov_b32_e32 v17, v9
	v_pk_fma_f32 v[6:7], v[22:23], v[10:11], v[20:21] neg_lo:[0,0,1] neg_hi:[0,0,1]
	v_pk_fma_f32 v[8:9], v[22:23], v[10:11], v[20:21] op_sel_hi:[1,0,1]
	v_mov_b32_e32 v31, v13
	v_pk_fma_f32 v[10:11], v[26:27], v[14:15], v[24:25] neg_lo:[0,0,1] neg_hi:[0,0,1]
	v_pk_fma_f32 v[12:13], v[26:27], v[14:15], v[24:25] op_sel_hi:[1,0,1]
	v_pk_add_f32 v[14:15], v[40:41], 0 op_sel_hi:[1,0]
	v_mov_b32_e32 v3, v5
	v_pk_add_f32 v[2:3], v[14:15], v[2:3]
	v_mov_b32_e32 v7, v9
	v_pk_add_f32 v[2:3], v[2:3], v[16:17]
	;; [unrolled: 2-line block ×3, first 2 shown]
	s_nop 0
	v_pk_add_f32 v[2:3], v[2:3], v[30:31]
	s_nop 0
	v_pk_add_f32 v[2:3], v[2:3], v[10:11]
	s_waitcnt vmcnt(0)
	v_pk_add_f32 v[2:3], v[28:29], v[2:3] neg_lo:[0,1] neg_hi:[0,1]
	scratch_store_dwordx2 off, v[2:3], off offset:440
	s_and_saveexec_b64 s[0:1], vcc
	s_cbranch_execz .LBB61_277
; %bb.276:
	scratch_load_dwordx2 v[2:3], off, off offset:432
	v_mov_b32_e32 v4, 0
	v_mov_b32_e32 v5, v4
	scratch_store_dwordx2 off, v[4:5], off offset:432
	s_waitcnt vmcnt(1)
	ds_write_b64 v1, v[2:3]
.LBB61_277:
	s_or_b64 exec, exec, s[0:1]
	s_waitcnt lgkmcnt(0)
	; wave barrier
	scratch_load_dwordx4 v[4:7], off, off offset:440
	scratch_load_dwordx4 v[8:11], off, off offset:456
	;; [unrolled: 1-line block ×3, first 2 shown]
	scratch_load_dwordx2 v[28:29], off, off offset:488
	v_mov_b32_e32 v2, 0
	ds_read2_b64 v[16:19], v2 offset0:117 offset1:118
	ds_read2_b64 v[20:23], v2 offset0:119 offset1:120
	;; [unrolled: 1-line block ×3, first 2 shown]
	ds_read_b64 v[30:31], v2 offset:984
	v_cmp_lt_u32_e32 vcc, 53, v0
	s_waitcnt vmcnt(3) lgkmcnt(3)
	v_pk_mul_f32 v[32:33], v[16:17], v[4:5] op_sel:[1,1] op_sel_hi:[0,1]
	v_pk_fma_f32 v[34:35], v[16:17], v[4:5], v[32:33] neg_lo:[0,0,1] neg_hi:[0,0,1]
	v_pk_fma_f32 v[4:5], v[16:17], v[4:5], v[32:33] op_sel_hi:[1,0,1]
	v_mov_b32_e32 v16, v7
	v_pk_mul_f32 v[16:17], v[18:19], v[16:17] op_sel:[1,0] op_sel_hi:[0,0]
	v_pk_fma_f32 v[32:33], v[18:19], v[6:7], v[16:17] neg_lo:[0,0,1] neg_hi:[0,0,1]
	v_pk_fma_f32 v[6:7], v[18:19], v[6:7], v[16:17] op_sel_hi:[1,0,1]
	v_mov_b32_e32 v35, v5
	v_mov_b32_e32 v33, v7
	s_waitcnt vmcnt(2) lgkmcnt(2)
	v_pk_mul_f32 v[6:7], v[20:21], v[8:9] op_sel:[1,1] op_sel_hi:[0,1]
	v_pk_fma_f32 v[16:17], v[20:21], v[8:9], v[6:7] neg_lo:[0,0,1] neg_hi:[0,0,1]
	v_pk_fma_f32 v[6:7], v[20:21], v[8:9], v[6:7] op_sel_hi:[1,0,1]
	v_pk_add_f32 v[4:5], v[34:35], 0 op_sel_hi:[1,0]
	v_mov_b32_e32 v6, v11
	v_mov_b32_e32 v17, v7
	v_pk_mul_f32 v[6:7], v[22:23], v[6:7] op_sel:[1,0] op_sel_hi:[0,0]
	v_pk_add_f32 v[4:5], v[4:5], v[32:33]
	v_pk_fma_f32 v[8:9], v[22:23], v[10:11], v[6:7] neg_lo:[0,0,1] neg_hi:[0,0,1]
	v_pk_fma_f32 v[6:7], v[22:23], v[10:11], v[6:7] op_sel_hi:[1,0,1]
	v_pk_add_f32 v[4:5], v[4:5], v[16:17]
	v_mov_b32_e32 v9, v7
	s_waitcnt vmcnt(1) lgkmcnt(1)
	v_pk_mul_f32 v[6:7], v[24:25], v[12:13] op_sel:[1,1] op_sel_hi:[0,1]
	v_pk_add_f32 v[4:5], v[4:5], v[8:9]
	v_pk_fma_f32 v[8:9], v[24:25], v[12:13], v[6:7] neg_lo:[0,0,1] neg_hi:[0,0,1]
	v_pk_fma_f32 v[6:7], v[24:25], v[12:13], v[6:7] op_sel_hi:[1,0,1]
	s_nop 0
	v_mov_b32_e32 v6, v15
	v_mov_b32_e32 v9, v7
	v_pk_mul_f32 v[6:7], v[26:27], v[6:7] op_sel:[1,0] op_sel_hi:[0,0]
	v_pk_add_f32 v[4:5], v[4:5], v[8:9]
	v_pk_fma_f32 v[8:9], v[26:27], v[14:15], v[6:7] neg_lo:[0,0,1] neg_hi:[0,0,1]
	v_pk_fma_f32 v[6:7], v[26:27], v[14:15], v[6:7] op_sel_hi:[1,0,1]
	s_nop 0
	v_mov_b32_e32 v9, v7
	s_waitcnt vmcnt(0) lgkmcnt(0)
	v_pk_mul_f32 v[6:7], v[30:31], v[28:29] op_sel:[1,1] op_sel_hi:[0,1]
	v_pk_add_f32 v[4:5], v[4:5], v[8:9]
	v_pk_fma_f32 v[8:9], v[30:31], v[28:29], v[6:7] neg_lo:[0,0,1] neg_hi:[0,0,1]
	v_pk_fma_f32 v[6:7], v[30:31], v[28:29], v[6:7] op_sel_hi:[1,0,1]
	s_nop 0
	v_mov_b32_e32 v9, v7
	scratch_load_dwordx2 v[6:7], off, off offset:432
	v_pk_add_f32 v[4:5], v[4:5], v[8:9]
	s_waitcnt vmcnt(0)
	v_pk_add_f32 v[4:5], v[6:7], v[4:5] neg_lo:[0,1] neg_hi:[0,1]
	scratch_store_dwordx2 off, v[4:5], off offset:432
	s_and_saveexec_b64 s[0:1], vcc
	s_cbranch_execz .LBB61_279
; %bb.278:
	scratch_load_dwordx2 v[4:5], off, off offset:424
	v_mov_b32_e32 v3, v2
	scratch_store_dwordx2 off, v[2:3], off offset:424
	s_waitcnt vmcnt(1)
	ds_write_b64 v1, v[4:5]
.LBB61_279:
	s_or_b64 exec, exec, s[0:1]
	s_waitcnt lgkmcnt(0)
	; wave barrier
	scratch_load_dwordx4 v[4:7], off, off offset:432
	scratch_load_dwordx4 v[8:11], off, off offset:448
	;; [unrolled: 1-line block ×4, first 2 shown]
	ds_read_b128 v[20:23], v2 offset:928
	ds_read_b128 v[24:27], v2 offset:944
	;; [unrolled: 1-line block ×4, first 2 shown]
	v_cmp_lt_u32_e32 vcc, 52, v0
	s_waitcnt vmcnt(3) lgkmcnt(3)
	v_pk_mul_f32 v[2:3], v[20:21], v[4:5] op_sel:[1,1] op_sel_hi:[0,1]
	v_pk_fma_f32 v[36:37], v[20:21], v[4:5], v[2:3] neg_lo:[0,0,1] neg_hi:[0,0,1]
	v_pk_fma_f32 v[2:3], v[20:21], v[4:5], v[2:3] op_sel_hi:[1,0,1]
	v_mov_b32_e32 v4, v7
	v_pk_mul_f32 v[4:5], v[22:23], v[4:5] op_sel:[1,0] op_sel_hi:[0,0]
	v_pk_fma_f32 v[20:21], v[22:23], v[6:7], v[4:5] neg_lo:[0,0,1] neg_hi:[0,0,1]
	v_pk_fma_f32 v[4:5], v[22:23], v[6:7], v[4:5] op_sel_hi:[1,0,1]
	v_mov_b32_e32 v37, v3
	v_mov_b32_e32 v21, v5
	s_waitcnt vmcnt(2) lgkmcnt(2)
	v_pk_mul_f32 v[4:5], v[24:25], v[8:9] op_sel:[1,1] op_sel_hi:[0,1]
	v_pk_fma_f32 v[6:7], v[24:25], v[8:9], v[4:5] neg_lo:[0,0,1] neg_hi:[0,0,1]
	v_pk_fma_f32 v[4:5], v[24:25], v[8:9], v[4:5] op_sel_hi:[1,0,1]
	v_pk_add_f32 v[2:3], v[36:37], 0 op_sel_hi:[1,0]
	v_mov_b32_e32 v4, v11
	v_pk_add_f32 v[2:3], v[2:3], v[20:21]
	v_mov_b32_e32 v7, v5
	v_pk_mul_f32 v[4:5], v[26:27], v[4:5] op_sel:[1,0] op_sel_hi:[0,0]
	v_pk_add_f32 v[2:3], v[2:3], v[6:7]
	v_pk_fma_f32 v[6:7], v[26:27], v[10:11], v[4:5] neg_lo:[0,0,1] neg_hi:[0,0,1]
	v_pk_fma_f32 v[4:5], v[26:27], v[10:11], v[4:5] op_sel_hi:[1,0,1]
	s_nop 0
	v_mov_b32_e32 v7, v5
	s_waitcnt vmcnt(1) lgkmcnt(1)
	v_pk_mul_f32 v[4:5], v[28:29], v[12:13] op_sel:[1,1] op_sel_hi:[0,1]
	v_pk_add_f32 v[2:3], v[2:3], v[6:7]
	v_pk_fma_f32 v[6:7], v[28:29], v[12:13], v[4:5] neg_lo:[0,0,1] neg_hi:[0,0,1]
	v_pk_fma_f32 v[4:5], v[28:29], v[12:13], v[4:5] op_sel_hi:[1,0,1]
	s_nop 0
	v_mov_b32_e32 v4, v15
	v_mov_b32_e32 v7, v5
	v_pk_mul_f32 v[4:5], v[30:31], v[4:5] op_sel:[1,0] op_sel_hi:[0,0]
	v_pk_add_f32 v[2:3], v[2:3], v[6:7]
	v_pk_fma_f32 v[6:7], v[30:31], v[14:15], v[4:5] neg_lo:[0,0,1] neg_hi:[0,0,1]
	v_pk_fma_f32 v[4:5], v[30:31], v[14:15], v[4:5] op_sel_hi:[1,0,1]
	s_nop 0
	v_mov_b32_e32 v7, v5
	s_waitcnt vmcnt(0) lgkmcnt(0)
	v_pk_mul_f32 v[4:5], v[32:33], v[16:17] op_sel:[1,1] op_sel_hi:[0,1]
	v_pk_add_f32 v[2:3], v[2:3], v[6:7]
	v_pk_fma_f32 v[6:7], v[32:33], v[16:17], v[4:5] neg_lo:[0,0,1] neg_hi:[0,0,1]
	v_pk_fma_f32 v[4:5], v[32:33], v[16:17], v[4:5] op_sel_hi:[1,0,1]
	s_nop 0
	v_mov_b32_e32 v4, v19
	v_mov_b32_e32 v7, v5
	v_pk_mul_f32 v[4:5], v[34:35], v[4:5] op_sel:[1,0] op_sel_hi:[0,0]
	v_pk_add_f32 v[2:3], v[2:3], v[6:7]
	v_pk_fma_f32 v[6:7], v[34:35], v[18:19], v[4:5] neg_lo:[0,0,1] neg_hi:[0,0,1]
	v_pk_fma_f32 v[4:5], v[34:35], v[18:19], v[4:5] op_sel_hi:[1,0,1]
	s_nop 0
	v_mov_b32_e32 v7, v5
	scratch_load_dwordx2 v[4:5], off, off offset:424
	v_pk_add_f32 v[2:3], v[2:3], v[6:7]
	s_waitcnt vmcnt(0)
	v_pk_add_f32 v[2:3], v[4:5], v[2:3] neg_lo:[0,1] neg_hi:[0,1]
	scratch_store_dwordx2 off, v[2:3], off offset:424
	s_and_saveexec_b64 s[0:1], vcc
	s_cbranch_execz .LBB61_281
; %bb.280:
	scratch_load_dwordx2 v[2:3], off, off offset:416
	v_mov_b32_e32 v4, 0
	v_mov_b32_e32 v5, v4
	scratch_store_dwordx2 off, v[4:5], off offset:416
	s_waitcnt vmcnt(1)
	ds_write_b64 v1, v[2:3]
.LBB61_281:
	s_or_b64 exec, exec, s[0:1]
	s_waitcnt lgkmcnt(0)
	; wave barrier
	scratch_load_dwordx4 v[8:11], off, off offset:424
	v_mov_b32_e32 v2, 0
	ds_read2_b64 v[4:7], v2 offset0:115 offset1:116
	scratch_load_dwordx4 v[12:15], off, off offset:440
	scratch_load_dwordx4 v[16:19], off, off offset:456
	;; [unrolled: 1-line block ×3, first 2 shown]
	scratch_load_dwordx2 v[38:39], off, off offset:488
	v_cmp_lt_u32_e32 vcc, 51, v0
	s_waitcnt vmcnt(4) lgkmcnt(0)
	v_mul_f32_e32 v37, v4, v9
	v_mul_f32_e32 v3, v5, v9
	v_fmac_f32_e32 v37, v5, v8
	v_fma_f32 v36, v4, v8, -v3
	v_pk_add_f32 v[8:9], v[36:37], 0 op_sel_hi:[1,0]
	v_mov_b32_e32 v36, v11
	v_pk_mul_f32 v[36:37], v[6:7], v[36:37] op_sel:[1,0] op_sel_hi:[0,0]
	ds_read2_b64 v[24:27], v2 offset0:117 offset1:118
	ds_read2_b64 v[28:31], v2 offset0:119 offset1:120
	;; [unrolled: 1-line block ×3, first 2 shown]
	ds_read_b64 v[4:5], v2 offset:984
	v_pk_fma_f32 v[40:41], v[6:7], v[10:11], v[36:37] neg_lo:[0,0,1] neg_hi:[0,0,1]
	v_pk_fma_f32 v[6:7], v[6:7], v[10:11], v[36:37] op_sel_hi:[1,0,1]
	s_nop 0
	v_mov_b32_e32 v41, v7
	v_pk_add_f32 v[6:7], v[8:9], v[40:41]
	s_waitcnt vmcnt(3) lgkmcnt(3)
	v_pk_mul_f32 v[8:9], v[24:25], v[12:13] op_sel:[1,1] op_sel_hi:[0,1]
	v_pk_fma_f32 v[10:11], v[24:25], v[12:13], v[8:9] neg_lo:[0,0,1] neg_hi:[0,0,1]
	v_pk_fma_f32 v[8:9], v[24:25], v[12:13], v[8:9] op_sel_hi:[1,0,1]
	s_nop 0
	v_mov_b32_e32 v8, v15
	v_mov_b32_e32 v11, v9
	v_pk_mul_f32 v[8:9], v[26:27], v[8:9] op_sel:[1,0] op_sel_hi:[0,0]
	v_pk_add_f32 v[6:7], v[6:7], v[10:11]
	v_pk_fma_f32 v[10:11], v[26:27], v[14:15], v[8:9] neg_lo:[0,0,1] neg_hi:[0,0,1]
	v_pk_fma_f32 v[8:9], v[26:27], v[14:15], v[8:9] op_sel_hi:[1,0,1]
	s_nop 0
	v_mov_b32_e32 v11, v9
	s_waitcnt vmcnt(2) lgkmcnt(2)
	v_pk_mul_f32 v[8:9], v[28:29], v[16:17] op_sel:[1,1] op_sel_hi:[0,1]
	v_pk_add_f32 v[6:7], v[6:7], v[10:11]
	v_pk_fma_f32 v[10:11], v[28:29], v[16:17], v[8:9] neg_lo:[0,0,1] neg_hi:[0,0,1]
	v_pk_fma_f32 v[8:9], v[28:29], v[16:17], v[8:9] op_sel_hi:[1,0,1]
	s_nop 0
	v_mov_b32_e32 v8, v19
	v_mov_b32_e32 v11, v9
	v_pk_mul_f32 v[8:9], v[30:31], v[8:9] op_sel:[1,0] op_sel_hi:[0,0]
	v_pk_add_f32 v[6:7], v[6:7], v[10:11]
	v_pk_fma_f32 v[10:11], v[30:31], v[18:19], v[8:9] neg_lo:[0,0,1] neg_hi:[0,0,1]
	v_pk_fma_f32 v[8:9], v[30:31], v[18:19], v[8:9] op_sel_hi:[1,0,1]
	s_nop 0
	v_mov_b32_e32 v11, v9
	s_waitcnt vmcnt(1) lgkmcnt(1)
	v_pk_mul_f32 v[8:9], v[32:33], v[20:21] op_sel:[1,1] op_sel_hi:[0,1]
	v_pk_add_f32 v[6:7], v[6:7], v[10:11]
	;; [unrolled: 14-line block ×3, first 2 shown]
	v_pk_fma_f32 v[10:11], v[4:5], v[38:39], v[8:9] neg_lo:[0,0,1] neg_hi:[0,0,1]
	v_pk_fma_f32 v[4:5], v[4:5], v[38:39], v[8:9] op_sel_hi:[1,0,1]
	s_nop 0
	v_mov_b32_e32 v11, v5
	v_pk_add_f32 v[4:5], v[6:7], v[10:11]
	scratch_load_dwordx2 v[6:7], off, off offset:416
	s_waitcnt vmcnt(0)
	v_pk_add_f32 v[4:5], v[6:7], v[4:5] neg_lo:[0,1] neg_hi:[0,1]
	scratch_store_dwordx2 off, v[4:5], off offset:416
	s_and_saveexec_b64 s[0:1], vcc
	s_cbranch_execz .LBB61_283
; %bb.282:
	scratch_load_dwordx2 v[4:5], off, off offset:408
	v_mov_b32_e32 v3, v2
	scratch_store_dwordx2 off, v[2:3], off offset:408
	s_waitcnt vmcnt(1)
	ds_write_b64 v1, v[4:5]
.LBB61_283:
	s_or_b64 exec, exec, s[0:1]
	s_waitcnt lgkmcnt(0)
	; wave barrier
	ds_read_b128 v[4:7], v2 offset:912
	ds_read_b128 v[8:11], v2 offset:928
	;; [unrolled: 1-line block ×4, first 2 shown]
	scratch_load_dwordx4 v[20:23], off, off offset:416
	scratch_load_dwordx4 v[24:27], off, off offset:432
	;; [unrolled: 1-line block ×5, first 2 shown]
	v_cmp_lt_u32_e32 vcc, 50, v0
	s_waitcnt vmcnt(4) lgkmcnt(3)
	v_mul_f32_e32 v41, v4, v21
	v_mul_f32_e32 v3, v5, v21
	v_fmac_f32_e32 v41, v5, v20
	v_mul_f32_e32 v43, v6, v23
	v_fma_f32 v40, v4, v20, -v3
	v_mul_f32_e32 v3, v7, v23
	s_waitcnt vmcnt(3) lgkmcnt(2)
	v_pk_mul_f32 v[20:21], v[8:9], v[24:25] op_sel:[1,1] op_sel_hi:[0,1]
	v_fmac_f32_e32 v43, v7, v22
	v_fma_f32 v42, v6, v22, -v3
	v_pk_fma_f32 v[22:23], v[8:9], v[24:25], v[20:21] neg_lo:[0,0,1] neg_hi:[0,0,1]
	v_pk_fma_f32 v[8:9], v[8:9], v[24:25], v[20:21] op_sel_hi:[1,0,1]
	v_pk_add_f32 v[6:7], v[40:41], 0 op_sel_hi:[1,0]
	v_mov_b32_e32 v8, v27
	v_mov_b32_e32 v23, v9
	v_pk_mul_f32 v[8:9], v[10:11], v[8:9] op_sel:[1,0] op_sel_hi:[0,0]
	v_pk_fma_f32 v[20:21], v[10:11], v[26:27], v[8:9] neg_lo:[0,0,1] neg_hi:[0,0,1]
	v_pk_fma_f32 v[8:9], v[10:11], v[26:27], v[8:9] op_sel_hi:[1,0,1]
	v_pk_add_f32 v[6:7], v[6:7], v[42:43]
	v_mov_b32_e32 v21, v9
	s_waitcnt vmcnt(2) lgkmcnt(1)
	v_pk_mul_f32 v[8:9], v[12:13], v[28:29] op_sel:[1,1] op_sel_hi:[0,1]
	v_pk_fma_f32 v[10:11], v[12:13], v[28:29], v[8:9] neg_lo:[0,0,1] neg_hi:[0,0,1]
	v_pk_fma_f32 v[8:9], v[12:13], v[28:29], v[8:9] op_sel_hi:[1,0,1]
	v_pk_add_f32 v[6:7], v[6:7], v[22:23]
	v_mov_b32_e32 v8, v31
	v_pk_add_f32 v[6:7], v[6:7], v[20:21]
	v_mov_b32_e32 v11, v9
	v_pk_mul_f32 v[8:9], v[14:15], v[8:9] op_sel:[1,0] op_sel_hi:[0,0]
	v_pk_add_f32 v[6:7], v[6:7], v[10:11]
	v_pk_fma_f32 v[10:11], v[14:15], v[30:31], v[8:9] neg_lo:[0,0,1] neg_hi:[0,0,1]
	v_pk_fma_f32 v[8:9], v[14:15], v[30:31], v[8:9] op_sel_hi:[1,0,1]
	ds_read_b128 v[2:5], v2 offset:976
	v_mov_b32_e32 v11, v9
	s_waitcnt vmcnt(1) lgkmcnt(1)
	v_pk_mul_f32 v[8:9], v[16:17], v[32:33] op_sel:[1,1] op_sel_hi:[0,1]
	v_pk_add_f32 v[6:7], v[6:7], v[10:11]
	v_pk_fma_f32 v[10:11], v[16:17], v[32:33], v[8:9] neg_lo:[0,0,1] neg_hi:[0,0,1]
	v_pk_fma_f32 v[8:9], v[16:17], v[32:33], v[8:9] op_sel_hi:[1,0,1]
	s_nop 0
	v_mov_b32_e32 v8, v35
	v_mov_b32_e32 v11, v9
	v_pk_mul_f32 v[8:9], v[18:19], v[8:9] op_sel:[1,0] op_sel_hi:[0,0]
	v_pk_add_f32 v[6:7], v[6:7], v[10:11]
	v_pk_fma_f32 v[10:11], v[18:19], v[34:35], v[8:9] neg_lo:[0,0,1] neg_hi:[0,0,1]
	v_pk_fma_f32 v[8:9], v[18:19], v[34:35], v[8:9] op_sel_hi:[1,0,1]
	s_nop 0
	v_mov_b32_e32 v11, v9
	s_waitcnt vmcnt(0) lgkmcnt(0)
	v_pk_mul_f32 v[8:9], v[2:3], v[36:37] op_sel:[1,1] op_sel_hi:[0,1]
	v_pk_add_f32 v[6:7], v[6:7], v[10:11]
	v_pk_fma_f32 v[10:11], v[2:3], v[36:37], v[8:9] neg_lo:[0,0,1] neg_hi:[0,0,1]
	v_pk_fma_f32 v[2:3], v[2:3], v[36:37], v[8:9] op_sel_hi:[1,0,1]
	s_nop 0
	v_mov_b32_e32 v11, v3
	v_pk_add_f32 v[2:3], v[6:7], v[10:11]
	v_mov_b32_e32 v6, v39
	v_pk_mul_f32 v[6:7], v[4:5], v[6:7] op_sel:[1,0] op_sel_hi:[0,0]
	v_pk_fma_f32 v[8:9], v[4:5], v[38:39], v[6:7] neg_lo:[0,0,1] neg_hi:[0,0,1]
	v_pk_fma_f32 v[4:5], v[4:5], v[38:39], v[6:7] op_sel_hi:[1,0,1]
	s_nop 0
	v_mov_b32_e32 v9, v5
	scratch_load_dwordx2 v[4:5], off, off offset:408
	v_pk_add_f32 v[2:3], v[2:3], v[8:9]
	s_waitcnt vmcnt(0)
	v_pk_add_f32 v[2:3], v[4:5], v[2:3] neg_lo:[0,1] neg_hi:[0,1]
	scratch_store_dwordx2 off, v[2:3], off offset:408
	s_and_saveexec_b64 s[0:1], vcc
	s_cbranch_execz .LBB61_285
; %bb.284:
	scratch_load_dwordx2 v[2:3], off, off offset:400
	v_mov_b32_e32 v4, 0
	v_mov_b32_e32 v5, v4
	scratch_store_dwordx2 off, v[4:5], off offset:400
	s_waitcnt vmcnt(1)
	ds_write_b64 v1, v[2:3]
.LBB61_285:
	s_or_b64 exec, exec, s[0:1]
	s_waitcnt lgkmcnt(0)
	; wave barrier
	scratch_load_dwordx4 v[8:11], off, off offset:408
	scratch_load_dwordx4 v[16:19], off, off offset:424
	v_mov_b32_e32 v2, 0
	ds_read2_b64 v[4:7], v2 offset0:113 offset1:114
	ds_read2_b64 v[12:15], v2 offset0:115 offset1:116
	scratch_load_dwordx4 v[20:23], off, off offset:440
	scratch_load_dwordx4 v[24:27], off, off offset:456
	;; [unrolled: 1-line block ×3, first 2 shown]
	scratch_load_dwordx2 v[42:43], off, off offset:488
	v_cmp_lt_u32_e32 vcc, 49, v0
	s_waitcnt vmcnt(5) lgkmcnt(1)
	v_mul_f32_e32 v3, v4, v9
	v_fmac_f32_e32 v3, v5, v8
	v_add_f32_e32 v37, 0, v3
	v_mul_f32_e32 v3, v5, v9
	v_fma_f32 v3, v4, v8, -v3
	v_mul_f32_e32 v39, v6, v11
	v_add_f32_e32 v36, 0, v3
	v_mul_f32_e32 v3, v7, v11
	v_fmac_f32_e32 v39, v7, v10
	s_waitcnt vmcnt(4) lgkmcnt(0)
	v_mul_f32_e32 v41, v12, v17
	v_fma_f32 v38, v6, v10, -v3
	v_mul_f32_e32 v3, v13, v17
	v_fmac_f32_e32 v41, v13, v16
	v_fma_f32 v40, v12, v16, -v3
	v_pk_add_f32 v[16:17], v[36:37], v[38:39]
	v_mov_b32_e32 v36, v19
	v_pk_mul_f32 v[36:37], v[14:15], v[36:37] op_sel:[1,0] op_sel_hi:[0,0]
	ds_read2_b64 v[4:7], v2 offset0:117 offset1:118
	ds_read2_b64 v[8:11], v2 offset0:119 offset1:120
	;; [unrolled: 1-line block ×3, first 2 shown]
	ds_read_b64 v[12:13], v2 offset:984
	v_pk_fma_f32 v[38:39], v[14:15], v[18:19], v[36:37] neg_lo:[0,0,1] neg_hi:[0,0,1]
	v_pk_fma_f32 v[14:15], v[14:15], v[18:19], v[36:37] op_sel_hi:[1,0,1]
	v_pk_add_f32 v[16:17], v[16:17], v[40:41]
	v_mov_b32_e32 v39, v15
	v_pk_add_f32 v[14:15], v[16:17], v[38:39]
	s_waitcnt vmcnt(3) lgkmcnt(3)
	v_pk_mul_f32 v[16:17], v[4:5], v[20:21] op_sel:[1,1] op_sel_hi:[0,1]
	v_pk_fma_f32 v[18:19], v[4:5], v[20:21], v[16:17] neg_lo:[0,0,1] neg_hi:[0,0,1]
	v_pk_fma_f32 v[4:5], v[4:5], v[20:21], v[16:17] op_sel_hi:[1,0,1]
	s_nop 0
	v_mov_b32_e32 v19, v5
	v_pk_add_f32 v[4:5], v[14:15], v[18:19]
	v_mov_b32_e32 v14, v23
	v_pk_mul_f32 v[14:15], v[6:7], v[14:15] op_sel:[1,0] op_sel_hi:[0,0]
	v_pk_fma_f32 v[16:17], v[6:7], v[22:23], v[14:15] neg_lo:[0,0,1] neg_hi:[0,0,1]
	v_pk_fma_f32 v[6:7], v[6:7], v[22:23], v[14:15] op_sel_hi:[1,0,1]
	s_nop 0
	v_mov_b32_e32 v17, v7
	s_waitcnt vmcnt(2) lgkmcnt(2)
	v_pk_mul_f32 v[6:7], v[8:9], v[24:25] op_sel:[1,1] op_sel_hi:[0,1]
	v_pk_fma_f32 v[14:15], v[8:9], v[24:25], v[6:7] neg_lo:[0,0,1] neg_hi:[0,0,1]
	v_pk_fma_f32 v[6:7], v[8:9], v[24:25], v[6:7] op_sel_hi:[1,0,1]
	v_pk_add_f32 v[4:5], v[4:5], v[16:17]
	v_mov_b32_e32 v6, v27
	v_mov_b32_e32 v15, v7
	v_pk_mul_f32 v[6:7], v[10:11], v[6:7] op_sel:[1,0] op_sel_hi:[0,0]
	v_pk_fma_f32 v[8:9], v[10:11], v[26:27], v[6:7] neg_lo:[0,0,1] neg_hi:[0,0,1]
	v_pk_fma_f32 v[6:7], v[10:11], v[26:27], v[6:7] op_sel_hi:[1,0,1]
	v_pk_add_f32 v[4:5], v[4:5], v[14:15]
	v_mov_b32_e32 v9, v7
	s_waitcnt vmcnt(1) lgkmcnt(1)
	v_pk_mul_f32 v[6:7], v[32:33], v[28:29] op_sel:[1,1] op_sel_hi:[0,1]
	v_pk_add_f32 v[4:5], v[4:5], v[8:9]
	v_pk_fma_f32 v[8:9], v[32:33], v[28:29], v[6:7] neg_lo:[0,0,1] neg_hi:[0,0,1]
	v_pk_fma_f32 v[6:7], v[32:33], v[28:29], v[6:7] op_sel_hi:[1,0,1]
	s_nop 0
	v_mov_b32_e32 v6, v31
	v_mov_b32_e32 v9, v7
	v_pk_mul_f32 v[6:7], v[34:35], v[6:7] op_sel:[1,0] op_sel_hi:[0,0]
	v_pk_add_f32 v[4:5], v[4:5], v[8:9]
	v_pk_fma_f32 v[8:9], v[34:35], v[30:31], v[6:7] neg_lo:[0,0,1] neg_hi:[0,0,1]
	v_pk_fma_f32 v[6:7], v[34:35], v[30:31], v[6:7] op_sel_hi:[1,0,1]
	s_nop 0
	v_mov_b32_e32 v9, v7
	s_waitcnt vmcnt(0) lgkmcnt(0)
	v_pk_mul_f32 v[6:7], v[12:13], v[42:43] op_sel:[1,1] op_sel_hi:[0,1]
	v_pk_add_f32 v[4:5], v[4:5], v[8:9]
	v_pk_fma_f32 v[8:9], v[12:13], v[42:43], v[6:7] neg_lo:[0,0,1] neg_hi:[0,0,1]
	v_pk_fma_f32 v[6:7], v[12:13], v[42:43], v[6:7] op_sel_hi:[1,0,1]
	s_nop 0
	v_mov_b32_e32 v9, v7
	scratch_load_dwordx2 v[6:7], off, off offset:400
	v_pk_add_f32 v[4:5], v[4:5], v[8:9]
	s_waitcnt vmcnt(0)
	v_pk_add_f32 v[4:5], v[6:7], v[4:5] neg_lo:[0,1] neg_hi:[0,1]
	scratch_store_dwordx2 off, v[4:5], off offset:400
	s_and_saveexec_b64 s[0:1], vcc
	s_cbranch_execz .LBB61_287
; %bb.286:
	scratch_load_dwordx2 v[4:5], off, off offset:392
	v_mov_b32_e32 v3, v2
	scratch_store_dwordx2 off, v[2:3], off offset:392
	s_waitcnt vmcnt(1)
	ds_write_b64 v1, v[4:5]
.LBB61_287:
	s_or_b64 exec, exec, s[0:1]
	s_waitcnt lgkmcnt(0)
	; wave barrier
	scratch_load_dwordx4 v[4:7], off, off offset:400
	scratch_load_dwordx4 v[8:11], off, off offset:416
	;; [unrolled: 1-line block ×6, first 2 shown]
	scratch_load_dwordx2 v[52:53], off, off offset:392
	ds_read_b128 v[28:31], v2 offset:896
	ds_read_b128 v[32:35], v2 offset:912
	ds_read_b128 v[36:39], v2 offset:928
	ds_read_b128 v[40:43], v2 offset:944
	ds_read_b128 v[44:47], v2 offset:960
	ds_read_b128 v[48:51], v2 offset:976
	v_cmp_lt_u32_e32 vcc, 48, v0
	s_waitcnt vmcnt(6) lgkmcnt(5)
	v_mul_f32_e32 v59, v28, v5
	v_mul_f32_e32 v63, v30, v7
	s_waitcnt vmcnt(5) lgkmcnt(4)
	v_mul_f32_e32 v3, v32, v9
	v_mul_f32_e32 v2, v29, v5
	v_mul_f32_e32 v5, v31, v7
	v_mul_f32_e32 v7, v33, v9
	s_waitcnt vmcnt(1) lgkmcnt(0)
	v_pk_mul_f32 v[68:69], v[48:49], v[24:25] op_sel:[1,1] op_sel_hi:[0,1]
	v_pk_mul_f32 v[56:57], v[36:37], v[12:13] op_sel:[1,1] op_sel_hi:[0,1]
	v_fmac_f32_e32 v59, v29, v4
	v_fmac_f32_e32 v3, v33, v8
	v_fma_f32 v67, v28, v4, -v2
	v_fma_f32 v2, v32, v8, -v7
	v_pk_fma_f32 v[32:33], v[48:49], v[24:25], v[68:69] neg_lo:[0,0,1] neg_hi:[0,0,1]
	v_pk_fma_f32 v[24:25], v[48:49], v[24:25], v[68:69] op_sel_hi:[1,0,1]
	v_fmac_f32_e32 v63, v31, v6
	v_fma_f32 v71, v30, v6, -v5
	v_pk_fma_f32 v[4:5], v[36:37], v[12:13], v[56:57] neg_lo:[0,0,1] neg_hi:[0,0,1]
	v_pk_fma_f32 v[6:7], v[36:37], v[12:13], v[56:57] op_sel_hi:[1,0,1]
	v_add_f32_e32 v24, 0, v59
	v_add_f32_e32 v36, 0, v67
	v_mul_f32_e32 v55, v34, v11
	v_mul_f32_e32 v9, v35, v11
	v_mov_b32_e32 v58, v15
	v_mov_b32_e32 v33, v25
	v_add_f32_e32 v25, v24, v63
	v_add_f32_e32 v24, v36, v71
	v_fmac_f32_e32 v55, v35, v10
	v_fma_f32 v54, v34, v10, -v9
	v_pk_mul_f32 v[8:9], v[38:39], v[58:59] op_sel:[1,0] op_sel_hi:[0,0]
	v_pk_add_f32 v[2:3], v[24:25], v[2:3]
	v_pk_mul_f32 v[60:61], v[40:41], v[16:17] op_sel:[1,1] op_sel_hi:[0,1]
	v_mov_b32_e32 v62, v19
	v_mov_b32_e32 v5, v7
	v_pk_fma_f32 v[6:7], v[38:39], v[14:15], v[8:9] neg_lo:[0,0,1] neg_hi:[0,0,1]
	v_pk_fma_f32 v[8:9], v[38:39], v[14:15], v[8:9] op_sel_hi:[1,0,1]
	v_pk_add_f32 v[2:3], v[2:3], v[54:55]
	v_pk_fma_f32 v[10:11], v[40:41], v[16:17], v[60:61] neg_lo:[0,0,1] neg_hi:[0,0,1]
	v_pk_fma_f32 v[12:13], v[40:41], v[16:17], v[60:61] op_sel_hi:[1,0,1]
	v_pk_mul_f32 v[16:17], v[42:43], v[62:63] op_sel:[1,0] op_sel_hi:[0,0]
	v_mov_b32_e32 v7, v9
	v_pk_add_f32 v[2:3], v[2:3], v[4:5]
	v_pk_mul_f32 v[64:65], v[44:45], v[20:21] op_sel:[1,1] op_sel_hi:[0,1]
	v_mov_b32_e32 v66, v23
	v_mov_b32_e32 v11, v13
	v_pk_fma_f32 v[12:13], v[42:43], v[18:19], v[16:17] neg_lo:[0,0,1] neg_hi:[0,0,1]
	v_pk_fma_f32 v[14:15], v[42:43], v[18:19], v[16:17] op_sel_hi:[1,0,1]
	v_pk_add_f32 v[2:3], v[2:3], v[6:7]
	v_pk_fma_f32 v[28:29], v[44:45], v[20:21], v[64:65] neg_lo:[0,0,1] neg_hi:[0,0,1]
	v_pk_fma_f32 v[20:21], v[44:45], v[20:21], v[64:65] op_sel_hi:[1,0,1]
	v_pk_mul_f32 v[30:31], v[46:47], v[66:67] op_sel:[1,0] op_sel_hi:[0,0]
	v_mov_b32_e32 v13, v15
	v_pk_add_f32 v[2:3], v[2:3], v[10:11]
	v_mov_b32_e32 v70, v27
	v_mov_b32_e32 v29, v21
	v_pk_fma_f32 v[16:17], v[46:47], v[22:23], v[30:31] neg_lo:[0,0,1] neg_hi:[0,0,1]
	v_pk_fma_f32 v[18:19], v[46:47], v[22:23], v[30:31] op_sel_hi:[1,0,1]
	v_pk_add_f32 v[2:3], v[2:3], v[12:13]
	v_pk_mul_f32 v[34:35], v[50:51], v[70:71] op_sel:[1,0] op_sel_hi:[0,0]
	v_mov_b32_e32 v17, v19
	v_pk_add_f32 v[2:3], v[2:3], v[28:29]
	v_pk_fma_f32 v[20:21], v[50:51], v[26:27], v[34:35] neg_lo:[0,0,1] neg_hi:[0,0,1]
	v_pk_fma_f32 v[22:23], v[50:51], v[26:27], v[34:35] op_sel_hi:[1,0,1]
	v_pk_add_f32 v[2:3], v[2:3], v[16:17]
	v_mov_b32_e32 v21, v23
	v_pk_add_f32 v[2:3], v[2:3], v[32:33]
	s_nop 0
	v_pk_add_f32 v[2:3], v[2:3], v[20:21]
	s_waitcnt vmcnt(0)
	v_pk_add_f32 v[2:3], v[52:53], v[2:3] neg_lo:[0,1] neg_hi:[0,1]
	scratch_store_dwordx2 off, v[2:3], off offset:392
	s_and_saveexec_b64 s[0:1], vcc
	s_cbranch_execz .LBB61_289
; %bb.288:
	scratch_load_dwordx2 v[2:3], off, off offset:384
	v_mov_b32_e32 v4, 0
	v_mov_b32_e32 v5, v4
	scratch_store_dwordx2 off, v[4:5], off offset:384
	s_waitcnt vmcnt(1)
	ds_write_b64 v1, v[2:3]
.LBB61_289:
	s_or_b64 exec, exec, s[0:1]
	s_waitcnt lgkmcnt(0)
	; wave barrier
	scratch_load_dwordx4 v[4:7], off, off offset:392
	scratch_load_dwordx4 v[8:11], off, off offset:408
	;; [unrolled: 1-line block ×6, first 2 shown]
	scratch_load_dwordx2 v[52:53], off, off offset:488
	scratch_load_dwordx2 v[54:55], off, off offset:384
	v_mov_b32_e32 v2, 0
	ds_read2_b64 v[28:31], v2 offset0:111 offset1:112
	ds_read2_b64 v[32:35], v2 offset0:113 offset1:114
	;; [unrolled: 1-line block ×6, first 2 shown]
	ds_read_b64 v[56:57], v2 offset:984
	v_cmp_lt_u32_e32 vcc, 47, v0
	s_waitcnt vmcnt(7) lgkmcnt(6)
	v_mul_f32_e32 v63, v30, v7
	v_mul_f32_e32 v3, v28, v5
	s_waitcnt vmcnt(5) lgkmcnt(4)
	v_mul_f32_e32 v61, v36, v13
	v_mul_f32_e32 v5, v29, v5
	v_mov_b32_e32 v62, v15
	s_waitcnt vmcnt(2) lgkmcnt(1)
	v_pk_mul_f32 v[72:73], v[48:49], v[24:25] op_sel:[1,1] op_sel_hi:[0,1]
	v_fmac_f32_e32 v63, v31, v6
	v_mul_f32_e32 v7, v31, v7
	v_mul_f32_e32 v13, v37, v13
	v_fmac_f32_e32 v3, v29, v4
	v_fmac_f32_e32 v61, v37, v12
	v_fma_f32 v37, v28, v4, -v5
	v_pk_mul_f32 v[4:5], v[38:39], v[62:63] op_sel:[1,0] op_sel_hi:[0,0]
	v_pk_fma_f32 v[28:29], v[48:49], v[24:25], v[72:73] neg_lo:[0,0,1] neg_hi:[0,0,1]
	v_pk_fma_f32 v[24:25], v[48:49], v[24:25], v[72:73] op_sel_hi:[1,0,1]
	v_mul_f32_e32 v67, v32, v9
	v_mul_f32_e32 v9, v33, v9
	v_fma_f32 v71, v30, v6, -v7
	v_fma_f32 v60, v36, v12, -v13
	v_add_f32_e32 v3, 0, v3
	v_add_f32_e32 v24, 0, v37
	v_pk_fma_f32 v[36:37], v[38:39], v[14:15], v[4:5] neg_lo:[0,0,1] neg_hi:[0,0,1]
	v_pk_fma_f32 v[4:5], v[38:39], v[14:15], v[4:5] op_sel_hi:[1,0,1]
	v_mul_f32_e32 v59, v34, v11
	v_mul_f32_e32 v11, v35, v11
	v_fmac_f32_e32 v67, v33, v8
	v_fma_f32 v75, v32, v8, -v9
	v_add_f32_e32 v3, v3, v63
	v_add_f32_e32 v4, v24, v71
	v_fmac_f32_e32 v59, v35, v10
	v_fma_f32 v58, v34, v10, -v11
	v_mov_b32_e32 v37, v5
	v_add_f32_e32 v5, v3, v67
	v_add_f32_e32 v4, v4, v75
	v_pk_mul_f32 v[64:65], v[40:41], v[16:17] op_sel:[1,1] op_sel_hi:[0,1]
	v_mov_b32_e32 v66, v19
	v_pk_add_f32 v[4:5], v[4:5], v[58:59]
	v_pk_fma_f32 v[6:7], v[40:41], v[16:17], v[64:65] neg_lo:[0,0,1] neg_hi:[0,0,1]
	v_pk_fma_f32 v[8:9], v[40:41], v[16:17], v[64:65] op_sel_hi:[1,0,1]
	v_pk_mul_f32 v[10:11], v[42:43], v[66:67] op_sel:[1,0] op_sel_hi:[0,0]
	v_pk_add_f32 v[4:5], v[4:5], v[60:61]
	v_pk_mul_f32 v[68:69], v[44:45], v[20:21] op_sel:[1,1] op_sel_hi:[0,1]
	v_mov_b32_e32 v70, v23
	v_mov_b32_e32 v7, v9
	v_pk_fma_f32 v[8:9], v[42:43], v[18:19], v[10:11] neg_lo:[0,0,1] neg_hi:[0,0,1]
	v_pk_fma_f32 v[10:11], v[42:43], v[18:19], v[10:11] op_sel_hi:[1,0,1]
	v_pk_add_f32 v[4:5], v[4:5], v[36:37]
	v_pk_fma_f32 v[12:13], v[44:45], v[20:21], v[68:69] neg_lo:[0,0,1] neg_hi:[0,0,1]
	v_pk_fma_f32 v[16:17], v[44:45], v[20:21], v[68:69] op_sel_hi:[1,0,1]
	v_pk_mul_f32 v[20:21], v[46:47], v[70:71] op_sel:[1,0] op_sel_hi:[0,0]
	v_mov_b32_e32 v9, v11
	v_pk_add_f32 v[4:5], v[4:5], v[6:7]
	v_mov_b32_e32 v74, v27
	v_mov_b32_e32 v13, v17
	v_pk_fma_f32 v[14:15], v[46:47], v[22:23], v[20:21] neg_lo:[0,0,1] neg_hi:[0,0,1]
	v_pk_fma_f32 v[16:17], v[46:47], v[22:23], v[20:21] op_sel_hi:[1,0,1]
	v_pk_add_f32 v[4:5], v[4:5], v[8:9]
	v_pk_mul_f32 v[30:31], v[50:51], v[74:75] op_sel:[1,0] op_sel_hi:[0,0]
	v_mov_b32_e32 v15, v17
	v_pk_add_f32 v[4:5], v[4:5], v[12:13]
	s_waitcnt vmcnt(1) lgkmcnt(0)
	v_pk_mul_f32 v[76:77], v[56:57], v[52:53] op_sel:[1,1] op_sel_hi:[0,1]
	v_mov_b32_e32 v29, v25
	v_pk_fma_f32 v[18:19], v[50:51], v[26:27], v[30:31] neg_lo:[0,0,1] neg_hi:[0,0,1]
	v_pk_fma_f32 v[20:21], v[50:51], v[26:27], v[30:31] op_sel_hi:[1,0,1]
	v_pk_add_f32 v[4:5], v[4:5], v[14:15]
	v_pk_fma_f32 v[32:33], v[56:57], v[52:53], v[76:77] neg_lo:[0,0,1] neg_hi:[0,0,1]
	v_pk_fma_f32 v[34:35], v[56:57], v[52:53], v[76:77] op_sel_hi:[1,0,1]
	v_mov_b32_e32 v19, v21
	v_pk_add_f32 v[4:5], v[4:5], v[28:29]
	v_mov_b32_e32 v33, v35
	v_pk_add_f32 v[4:5], v[4:5], v[18:19]
	s_nop 0
	v_pk_add_f32 v[4:5], v[4:5], v[32:33]
	s_waitcnt vmcnt(0)
	v_pk_add_f32 v[4:5], v[54:55], v[4:5] neg_lo:[0,1] neg_hi:[0,1]
	scratch_store_dwordx2 off, v[4:5], off offset:384
	s_and_saveexec_b64 s[0:1], vcc
	s_cbranch_execz .LBB61_291
; %bb.290:
	scratch_load_dwordx2 v[4:5], off, off offset:376
	v_mov_b32_e32 v3, v2
	scratch_store_dwordx2 off, v[2:3], off offset:376
	s_waitcnt vmcnt(1)
	ds_write_b64 v1, v[4:5]
.LBB61_291:
	s_or_b64 exec, exec, s[0:1]
	s_waitcnt lgkmcnt(0)
	; wave barrier
	scratch_load_dwordx4 v[4:7], off, off offset:384
	scratch_load_dwordx4 v[8:11], off, off offset:400
	;; [unrolled: 1-line block ×7, first 2 shown]
	ds_read_b128 v[32:35], v2 offset:880
	ds_read_b128 v[36:39], v2 offset:896
	;; [unrolled: 1-line block ×6, first 2 shown]
	scratch_load_dwordx2 v[60:61], off, off offset:376
	ds_read_b128 v[56:59], v2 offset:976
	v_cmp_lt_u32_e32 vcc, 46, v0
	s_waitcnt vmcnt(7) lgkmcnt(6)
	v_mul_f32_e32 v67, v32, v5
	v_mul_f32_e32 v71, v34, v7
	s_waitcnt vmcnt(6) lgkmcnt(5)
	v_mul_f32_e32 v75, v36, v9
	v_mul_f32_e32 v79, v38, v11
	;; [unrolled: 3-line block ×3, first 2 shown]
	v_mul_f32_e32 v2, v33, v5
	v_mul_f32_e32 v5, v35, v7
	;; [unrolled: 1-line block ×6, first 2 shown]
	s_waitcnt vmcnt(4) lgkmcnt(3)
	v_pk_mul_f32 v[64:65], v[44:45], v[16:17] op_sel:[1,1] op_sel_hi:[0,1]
	v_mov_b32_e32 v66, v19
	s_waitcnt vmcnt(3) lgkmcnt(2)
	v_pk_mul_f32 v[68:69], v[48:49], v[20:21] op_sel:[1,1] op_sel_hi:[0,1]
	v_mov_b32_e32 v70, v23
	s_waitcnt vmcnt(1) lgkmcnt(0)
	v_pk_mul_f32 v[76:77], v[56:57], v[28:29] op_sel:[1,1] op_sel_hi:[0,1]
	v_fmac_f32_e32 v67, v33, v4
	v_fmac_f32_e32 v71, v35, v6
	;; [unrolled: 1-line block ×6, first 2 shown]
	v_fma_f32 v37, v32, v4, -v2
	v_fma_f32 v39, v34, v6, -v5
	;; [unrolled: 1-line block ×6, first 2 shown]
	v_pk_fma_f32 v[4:5], v[44:45], v[16:17], v[64:65] neg_lo:[0,0,1] neg_hi:[0,0,1]
	v_pk_fma_f32 v[6:7], v[44:45], v[16:17], v[64:65] op_sel_hi:[1,0,1]
	v_pk_mul_f32 v[8:9], v[46:47], v[66:67] op_sel:[1,0] op_sel_hi:[0,0]
	v_pk_fma_f32 v[10:11], v[48:49], v[20:21], v[68:69] neg_lo:[0,0,1] neg_hi:[0,0,1]
	v_pk_fma_f32 v[12:13], v[48:49], v[20:21], v[68:69] op_sel_hi:[1,0,1]
	v_pk_mul_f32 v[14:15], v[50:51], v[70:71] op_sel:[1,0] op_sel_hi:[0,0]
	v_pk_fma_f32 v[32:33], v[56:57], v[28:29], v[76:77] neg_lo:[0,0,1] neg_hi:[0,0,1]
	v_pk_fma_f32 v[28:29], v[56:57], v[28:29], v[76:77] op_sel_hi:[1,0,1]
	v_add_f32_e32 v37, 0, v37
	v_add_f32_e32 v28, 0, v67
	v_mov_b32_e32 v5, v7
	v_pk_fma_f32 v[6:7], v[46:47], v[18:19], v[8:9] neg_lo:[0,0,1] neg_hi:[0,0,1]
	v_pk_fma_f32 v[8:9], v[46:47], v[18:19], v[8:9] op_sel_hi:[1,0,1]
	v_mov_b32_e32 v11, v13
	v_pk_fma_f32 v[12:13], v[50:51], v[22:23], v[14:15] neg_lo:[0,0,1] neg_hi:[0,0,1]
	v_pk_fma_f32 v[14:15], v[50:51], v[22:23], v[14:15] op_sel_hi:[1,0,1]
	v_add_f32_e32 v8, v28, v71
	v_add_f32_e32 v14, v37, v39
	;; [unrolled: 1-line block ×4, first 2 shown]
	v_mov_b32_e32 v7, v9
	v_add_f32_e32 v9, v8, v79
	v_add_f32_e32 v8, v14, v38
	v_pk_add_f32 v[2:3], v[8:9], v[2:3]
	v_pk_mul_f32 v[72:73], v[52:53], v[24:25] op_sel:[1,1] op_sel_hi:[0,1]
	v_pk_add_f32 v[2:3], v[2:3], v[62:63]
	v_mov_b32_e32 v74, v27
	v_pk_add_f32 v[2:3], v[2:3], v[4:5]
	v_pk_fma_f32 v[16:17], v[52:53], v[24:25], v[72:73] neg_lo:[0,0,1] neg_hi:[0,0,1]
	v_pk_add_f32 v[2:3], v[2:3], v[6:7]
	v_pk_fma_f32 v[20:21], v[52:53], v[24:25], v[72:73] op_sel_hi:[1,0,1]
	v_pk_mul_f32 v[24:25], v[54:55], v[74:75] op_sel:[1,0] op_sel_hi:[0,0]
	v_mov_b32_e32 v13, v15
	v_pk_add_f32 v[2:3], v[2:3], v[10:11]
	v_mov_b32_e32 v78, v31
	v_mov_b32_e32 v17, v21
	v_pk_fma_f32 v[18:19], v[54:55], v[26:27], v[24:25] neg_lo:[0,0,1] neg_hi:[0,0,1]
	v_pk_fma_f32 v[20:21], v[54:55], v[26:27], v[24:25] op_sel_hi:[1,0,1]
	v_pk_add_f32 v[2:3], v[2:3], v[12:13]
	v_pk_mul_f32 v[34:35], v[58:59], v[78:79] op_sel:[1,0] op_sel_hi:[0,0]
	v_mov_b32_e32 v19, v21
	v_pk_add_f32 v[2:3], v[2:3], v[16:17]
	v_mov_b32_e32 v33, v29
	v_pk_fma_f32 v[22:23], v[58:59], v[30:31], v[34:35] neg_lo:[0,0,1] neg_hi:[0,0,1]
	v_pk_fma_f32 v[24:25], v[58:59], v[30:31], v[34:35] op_sel_hi:[1,0,1]
	v_pk_add_f32 v[2:3], v[2:3], v[18:19]
	v_mov_b32_e32 v23, v25
	v_pk_add_f32 v[2:3], v[2:3], v[32:33]
	s_nop 0
	v_pk_add_f32 v[2:3], v[2:3], v[22:23]
	s_waitcnt vmcnt(0)
	v_pk_add_f32 v[2:3], v[60:61], v[2:3] neg_lo:[0,1] neg_hi:[0,1]
	scratch_store_dwordx2 off, v[2:3], off offset:376
	s_and_saveexec_b64 s[0:1], vcc
	s_cbranch_execz .LBB61_293
; %bb.292:
	scratch_load_dwordx2 v[2:3], off, off offset:368
	v_mov_b32_e32 v4, 0
	v_mov_b32_e32 v5, v4
	scratch_store_dwordx2 off, v[4:5], off offset:368
	s_waitcnt vmcnt(1)
	ds_write_b64 v1, v[2:3]
.LBB61_293:
	s_or_b64 exec, exec, s[0:1]
	s_waitcnt lgkmcnt(0)
	; wave barrier
	scratch_load_dwordx4 v[4:7], off, off offset:376
	scratch_load_dwordx4 v[8:11], off, off offset:392
	;; [unrolled: 1-line block ×7, first 2 shown]
	scratch_load_dwordx2 v[60:61], off, off offset:488
	scratch_load_dwordx2 v[62:63], off, off offset:368
	v_mov_b32_e32 v2, 0
	ds_read2_b64 v[32:35], v2 offset0:109 offset1:110
	ds_read2_b64 v[36:39], v2 offset0:111 offset1:112
	;; [unrolled: 1-line block ×7, first 2 shown]
	ds_read_b64 v[64:65], v2 offset:984
	v_cmp_lt_u32_e32 vcc, 45, v0
	s_waitcnt vmcnt(8) lgkmcnt(7)
	v_mul_f32_e32 v71, v34, v7
	v_mul_f32_e32 v3, v32, v5
	s_waitcnt vmcnt(7) lgkmcnt(6)
	v_mul_f32_e32 v75, v36, v9
	s_waitcnt vmcnt(6) lgkmcnt(5)
	v_mul_f32_e32 v83, v40, v13
	v_mul_f32_e32 v67, v42, v15
	;; [unrolled: 1-line block ×5, first 2 shown]
	s_waitcnt vmcnt(5)
	v_mov_b32_e32 v70, v19
	s_waitcnt vmcnt(3) lgkmcnt(2)
	v_pk_mul_f32 v[76:77], v[52:53], v[24:25] op_sel:[1,1] op_sel_hi:[0,1]
	s_waitcnt vmcnt(2) lgkmcnt(1)
	v_pk_mul_f32 v[80:81], v[56:57], v[28:29] op_sel:[1,1] op_sel_hi:[0,1]
	v_fmac_f32_e32 v71, v35, v6
	v_mul_f32_e32 v7, v35, v7
	v_mul_f32_e32 v9, v37, v9
	v_fmac_f32_e32 v3, v33, v4
	v_fmac_f32_e32 v75, v37, v8
	;; [unrolled: 1-line block ×4, first 2 shown]
	v_fma_f32 v32, v32, v4, -v5
	v_fma_f32 v37, v40, v12, -v13
	;; [unrolled: 1-line block ×3, first 2 shown]
	v_pk_mul_f32 v[4:5], v[46:47], v[70:71] op_sel:[1,0] op_sel_hi:[0,0]
	v_pk_fma_f32 v[12:13], v[52:53], v[24:25], v[76:77] neg_lo:[0,0,1] neg_hi:[0,0,1]
	v_pk_fma_f32 v[14:15], v[52:53], v[24:25], v[76:77] op_sel_hi:[1,0,1]
	v_pk_fma_f32 v[24:25], v[56:57], v[28:29], v[80:81] op_sel_hi:[1,0,1]
	v_fma_f32 v34, v34, v6, -v7
	v_add_f32_e32 v3, 0, v3
	v_add_f32_e32 v24, 0, v32
	v_pk_fma_f32 v[32:33], v[46:47], v[18:19], v[4:5] neg_lo:[0,0,1] neg_hi:[0,0,1]
	v_pk_fma_f32 v[4:5], v[46:47], v[18:19], v[4:5] op_sel_hi:[1,0,1]
	v_mul_f32_e32 v79, v38, v11
	v_mul_f32_e32 v11, v39, v11
	v_fma_f32 v35, v36, v8, -v9
	v_add_f32_e32 v3, v3, v71
	v_add_f32_e32 v4, v24, v34
	v_fmac_f32_e32 v79, v39, v10
	v_fma_f32 v36, v38, v10, -v11
	v_add_f32_e32 v3, v3, v75
	v_add_f32_e32 v4, v4, v35
	;; [unrolled: 1-line block ×4, first 2 shown]
	v_mul_f32_e32 v69, v44, v17
	v_mul_f32_e32 v17, v45, v17
	v_mov_b32_e32 v33, v5
	v_add_f32_e32 v5, v3, v83
	v_add_f32_e32 v4, v4, v37
	v_pk_mul_f32 v[72:73], v[48:49], v[20:21] op_sel:[1,1] op_sel_hi:[0,1]
	v_mov_b32_e32 v74, v23
	v_fmac_f32_e32 v69, v45, v16
	v_fma_f32 v68, v44, v16, -v17
	v_pk_add_f32 v[4:5], v[4:5], v[66:67]
	v_pk_fma_f32 v[6:7], v[48:49], v[20:21], v[72:73] neg_lo:[0,0,1] neg_hi:[0,0,1]
	v_pk_fma_f32 v[8:9], v[48:49], v[20:21], v[72:73] op_sel_hi:[1,0,1]
	v_pk_mul_f32 v[10:11], v[50:51], v[74:75] op_sel:[1,0] op_sel_hi:[0,0]
	v_pk_add_f32 v[4:5], v[4:5], v[68:69]
	v_mov_b32_e32 v78, v27
	v_mov_b32_e32 v7, v9
	v_pk_fma_f32 v[8:9], v[50:51], v[22:23], v[10:11] neg_lo:[0,0,1] neg_hi:[0,0,1]
	v_pk_fma_f32 v[10:11], v[50:51], v[22:23], v[10:11] op_sel_hi:[1,0,1]
	v_pk_add_f32 v[4:5], v[4:5], v[32:33]
	v_pk_mul_f32 v[16:17], v[54:55], v[78:79] op_sel:[1,0] op_sel_hi:[0,0]
	v_mov_b32_e32 v9, v11
	v_pk_add_f32 v[4:5], v[4:5], v[6:7]
	v_mov_b32_e32 v82, v31
	v_mov_b32_e32 v13, v15
	v_pk_fma_f32 v[14:15], v[54:55], v[26:27], v[16:17] neg_lo:[0,0,1] neg_hi:[0,0,1]
	v_pk_fma_f32 v[16:17], v[54:55], v[26:27], v[16:17] op_sel_hi:[1,0,1]
	v_pk_add_f32 v[4:5], v[4:5], v[8:9]
	v_pk_fma_f32 v[20:21], v[56:57], v[28:29], v[80:81] neg_lo:[0,0,1] neg_hi:[0,0,1]
	v_pk_mul_f32 v[28:29], v[58:59], v[82:83] op_sel:[1,0] op_sel_hi:[0,0]
	v_mov_b32_e32 v15, v17
	v_pk_add_f32 v[4:5], v[4:5], v[12:13]
	v_mov_b32_e32 v21, v25
	v_pk_add_f32 v[4:5], v[4:5], v[14:15]
	v_pk_fma_f32 v[6:7], v[58:59], v[30:31], v[28:29] neg_lo:[0,0,1] neg_hi:[0,0,1]
	v_pk_fma_f32 v[8:9], v[58:59], v[30:31], v[28:29] op_sel_hi:[1,0,1]
	v_pk_add_f32 v[4:5], v[4:5], v[20:21]
	v_mov_b32_e32 v7, v9
	v_pk_add_f32 v[4:5], v[4:5], v[6:7]
	s_waitcnt vmcnt(1) lgkmcnt(0)
	v_pk_mul_f32 v[6:7], v[64:65], v[60:61] op_sel:[1,1] op_sel_hi:[0,1]
	v_pk_fma_f32 v[8:9], v[64:65], v[60:61], v[6:7] neg_lo:[0,0,1] neg_hi:[0,0,1]
	v_pk_fma_f32 v[6:7], v[64:65], v[60:61], v[6:7] op_sel_hi:[1,0,1]
	s_nop 0
	v_mov_b32_e32 v9, v7
	v_pk_add_f32 v[4:5], v[4:5], v[8:9]
	s_waitcnt vmcnt(0)
	v_pk_add_f32 v[4:5], v[62:63], v[4:5] neg_lo:[0,1] neg_hi:[0,1]
	scratch_store_dwordx2 off, v[4:5], off offset:368
	s_and_saveexec_b64 s[0:1], vcc
	s_cbranch_execz .LBB61_295
; %bb.294:
	scratch_load_dwordx2 v[4:5], off, off offset:360
	v_mov_b32_e32 v3, v2
	scratch_store_dwordx2 off, v[2:3], off offset:360
	s_waitcnt vmcnt(1)
	ds_write_b64 v1, v[4:5]
.LBB61_295:
	s_or_b64 exec, exec, s[0:1]
	s_waitcnt lgkmcnt(0)
	; wave barrier
	scratch_load_dwordx4 v[4:7], off, off offset:368
	scratch_load_dwordx4 v[8:11], off, off offset:384
	;; [unrolled: 1-line block ×7, first 2 shown]
	ds_read_b128 v[32:35], v2 offset:864
	ds_read_b128 v[36:39], v2 offset:880
	;; [unrolled: 1-line block ×4, first 2 shown]
	scratch_load_dwordx4 v[48:51], off, off offset:480
	ds_read_b128 v[52:55], v2 offset:928
	ds_read_b128 v[56:59], v2 offset:944
	;; [unrolled: 1-line block ×4, first 2 shown]
	scratch_load_dwordx2 v[2:3], off, off offset:360
	v_cmp_lt_u32_e32 vcc, 44, v0
	s_waitcnt vmcnt(8) lgkmcnt(7)
	v_mul_f32_e32 v75, v32, v5
	v_mul_f32_e32 v79, v34, v7
	s_waitcnt vmcnt(7) lgkmcnt(6)
	v_mul_f32_e32 v83, v36, v9
	v_mul_f32_e32 v84, v38, v11
	s_waitcnt vmcnt(6) lgkmcnt(5)
	v_mul_f32_e32 v85, v40, v13
	v_mul_f32_e32 v86, v42, v15
	v_mul_f32_e32 v5, v33, v5
	v_mul_f32_e32 v7, v35, v7
	;; [unrolled: 1-line block ×6, first 2 shown]
	s_waitcnt vmcnt(4) lgkmcnt(3)
	v_pk_mul_f32 v[72:73], v[52:53], v[20:21] op_sel:[1,1] op_sel_hi:[0,1]
	v_mov_b32_e32 v74, v23
	s_waitcnt vmcnt(3) lgkmcnt(2)
	v_pk_mul_f32 v[76:77], v[56:57], v[24:25] op_sel:[1,1] op_sel_hi:[0,1]
	v_mov_b32_e32 v78, v27
	v_fmac_f32_e32 v75, v33, v4
	v_fmac_f32_e32 v79, v35, v6
	;; [unrolled: 1-line block ×6, first 2 shown]
	v_fma_f32 v32, v32, v4, -v5
	v_fma_f32 v33, v34, v6, -v7
	;; [unrolled: 1-line block ×6, first 2 shown]
	v_pk_fma_f32 v[4:5], v[52:53], v[20:21], v[72:73] neg_lo:[0,0,1] neg_hi:[0,0,1]
	v_pk_fma_f32 v[6:7], v[52:53], v[20:21], v[72:73] op_sel_hi:[1,0,1]
	v_pk_mul_f32 v[8:9], v[54:55], v[74:75] op_sel:[1,0] op_sel_hi:[0,0]
	v_pk_fma_f32 v[10:11], v[56:57], v[24:25], v[76:77] neg_lo:[0,0,1] neg_hi:[0,0,1]
	v_pk_fma_f32 v[12:13], v[56:57], v[24:25], v[76:77] op_sel_hi:[1,0,1]
	v_pk_mul_f32 v[14:15], v[58:59], v[78:79] op_sel:[1,0] op_sel_hi:[0,0]
	v_add_f32_e32 v24, 0, v75
	v_add_f32_e32 v25, 0, v32
	v_mov_b32_e32 v5, v7
	v_pk_fma_f32 v[6:7], v[54:55], v[22:23], v[8:9] neg_lo:[0,0,1] neg_hi:[0,0,1]
	v_pk_fma_f32 v[8:9], v[54:55], v[22:23], v[8:9] op_sel_hi:[1,0,1]
	v_mov_b32_e32 v11, v13
	v_pk_fma_f32 v[12:13], v[58:59], v[26:27], v[14:15] neg_lo:[0,0,1] neg_hi:[0,0,1]
	v_pk_fma_f32 v[14:15], v[58:59], v[26:27], v[14:15] op_sel_hi:[1,0,1]
	v_add_f32_e32 v8, v24, v79
	v_add_f32_e32 v14, v25, v33
	v_mov_b32_e32 v7, v9
	v_add_f32_e32 v8, v8, v83
	v_add_f32_e32 v9, v14, v34
	;; [unrolled: 1-line block ×4, first 2 shown]
	v_mul_f32_e32 v69, v44, v17
	v_mul_f32_e32 v17, v45, v17
	v_add_f32_e32 v8, v8, v85
	v_add_f32_e32 v14, v9, v36
	v_mul_f32_e32 v71, v46, v19
	v_mul_f32_e32 v19, v47, v19
	v_fmac_f32_e32 v69, v45, v16
	v_fma_f32 v68, v44, v16, -v17
	v_add_f32_e32 v9, v8, v86
	v_add_f32_e32 v8, v14, v37
	v_fmac_f32_e32 v71, v47, v18
	v_fma_f32 v70, v46, v18, -v19
	v_pk_add_f32 v[8:9], v[8:9], v[68:69]
	s_waitcnt vmcnt(2) lgkmcnt(1)
	v_pk_mul_f32 v[80:81], v[60:61], v[28:29] op_sel:[1,1] op_sel_hi:[0,1]
	v_mov_b32_e32 v82, v31
	v_pk_add_f32 v[8:9], v[8:9], v[70:71]
	v_pk_fma_f32 v[16:17], v[60:61], v[28:29], v[80:81] neg_lo:[0,0,1] neg_hi:[0,0,1]
	v_pk_fma_f32 v[18:19], v[60:61], v[28:29], v[80:81] op_sel_hi:[1,0,1]
	v_pk_mul_f32 v[20:21], v[62:63], v[82:83] op_sel:[1,0] op_sel_hi:[0,0]
	v_pk_add_f32 v[4:5], v[8:9], v[4:5]
	v_mov_b32_e32 v17, v19
	v_pk_fma_f32 v[18:19], v[62:63], v[30:31], v[20:21] neg_lo:[0,0,1] neg_hi:[0,0,1]
	v_pk_add_f32 v[4:5], v[4:5], v[6:7]
	v_pk_fma_f32 v[6:7], v[62:63], v[30:31], v[20:21] op_sel_hi:[1,0,1]
	v_mov_b32_e32 v13, v15
	v_pk_add_f32 v[4:5], v[4:5], v[10:11]
	v_mov_b32_e32 v19, v7
	s_waitcnt vmcnt(1) lgkmcnt(0)
	v_pk_mul_f32 v[6:7], v[64:65], v[48:49] op_sel:[1,1] op_sel_hi:[0,1]
	v_pk_add_f32 v[4:5], v[4:5], v[12:13]
	v_pk_fma_f32 v[8:9], v[64:65], v[48:49], v[6:7] neg_lo:[0,0,1] neg_hi:[0,0,1]
	v_pk_fma_f32 v[6:7], v[64:65], v[48:49], v[6:7] op_sel_hi:[1,0,1]
	v_pk_add_f32 v[4:5], v[4:5], v[16:17]
	v_mov_b32_e32 v6, v51
	v_pk_add_f32 v[4:5], v[4:5], v[18:19]
	v_mov_b32_e32 v9, v7
	v_pk_mul_f32 v[6:7], v[66:67], v[6:7] op_sel:[1,0] op_sel_hi:[0,0]
	v_pk_add_f32 v[4:5], v[4:5], v[8:9]
	v_pk_fma_f32 v[8:9], v[66:67], v[50:51], v[6:7] neg_lo:[0,0,1] neg_hi:[0,0,1]
	v_pk_fma_f32 v[6:7], v[66:67], v[50:51], v[6:7] op_sel_hi:[1,0,1]
	s_nop 0
	v_mov_b32_e32 v9, v7
	v_pk_add_f32 v[4:5], v[4:5], v[8:9]
	s_waitcnt vmcnt(0)
	v_pk_add_f32 v[2:3], v[2:3], v[4:5] neg_lo:[0,1] neg_hi:[0,1]
	scratch_store_dwordx2 off, v[2:3], off offset:360
	s_and_saveexec_b64 s[0:1], vcc
	s_cbranch_execz .LBB61_297
; %bb.296:
	scratch_load_dwordx2 v[2:3], off, off offset:352
	v_mov_b32_e32 v4, 0
	v_mov_b32_e32 v5, v4
	scratch_store_dwordx2 off, v[4:5], off offset:352
	s_waitcnt vmcnt(1)
	ds_write_b64 v1, v[2:3]
.LBB61_297:
	s_or_b64 exec, exec, s[0:1]
	s_waitcnt lgkmcnt(0)
	; wave barrier
	scratch_load_dwordx4 v[4:7], off, off offset:360
	scratch_load_dwordx4 v[8:11], off, off offset:376
	;; [unrolled: 1-line block ×8, first 2 shown]
	scratch_load_dwordx2 v[68:69], off, off offset:488
	scratch_load_dwordx2 v[70:71], off, off offset:352
	v_mov_b32_e32 v2, 0
	ds_read2_b64 v[36:39], v2 offset0:107 offset1:108
	ds_read2_b64 v[40:43], v2 offset0:109 offset1:110
	;; [unrolled: 1-line block ×8, first 2 shown]
	ds_read_b64 v[72:73], v2 offset:984
	v_cmp_lt_u32_e32 vcc, 43, v0
	s_waitcnt vmcnt(9) lgkmcnt(8)
	v_mul_f32_e32 v79, v38, v7
	v_mul_f32_e32 v3, v36, v5
	s_waitcnt vmcnt(8) lgkmcnt(7)
	v_mul_f32_e32 v83, v40, v9
	s_waitcnt vmcnt(7) lgkmcnt(6)
	v_mul_f32_e32 v87, v44, v13
	v_mul_f32_e32 v5, v37, v5
	;; [unrolled: 1-line block ×5, first 2 shown]
	s_waitcnt vmcnt(5)
	v_mov_b32_e32 v78, v23
	s_waitcnt vmcnt(3) lgkmcnt(2)
	v_pk_mul_f32 v[84:85], v[60:61], v[28:29] op_sel:[1,1] op_sel_hi:[0,1]
	v_fmac_f32_e32 v79, v39, v6
	v_mul_f32_e32 v86, v42, v11
	v_mul_f32_e32 v89, v48, v17
	;; [unrolled: 1-line block ×4, first 2 shown]
	v_fmac_f32_e32 v3, v37, v4
	v_fmac_f32_e32 v87, v45, v12
	v_fma_f32 v36, v36, v4, -v5
	v_fma_f32 v37, v38, v6, -v7
	;; [unrolled: 1-line block ×4, first 2 shown]
	v_pk_mul_f32 v[4:5], v[54:55], v[78:79] op_sel:[1,0] op_sel_hi:[0,0]
	v_pk_fma_f32 v[12:13], v[60:61], v[28:29], v[84:85] neg_lo:[0,0,1] neg_hi:[0,0,1]
	v_fmac_f32_e32 v89, v49, v16
	v_fma_f32 v39, v42, v10, -v11
	v_fma_f32 v42, v48, v16, -v17
	v_add_f32_e32 v3, 0, v3
	v_add_f32_e32 v13, 0, v36
	v_pk_fma_f32 v[16:17], v[54:55], v[22:23], v[4:5] neg_lo:[0,0,1] neg_hi:[0,0,1]
	v_pk_fma_f32 v[4:5], v[54:55], v[22:23], v[4:5] op_sel_hi:[1,0,1]
	v_fmac_f32_e32 v83, v41, v8
	v_add_f32_e32 v3, v3, v79
	v_add_f32_e32 v4, v13, v37
	v_fmac_f32_e32 v86, v43, v10
	v_add_f32_e32 v3, v3, v83
	v_add_f32_e32 v4, v4, v38
	v_mul_f32_e32 v88, v46, v15
	v_mul_f32_e32 v15, v47, v15
	v_add_f32_e32 v3, v3, v86
	v_add_f32_e32 v4, v4, v39
	v_fmac_f32_e32 v88, v47, v14
	v_fma_f32 v41, v46, v14, -v15
	v_add_f32_e32 v3, v3, v87
	v_add_f32_e32 v4, v4, v40
	v_mul_f32_e32 v75, v50, v19
	v_mul_f32_e32 v19, v51, v19
	v_add_f32_e32 v3, v3, v88
	v_add_f32_e32 v4, v4, v41
	v_mul_f32_e32 v77, v52, v21
	v_mul_f32_e32 v21, v53, v21
	v_fmac_f32_e32 v75, v51, v18
	v_fma_f32 v74, v50, v18, -v19
	v_mov_b32_e32 v17, v5
	v_add_f32_e32 v5, v3, v89
	v_add_f32_e32 v4, v4, v42
	v_pk_mul_f32 v[80:81], v[56:57], v[24:25] op_sel:[1,1] op_sel_hi:[0,1]
	v_fmac_f32_e32 v77, v53, v20
	v_fma_f32 v76, v52, v20, -v21
	v_pk_add_f32 v[4:5], v[4:5], v[74:75]
	v_mov_b32_e32 v82, v27
	v_pk_fma_f32 v[6:7], v[56:57], v[24:25], v[80:81] neg_lo:[0,0,1] neg_hi:[0,0,1]
	v_pk_fma_f32 v[8:9], v[56:57], v[24:25], v[80:81] op_sel_hi:[1,0,1]
	v_pk_add_f32 v[4:5], v[4:5], v[76:77]
	v_pk_mul_f32 v[10:11], v[58:59], v[82:83] op_sel:[1,0] op_sel_hi:[0,0]
	v_mov_b32_e32 v7, v9
	v_pk_add_f32 v[4:5], v[4:5], v[16:17]
	v_pk_fma_f32 v[8:9], v[58:59], v[26:27], v[10:11] neg_lo:[0,0,1] neg_hi:[0,0,1]
	v_pk_fma_f32 v[10:11], v[58:59], v[26:27], v[10:11] op_sel_hi:[1,0,1]
	v_pk_add_f32 v[4:5], v[4:5], v[6:7]
	v_mov_b32_e32 v6, v31
	v_pk_fma_f32 v[14:15], v[60:61], v[28:29], v[84:85] op_sel_hi:[1,0,1]
	v_mov_b32_e32 v9, v11
	v_pk_mul_f32 v[6:7], v[62:63], v[6:7] op_sel:[1,0] op_sel_hi:[0,0]
	v_pk_add_f32 v[4:5], v[4:5], v[8:9]
	v_mov_b32_e32 v13, v15
	v_pk_fma_f32 v[8:9], v[62:63], v[30:31], v[6:7] neg_lo:[0,0,1] neg_hi:[0,0,1]
	v_pk_fma_f32 v[6:7], v[62:63], v[30:31], v[6:7] op_sel_hi:[1,0,1]
	v_pk_add_f32 v[4:5], v[4:5], v[12:13]
	v_mov_b32_e32 v9, v7
	s_waitcnt vmcnt(2) lgkmcnt(1)
	v_pk_mul_f32 v[6:7], v[64:65], v[32:33] op_sel:[1,1] op_sel_hi:[0,1]
	v_pk_add_f32 v[4:5], v[4:5], v[8:9]
	v_pk_fma_f32 v[8:9], v[64:65], v[32:33], v[6:7] neg_lo:[0,0,1] neg_hi:[0,0,1]
	v_pk_fma_f32 v[6:7], v[64:65], v[32:33], v[6:7] op_sel_hi:[1,0,1]
	s_nop 0
	v_mov_b32_e32 v6, v35
	v_mov_b32_e32 v9, v7
	v_pk_mul_f32 v[6:7], v[66:67], v[6:7] op_sel:[1,0] op_sel_hi:[0,0]
	v_pk_add_f32 v[4:5], v[4:5], v[8:9]
	v_pk_fma_f32 v[8:9], v[66:67], v[34:35], v[6:7] neg_lo:[0,0,1] neg_hi:[0,0,1]
	v_pk_fma_f32 v[6:7], v[66:67], v[34:35], v[6:7] op_sel_hi:[1,0,1]
	s_nop 0
	v_mov_b32_e32 v9, v7
	s_waitcnt vmcnt(1) lgkmcnt(0)
	v_pk_mul_f32 v[6:7], v[72:73], v[68:69] op_sel:[1,1] op_sel_hi:[0,1]
	v_pk_add_f32 v[4:5], v[4:5], v[8:9]
	v_pk_fma_f32 v[8:9], v[72:73], v[68:69], v[6:7] neg_lo:[0,0,1] neg_hi:[0,0,1]
	v_pk_fma_f32 v[6:7], v[72:73], v[68:69], v[6:7] op_sel_hi:[1,0,1]
	s_nop 0
	v_mov_b32_e32 v9, v7
	v_pk_add_f32 v[4:5], v[4:5], v[8:9]
	s_waitcnt vmcnt(0)
	v_pk_add_f32 v[4:5], v[70:71], v[4:5] neg_lo:[0,1] neg_hi:[0,1]
	scratch_store_dwordx2 off, v[4:5], off offset:352
	s_and_saveexec_b64 s[0:1], vcc
	s_cbranch_execz .LBB61_299
; %bb.298:
	scratch_load_dwordx2 v[4:5], off, off offset:344
	v_mov_b32_e32 v3, v2
	scratch_store_dwordx2 off, v[2:3], off offset:344
	s_waitcnt vmcnt(1)
	ds_write_b64 v1, v[4:5]
.LBB61_299:
	s_or_b64 exec, exec, s[0:1]
	s_waitcnt lgkmcnt(0)
	; wave barrier
	scratch_load_dwordx4 v[4:7], off, off offset:352
	scratch_load_dwordx4 v[8:11], off, off offset:368
	;; [unrolled: 1-line block ×7, first 2 shown]
	ds_read_b128 v[32:35], v2 offset:848
	ds_read_b128 v[36:39], v2 offset:864
	;; [unrolled: 1-line block ×4, first 2 shown]
	scratch_load_dwordx4 v[48:51], off, off offset:464
	scratch_load_dwordx4 v[52:55], off, off offset:480
	ds_read_b128 v[56:59], v2 offset:912
	ds_read_b128 v[60:63], v2 offset:928
	ds_read_b128 v[64:67], v2 offset:944
	ds_read_b128 v[68:71], v2 offset:960
	ds_read_b128 v[72:75], v2 offset:976
	scratch_load_dwordx2 v[2:3], off, off offset:344
	v_cmp_lt_u32_e32 vcc, 42, v0
	s_waitcnt vmcnt(9) lgkmcnt(8)
	v_mul_f32_e32 v83, v32, v5
	v_mul_f32_e32 v86, v34, v7
	s_waitcnt vmcnt(8) lgkmcnt(7)
	v_mul_f32_e32 v87, v36, v9
	s_waitcnt vmcnt(7) lgkmcnt(6)
	v_mul_f32_e32 v89, v40, v13
	v_mul_f32_e32 v5, v33, v5
	;; [unrolled: 1-line block ×5, first 2 shown]
	s_waitcnt vmcnt(4) lgkmcnt(3)
	v_pk_mul_f32 v[80:81], v[60:61], v[24:25] op_sel:[1,1] op_sel_hi:[0,1]
	v_mov_b32_e32 v82, v27
	s_waitcnt vmcnt(3) lgkmcnt(2)
	v_pk_mul_f32 v[84:85], v[64:65], v[28:29] op_sel:[1,1] op_sel_hi:[0,1]
	v_fmac_f32_e32 v83, v33, v4
	v_mul_f32_e32 v90, v42, v15
	v_mul_f32_e32 v91, v44, v17
	;; [unrolled: 1-line block ×4, first 2 shown]
	v_fmac_f32_e32 v86, v35, v6
	v_fmac_f32_e32 v87, v37, v8
	;; [unrolled: 1-line block ×3, first 2 shown]
	v_fma_f32 v32, v32, v4, -v5
	v_fma_f32 v33, v34, v6, -v7
	;; [unrolled: 1-line block ×4, first 2 shown]
	v_pk_fma_f32 v[4:5], v[60:61], v[24:25], v[80:81] neg_lo:[0,0,1] neg_hi:[0,0,1]
	v_pk_fma_f32 v[6:7], v[60:61], v[24:25], v[80:81] op_sel_hi:[1,0,1]
	v_pk_mul_f32 v[8:9], v[62:63], v[82:83] op_sel:[1,0] op_sel_hi:[0,0]
	v_pk_fma_f32 v[12:13], v[64:65], v[28:29], v[84:85] op_sel_hi:[1,0,1]
	v_fmac_f32_e32 v90, v43, v14
	v_fma_f32 v14, v42, v14, -v15
	v_fma_f32 v15, v44, v16, -v17
	v_add_f32_e32 v12, 0, v83
	v_add_f32_e32 v17, 0, v32
	v_mov_b32_e32 v5, v7
	v_pk_fma_f32 v[6:7], v[62:63], v[26:27], v[8:9] neg_lo:[0,0,1] neg_hi:[0,0,1]
	v_pk_fma_f32 v[8:9], v[62:63], v[26:27], v[8:9] op_sel_hi:[1,0,1]
	v_mul_f32_e32 v88, v38, v11
	v_mul_f32_e32 v11, v39, v11
	v_add_f32_e32 v8, v12, v86
	v_add_f32_e32 v12, v17, v33
	v_fmac_f32_e32 v88, v39, v10
	v_fma_f32 v35, v38, v10, -v11
	v_mov_b32_e32 v7, v9
	v_add_f32_e32 v8, v8, v87
	v_add_f32_e32 v9, v12, v34
	;; [unrolled: 1-line block ×6, first 2 shown]
	v_mul_f32_e32 v92, v46, v19
	v_mul_f32_e32 v19, v47, v19
	v_fmac_f32_e32 v91, v45, v16
	v_add_f32_e32 v8, v8, v90
	v_add_f32_e32 v9, v9, v14
	v_mul_f32_e32 v77, v56, v21
	v_mul_f32_e32 v21, v57, v21
	v_fmac_f32_e32 v92, v47, v18
	v_fma_f32 v16, v46, v18, -v19
	v_add_f32_e32 v8, v8, v91
	v_add_f32_e32 v12, v9, v15
	v_mul_f32_e32 v79, v58, v23
	v_mul_f32_e32 v23, v59, v23
	v_fmac_f32_e32 v77, v57, v20
	v_fma_f32 v76, v56, v20, -v21
	v_add_f32_e32 v9, v8, v92
	v_add_f32_e32 v8, v12, v16
	v_fmac_f32_e32 v79, v59, v22
	v_fma_f32 v78, v58, v22, -v23
	v_pk_add_f32 v[8:9], v[8:9], v[76:77]
	v_pk_fma_f32 v[10:11], v[64:65], v[28:29], v[84:85] neg_lo:[0,0,1] neg_hi:[0,0,1]
	v_pk_add_f32 v[8:9], v[8:9], v[78:79]
	v_mov_b32_e32 v11, v13
	v_pk_add_f32 v[4:5], v[8:9], v[4:5]
	s_nop 0
	v_pk_add_f32 v[4:5], v[4:5], v[6:7]
	v_mov_b32_e32 v6, v31
	v_pk_mul_f32 v[6:7], v[66:67], v[6:7] op_sel:[1,0] op_sel_hi:[0,0]
	v_pk_fma_f32 v[8:9], v[66:67], v[30:31], v[6:7] neg_lo:[0,0,1] neg_hi:[0,0,1]
	v_pk_fma_f32 v[6:7], v[66:67], v[30:31], v[6:7] op_sel_hi:[1,0,1]
	v_pk_add_f32 v[4:5], v[4:5], v[10:11]
	v_mov_b32_e32 v9, v7
	s_waitcnt vmcnt(2) lgkmcnt(1)
	v_pk_mul_f32 v[6:7], v[68:69], v[48:49] op_sel:[1,1] op_sel_hi:[0,1]
	v_pk_add_f32 v[4:5], v[4:5], v[8:9]
	v_pk_fma_f32 v[8:9], v[68:69], v[48:49], v[6:7] neg_lo:[0,0,1] neg_hi:[0,0,1]
	v_pk_fma_f32 v[6:7], v[68:69], v[48:49], v[6:7] op_sel_hi:[1,0,1]
	s_nop 0
	v_mov_b32_e32 v6, v51
	v_mov_b32_e32 v9, v7
	v_pk_mul_f32 v[6:7], v[70:71], v[6:7] op_sel:[1,0] op_sel_hi:[0,0]
	v_pk_add_f32 v[4:5], v[4:5], v[8:9]
	v_pk_fma_f32 v[8:9], v[70:71], v[50:51], v[6:7] neg_lo:[0,0,1] neg_hi:[0,0,1]
	v_pk_fma_f32 v[6:7], v[70:71], v[50:51], v[6:7] op_sel_hi:[1,0,1]
	s_nop 0
	v_mov_b32_e32 v9, v7
	s_waitcnt vmcnt(1) lgkmcnt(0)
	v_pk_mul_f32 v[6:7], v[72:73], v[52:53] op_sel:[1,1] op_sel_hi:[0,1]
	v_pk_add_f32 v[4:5], v[4:5], v[8:9]
	v_pk_fma_f32 v[8:9], v[72:73], v[52:53], v[6:7] neg_lo:[0,0,1] neg_hi:[0,0,1]
	v_pk_fma_f32 v[6:7], v[72:73], v[52:53], v[6:7] op_sel_hi:[1,0,1]
	s_nop 0
	v_mov_b32_e32 v6, v55
	v_mov_b32_e32 v9, v7
	v_pk_mul_f32 v[6:7], v[74:75], v[6:7] op_sel:[1,0] op_sel_hi:[0,0]
	v_pk_add_f32 v[4:5], v[4:5], v[8:9]
	v_pk_fma_f32 v[8:9], v[74:75], v[54:55], v[6:7] neg_lo:[0,0,1] neg_hi:[0,0,1]
	v_pk_fma_f32 v[6:7], v[74:75], v[54:55], v[6:7] op_sel_hi:[1,0,1]
	s_nop 0
	v_mov_b32_e32 v9, v7
	v_pk_add_f32 v[4:5], v[4:5], v[8:9]
	s_waitcnt vmcnt(0)
	v_pk_add_f32 v[2:3], v[2:3], v[4:5] neg_lo:[0,1] neg_hi:[0,1]
	scratch_store_dwordx2 off, v[2:3], off offset:344
	s_and_saveexec_b64 s[0:1], vcc
	s_cbranch_execz .LBB61_301
; %bb.300:
	scratch_load_dwordx2 v[2:3], off, off offset:336
	v_mov_b32_e32 v4, 0
	v_mov_b32_e32 v5, v4
	scratch_store_dwordx2 off, v[4:5], off offset:336
	s_waitcnt vmcnt(1)
	ds_write_b64 v1, v[2:3]
.LBB61_301:
	s_or_b64 exec, exec, s[0:1]
	s_waitcnt lgkmcnt(0)
	; wave barrier
	scratch_load_dwordx4 v[4:7], off, off offset:344
	scratch_load_dwordx4 v[8:11], off, off offset:360
	;; [unrolled: 1-line block ×9, first 2 shown]
	scratch_load_dwordx2 v[76:77], off, off offset:488
	scratch_load_dwordx2 v[78:79], off, off offset:336
	v_mov_b32_e32 v2, 0
	ds_read2_b64 v[40:43], v2 offset0:105 offset1:106
	ds_read2_b64 v[44:47], v2 offset0:107 offset1:108
	;; [unrolled: 1-line block ×9, first 2 shown]
	ds_read_b64 v[80:81], v2 offset:984
	v_cmp_lt_u32_e32 vcc, 41, v0
	s_waitcnt vmcnt(10) lgkmcnt(9)
	v_mul_f32_e32 v87, v42, v7
	v_mul_f32_e32 v3, v40, v5
	;; [unrolled: 1-line block ×3, first 2 shown]
	v_fmac_f32_e32 v87, v43, v6
	s_waitcnt vmcnt(9) lgkmcnt(8)
	v_mul_f32_e32 v88, v44, v9
	s_waitcnt vmcnt(5)
	v_mov_b32_e32 v86, v27
	v_mul_f32_e32 v89, v46, v11
	s_waitcnt lgkmcnt(7)
	v_mul_f32_e32 v91, v50, v15
	v_mul_f32_e32 v7, v43, v7
	;; [unrolled: 1-line block ×5, first 2 shown]
	v_fmac_f32_e32 v3, v41, v4
	v_fma_f32 v40, v40, v4, -v5
	s_waitcnt lgkmcnt(4)
	v_pk_mul_f32 v[4:5], v[62:63], v[86:87] op_sel:[1,0] op_sel_hi:[0,0]
	v_fmac_f32_e32 v88, v45, v8
	v_fma_f32 v41, v42, v6, -v7
	v_fma_f32 v8, v44, v8, -v9
	;; [unrolled: 1-line block ×4, first 2 shown]
	v_add_f32_e32 v3, 0, v3
	v_add_f32_e32 v15, 0, v40
	v_pk_fma_f32 v[6:7], v[62:63], v[26:27], v[4:5] neg_lo:[0,0,1] neg_hi:[0,0,1]
	v_pk_fma_f32 v[4:5], v[62:63], v[26:27], v[4:5] op_sel_hi:[1,0,1]
	v_add_f32_e32 v3, v3, v87
	v_add_f32_e32 v4, v15, v41
	v_mul_f32_e32 v90, v48, v13
	v_mul_f32_e32 v13, v49, v13
	v_fmac_f32_e32 v89, v47, v10
	v_add_f32_e32 v3, v3, v88
	v_add_f32_e32 v4, v4, v8
	v_fmac_f32_e32 v90, v49, v12
	v_fma_f32 v10, v48, v12, -v13
	v_add_f32_e32 v3, v3, v89
	v_add_f32_e32 v4, v4, v9
	v_mul_f32_e32 v92, v52, v17
	v_mul_f32_e32 v17, v53, v17
	v_fmac_f32_e32 v91, v51, v14
	v_add_f32_e32 v3, v3, v90
	v_add_f32_e32 v4, v4, v10
	v_mul_f32_e32 v93, v54, v19
	v_mul_f32_e32 v19, v55, v19
	v_fmac_f32_e32 v92, v53, v16
	v_fma_f32 v12, v52, v16, -v17
	v_add_f32_e32 v3, v3, v91
	v_add_f32_e32 v4, v4, v11
	v_mul_f32_e32 v94, v56, v21
	v_mul_f32_e32 v21, v57, v21
	v_fmac_f32_e32 v93, v55, v18
	v_fma_f32 v13, v54, v18, -v19
	;; [unrolled: 6-line block ×4, first 2 shown]
	v_mov_b32_e32 v7, v5
	v_add_f32_e32 v5, v3, v94
	v_add_f32_e32 v4, v4, v14
	v_fmac_f32_e32 v85, v61, v24
	v_fma_f32 v84, v60, v24, -v25
	v_pk_add_f32 v[4:5], v[4:5], v[82:83]
	s_nop 0
	v_pk_add_f32 v[4:5], v[4:5], v[84:85]
	s_nop 0
	v_pk_add_f32 v[4:5], v[4:5], v[6:7]
	s_waitcnt vmcnt(4) lgkmcnt(3)
	v_pk_mul_f32 v[6:7], v[64:65], v[28:29] op_sel:[1,1] op_sel_hi:[0,1]
	v_pk_fma_f32 v[8:9], v[64:65], v[28:29], v[6:7] neg_lo:[0,0,1] neg_hi:[0,0,1]
	v_pk_fma_f32 v[6:7], v[64:65], v[28:29], v[6:7] op_sel_hi:[1,0,1]
	s_nop 0
	v_mov_b32_e32 v6, v31
	v_mov_b32_e32 v9, v7
	v_pk_mul_f32 v[6:7], v[66:67], v[6:7] op_sel:[1,0] op_sel_hi:[0,0]
	v_pk_add_f32 v[4:5], v[4:5], v[8:9]
	v_pk_fma_f32 v[8:9], v[66:67], v[30:31], v[6:7] neg_lo:[0,0,1] neg_hi:[0,0,1]
	v_pk_fma_f32 v[6:7], v[66:67], v[30:31], v[6:7] op_sel_hi:[1,0,1]
	s_nop 0
	v_mov_b32_e32 v9, v7
	s_waitcnt vmcnt(3) lgkmcnt(2)
	v_pk_mul_f32 v[6:7], v[68:69], v[32:33] op_sel:[1,1] op_sel_hi:[0,1]
	v_pk_add_f32 v[4:5], v[4:5], v[8:9]
	v_pk_fma_f32 v[8:9], v[68:69], v[32:33], v[6:7] neg_lo:[0,0,1] neg_hi:[0,0,1]
	v_pk_fma_f32 v[6:7], v[68:69], v[32:33], v[6:7] op_sel_hi:[1,0,1]
	s_nop 0
	v_mov_b32_e32 v6, v35
	v_mov_b32_e32 v9, v7
	v_pk_mul_f32 v[6:7], v[70:71], v[6:7] op_sel:[1,0] op_sel_hi:[0,0]
	v_pk_add_f32 v[4:5], v[4:5], v[8:9]
	v_pk_fma_f32 v[8:9], v[70:71], v[34:35], v[6:7] neg_lo:[0,0,1] neg_hi:[0,0,1]
	v_pk_fma_f32 v[6:7], v[70:71], v[34:35], v[6:7] op_sel_hi:[1,0,1]
	s_nop 0
	v_mov_b32_e32 v9, v7
	s_waitcnt vmcnt(2) lgkmcnt(1)
	v_pk_mul_f32 v[6:7], v[72:73], v[36:37] op_sel:[1,1] op_sel_hi:[0,1]
	v_pk_add_f32 v[4:5], v[4:5], v[8:9]
	;; [unrolled: 14-line block ×3, first 2 shown]
	v_pk_fma_f32 v[8:9], v[80:81], v[76:77], v[6:7] neg_lo:[0,0,1] neg_hi:[0,0,1]
	v_pk_fma_f32 v[6:7], v[80:81], v[76:77], v[6:7] op_sel_hi:[1,0,1]
	s_nop 0
	v_mov_b32_e32 v9, v7
	v_pk_add_f32 v[4:5], v[4:5], v[8:9]
	s_waitcnt vmcnt(0)
	v_pk_add_f32 v[4:5], v[78:79], v[4:5] neg_lo:[0,1] neg_hi:[0,1]
	scratch_store_dwordx2 off, v[4:5], off offset:336
	s_and_saveexec_b64 s[0:1], vcc
	s_cbranch_execz .LBB61_303
; %bb.302:
	scratch_load_dwordx2 v[4:5], off, off offset:328
	v_mov_b32_e32 v3, v2
	scratch_store_dwordx2 off, v[2:3], off offset:328
	s_waitcnt vmcnt(1)
	ds_write_b64 v1, v[4:5]
.LBB61_303:
	s_or_b64 exec, exec, s[0:1]
	s_waitcnt lgkmcnt(0)
	; wave barrier
	scratch_load_dwordx4 v[4:7], off, off offset:336
	scratch_load_dwordx4 v[8:11], off, off offset:352
	;; [unrolled: 1-line block ×7, first 2 shown]
	ds_read_b128 v[32:35], v2 offset:832
	ds_read_b128 v[36:39], v2 offset:848
	;; [unrolled: 1-line block ×6, first 2 shown]
	scratch_load_dwordx4 v[56:59], off, off offset:448
	scratch_load_dwordx4 v[60:63], off, off offset:464
	;; [unrolled: 1-line block ×3, first 2 shown]
	ds_read_b128 v[68:71], v2 offset:928
	ds_read_b128 v[72:75], v2 offset:944
	ds_read_b128 v[76:79], v2 offset:960
	ds_read_b128 v[80:83], v2 offset:976
	scratch_load_dwordx2 v[2:3], off, off offset:328
	v_cmp_lt_u32_e32 vcc, 40, v0
	s_waitcnt vmcnt(10) lgkmcnt(9)
	v_mul_f32_e32 v90, v32, v5
	v_mul_f32_e32 v5, v33, v5
	;; [unrolled: 1-line block ×3, first 2 shown]
	s_waitcnt vmcnt(9) lgkmcnt(8)
	v_mul_f32_e32 v92, v36, v9
	s_waitcnt vmcnt(8) lgkmcnt(7)
	v_mul_f32_e32 v95, v42, v15
	v_mul_f32_e32 v7, v35, v7
	;; [unrolled: 1-line block ×4, first 2 shown]
	v_fmac_f32_e32 v90, v33, v4
	v_fma_f32 v4, v32, v4, -v5
	v_fmac_f32_e32 v91, v35, v6
	v_fmac_f32_e32 v95, v43, v14
	v_fma_f32 v5, v34, v6, -v7
	v_fma_f32 v6, v36, v8, -v9
	;; [unrolled: 1-line block ×3, first 2 shown]
	v_add_f32_e32 v14, 0, v90
	v_add_f32_e32 v4, 0, v4
	v_mul_f32_e32 v93, v38, v11
	v_mul_f32_e32 v11, v39, v11
	v_fmac_f32_e32 v92, v37, v8
	v_add_f32_e32 v14, v14, v91
	v_add_f32_e32 v4, v4, v5
	v_mul_f32_e32 v94, v40, v13
	v_mul_f32_e32 v13, v41, v13
	v_fmac_f32_e32 v93, v39, v10
	v_fma_f32 v7, v38, v10, -v11
	v_add_f32_e32 v5, v14, v92
	v_add_f32_e32 v4, v4, v6
	v_fmac_f32_e32 v94, v41, v12
	v_fma_f32 v8, v40, v12, -v13
	v_add_f32_e32 v5, v5, v93
	v_add_f32_e32 v4, v4, v7
	s_waitcnt vmcnt(7) lgkmcnt(6)
	v_mul_f32_e32 v96, v44, v17
	v_mul_f32_e32 v17, v45, v17
	v_add_f32_e32 v5, v5, v94
	v_add_f32_e32 v4, v4, v8
	v_mul_f32_e32 v97, v46, v19
	v_mul_f32_e32 v19, v47, v19
	v_fmac_f32_e32 v96, v45, v16
	v_fma_f32 v10, v44, v16, -v17
	v_add_f32_e32 v5, v5, v95
	v_add_f32_e32 v4, v4, v9
	s_waitcnt vmcnt(6) lgkmcnt(5)
	v_mul_f32_e32 v98, v48, v21
	v_mul_f32_e32 v21, v49, v21
	v_fmac_f32_e32 v97, v47, v18
	v_fma_f32 v11, v46, v18, -v19
	v_add_f32_e32 v5, v5, v96
	v_add_f32_e32 v4, v4, v10
	v_mul_f32_e32 v99, v50, v23
	v_mul_f32_e32 v23, v51, v23
	v_fmac_f32_e32 v98, v49, v20
	v_fma_f32 v12, v48, v20, -v21
	v_add_f32_e32 v5, v5, v97
	v_add_f32_e32 v4, v4, v11
	s_waitcnt vmcnt(5) lgkmcnt(4)
	v_mul_f32_e32 v85, v52, v25
	v_mul_f32_e32 v25, v53, v25
	v_fmac_f32_e32 v99, v51, v22
	v_fma_f32 v13, v50, v22, -v23
	v_add_f32_e32 v5, v5, v98
	v_add_f32_e32 v4, v4, v12
	v_mul_f32_e32 v87, v54, v27
	v_mul_f32_e32 v27, v55, v27
	s_waitcnt vmcnt(4) lgkmcnt(3)
	v_pk_mul_f32 v[88:89], v[68:69], v[28:29] op_sel:[1,1] op_sel_hi:[0,1]
	v_fmac_f32_e32 v85, v53, v24
	v_fma_f32 v84, v52, v24, -v25
	v_add_f32_e32 v5, v5, v99
	v_add_f32_e32 v4, v4, v13
	v_fmac_f32_e32 v87, v55, v26
	v_fma_f32 v86, v54, v26, -v27
	v_pk_add_f32 v[4:5], v[4:5], v[84:85]
	v_pk_fma_f32 v[6:7], v[68:69], v[28:29], v[88:89] neg_lo:[0,0,1] neg_hi:[0,0,1]
	v_pk_fma_f32 v[8:9], v[68:69], v[28:29], v[88:89] op_sel_hi:[1,0,1]
	v_pk_add_f32 v[4:5], v[4:5], v[86:87]
	v_mov_b32_e32 v7, v9
	v_pk_add_f32 v[4:5], v[4:5], v[6:7]
	v_mov_b32_e32 v6, v31
	v_pk_mul_f32 v[6:7], v[70:71], v[6:7] op_sel:[1,0] op_sel_hi:[0,0]
	v_pk_fma_f32 v[8:9], v[70:71], v[30:31], v[6:7] neg_lo:[0,0,1] neg_hi:[0,0,1]
	v_pk_fma_f32 v[6:7], v[70:71], v[30:31], v[6:7] op_sel_hi:[1,0,1]
	s_nop 0
	v_mov_b32_e32 v9, v7
	s_waitcnt vmcnt(3) lgkmcnt(2)
	v_pk_mul_f32 v[6:7], v[72:73], v[56:57] op_sel:[1,1] op_sel_hi:[0,1]
	v_pk_add_f32 v[4:5], v[4:5], v[8:9]
	v_pk_fma_f32 v[8:9], v[72:73], v[56:57], v[6:7] neg_lo:[0,0,1] neg_hi:[0,0,1]
	v_pk_fma_f32 v[6:7], v[72:73], v[56:57], v[6:7] op_sel_hi:[1,0,1]
	s_nop 0
	v_mov_b32_e32 v6, v59
	v_mov_b32_e32 v9, v7
	v_pk_mul_f32 v[6:7], v[74:75], v[6:7] op_sel:[1,0] op_sel_hi:[0,0]
	v_pk_add_f32 v[4:5], v[4:5], v[8:9]
	v_pk_fma_f32 v[8:9], v[74:75], v[58:59], v[6:7] neg_lo:[0,0,1] neg_hi:[0,0,1]
	v_pk_fma_f32 v[6:7], v[74:75], v[58:59], v[6:7] op_sel_hi:[1,0,1]
	s_nop 0
	v_mov_b32_e32 v9, v7
	s_waitcnt vmcnt(2) lgkmcnt(1)
	v_pk_mul_f32 v[6:7], v[76:77], v[60:61] op_sel:[1,1] op_sel_hi:[0,1]
	v_pk_add_f32 v[4:5], v[4:5], v[8:9]
	v_pk_fma_f32 v[8:9], v[76:77], v[60:61], v[6:7] neg_lo:[0,0,1] neg_hi:[0,0,1]
	v_pk_fma_f32 v[6:7], v[76:77], v[60:61], v[6:7] op_sel_hi:[1,0,1]
	s_nop 0
	v_mov_b32_e32 v6, v63
	v_mov_b32_e32 v9, v7
	v_pk_mul_f32 v[6:7], v[78:79], v[6:7] op_sel:[1,0] op_sel_hi:[0,0]
	v_pk_add_f32 v[4:5], v[4:5], v[8:9]
	;; [unrolled: 14-line block ×3, first 2 shown]
	v_pk_fma_f32 v[8:9], v[82:83], v[66:67], v[6:7] neg_lo:[0,0,1] neg_hi:[0,0,1]
	v_pk_fma_f32 v[6:7], v[82:83], v[66:67], v[6:7] op_sel_hi:[1,0,1]
	s_nop 0
	v_mov_b32_e32 v9, v7
	v_pk_add_f32 v[4:5], v[4:5], v[8:9]
	s_waitcnt vmcnt(0)
	v_pk_add_f32 v[2:3], v[2:3], v[4:5] neg_lo:[0,1] neg_hi:[0,1]
	scratch_store_dwordx2 off, v[2:3], off offset:328
	s_and_saveexec_b64 s[0:1], vcc
	s_cbranch_execz .LBB61_305
; %bb.304:
	scratch_load_dwordx2 v[2:3], off, off offset:320
	v_mov_b32_e32 v4, 0
	v_mov_b32_e32 v5, v4
	scratch_store_dwordx2 off, v[4:5], off offset:320
	s_waitcnt vmcnt(1)
	ds_write_b64 v1, v[2:3]
.LBB61_305:
	s_or_b64 exec, exec, s[0:1]
	s_waitcnt lgkmcnt(0)
	; wave barrier
	scratch_load_dwordx4 v[2:5], off, off offset:328
	scratch_load_dwordx4 v[8:11], off, off offset:344
	;; [unrolled: 1-line block ×10, first 2 shown]
	scratch_load_dwordx2 v[76:77], off, off offset:488
	scratch_load_dwordx2 v[78:79], off, off offset:320
	v_mov_b32_e32 v6, 0
	ds_read2_b64 v[44:47], v6 offset0:103 offset1:104
	ds_read2_b64 v[48:51], v6 offset0:105 offset1:106
	;; [unrolled: 1-line block ×8, first 2 shown]
	v_cmp_lt_u32_e32 vcc, 39, v0
	s_waitcnt vmcnt(11) lgkmcnt(7)
	v_mul_f32_e32 v7, v44, v3
	v_mul_f32_e32 v3, v45, v3
	;; [unrolled: 1-line block ×4, first 2 shown]
	v_fmac_f32_e32 v7, v45, v2
	v_fma_f32 v2, v44, v2, -v3
	s_waitcnt vmcnt(10) lgkmcnt(6)
	v_mul_f32_e32 v82, v48, v9
	v_mul_f32_e32 v9, v49, v9
	v_fma_f32 v3, v46, v4, -v5
	v_add_f32_e32 v2, 0, v2
	v_mul_f32_e32 v84, v50, v11
	v_mul_f32_e32 v11, v51, v11
	v_fmac_f32_e32 v80, v47, v4
	v_fma_f32 v4, v48, v8, -v9
	v_add_f32_e32 v7, 0, v7
	v_add_f32_e32 v2, v2, v3
	s_waitcnt vmcnt(9) lgkmcnt(5)
	v_mul_f32_e32 v85, v52, v13
	v_mul_f32_e32 v13, v53, v13
	v_fmac_f32_e32 v82, v49, v8
	v_fma_f32 v5, v50, v10, -v11
	v_add_f32_e32 v7, v7, v80
	v_add_f32_e32 v2, v2, v4
	v_mul_f32_e32 v86, v54, v15
	v_mul_f32_e32 v15, v55, v15
	v_fmac_f32_e32 v84, v51, v10
	v_fma_f32 v8, v52, v12, -v13
	v_add_f32_e32 v3, v7, v82
	v_add_f32_e32 v2, v2, v5
	s_waitcnt vmcnt(8) lgkmcnt(4)
	v_mul_f32_e32 v87, v56, v17
	v_mul_f32_e32 v17, v57, v17
	v_fmac_f32_e32 v85, v53, v12
	v_fma_f32 v9, v54, v14, -v15
	v_add_f32_e32 v3, v3, v84
	;; [unrolled: 13-line block ×4, first 2 shown]
	v_add_f32_e32 v2, v2, v12
	v_fmac_f32_e32 v90, v63, v22
	v_fma_f32 v14, v64, v24, -v25
	v_add_f32_e32 v3, v3, v89
	v_add_f32_e32 v2, v2, v13
	v_mul_f32_e32 v81, v66, v27
	v_fmac_f32_e32 v91, v65, v24
	v_add_f32_e32 v3, v3, v90
	v_add_f32_e32 v12, v2, v14
	v_mul_f32_e32 v2, v67, v27
	s_waitcnt vmcnt(5)
	v_mov_b32_e32 v16, v31
	s_waitcnt lgkmcnt(1)
	v_mul_f32_e32 v83, v68, v29
	v_fmac_f32_e32 v81, v67, v26
	v_add_f32_e32 v13, v3, v91
	v_fma_f32 v80, v66, v26, -v2
	v_mul_f32_e32 v2, v69, v29
	v_pk_mul_f32 v[16:17], v[70:71], v[16:17] op_sel:[1,0] op_sel_hi:[0,0]
	v_fmac_f32_e32 v83, v69, v28
	v_fma_f32 v82, v68, v28, -v2
	v_pk_add_f32 v[12:13], v[12:13], v[80:81]
	v_pk_fma_f32 v[18:19], v[70:71], v[30:31], v[16:17] neg_lo:[0,0,1] neg_hi:[0,0,1]
	v_pk_fma_f32 v[16:17], v[70:71], v[30:31], v[16:17] op_sel_hi:[1,0,1]
	v_pk_add_f32 v[12:13], v[12:13], v[82:83]
	v_mov_b32_e32 v19, v17
	s_waitcnt vmcnt(4) lgkmcnt(0)
	v_pk_mul_f32 v[16:17], v[72:73], v[32:33] op_sel:[1,1] op_sel_hi:[0,1]
	v_pk_add_f32 v[12:13], v[12:13], v[18:19]
	v_pk_fma_f32 v[18:19], v[72:73], v[32:33], v[16:17] neg_lo:[0,0,1] neg_hi:[0,0,1]
	v_pk_fma_f32 v[16:17], v[72:73], v[32:33], v[16:17] op_sel_hi:[1,0,1]
	ds_read2_b64 v[2:5], v6 offset0:119 offset1:120
	ds_read2_b64 v[8:11], v6 offset0:121 offset1:122
	ds_read_b64 v[14:15], v6 offset:984
	v_mov_b32_e32 v16, v35
	v_mov_b32_e32 v19, v17
	v_pk_mul_f32 v[16:17], v[74:75], v[16:17] op_sel:[1,0] op_sel_hi:[0,0]
	v_pk_add_f32 v[12:13], v[12:13], v[18:19]
	v_pk_fma_f32 v[18:19], v[74:75], v[34:35], v[16:17] neg_lo:[0,0,1] neg_hi:[0,0,1]
	v_pk_fma_f32 v[16:17], v[74:75], v[34:35], v[16:17] op_sel_hi:[1,0,1]
	s_nop 0
	v_mov_b32_e32 v19, v17
	s_waitcnt vmcnt(3) lgkmcnt(2)
	v_pk_mul_f32 v[16:17], v[2:3], v[36:37] op_sel:[1,1] op_sel_hi:[0,1]
	v_pk_add_f32 v[12:13], v[12:13], v[18:19]
	v_pk_fma_f32 v[18:19], v[2:3], v[36:37], v[16:17] neg_lo:[0,0,1] neg_hi:[0,0,1]
	v_pk_fma_f32 v[2:3], v[2:3], v[36:37], v[16:17] op_sel_hi:[1,0,1]
	s_nop 0
	v_mov_b32_e32 v19, v3
	v_pk_add_f32 v[2:3], v[12:13], v[18:19]
	v_mov_b32_e32 v12, v39
	v_pk_mul_f32 v[12:13], v[4:5], v[12:13] op_sel:[1,0] op_sel_hi:[0,0]
	v_pk_fma_f32 v[16:17], v[4:5], v[38:39], v[12:13] neg_lo:[0,0,1] neg_hi:[0,0,1]
	v_pk_fma_f32 v[4:5], v[4:5], v[38:39], v[12:13] op_sel_hi:[1,0,1]
	s_nop 0
	v_mov_b32_e32 v17, v5
	s_waitcnt vmcnt(2) lgkmcnt(1)
	v_pk_mul_f32 v[4:5], v[8:9], v[40:41] op_sel:[1,1] op_sel_hi:[0,1]
	v_pk_fma_f32 v[12:13], v[8:9], v[40:41], v[4:5] neg_lo:[0,0,1] neg_hi:[0,0,1]
	v_pk_fma_f32 v[4:5], v[8:9], v[40:41], v[4:5] op_sel_hi:[1,0,1]
	v_pk_add_f32 v[2:3], v[2:3], v[16:17]
	v_mov_b32_e32 v4, v43
	v_mov_b32_e32 v13, v5
	v_pk_mul_f32 v[4:5], v[10:11], v[4:5] op_sel:[1,0] op_sel_hi:[0,0]
	v_pk_fma_f32 v[8:9], v[10:11], v[42:43], v[4:5] neg_lo:[0,0,1] neg_hi:[0,0,1]
	v_pk_fma_f32 v[4:5], v[10:11], v[42:43], v[4:5] op_sel_hi:[1,0,1]
	v_pk_add_f32 v[2:3], v[2:3], v[12:13]
	v_mov_b32_e32 v9, v5
	s_waitcnt vmcnt(1) lgkmcnt(0)
	v_pk_mul_f32 v[4:5], v[14:15], v[76:77] op_sel:[1,1] op_sel_hi:[0,1]
	v_pk_add_f32 v[2:3], v[2:3], v[8:9]
	v_pk_fma_f32 v[8:9], v[14:15], v[76:77], v[4:5] neg_lo:[0,0,1] neg_hi:[0,0,1]
	v_pk_fma_f32 v[4:5], v[14:15], v[76:77], v[4:5] op_sel_hi:[1,0,1]
	s_nop 0
	v_mov_b32_e32 v9, v5
	v_pk_add_f32 v[2:3], v[2:3], v[8:9]
	s_waitcnt vmcnt(0)
	v_pk_add_f32 v[2:3], v[78:79], v[2:3] neg_lo:[0,1] neg_hi:[0,1]
	scratch_store_dwordx2 off, v[2:3], off offset:320
	s_and_saveexec_b64 s[0:1], vcc
	s_cbranch_execz .LBB61_307
; %bb.306:
	scratch_load_dwordx2 v[2:3], off, off offset:312
	v_mov_b32_e32 v7, v6
	scratch_store_dwordx2 off, v[6:7], off offset:312
	s_waitcnt vmcnt(1)
	ds_write_b64 v1, v[2:3]
.LBB61_307:
	s_or_b64 exec, exec, s[0:1]
	s_waitcnt lgkmcnt(0)
	; wave barrier
	scratch_load_dwordx4 v[8:11], off, off offset:320
	scratch_load_dwordx4 v[12:15], off, off offset:336
	;; [unrolled: 1-line block ×7, first 2 shown]
	ds_read_b128 v[36:39], v6 offset:816
	ds_read_b128 v[40:43], v6 offset:832
	;; [unrolled: 1-line block ×6, first 2 shown]
	scratch_load_dwordx4 v[60:63], off, off offset:432
	scratch_load_dwordx4 v[64:67], off, off offset:448
	;; [unrolled: 1-line block ×4, first 2 shown]
	ds_read_b128 v[72:75], v6 offset:912
	ds_read_b128 v[76:79], v6 offset:928
	scratch_load_dwordx2 v[80:81], off, off offset:312
	v_cmp_lt_u32_e32 vcc, 38, v0
	s_waitcnt vmcnt(11) lgkmcnt(7)
	v_mul_f32_e32 v7, v36, v9
	v_mul_f32_e32 v82, v38, v11
	;; [unrolled: 1-line block ×3, first 2 shown]
	v_fmac_f32_e32 v7, v37, v8
	s_waitcnt vmcnt(10) lgkmcnt(6)
	v_mul_f32_e32 v84, v40, v13
	v_mul_f32_e32 v11, v39, v11
	v_fmac_f32_e32 v82, v39, v10
	v_fma_f32 v8, v36, v8, -v9
	v_add_f32_e32 v7, 0, v7
	v_mul_f32_e32 v86, v42, v15
	v_mul_f32_e32 v13, v41, v13
	v_fmac_f32_e32 v84, v41, v12
	v_fma_f32 v9, v38, v10, -v11
	v_add_f32_e32 v8, 0, v8
	v_add_f32_e32 v7, v7, v82
	s_waitcnt vmcnt(9) lgkmcnt(5)
	v_mul_f32_e32 v87, v44, v17
	v_mul_f32_e32 v15, v43, v15
	v_fmac_f32_e32 v86, v43, v14
	v_fma_f32 v10, v40, v12, -v13
	v_add_f32_e32 v8, v8, v9
	v_add_f32_e32 v7, v7, v84
	v_mul_f32_e32 v88, v46, v19
	v_mul_f32_e32 v17, v45, v17
	v_fmac_f32_e32 v87, v45, v16
	v_fma_f32 v11, v42, v14, -v15
	v_add_f32_e32 v8, v8, v10
	v_add_f32_e32 v7, v7, v86
	s_waitcnt vmcnt(8) lgkmcnt(4)
	v_mul_f32_e32 v89, v48, v21
	v_mul_f32_e32 v19, v47, v19
	v_fmac_f32_e32 v88, v47, v18
	v_fma_f32 v12, v44, v16, -v17
	v_add_f32_e32 v8, v8, v11
	;; [unrolled: 13-line block ×4, first 2 shown]
	v_add_f32_e32 v7, v7, v91
	v_mul_f32_e32 v94, v58, v31
	v_mul_f32_e32 v29, v57, v29
	v_fmac_f32_e32 v93, v57, v28
	v_fma_f32 v17, v54, v26, -v27
	v_add_f32_e32 v8, v8, v16
	v_add_f32_e32 v7, v7, v92
	v_fmac_f32_e32 v94, v59, v30
	v_fma_f32 v18, v56, v28, -v29
	v_add_f32_e32 v8, v8, v17
	v_add_f32_e32 v7, v7, v93
	;; [unrolled: 1-line block ×4, first 2 shown]
	v_mul_f32_e32 v8, v59, v31
	v_fma_f32 v8, v58, v30, -v8
	s_waitcnt vmcnt(5) lgkmcnt(1)
	v_mul_f32_e32 v83, v72, v33
	v_add_f32_e32 v20, v7, v8
	v_mul_f32_e32 v7, v73, v33
	v_fmac_f32_e32 v83, v73, v32
	v_fma_f32 v82, v72, v32, -v7
	v_mul_f32_e32 v7, v75, v35
	v_fma_f32 v84, v74, v34, -v7
	ds_read_b128 v[8:11], v6 offset:944
	ds_read_b128 v[12:15], v6 offset:960
	;; [unrolled: 1-line block ×3, first 2 shown]
	v_pk_add_f32 v[6:7], v[20:21], v[82:83]
	s_waitcnt vmcnt(4) lgkmcnt(3)
	v_pk_mul_f32 v[20:21], v[76:77], v[60:61] op_sel:[1,1] op_sel_hi:[0,1]
	v_mul_f32_e32 v85, v74, v35
	v_pk_fma_f32 v[22:23], v[76:77], v[60:61], v[20:21] neg_lo:[0,0,1] neg_hi:[0,0,1]
	v_pk_fma_f32 v[20:21], v[76:77], v[60:61], v[20:21] op_sel_hi:[1,0,1]
	v_fmac_f32_e32 v85, v75, v34
	v_mov_b32_e32 v20, v63
	v_pk_add_f32 v[6:7], v[6:7], v[84:85]
	v_mov_b32_e32 v23, v21
	v_pk_mul_f32 v[20:21], v[78:79], v[20:21] op_sel:[1,0] op_sel_hi:[0,0]
	v_pk_add_f32 v[6:7], v[6:7], v[22:23]
	v_pk_fma_f32 v[22:23], v[78:79], v[62:63], v[20:21] neg_lo:[0,0,1] neg_hi:[0,0,1]
	v_pk_fma_f32 v[20:21], v[78:79], v[62:63], v[20:21] op_sel_hi:[1,0,1]
	s_nop 0
	v_mov_b32_e32 v23, v21
	s_waitcnt vmcnt(3) lgkmcnt(2)
	v_pk_mul_f32 v[20:21], v[8:9], v[64:65] op_sel:[1,1] op_sel_hi:[0,1]
	v_pk_add_f32 v[6:7], v[6:7], v[22:23]
	v_pk_fma_f32 v[22:23], v[8:9], v[64:65], v[20:21] neg_lo:[0,0,1] neg_hi:[0,0,1]
	v_pk_fma_f32 v[8:9], v[8:9], v[64:65], v[20:21] op_sel_hi:[1,0,1]
	s_nop 0
	v_mov_b32_e32 v8, v67
	v_mov_b32_e32 v23, v9
	v_pk_mul_f32 v[8:9], v[10:11], v[8:9] op_sel:[1,0] op_sel_hi:[0,0]
	v_pk_fma_f32 v[20:21], v[10:11], v[66:67], v[8:9] neg_lo:[0,0,1] neg_hi:[0,0,1]
	v_pk_fma_f32 v[8:9], v[10:11], v[66:67], v[8:9] op_sel_hi:[1,0,1]
	v_pk_add_f32 v[6:7], v[6:7], v[22:23]
	v_mov_b32_e32 v21, v9
	s_waitcnt vmcnt(2) lgkmcnt(1)
	v_pk_mul_f32 v[8:9], v[12:13], v[68:69] op_sel:[1,1] op_sel_hi:[0,1]
	v_pk_fma_f32 v[10:11], v[12:13], v[68:69], v[8:9] neg_lo:[0,0,1] neg_hi:[0,0,1]
	v_pk_fma_f32 v[8:9], v[12:13], v[68:69], v[8:9] op_sel_hi:[1,0,1]
	v_pk_add_f32 v[6:7], v[6:7], v[20:21]
	v_mov_b32_e32 v8, v71
	v_mov_b32_e32 v11, v9
	v_pk_mul_f32 v[8:9], v[14:15], v[8:9] op_sel:[1,0] op_sel_hi:[0,0]
	v_pk_add_f32 v[6:7], v[6:7], v[10:11]
	v_pk_fma_f32 v[10:11], v[14:15], v[70:71], v[8:9] neg_lo:[0,0,1] neg_hi:[0,0,1]
	v_pk_fma_f32 v[8:9], v[14:15], v[70:71], v[8:9] op_sel_hi:[1,0,1]
	s_nop 0
	v_mov_b32_e32 v11, v9
	s_waitcnt vmcnt(1) lgkmcnt(0)
	v_pk_mul_f32 v[8:9], v[16:17], v[2:3] op_sel:[1,1] op_sel_hi:[0,1]
	v_pk_add_f32 v[6:7], v[6:7], v[10:11]
	v_pk_fma_f32 v[10:11], v[16:17], v[2:3], v[8:9] neg_lo:[0,0,1] neg_hi:[0,0,1]
	v_pk_fma_f32 v[2:3], v[16:17], v[2:3], v[8:9] op_sel_hi:[1,0,1]
	s_nop 0
	v_mov_b32_e32 v11, v3
	v_pk_add_f32 v[2:3], v[6:7], v[10:11]
	v_mov_b32_e32 v6, v5
	v_pk_mul_f32 v[6:7], v[18:19], v[6:7] op_sel:[1,0] op_sel_hi:[0,0]
	v_pk_fma_f32 v[8:9], v[18:19], v[4:5], v[6:7] neg_lo:[0,0,1] neg_hi:[0,0,1]
	v_pk_fma_f32 v[4:5], v[18:19], v[4:5], v[6:7] op_sel_hi:[1,0,1]
	s_nop 0
	v_mov_b32_e32 v9, v5
	v_pk_add_f32 v[2:3], v[2:3], v[8:9]
	s_waitcnt vmcnt(0)
	v_pk_add_f32 v[2:3], v[80:81], v[2:3] neg_lo:[0,1] neg_hi:[0,1]
	scratch_store_dwordx2 off, v[2:3], off offset:312
	s_and_saveexec_b64 s[0:1], vcc
	s_cbranch_execz .LBB61_309
; %bb.308:
	scratch_load_dwordx2 v[2:3], off, off offset:304
	v_mov_b32_e32 v4, 0
	v_mov_b32_e32 v5, v4
	scratch_store_dwordx2 off, v[4:5], off offset:304
	s_waitcnt vmcnt(1)
	ds_write_b64 v1, v[2:3]
.LBB61_309:
	s_or_b64 exec, exec, s[0:1]
	s_waitcnt lgkmcnt(0)
	; wave barrier
	scratch_load_dwordx4 v[2:5], off, off offset:312
	scratch_load_dwordx4 v[14:17], off, off offset:328
	;; [unrolled: 1-line block ×11, first 2 shown]
	scratch_load_dwordx2 v[22:23], off, off offset:488
	scratch_load_dwordx2 v[36:37], off, off offset:304
	v_mov_b32_e32 v38, 0
	ds_read2_b64 v[52:55], v38 offset0:101 offset1:102
	ds_read2_b64 v[56:59], v38 offset0:103 offset1:104
	;; [unrolled: 1-line block ×8, first 2 shown]
	v_cmp_lt_u32_e32 vcc, 37, v0
	s_waitcnt vmcnt(12) lgkmcnt(7)
	v_mul_f32_e32 v39, v52, v3
	v_mul_f32_e32 v84, v54, v5
	;; [unrolled: 1-line block ×3, first 2 shown]
	v_fmac_f32_e32 v39, v53, v2
	s_waitcnt vmcnt(8) lgkmcnt(3)
	v_mul_f32_e32 v93, v68, v19
	v_mul_f32_e32 v19, v69, v19
	;; [unrolled: 1-line block ×4, first 2 shown]
	v_fmac_f32_e32 v84, v55, v4
	v_fmac_f32_e32 v93, v69, v18
	v_fma_f32 v2, v52, v2, -v3
	v_fma_f32 v18, v68, v18, -v19
	v_add_f32_e32 v19, 0, v39
	v_mul_f32_e32 v88, v58, v17
	v_fmac_f32_e32 v86, v57, v14
	v_fma_f32 v3, v54, v4, -v5
	v_add_f32_e32 v2, 0, v2
	v_add_f32_e32 v19, v19, v84
	v_mul_f32_e32 v89, v60, v25
	v_fmac_f32_e32 v88, v59, v16
	v_add_f32_e32 v2, v2, v3
	v_add_f32_e32 v3, v19, v86
	v_mul_f32_e32 v90, v62, v27
	v_fmac_f32_e32 v89, v61, v24
	v_add_f32_e32 v3, v3, v88
	v_mul_f32_e32 v91, v64, v29
	v_mul_f32_e32 v15, v57, v15
	v_fmac_f32_e32 v90, v63, v26
	v_add_f32_e32 v3, v3, v89
	v_mul_f32_e32 v92, v66, v31
	v_mul_f32_e32 v17, v59, v17
	v_fmac_f32_e32 v91, v65, v28
	v_fma_f32 v4, v56, v14, -v15
	v_add_f32_e32 v3, v3, v90
	v_mul_f32_e32 v25, v61, v25
	v_fmac_f32_e32 v92, v67, v30
	v_fma_f32 v5, v58, v16, -v17
	v_add_f32_e32 v2, v2, v4
	v_add_f32_e32 v3, v3, v91
	v_mul_f32_e32 v94, v70, v21
	v_mul_f32_e32 v27, v63, v27
	v_fma_f32 v14, v60, v24, -v25
	v_add_f32_e32 v2, v2, v5
	v_add_f32_e32 v3, v3, v92
	s_waitcnt vmcnt(7) lgkmcnt(2)
	v_mul_f32_e32 v95, v72, v33
	v_mul_f32_e32 v29, v65, v29
	v_fmac_f32_e32 v94, v71, v20
	v_fma_f32 v15, v62, v26, -v27
	v_add_f32_e32 v2, v2, v14
	v_add_f32_e32 v3, v3, v93
	v_mul_f32_e32 v96, v74, v35
	v_mul_f32_e32 v31, v67, v31
	v_fmac_f32_e32 v95, v73, v32
	v_fma_f32 v16, v64, v28, -v29
	v_add_f32_e32 v2, v2, v15
	v_add_f32_e32 v3, v3, v94
	s_waitcnt vmcnt(6) lgkmcnt(1)
	v_mul_f32_e32 v97, v76, v41
	v_fmac_f32_e32 v96, v75, v34
	v_fma_f32 v17, v66, v30, -v31
	v_add_f32_e32 v2, v2, v16
	v_add_f32_e32 v3, v3, v95
	v_mul_f32_e32 v21, v71, v21
	v_fmac_f32_e32 v97, v77, v40
	v_add_f32_e32 v2, v2, v17
	v_add_f32_e32 v3, v3, v96
	;; [unrolled: 1-line block ×4, first 2 shown]
	v_fma_f32 v3, v70, v20, -v21
	v_add_f32_e32 v2, v2, v3
	v_mul_f32_e32 v3, v73, v33
	v_fma_f32 v3, v72, v32, -v3
	v_add_f32_e32 v2, v2, v3
	v_mul_f32_e32 v3, v75, v35
	;; [unrolled: 3-line block ×4, first 2 shown]
	v_mul_f32_e32 v85, v78, v43
	v_fma_f32 v84, v78, v42, -v2
	s_waitcnt vmcnt(5) lgkmcnt(0)
	v_mul_f32_e32 v2, v81, v45
	v_mov_b32_e32 v28, v47
	v_mul_f32_e32 v87, v80, v45
	v_fmac_f32_e32 v85, v79, v42
	v_fma_f32 v86, v80, v44, -v2
	ds_read2_b64 v[2:5], v38 offset0:117 offset1:118
	ds_read2_b64 v[14:17], v38 offset0:119 offset1:120
	;; [unrolled: 1-line block ×3, first 2 shown]
	ds_read_b64 v[26:27], v38 offset:984
	v_pk_mul_f32 v[28:29], v[82:83], v[28:29] op_sel:[1,0] op_sel_hi:[0,0]
	v_fmac_f32_e32 v87, v81, v44
	v_pk_add_f32 v[24:25], v[24:25], v[84:85]
	v_pk_fma_f32 v[30:31], v[82:83], v[46:47], v[28:29] neg_lo:[0,0,1] neg_hi:[0,0,1]
	v_pk_fma_f32 v[28:29], v[82:83], v[46:47], v[28:29] op_sel_hi:[1,0,1]
	v_pk_add_f32 v[24:25], v[24:25], v[86:87]
	v_mov_b32_e32 v31, v29
	s_waitcnt vmcnt(4) lgkmcnt(3)
	v_pk_mul_f32 v[28:29], v[2:3], v[48:49] op_sel:[1,1] op_sel_hi:[0,1]
	v_pk_add_f32 v[24:25], v[24:25], v[30:31]
	v_pk_fma_f32 v[30:31], v[2:3], v[48:49], v[28:29] neg_lo:[0,0,1] neg_hi:[0,0,1]
	v_pk_fma_f32 v[2:3], v[2:3], v[48:49], v[28:29] op_sel_hi:[1,0,1]
	s_nop 0
	v_mov_b32_e32 v31, v3
	v_pk_add_f32 v[2:3], v[24:25], v[30:31]
	v_mov_b32_e32 v24, v51
	v_pk_mul_f32 v[24:25], v[4:5], v[24:25] op_sel:[1,0] op_sel_hi:[0,0]
	v_pk_fma_f32 v[28:29], v[4:5], v[50:51], v[24:25] neg_lo:[0,0,1] neg_hi:[0,0,1]
	v_pk_fma_f32 v[4:5], v[4:5], v[50:51], v[24:25] op_sel_hi:[1,0,1]
	s_nop 0
	v_mov_b32_e32 v29, v5
	s_waitcnt vmcnt(3) lgkmcnt(2)
	v_pk_mul_f32 v[4:5], v[14:15], v[10:11] op_sel:[1,1] op_sel_hi:[0,1]
	v_pk_fma_f32 v[24:25], v[14:15], v[10:11], v[4:5] neg_lo:[0,0,1] neg_hi:[0,0,1]
	v_pk_fma_f32 v[4:5], v[14:15], v[10:11], v[4:5] op_sel_hi:[1,0,1]
	v_pk_add_f32 v[2:3], v[2:3], v[28:29]
	v_mov_b32_e32 v4, v13
	v_mov_b32_e32 v25, v5
	v_pk_mul_f32 v[4:5], v[16:17], v[4:5] op_sel:[1,0] op_sel_hi:[0,0]
	v_pk_fma_f32 v[10:11], v[16:17], v[12:13], v[4:5] neg_lo:[0,0,1] neg_hi:[0,0,1]
	v_pk_fma_f32 v[4:5], v[16:17], v[12:13], v[4:5] op_sel_hi:[1,0,1]
	v_pk_add_f32 v[2:3], v[2:3], v[24:25]
	v_mov_b32_e32 v11, v5
	s_waitcnt vmcnt(2) lgkmcnt(1)
	v_pk_mul_f32 v[4:5], v[18:19], v[6:7] op_sel:[1,1] op_sel_hi:[0,1]
	v_pk_add_f32 v[2:3], v[2:3], v[10:11]
	v_pk_fma_f32 v[10:11], v[18:19], v[6:7], v[4:5] neg_lo:[0,0,1] neg_hi:[0,0,1]
	v_pk_fma_f32 v[4:5], v[18:19], v[6:7], v[4:5] op_sel_hi:[1,0,1]
	s_nop 0
	v_mov_b32_e32 v4, v9
	v_mov_b32_e32 v11, v5
	v_pk_mul_f32 v[4:5], v[20:21], v[4:5] op_sel:[1,0] op_sel_hi:[0,0]
	v_pk_fma_f32 v[6:7], v[20:21], v[8:9], v[4:5] neg_lo:[0,0,1] neg_hi:[0,0,1]
	v_pk_fma_f32 v[4:5], v[20:21], v[8:9], v[4:5] op_sel_hi:[1,0,1]
	v_pk_add_f32 v[2:3], v[2:3], v[10:11]
	v_mov_b32_e32 v7, v5
	s_waitcnt vmcnt(1) lgkmcnt(0)
	v_pk_mul_f32 v[4:5], v[26:27], v[22:23] op_sel:[1,1] op_sel_hi:[0,1]
	v_pk_add_f32 v[2:3], v[2:3], v[6:7]
	v_pk_fma_f32 v[6:7], v[26:27], v[22:23], v[4:5] neg_lo:[0,0,1] neg_hi:[0,0,1]
	v_pk_fma_f32 v[4:5], v[26:27], v[22:23], v[4:5] op_sel_hi:[1,0,1]
	s_nop 0
	v_mov_b32_e32 v7, v5
	v_pk_add_f32 v[2:3], v[2:3], v[6:7]
	s_waitcnt vmcnt(0)
	v_pk_add_f32 v[2:3], v[36:37], v[2:3] neg_lo:[0,1] neg_hi:[0,1]
	scratch_store_dwordx2 off, v[2:3], off offset:304
	s_and_saveexec_b64 s[0:1], vcc
	s_cbranch_execz .LBB61_311
; %bb.310:
	scratch_load_dwordx2 v[2:3], off, off offset:296
	v_mov_b32_e32 v39, v38
	scratch_store_dwordx2 off, v[38:39], off offset:296
	s_waitcnt vmcnt(1)
	ds_write_b64 v1, v[2:3]
.LBB61_311:
	s_or_b64 exec, exec, s[0:1]
	s_waitcnt lgkmcnt(0)
	; wave barrier
	scratch_load_dwordx4 v[6:9], off, off offset:304
	scratch_load_dwordx4 v[18:21], off, off offset:320
	;; [unrolled: 1-line block ×8, first 2 shown]
	ds_read_b128 v[48:51], v38 offset:800
	ds_read_b128 v[52:55], v38 offset:816
	;; [unrolled: 1-line block ×8, first 2 shown]
	scratch_load_dwordx4 v[80:83], off, off offset:432
	scratch_load_dwordx4 v[26:29], off, off offset:448
	;; [unrolled: 1-line block ×4, first 2 shown]
	scratch_load_dwordx2 v[84:85], off, off offset:296
	v_cmp_lt_u32_e32 vcc, 36, v0
	s_waitcnt vmcnt(12) lgkmcnt(7)
	v_mul_f32_e32 v39, v48, v7
	v_mul_f32_e32 v86, v50, v9
	;; [unrolled: 1-line block ×3, first 2 shown]
	v_fmac_f32_e32 v39, v49, v6
	s_waitcnt vmcnt(8) lgkmcnt(3)
	v_mul_f32_e32 v95, v64, v15
	v_mul_f32_e32 v15, v65, v15
	;; [unrolled: 1-line block ×4, first 2 shown]
	v_fmac_f32_e32 v86, v51, v8
	v_fmac_f32_e32 v95, v65, v14
	v_fma_f32 v6, v48, v6, -v7
	v_fma_f32 v14, v64, v14, -v15
	v_add_f32_e32 v15, 0, v39
	v_mul_f32_e32 v90, v54, v21
	v_fmac_f32_e32 v88, v53, v18
	v_fma_f32 v7, v50, v8, -v9
	v_add_f32_e32 v6, 0, v6
	v_add_f32_e32 v15, v15, v86
	v_mul_f32_e32 v91, v56, v35
	v_fmac_f32_e32 v90, v55, v20
	v_add_f32_e32 v6, v6, v7
	v_add_f32_e32 v7, v15, v88
	v_mul_f32_e32 v92, v58, v37
	v_fmac_f32_e32 v91, v57, v34
	v_add_f32_e32 v7, v7, v90
	v_mul_f32_e32 v93, v60, v41
	v_fmac_f32_e32 v92, v59, v36
	;; [unrolled: 3-line block ×4, first 2 shown]
	v_add_f32_e32 v7, v7, v93
	v_mul_f32_e32 v96, v66, v17
	v_mul_f32_e32 v21, v55, v21
	v_fma_f32 v8, v52, v18, -v19
	v_add_f32_e32 v7, v7, v94
	s_waitcnt vmcnt(7) lgkmcnt(2)
	v_mul_f32_e32 v97, v68, v23
	v_mul_f32_e32 v35, v57, v35
	v_fmac_f32_e32 v96, v67, v16
	v_fma_f32 v9, v54, v20, -v21
	v_add_f32_e32 v6, v6, v8
	v_add_f32_e32 v7, v7, v95
	v_mul_f32_e32 v98, v70, v25
	v_mul_f32_e32 v37, v59, v37
	v_fmac_f32_e32 v97, v69, v22
	v_fma_f32 v18, v56, v34, -v35
	v_add_f32_e32 v6, v6, v9
	v_add_f32_e32 v7, v7, v96
	s_waitcnt vmcnt(6) lgkmcnt(1)
	v_mul_f32_e32 v99, v72, v31
	v_mul_f32_e32 v41, v61, v41
	v_fmac_f32_e32 v98, v71, v24
	v_fma_f32 v19, v58, v36, -v37
	v_add_f32_e32 v6, v6, v18
	v_add_f32_e32 v7, v7, v97
	v_mul_f32_e32 v100, v74, v33
	v_mul_f32_e32 v43, v63, v43
	v_fmac_f32_e32 v99, v73, v30
	v_fma_f32 v20, v60, v40, -v41
	v_add_f32_e32 v6, v6, v19
	v_add_f32_e32 v7, v7, v98
	v_fmac_f32_e32 v100, v75, v32
	v_fma_f32 v21, v62, v42, -v43
	v_add_f32_e32 v6, v6, v20
	v_add_f32_e32 v7, v7, v99
	;; [unrolled: 1-line block ×4, first 2 shown]
	v_mul_f32_e32 v7, v67, v17
	v_add_f32_e32 v6, v6, v14
	v_fma_f32 v7, v66, v16, -v7
	v_add_f32_e32 v6, v6, v7
	v_mul_f32_e32 v7, v69, v23
	v_fma_f32 v7, v68, v22, -v7
	v_add_f32_e32 v6, v6, v7
	v_mul_f32_e32 v7, v71, v25
	;; [unrolled: 3-line block ×4, first 2 shown]
	v_fma_f32 v7, v74, v32, -v7
	v_add_f32_e32 v34, v6, v7
	s_waitcnt vmcnt(5) lgkmcnt(0)
	v_mul_f32_e32 v6, v77, v45
	v_fma_f32 v86, v76, v44, -v6
	v_mul_f32_e32 v6, v79, v47
	v_fma_f32 v88, v78, v46, -v6
	ds_read_b128 v[6:9], v38 offset:928
	ds_read_b128 v[14:17], v38 offset:944
	;; [unrolled: 1-line block ×4, first 2 shown]
	v_mul_f32_e32 v87, v76, v45
	v_mul_f32_e32 v89, v78, v47
	v_fmac_f32_e32 v87, v77, v44
	s_waitcnt vmcnt(4) lgkmcnt(3)
	v_pk_mul_f32 v[32:33], v[6:7], v[80:81] op_sel:[1,1] op_sel_hi:[0,1]
	v_fmac_f32_e32 v89, v79, v46
	v_pk_add_f32 v[30:31], v[34:35], v[86:87]
	v_pk_fma_f32 v[34:35], v[6:7], v[80:81], v[32:33] neg_lo:[0,0,1] neg_hi:[0,0,1]
	v_pk_fma_f32 v[6:7], v[6:7], v[80:81], v[32:33] op_sel_hi:[1,0,1]
	v_pk_add_f32 v[30:31], v[30:31], v[88:89]
	v_mov_b32_e32 v35, v7
	v_pk_add_f32 v[6:7], v[30:31], v[34:35]
	v_mov_b32_e32 v30, v83
	v_pk_mul_f32 v[30:31], v[8:9], v[30:31] op_sel:[1,0] op_sel_hi:[0,0]
	v_pk_fma_f32 v[32:33], v[8:9], v[82:83], v[30:31] neg_lo:[0,0,1] neg_hi:[0,0,1]
	v_pk_fma_f32 v[8:9], v[8:9], v[82:83], v[30:31] op_sel_hi:[1,0,1]
	s_nop 0
	v_mov_b32_e32 v33, v9
	s_waitcnt vmcnt(3) lgkmcnt(2)
	v_pk_mul_f32 v[8:9], v[14:15], v[26:27] op_sel:[1,1] op_sel_hi:[0,1]
	v_pk_fma_f32 v[30:31], v[14:15], v[26:27], v[8:9] neg_lo:[0,0,1] neg_hi:[0,0,1]
	v_pk_fma_f32 v[8:9], v[14:15], v[26:27], v[8:9] op_sel_hi:[1,0,1]
	v_pk_add_f32 v[6:7], v[6:7], v[32:33]
	v_mov_b32_e32 v8, v29
	v_mov_b32_e32 v31, v9
	v_pk_mul_f32 v[8:9], v[16:17], v[8:9] op_sel:[1,0] op_sel_hi:[0,0]
	v_pk_fma_f32 v[14:15], v[16:17], v[28:29], v[8:9] neg_lo:[0,0,1] neg_hi:[0,0,1]
	v_pk_fma_f32 v[8:9], v[16:17], v[28:29], v[8:9] op_sel_hi:[1,0,1]
	v_pk_add_f32 v[6:7], v[6:7], v[30:31]
	v_mov_b32_e32 v15, v9
	s_waitcnt vmcnt(2) lgkmcnt(1)
	v_pk_mul_f32 v[8:9], v[18:19], v[10:11] op_sel:[1,1] op_sel_hi:[0,1]
	v_pk_add_f32 v[6:7], v[6:7], v[14:15]
	v_pk_fma_f32 v[14:15], v[18:19], v[10:11], v[8:9] neg_lo:[0,0,1] neg_hi:[0,0,1]
	v_pk_fma_f32 v[8:9], v[18:19], v[10:11], v[8:9] op_sel_hi:[1,0,1]
	s_nop 0
	v_mov_b32_e32 v8, v13
	v_mov_b32_e32 v15, v9
	v_pk_mul_f32 v[8:9], v[20:21], v[8:9] op_sel:[1,0] op_sel_hi:[0,0]
	v_pk_fma_f32 v[10:11], v[20:21], v[12:13], v[8:9] neg_lo:[0,0,1] neg_hi:[0,0,1]
	v_pk_fma_f32 v[8:9], v[20:21], v[12:13], v[8:9] op_sel_hi:[1,0,1]
	v_pk_add_f32 v[6:7], v[6:7], v[14:15]
	v_mov_b32_e32 v11, v9
	s_waitcnt vmcnt(1) lgkmcnt(0)
	v_pk_mul_f32 v[8:9], v[22:23], v[2:3] op_sel:[1,1] op_sel_hi:[0,1]
	v_pk_add_f32 v[6:7], v[6:7], v[10:11]
	v_pk_fma_f32 v[10:11], v[22:23], v[2:3], v[8:9] neg_lo:[0,0,1] neg_hi:[0,0,1]
	v_pk_fma_f32 v[2:3], v[22:23], v[2:3], v[8:9] op_sel_hi:[1,0,1]
	s_nop 0
	v_mov_b32_e32 v11, v3
	v_pk_add_f32 v[2:3], v[6:7], v[10:11]
	v_mov_b32_e32 v6, v5
	v_pk_mul_f32 v[6:7], v[24:25], v[6:7] op_sel:[1,0] op_sel_hi:[0,0]
	v_pk_fma_f32 v[8:9], v[24:25], v[4:5], v[6:7] neg_lo:[0,0,1] neg_hi:[0,0,1]
	v_pk_fma_f32 v[4:5], v[24:25], v[4:5], v[6:7] op_sel_hi:[1,0,1]
	s_nop 0
	v_mov_b32_e32 v9, v5
	v_pk_add_f32 v[2:3], v[2:3], v[8:9]
	s_waitcnt vmcnt(0)
	v_pk_add_f32 v[2:3], v[84:85], v[2:3] neg_lo:[0,1] neg_hi:[0,1]
	scratch_store_dwordx2 off, v[2:3], off offset:296
	s_and_saveexec_b64 s[0:1], vcc
	s_cbranch_execz .LBB61_313
; %bb.312:
	scratch_load_dwordx2 v[2:3], off, off offset:288
	v_mov_b32_e32 v4, 0
	v_mov_b32_e32 v5, v4
	scratch_store_dwordx2 off, v[4:5], off offset:288
	s_waitcnt vmcnt(1)
	ds_write_b64 v1, v[2:3]
.LBB61_313:
	s_or_b64 exec, exec, s[0:1]
	s_waitcnt lgkmcnt(0)
	; wave barrier
	scratch_load_dwordx4 v[2:5], off, off offset:296
	scratch_load_dwordx4 v[22:25], off, off offset:312
	;; [unrolled: 1-line block ×12, first 2 shown]
	scratch_load_dwordx2 v[50:51], off, off offset:488
	scratch_load_dwordx2 v[56:57], off, off offset:288
	v_mov_b32_e32 v58, 0
	ds_read2_b64 v[52:55], v58 offset0:99 offset1:100
	ds_read2_b64 v[60:63], v58 offset0:101 offset1:102
	;; [unrolled: 1-line block ×10, first 2 shown]
	v_cmp_lt_u32_e32 vcc, 35, v0
	s_waitcnt vmcnt(13) lgkmcnt(9)
	v_mul_f32_e32 v59, v52, v3
	v_mul_f32_e32 v96, v54, v5
	;; [unrolled: 1-line block ×3, first 2 shown]
	s_waitcnt vmcnt(10) lgkmcnt(6)
	v_mul_f32_e32 v103, v68, v11
	v_mul_f32_e32 v11, v69, v11
	v_fmac_f32_e32 v59, v53, v2
	v_mul_f32_e32 v98, v60, v23
	v_mul_f32_e32 v5, v55, v5
	v_fmac_f32_e32 v96, v55, v4
	v_fmac_f32_e32 v103, v69, v10
	v_fma_f32 v2, v52, v2, -v3
	v_fma_f32 v10, v68, v10, -v11
	v_add_f32_e32 v11, 0, v59
	v_mul_f32_e32 v100, v62, v25
	v_fmac_f32_e32 v98, v61, v22
	v_fma_f32 v3, v54, v4, -v5
	v_add_f32_e32 v2, 0, v2
	v_add_f32_e32 v11, v11, v96
	v_mul_f32_e32 v101, v64, v39
	v_fmac_f32_e32 v100, v63, v24
	v_add_f32_e32 v2, v2, v3
	v_add_f32_e32 v3, v11, v98
	v_mul_f32_e32 v102, v66, v41
	v_fmac_f32_e32 v101, v65, v38
	v_add_f32_e32 v3, v3, v100
	v_fmac_f32_e32 v102, v67, v40
	v_add_f32_e32 v3, v3, v101
	v_mul_f32_e32 v104, v70, v13
	v_add_f32_e32 v3, v3, v102
	s_waitcnt vmcnt(9) lgkmcnt(5)
	v_mul_f32_e32 v105, v72, v15
	v_fmac_f32_e32 v104, v71, v12
	v_add_f32_e32 v3, v3, v103
	v_mul_f32_e32 v106, v74, v17
	v_fmac_f32_e32 v105, v73, v14
	v_add_f32_e32 v3, v3, v104
	s_waitcnt vmcnt(8) lgkmcnt(4)
	v_mul_f32_e32 v107, v76, v27
	v_fmac_f32_e32 v106, v75, v16
	v_add_f32_e32 v3, v3, v105
	v_mul_f32_e32 v108, v78, v29
	v_mul_f32_e32 v23, v61, v23
	v_fmac_f32_e32 v107, v77, v26
	v_add_f32_e32 v3, v3, v106
	s_waitcnt vmcnt(7) lgkmcnt(3)
	v_mul_f32_e32 v109, v80, v31
	v_mul_f32_e32 v25, v63, v25
	v_fmac_f32_e32 v108, v79, v28
	v_fma_f32 v4, v60, v22, -v23
	v_add_f32_e32 v3, v3, v107
	v_mul_f32_e32 v110, v82, v33
	v_mul_f32_e32 v39, v65, v39
	v_fmac_f32_e32 v109, v81, v30
	v_fma_f32 v5, v62, v24, -v25
	v_add_f32_e32 v2, v2, v4
	v_add_f32_e32 v3, v3, v108
	s_waitcnt vmcnt(6) lgkmcnt(2)
	v_mul_f32_e32 v111, v84, v43
	v_mul_f32_e32 v41, v67, v41
	v_fmac_f32_e32 v110, v83, v32
	v_fma_f32 v22, v64, v38, -v39
	v_add_f32_e32 v2, v2, v5
	v_add_f32_e32 v3, v3, v109
	v_fmac_f32_e32 v111, v85, v42
	v_fma_f32 v23, v66, v40, -v41
	v_add_f32_e32 v2, v2, v22
	v_add_f32_e32 v3, v3, v110
	;; [unrolled: 1-line block ×4, first 2 shown]
	v_mul_f32_e32 v3, v71, v13
	v_add_f32_e32 v2, v2, v10
	v_fma_f32 v3, v70, v12, -v3
	v_add_f32_e32 v2, v2, v3
	v_mul_f32_e32 v3, v73, v15
	v_fma_f32 v3, v72, v14, -v3
	v_add_f32_e32 v2, v2, v3
	v_mul_f32_e32 v3, v75, v17
	;; [unrolled: 3-line block ×7, first 2 shown]
	v_fma_f32 v3, v84, v42, -v3
	v_mul_f32_e32 v97, v86, v45
	v_add_f32_e32 v22, v2, v3
	v_mul_f32_e32 v2, v87, v45
	v_fmac_f32_e32 v97, v87, v44
	v_fma_f32 v96, v86, v44, -v2
	v_pk_add_f32 v[16:17], v[22:23], v[96:97]
	s_waitcnt vmcnt(5)
	v_mov_b32_e32 v22, v49
	s_waitcnt lgkmcnt(1)
	v_mul_f32_e32 v99, v88, v47
	v_mul_f32_e32 v2, v89, v47
	v_pk_mul_f32 v[22:23], v[90:91], v[22:23] op_sel:[1,0] op_sel_hi:[0,0]
	v_fmac_f32_e32 v99, v89, v46
	v_fma_f32 v98, v88, v46, -v2
	v_pk_fma_f32 v[24:25], v[90:91], v[48:49], v[22:23] neg_lo:[0,0,1] neg_hi:[0,0,1]
	v_pk_fma_f32 v[22:23], v[90:91], v[48:49], v[22:23] op_sel_hi:[1,0,1]
	v_pk_add_f32 v[16:17], v[16:17], v[98:99]
	v_mov_b32_e32 v25, v23
	s_waitcnt vmcnt(4) lgkmcnt(0)
	v_pk_mul_f32 v[22:23], v[92:93], v[34:35] op_sel:[1,1] op_sel_hi:[0,1]
	v_pk_add_f32 v[16:17], v[16:17], v[24:25]
	v_pk_fma_f32 v[24:25], v[92:93], v[34:35], v[22:23] neg_lo:[0,0,1] neg_hi:[0,0,1]
	v_pk_fma_f32 v[22:23], v[92:93], v[34:35], v[22:23] op_sel_hi:[1,0,1]
	ds_read2_b64 v[2:5], v58 offset0:119 offset1:120
	ds_read2_b64 v[10:13], v58 offset0:121 offset1:122
	ds_read_b64 v[14:15], v58 offset:984
	v_mov_b32_e32 v22, v37
	v_mov_b32_e32 v25, v23
	v_pk_mul_f32 v[22:23], v[94:95], v[22:23] op_sel:[1,0] op_sel_hi:[0,0]
	v_pk_add_f32 v[16:17], v[16:17], v[24:25]
	v_pk_fma_f32 v[24:25], v[94:95], v[36:37], v[22:23] neg_lo:[0,0,1] neg_hi:[0,0,1]
	v_pk_fma_f32 v[22:23], v[94:95], v[36:37], v[22:23] op_sel_hi:[1,0,1]
	s_nop 0
	v_mov_b32_e32 v25, v23
	s_waitcnt vmcnt(3) lgkmcnt(2)
	v_pk_mul_f32 v[22:23], v[2:3], v[18:19] op_sel:[1,1] op_sel_hi:[0,1]
	v_pk_add_f32 v[16:17], v[16:17], v[24:25]
	v_pk_fma_f32 v[24:25], v[2:3], v[18:19], v[22:23] neg_lo:[0,0,1] neg_hi:[0,0,1]
	v_pk_fma_f32 v[2:3], v[2:3], v[18:19], v[22:23] op_sel_hi:[1,0,1]
	s_nop 0
	v_mov_b32_e32 v25, v3
	v_pk_add_f32 v[2:3], v[16:17], v[24:25]
	v_mov_b32_e32 v16, v21
	v_pk_mul_f32 v[16:17], v[4:5], v[16:17] op_sel:[1,0] op_sel_hi:[0,0]
	v_pk_fma_f32 v[18:19], v[4:5], v[20:21], v[16:17] neg_lo:[0,0,1] neg_hi:[0,0,1]
	v_pk_fma_f32 v[4:5], v[4:5], v[20:21], v[16:17] op_sel_hi:[1,0,1]
	s_nop 0
	v_mov_b32_e32 v19, v5
	s_waitcnt vmcnt(2) lgkmcnt(1)
	v_pk_mul_f32 v[4:5], v[10:11], v[6:7] op_sel:[1,1] op_sel_hi:[0,1]
	v_pk_fma_f32 v[16:17], v[10:11], v[6:7], v[4:5] neg_lo:[0,0,1] neg_hi:[0,0,1]
	v_pk_fma_f32 v[4:5], v[10:11], v[6:7], v[4:5] op_sel_hi:[1,0,1]
	v_pk_add_f32 v[2:3], v[2:3], v[18:19]
	v_mov_b32_e32 v4, v9
	v_mov_b32_e32 v17, v5
	v_pk_mul_f32 v[4:5], v[12:13], v[4:5] op_sel:[1,0] op_sel_hi:[0,0]
	v_pk_fma_f32 v[6:7], v[12:13], v[8:9], v[4:5] neg_lo:[0,0,1] neg_hi:[0,0,1]
	v_pk_fma_f32 v[4:5], v[12:13], v[8:9], v[4:5] op_sel_hi:[1,0,1]
	v_pk_add_f32 v[2:3], v[2:3], v[16:17]
	v_mov_b32_e32 v7, v5
	s_waitcnt vmcnt(1) lgkmcnt(0)
	v_pk_mul_f32 v[4:5], v[14:15], v[50:51] op_sel:[1,1] op_sel_hi:[0,1]
	v_pk_add_f32 v[2:3], v[2:3], v[6:7]
	v_pk_fma_f32 v[6:7], v[14:15], v[50:51], v[4:5] neg_lo:[0,0,1] neg_hi:[0,0,1]
	v_pk_fma_f32 v[4:5], v[14:15], v[50:51], v[4:5] op_sel_hi:[1,0,1]
	s_nop 0
	v_mov_b32_e32 v7, v5
	v_pk_add_f32 v[2:3], v[2:3], v[6:7]
	s_waitcnt vmcnt(0)
	v_pk_add_f32 v[2:3], v[56:57], v[2:3] neg_lo:[0,1] neg_hi:[0,1]
	scratch_store_dwordx2 off, v[2:3], off offset:288
	s_and_saveexec_b64 s[0:1], vcc
	s_cbranch_execz .LBB61_315
; %bb.314:
	scratch_load_dwordx2 v[2:3], off, off offset:280
	v_mov_b32_e32 v59, v58
	scratch_store_dwordx2 off, v[58:59], off offset:280
	s_waitcnt vmcnt(1)
	ds_write_b64 v1, v[2:3]
.LBB61_315:
	s_or_b64 exec, exec, s[0:1]
	s_waitcnt lgkmcnt(0)
	; wave barrier
	scratch_load_dwordx4 v[10:13], off, off offset:288
	scratch_load_dwordx4 v[26:29], off, off offset:304
	;; [unrolled: 1-line block ×9, first 2 shown]
	ds_read_b128 v[60:63], v58 offset:784
	ds_read_b128 v[64:67], v58 offset:800
	;; [unrolled: 1-line block ×8, first 2 shown]
	scratch_load_dwordx4 v[50:53], off, off offset:432
	scratch_load_dwordx4 v[34:37], off, off offset:448
	;; [unrolled: 1-line block ×4, first 2 shown]
	ds_read_b128 v[88:91], v58 offset:912
	ds_read_b128 v[92:95], v58 offset:928
	scratch_load_dwordx2 v[96:97], off, off offset:280
	v_cmp_lt_u32_e32 vcc, 34, v0
	s_waitcnt vmcnt(13) lgkmcnt(9)
	v_mul_f32_e32 v59, v60, v11
	v_mul_f32_e32 v98, v62, v13
	v_fmac_f32_e32 v59, v61, v10
	s_waitcnt vmcnt(10) lgkmcnt(6)
	v_mul_f32_e32 v105, v72, v3
	v_mul_f32_e32 v3, v73, v3
	;; [unrolled: 1-line block ×3, first 2 shown]
	v_fmac_f32_e32 v98, v63, v12
	v_fmac_f32_e32 v105, v73, v2
	v_fma_f32 v2, v72, v2, -v3
	v_add_f32_e32 v3, 0, v59
	v_mul_f32_e32 v102, v66, v29
	v_fmac_f32_e32 v100, v65, v26
	v_add_f32_e32 v3, v3, v98
	v_mul_f32_e32 v103, v68, v43
	v_fmac_f32_e32 v102, v67, v28
	v_add_f32_e32 v3, v3, v100
	v_mul_f32_e32 v104, v70, v45
	v_fmac_f32_e32 v103, v69, v42
	v_add_f32_e32 v3, v3, v102
	v_fmac_f32_e32 v104, v71, v44
	v_add_f32_e32 v3, v3, v103
	v_mul_f32_e32 v106, v74, v5
	v_add_f32_e32 v3, v3, v104
	s_waitcnt vmcnt(9) lgkmcnt(5)
	v_mul_f32_e32 v107, v76, v15
	v_fmac_f32_e32 v106, v75, v4
	v_add_f32_e32 v3, v3, v105
	v_mul_f32_e32 v108, v78, v17
	v_fmac_f32_e32 v107, v77, v14
	v_add_f32_e32 v3, v3, v106
	s_waitcnt vmcnt(8) lgkmcnt(4)
	v_mul_f32_e32 v109, v80, v19
	v_mul_f32_e32 v11, v61, v11
	v_fmac_f32_e32 v108, v79, v16
	v_add_f32_e32 v3, v3, v107
	v_mul_f32_e32 v110, v82, v21
	v_mul_f32_e32 v13, v63, v13
	v_fmac_f32_e32 v109, v81, v18
	v_fma_f32 v10, v60, v10, -v11
	v_add_f32_e32 v3, v3, v108
	s_waitcnt vmcnt(7) lgkmcnt(3)
	v_mul_f32_e32 v111, v84, v31
	v_mul_f32_e32 v27, v65, v27
	v_fmac_f32_e32 v110, v83, v20
	v_fma_f32 v11, v62, v12, -v13
	v_add_f32_e32 v10, 0, v10
	v_add_f32_e32 v3, v3, v109
	v_mul_f32_e32 v112, v86, v33
	v_mul_f32_e32 v29, v67, v29
	v_fmac_f32_e32 v111, v85, v30
	v_fma_f32 v12, v64, v26, -v27
	v_add_f32_e32 v10, v10, v11
	v_add_f32_e32 v3, v3, v110
	s_waitcnt vmcnt(6) lgkmcnt(2)
	v_mul_f32_e32 v113, v54, v39
	v_mul_f32_e32 v43, v69, v43
	v_fmac_f32_e32 v112, v87, v32
	v_fma_f32 v13, v66, v28, -v29
	v_add_f32_e32 v10, v10, v12
	v_add_f32_e32 v3, v3, v111
	v_mul_f32_e32 v114, v56, v41
	v_mul_f32_e32 v45, v71, v45
	v_fmac_f32_e32 v113, v55, v38
	v_fma_f32 v26, v68, v42, -v43
	v_add_f32_e32 v10, v10, v13
	v_add_f32_e32 v3, v3, v112
	v_fmac_f32_e32 v114, v57, v40
	v_fma_f32 v27, v70, v44, -v45
	v_add_f32_e32 v10, v10, v26
	v_add_f32_e32 v3, v3, v113
	;; [unrolled: 1-line block ×4, first 2 shown]
	v_mul_f32_e32 v3, v75, v5
	v_add_f32_e32 v2, v10, v2
	v_fma_f32 v3, v74, v4, -v3
	v_add_f32_e32 v2, v2, v3
	v_mul_f32_e32 v3, v77, v15
	v_fma_f32 v3, v76, v14, -v3
	v_add_f32_e32 v2, v2, v3
	v_mul_f32_e32 v3, v79, v17
	;; [unrolled: 3-line block ×8, first 2 shown]
	v_fma_f32 v3, v56, v40, -v3
	s_waitcnt vmcnt(5) lgkmcnt(1)
	v_mul_f32_e32 v99, v88, v47
	v_add_f32_e32 v26, v2, v3
	v_mul_f32_e32 v2, v89, v47
	v_fmac_f32_e32 v99, v89, v46
	v_fma_f32 v98, v88, v46, -v2
	s_waitcnt vmcnt(4) lgkmcnt(0)
	v_pk_mul_f32 v[20:21], v[92:93], v[50:51] op_sel:[1,1] op_sel_hi:[0,1]
	v_mul_f32_e32 v101, v90, v49
	v_mul_f32_e32 v2, v91, v49
	v_pk_add_f32 v[18:19], v[26:27], v[98:99]
	v_pk_fma_f32 v[26:27], v[92:93], v[50:51], v[20:21] neg_lo:[0,0,1] neg_hi:[0,0,1]
	v_pk_fma_f32 v[20:21], v[92:93], v[50:51], v[20:21] op_sel_hi:[1,0,1]
	v_fmac_f32_e32 v101, v91, v48
	v_fma_f32 v100, v90, v48, -v2
	ds_read_b128 v[2:5], v58 offset:944
	ds_read_b128 v[10:13], v58 offset:960
	;; [unrolled: 1-line block ×3, first 2 shown]
	v_mov_b32_e32 v20, v53
	v_pk_add_f32 v[18:19], v[18:19], v[100:101]
	v_mov_b32_e32 v27, v21
	v_pk_mul_f32 v[20:21], v[94:95], v[20:21] op_sel:[1,0] op_sel_hi:[0,0]
	v_pk_add_f32 v[18:19], v[18:19], v[26:27]
	v_pk_fma_f32 v[26:27], v[94:95], v[52:53], v[20:21] neg_lo:[0,0,1] neg_hi:[0,0,1]
	v_pk_fma_f32 v[20:21], v[94:95], v[52:53], v[20:21] op_sel_hi:[1,0,1]
	s_nop 0
	v_mov_b32_e32 v27, v21
	s_waitcnt vmcnt(3) lgkmcnt(2)
	v_pk_mul_f32 v[20:21], v[2:3], v[34:35] op_sel:[1,1] op_sel_hi:[0,1]
	v_pk_add_f32 v[18:19], v[18:19], v[26:27]
	v_pk_fma_f32 v[26:27], v[2:3], v[34:35], v[20:21] neg_lo:[0,0,1] neg_hi:[0,0,1]
	v_pk_fma_f32 v[2:3], v[2:3], v[34:35], v[20:21] op_sel_hi:[1,0,1]
	s_nop 0
	v_mov_b32_e32 v27, v3
	v_pk_add_f32 v[2:3], v[18:19], v[26:27]
	v_mov_b32_e32 v18, v37
	v_pk_mul_f32 v[18:19], v[4:5], v[18:19] op_sel:[1,0] op_sel_hi:[0,0]
	v_pk_fma_f32 v[20:21], v[4:5], v[36:37], v[18:19] neg_lo:[0,0,1] neg_hi:[0,0,1]
	v_pk_fma_f32 v[4:5], v[4:5], v[36:37], v[18:19] op_sel_hi:[1,0,1]
	s_nop 0
	v_mov_b32_e32 v21, v5
	s_waitcnt vmcnt(2) lgkmcnt(1)
	v_pk_mul_f32 v[4:5], v[10:11], v[22:23] op_sel:[1,1] op_sel_hi:[0,1]
	v_pk_fma_f32 v[18:19], v[10:11], v[22:23], v[4:5] neg_lo:[0,0,1] neg_hi:[0,0,1]
	v_pk_fma_f32 v[4:5], v[10:11], v[22:23], v[4:5] op_sel_hi:[1,0,1]
	v_pk_add_f32 v[2:3], v[2:3], v[20:21]
	v_mov_b32_e32 v4, v25
	v_mov_b32_e32 v19, v5
	v_pk_mul_f32 v[4:5], v[12:13], v[4:5] op_sel:[1,0] op_sel_hi:[0,0]
	v_pk_fma_f32 v[10:11], v[12:13], v[24:25], v[4:5] neg_lo:[0,0,1] neg_hi:[0,0,1]
	v_pk_fma_f32 v[4:5], v[12:13], v[24:25], v[4:5] op_sel_hi:[1,0,1]
	v_pk_add_f32 v[2:3], v[2:3], v[18:19]
	v_mov_b32_e32 v11, v5
	s_waitcnt vmcnt(1) lgkmcnt(0)
	v_pk_mul_f32 v[4:5], v[14:15], v[6:7] op_sel:[1,1] op_sel_hi:[0,1]
	v_pk_add_f32 v[2:3], v[2:3], v[10:11]
	v_pk_fma_f32 v[10:11], v[14:15], v[6:7], v[4:5] neg_lo:[0,0,1] neg_hi:[0,0,1]
	v_pk_fma_f32 v[4:5], v[14:15], v[6:7], v[4:5] op_sel_hi:[1,0,1]
	s_nop 0
	v_mov_b32_e32 v4, v9
	v_mov_b32_e32 v11, v5
	v_pk_mul_f32 v[4:5], v[16:17], v[4:5] op_sel:[1,0] op_sel_hi:[0,0]
	v_pk_fma_f32 v[6:7], v[16:17], v[8:9], v[4:5] neg_lo:[0,0,1] neg_hi:[0,0,1]
	v_pk_fma_f32 v[4:5], v[16:17], v[8:9], v[4:5] op_sel_hi:[1,0,1]
	v_pk_add_f32 v[2:3], v[2:3], v[10:11]
	v_mov_b32_e32 v7, v5
	v_pk_add_f32 v[2:3], v[2:3], v[6:7]
	s_waitcnt vmcnt(0)
	v_pk_add_f32 v[2:3], v[96:97], v[2:3] neg_lo:[0,1] neg_hi:[0,1]
	scratch_store_dwordx2 off, v[2:3], off offset:280
	s_and_saveexec_b64 s[0:1], vcc
	s_cbranch_execz .LBB61_317
; %bb.316:
	scratch_load_dwordx2 v[2:3], off, off offset:272
	v_mov_b32_e32 v4, 0
	v_mov_b32_e32 v5, v4
	scratch_store_dwordx2 off, v[4:5], off offset:272
	s_waitcnt vmcnt(1)
	ds_write_b64 v1, v[2:3]
.LBB61_317:
	s_or_b64 exec, exec, s[0:1]
	s_waitcnt lgkmcnt(0)
	; wave barrier
	scratch_load_dwordx4 v[10:13], off, off offset:280
	scratch_load_dwordx4 v[30:33], off, off offset:296
	;; [unrolled: 1-line block ×13, first 2 shown]
	scratch_load_dwordx2 v[54:55], off, off offset:488
	scratch_load_dwordx2 v[80:81], off, off offset:272
	v_mov_b32_e32 v82, 0
	ds_read2_b64 v[56:59], v82 offset0:97 offset1:98
	ds_read2_b64 v[60:63], v82 offset0:99 offset1:100
	;; [unrolled: 1-line block ×10, first 2 shown]
	v_cmp_lt_u32_e32 vcc, 33, v0
	s_waitcnt vmcnt(14) lgkmcnt(9)
	v_mul_f32_e32 v83, v56, v11
	v_mul_f32_e32 v100, v58, v13
	s_waitcnt vmcnt(12) lgkmcnt(7)
	v_mul_f32_e32 v105, v64, v3
	v_mul_f32_e32 v3, v65, v3
	v_fmac_f32_e32 v83, v57, v10
	v_mul_f32_e32 v102, v60, v31
	v_fmac_f32_e32 v100, v59, v12
	v_fmac_f32_e32 v105, v65, v2
	v_fma_f32 v2, v64, v2, -v3
	v_add_f32_e32 v3, 0, v83
	v_mul_f32_e32 v104, v62, v33
	v_fmac_f32_e32 v102, v61, v30
	v_add_f32_e32 v3, v3, v100
	v_fmac_f32_e32 v104, v63, v32
	v_add_f32_e32 v3, v3, v102
	v_mul_f32_e32 v106, v66, v5
	v_add_f32_e32 v3, v3, v104
	s_waitcnt vmcnt(11) lgkmcnt(6)
	v_mul_f32_e32 v107, v68, v7
	v_fmac_f32_e32 v106, v67, v4
	v_add_f32_e32 v3, v3, v105
	v_mul_f32_e32 v108, v70, v9
	v_fmac_f32_e32 v107, v69, v6
	v_add_f32_e32 v3, v3, v106
	s_waitcnt vmcnt(10) lgkmcnt(5)
	v_mul_f32_e32 v109, v72, v19
	v_fmac_f32_e32 v108, v71, v8
	v_add_f32_e32 v3, v3, v107
	v_mul_f32_e32 v110, v74, v21
	v_fmac_f32_e32 v109, v73, v18
	;; [unrolled: 7-line block ×3, first 2 shown]
	v_add_f32_e32 v3, v3, v110
	s_waitcnt vmcnt(8) lgkmcnt(3)
	v_mul_f32_e32 v113, v84, v35
	v_mul_f32_e32 v11, v57, v11
	v_fmac_f32_e32 v112, v79, v24
	v_add_f32_e32 v3, v3, v111
	v_mul_f32_e32 v114, v86, v37
	v_mul_f32_e32 v13, v59, v13
	v_fmac_f32_e32 v113, v85, v34
	v_fma_f32 v10, v56, v10, -v11
	v_add_f32_e32 v3, v3, v112
	s_waitcnt vmcnt(7) lgkmcnt(2)
	v_mul_f32_e32 v115, v88, v39
	v_mul_f32_e32 v31, v61, v31
	v_fmac_f32_e32 v114, v87, v36
	v_fma_f32 v11, v58, v12, -v13
	v_add_f32_e32 v10, 0, v10
	v_add_f32_e32 v3, v3, v113
	v_mul_f32_e32 v116, v90, v41
	v_mul_f32_e32 v33, v63, v33
	v_fmac_f32_e32 v115, v89, v38
	v_fma_f32 v12, v60, v30, -v31
	v_add_f32_e32 v10, v10, v11
	v_add_f32_e32 v3, v3, v114
	s_waitcnt vmcnt(6) lgkmcnt(1)
	v_mul_f32_e32 v117, v92, v51
	v_fmac_f32_e32 v116, v91, v40
	v_fma_f32 v13, v62, v32, -v33
	v_add_f32_e32 v10, v10, v12
	v_add_f32_e32 v3, v3, v115
	v_mul_f32_e32 v5, v67, v5
	v_fmac_f32_e32 v117, v93, v50
	v_add_f32_e32 v10, v10, v13
	v_add_f32_e32 v3, v3, v116
	;; [unrolled: 1-line block ×4, first 2 shown]
	v_fma_f32 v3, v66, v4, -v5
	v_add_f32_e32 v2, v2, v3
	v_mul_f32_e32 v3, v69, v7
	v_fma_f32 v3, v68, v6, -v3
	v_add_f32_e32 v2, v2, v3
	v_mul_f32_e32 v3, v71, v9
	;; [unrolled: 3-line block ×12, first 2 shown]
	v_mul_f32_e32 v101, v94, v53
	v_fma_f32 v100, v94, v52, -v2
	s_waitcnt vmcnt(5) lgkmcnt(0)
	v_mul_f32_e32 v2, v97, v47
	v_mov_b32_e32 v22, v49
	v_mul_f32_e32 v103, v96, v47
	v_fmac_f32_e32 v101, v95, v52
	v_fma_f32 v102, v96, v46, -v2
	ds_read2_b64 v[2:5], v82 offset0:117 offset1:118
	ds_read2_b64 v[6:9], v82 offset0:119 offset1:120
	;; [unrolled: 1-line block ×3, first 2 shown]
	ds_read_b64 v[18:19], v82 offset:984
	v_pk_mul_f32 v[22:23], v[98:99], v[22:23] op_sel:[1,0] op_sel_hi:[0,0]
	v_fmac_f32_e32 v103, v97, v46
	v_pk_add_f32 v[20:21], v[30:31], v[100:101]
	v_pk_fma_f32 v[24:25], v[98:99], v[48:49], v[22:23] neg_lo:[0,0,1] neg_hi:[0,0,1]
	v_pk_fma_f32 v[22:23], v[98:99], v[48:49], v[22:23] op_sel_hi:[1,0,1]
	v_pk_add_f32 v[20:21], v[20:21], v[102:103]
	v_mov_b32_e32 v25, v23
	s_waitcnt vmcnt(4) lgkmcnt(3)
	v_pk_mul_f32 v[22:23], v[2:3], v[42:43] op_sel:[1,1] op_sel_hi:[0,1]
	v_pk_add_f32 v[20:21], v[20:21], v[24:25]
	v_pk_fma_f32 v[24:25], v[2:3], v[42:43], v[22:23] neg_lo:[0,0,1] neg_hi:[0,0,1]
	v_pk_fma_f32 v[2:3], v[2:3], v[42:43], v[22:23] op_sel_hi:[1,0,1]
	s_nop 0
	v_mov_b32_e32 v25, v3
	v_pk_add_f32 v[2:3], v[20:21], v[24:25]
	v_mov_b32_e32 v20, v45
	v_pk_mul_f32 v[20:21], v[4:5], v[20:21] op_sel:[1,0] op_sel_hi:[0,0]
	v_pk_fma_f32 v[22:23], v[4:5], v[44:45], v[20:21] neg_lo:[0,0,1] neg_hi:[0,0,1]
	v_pk_fma_f32 v[4:5], v[4:5], v[44:45], v[20:21] op_sel_hi:[1,0,1]
	s_nop 0
	v_mov_b32_e32 v23, v5
	s_waitcnt vmcnt(3) lgkmcnt(2)
	v_pk_mul_f32 v[4:5], v[6:7], v[26:27] op_sel:[1,1] op_sel_hi:[0,1]
	v_pk_fma_f32 v[20:21], v[6:7], v[26:27], v[4:5] neg_lo:[0,0,1] neg_hi:[0,0,1]
	v_pk_fma_f32 v[4:5], v[6:7], v[26:27], v[4:5] op_sel_hi:[1,0,1]
	v_pk_add_f32 v[2:3], v[2:3], v[22:23]
	v_mov_b32_e32 v4, v29
	v_mov_b32_e32 v21, v5
	v_pk_mul_f32 v[4:5], v[8:9], v[4:5] op_sel:[1,0] op_sel_hi:[0,0]
	v_pk_fma_f32 v[6:7], v[8:9], v[28:29], v[4:5] neg_lo:[0,0,1] neg_hi:[0,0,1]
	v_pk_fma_f32 v[4:5], v[8:9], v[28:29], v[4:5] op_sel_hi:[1,0,1]
	v_pk_add_f32 v[2:3], v[2:3], v[20:21]
	v_mov_b32_e32 v7, v5
	s_waitcnt vmcnt(2) lgkmcnt(1)
	v_pk_mul_f32 v[4:5], v[10:11], v[14:15] op_sel:[1,1] op_sel_hi:[0,1]
	v_pk_add_f32 v[2:3], v[2:3], v[6:7]
	v_pk_fma_f32 v[6:7], v[10:11], v[14:15], v[4:5] neg_lo:[0,0,1] neg_hi:[0,0,1]
	v_pk_fma_f32 v[4:5], v[10:11], v[14:15], v[4:5] op_sel_hi:[1,0,1]
	s_nop 0
	v_mov_b32_e32 v4, v17
	v_mov_b32_e32 v7, v5
	v_pk_mul_f32 v[4:5], v[12:13], v[4:5] op_sel:[1,0] op_sel_hi:[0,0]
	v_pk_add_f32 v[2:3], v[2:3], v[6:7]
	v_pk_fma_f32 v[6:7], v[12:13], v[16:17], v[4:5] neg_lo:[0,0,1] neg_hi:[0,0,1]
	v_pk_fma_f32 v[4:5], v[12:13], v[16:17], v[4:5] op_sel_hi:[1,0,1]
	s_nop 0
	v_mov_b32_e32 v7, v5
	s_waitcnt vmcnt(1) lgkmcnt(0)
	v_pk_mul_f32 v[4:5], v[18:19], v[54:55] op_sel:[1,1] op_sel_hi:[0,1]
	v_pk_add_f32 v[2:3], v[2:3], v[6:7]
	v_pk_fma_f32 v[6:7], v[18:19], v[54:55], v[4:5] neg_lo:[0,0,1] neg_hi:[0,0,1]
	v_pk_fma_f32 v[4:5], v[18:19], v[54:55], v[4:5] op_sel_hi:[1,0,1]
	s_nop 0
	v_mov_b32_e32 v7, v5
	v_pk_add_f32 v[2:3], v[2:3], v[6:7]
	s_waitcnt vmcnt(0)
	v_pk_add_f32 v[2:3], v[80:81], v[2:3] neg_lo:[0,1] neg_hi:[0,1]
	scratch_store_dwordx2 off, v[2:3], off offset:272
	s_and_saveexec_b64 s[0:1], vcc
	s_cbranch_execz .LBB61_319
; %bb.318:
	scratch_load_dwordx2 v[2:3], off, off offset:264
	v_mov_b32_e32 v83, v82
	scratch_store_dwordx2 off, v[82:83], off offset:264
	s_waitcnt vmcnt(1)
	ds_write_b64 v1, v[2:3]
.LBB61_319:
	s_or_b64 exec, exec, s[0:1]
	s_waitcnt lgkmcnt(0)
	; wave barrier
	scratch_load_dwordx4 v[18:21], off, off offset:272
	scratch_load_dwordx4 v[34:37], off, off offset:288
	;; [unrolled: 1-line block ×10, first 2 shown]
	ds_read_b128 v[84:87], v82 offset:768
	ds_read_b128 v[88:91], v82 offset:784
	;; [unrolled: 1-line block ×10, first 2 shown]
	scratch_load_dwordx4 v[54:57], off, off offset:432
	scratch_load_dwordx4 v[46:49], off, off offset:448
	;; [unrolled: 1-line block ×4, first 2 shown]
	scratch_load_dwordx2 v[100:101], off, off offset:264
	v_cmp_lt_u32_e32 vcc, 32, v0
	s_waitcnt vmcnt(14) lgkmcnt(9)
	v_mul_f32_e32 v83, v84, v19
	v_mul_f32_e32 v102, v86, v21
	s_waitcnt vmcnt(12) lgkmcnt(7)
	v_mul_f32_e32 v107, v92, v3
	v_mul_f32_e32 v3, v93, v3
	v_fmac_f32_e32 v83, v85, v18
	v_mul_f32_e32 v104, v88, v35
	v_fmac_f32_e32 v102, v87, v20
	v_fmac_f32_e32 v107, v93, v2
	v_fma_f32 v2, v92, v2, -v3
	v_add_f32_e32 v3, 0, v83
	v_mul_f32_e32 v106, v90, v37
	v_fmac_f32_e32 v104, v89, v34
	v_add_f32_e32 v3, v3, v102
	v_fmac_f32_e32 v106, v91, v36
	v_add_f32_e32 v3, v3, v104
	v_mul_f32_e32 v108, v94, v5
	v_add_f32_e32 v3, v3, v106
	s_waitcnt vmcnt(11) lgkmcnt(6)
	v_mul_f32_e32 v109, v96, v7
	v_fmac_f32_e32 v108, v95, v4
	v_add_f32_e32 v3, v3, v107
	v_mul_f32_e32 v110, v98, v9
	v_fmac_f32_e32 v109, v97, v6
	v_add_f32_e32 v3, v3, v108
	s_waitcnt vmcnt(10) lgkmcnt(5)
	v_mul_f32_e32 v111, v78, v11
	v_fmac_f32_e32 v110, v99, v8
	v_add_f32_e32 v3, v3, v109
	v_mul_f32_e32 v112, v80, v13
	v_fmac_f32_e32 v111, v79, v10
	;; [unrolled: 7-line block ×4, first 2 shown]
	v_add_f32_e32 v3, v3, v114
	s_waitcnt vmcnt(7) lgkmcnt(2)
	v_mul_f32_e32 v117, v66, v39
	v_mul_f32_e32 v19, v85, v19
	v_fmac_f32_e32 v116, v73, v28
	v_add_f32_e32 v3, v3, v115
	v_mul_f32_e32 v118, v68, v41
	v_mul_f32_e32 v21, v87, v21
	v_fmac_f32_e32 v117, v67, v38
	v_fma_f32 v18, v84, v18, -v19
	v_add_f32_e32 v3, v3, v116
	s_waitcnt vmcnt(6) lgkmcnt(1)
	v_mul_f32_e32 v119, v62, v43
	v_mul_f32_e32 v35, v89, v35
	v_fmac_f32_e32 v118, v69, v40
	v_fma_f32 v19, v86, v20, -v21
	v_add_f32_e32 v18, 0, v18
	v_add_f32_e32 v3, v3, v117
	v_mul_f32_e32 v120, v64, v45
	v_mul_f32_e32 v37, v91, v37
	v_fmac_f32_e32 v119, v63, v42
	v_fma_f32 v20, v88, v34, -v35
	v_add_f32_e32 v18, v18, v19
	v_add_f32_e32 v3, v3, v118
	v_fmac_f32_e32 v120, v65, v44
	v_fma_f32 v21, v90, v36, -v37
	v_add_f32_e32 v18, v18, v20
	v_add_f32_e32 v3, v3, v119
	;; [unrolled: 1-line block ×4, first 2 shown]
	v_mul_f32_e32 v3, v95, v5
	v_add_f32_e32 v2, v18, v2
	v_fma_f32 v3, v94, v4, -v3
	v_add_f32_e32 v2, v2, v3
	v_mul_f32_e32 v3, v97, v7
	v_fma_f32 v3, v96, v6, -v3
	v_add_f32_e32 v2, v2, v3
	v_mul_f32_e32 v3, v99, v9
	;; [unrolled: 3-line block ×12, first 2 shown]
	v_fma_f32 v3, v64, v44, -v3
	v_add_f32_e32 v34, v2, v3
	s_waitcnt vmcnt(5) lgkmcnt(0)
	v_mul_f32_e32 v2, v59, v51
	v_fma_f32 v102, v58, v50, -v2
	v_mul_f32_e32 v2, v61, v53
	v_fma_f32 v104, v60, v52, -v2
	ds_read_b128 v[2:5], v82 offset:928
	ds_read_b128 v[6:9], v82 offset:944
	;; [unrolled: 1-line block ×4, first 2 shown]
	v_mul_f32_e32 v103, v58, v51
	v_mul_f32_e32 v105, v60, v53
	v_fmac_f32_e32 v103, v59, v50
	s_waitcnt vmcnt(4) lgkmcnt(3)
	v_pk_mul_f32 v[24:25], v[2:3], v[54:55] op_sel:[1,1] op_sel_hi:[0,1]
	v_fmac_f32_e32 v105, v61, v52
	v_pk_add_f32 v[22:23], v[34:35], v[102:103]
	v_pk_fma_f32 v[26:27], v[2:3], v[54:55], v[24:25] neg_lo:[0,0,1] neg_hi:[0,0,1]
	v_pk_fma_f32 v[2:3], v[2:3], v[54:55], v[24:25] op_sel_hi:[1,0,1]
	v_pk_add_f32 v[22:23], v[22:23], v[104:105]
	v_mov_b32_e32 v27, v3
	v_pk_add_f32 v[2:3], v[22:23], v[26:27]
	v_mov_b32_e32 v22, v57
	v_pk_mul_f32 v[22:23], v[4:5], v[22:23] op_sel:[1,0] op_sel_hi:[0,0]
	v_pk_fma_f32 v[24:25], v[4:5], v[56:57], v[22:23] neg_lo:[0,0,1] neg_hi:[0,0,1]
	v_pk_fma_f32 v[4:5], v[4:5], v[56:57], v[22:23] op_sel_hi:[1,0,1]
	s_nop 0
	v_mov_b32_e32 v25, v5
	s_waitcnt vmcnt(3) lgkmcnt(2)
	v_pk_mul_f32 v[4:5], v[6:7], v[46:47] op_sel:[1,1] op_sel_hi:[0,1]
	v_pk_fma_f32 v[22:23], v[6:7], v[46:47], v[4:5] neg_lo:[0,0,1] neg_hi:[0,0,1]
	v_pk_fma_f32 v[4:5], v[6:7], v[46:47], v[4:5] op_sel_hi:[1,0,1]
	v_pk_add_f32 v[2:3], v[2:3], v[24:25]
	v_mov_b32_e32 v4, v49
	v_mov_b32_e32 v23, v5
	v_pk_mul_f32 v[4:5], v[8:9], v[4:5] op_sel:[1,0] op_sel_hi:[0,0]
	v_pk_fma_f32 v[6:7], v[8:9], v[48:49], v[4:5] neg_lo:[0,0,1] neg_hi:[0,0,1]
	v_pk_fma_f32 v[4:5], v[8:9], v[48:49], v[4:5] op_sel_hi:[1,0,1]
	v_pk_add_f32 v[2:3], v[2:3], v[22:23]
	v_mov_b32_e32 v7, v5
	s_waitcnt vmcnt(2) lgkmcnt(1)
	v_pk_mul_f32 v[4:5], v[10:11], v[30:31] op_sel:[1,1] op_sel_hi:[0,1]
	v_pk_add_f32 v[2:3], v[2:3], v[6:7]
	v_pk_fma_f32 v[6:7], v[10:11], v[30:31], v[4:5] neg_lo:[0,0,1] neg_hi:[0,0,1]
	v_pk_fma_f32 v[4:5], v[10:11], v[30:31], v[4:5] op_sel_hi:[1,0,1]
	s_nop 0
	v_mov_b32_e32 v4, v33
	v_mov_b32_e32 v7, v5
	v_pk_mul_f32 v[4:5], v[12:13], v[4:5] op_sel:[1,0] op_sel_hi:[0,0]
	v_pk_add_f32 v[2:3], v[2:3], v[6:7]
	v_pk_fma_f32 v[6:7], v[12:13], v[32:33], v[4:5] neg_lo:[0,0,1] neg_hi:[0,0,1]
	v_pk_fma_f32 v[4:5], v[12:13], v[32:33], v[4:5] op_sel_hi:[1,0,1]
	s_nop 0
	v_mov_b32_e32 v7, v5
	s_waitcnt vmcnt(1) lgkmcnt(0)
	v_pk_mul_f32 v[4:5], v[18:19], v[14:15] op_sel:[1,1] op_sel_hi:[0,1]
	v_pk_add_f32 v[2:3], v[2:3], v[6:7]
	v_pk_fma_f32 v[6:7], v[18:19], v[14:15], v[4:5] neg_lo:[0,0,1] neg_hi:[0,0,1]
	v_pk_fma_f32 v[4:5], v[18:19], v[14:15], v[4:5] op_sel_hi:[1,0,1]
	s_nop 0
	v_mov_b32_e32 v4, v17
	v_mov_b32_e32 v7, v5
	v_pk_mul_f32 v[4:5], v[20:21], v[4:5] op_sel:[1,0] op_sel_hi:[0,0]
	v_pk_add_f32 v[2:3], v[2:3], v[6:7]
	v_pk_fma_f32 v[6:7], v[20:21], v[16:17], v[4:5] neg_lo:[0,0,1] neg_hi:[0,0,1]
	v_pk_fma_f32 v[4:5], v[20:21], v[16:17], v[4:5] op_sel_hi:[1,0,1]
	s_nop 0
	v_mov_b32_e32 v7, v5
	v_pk_add_f32 v[2:3], v[2:3], v[6:7]
	s_waitcnt vmcnt(0)
	v_pk_add_f32 v[2:3], v[100:101], v[2:3] neg_lo:[0,1] neg_hi:[0,1]
	scratch_store_dwordx2 off, v[2:3], off offset:264
	s_and_saveexec_b64 s[0:1], vcc
	s_cbranch_execz .LBB61_321
; %bb.320:
	scratch_load_dwordx2 v[2:3], off, off offset:256
	v_mov_b32_e32 v4, 0
	v_mov_b32_e32 v5, v4
	scratch_store_dwordx2 off, v[4:5], off offset:256
	s_waitcnt vmcnt(1)
	ds_write_b64 v1, v[2:3]
.LBB61_321:
	s_or_b64 exec, exec, s[0:1]
	s_waitcnt lgkmcnt(0)
	; wave barrier
	scratch_load_dwordx4 v[72:75], off, off offset:264
	scratch_load_dwordx4 v[76:79], off, off offset:280
	;; [unrolled: 1-line block ×14, first 2 shown]
	scratch_load_dwordx2 v[62:63], off, off offset:488
	v_mov_b32_e32 v70, 0
	ds_read2_b64 v[92:95], v70 offset0:95 offset1:96
	ds_read2_b64 v[96:99], v70 offset0:97 offset1:98
	ds_read2_b64 v[100:103], v70 offset0:99 offset1:100
	ds_read2_b64 v[104:107], v70 offset0:101 offset1:102
	ds_read2_b64 v[108:111], v70 offset0:103 offset1:104
	ds_read2_b64 v[58:61], v70 offset0:105 offset1:106
	ds_read2_b64 v[54:57], v70 offset0:107 offset1:108
	ds_read2_b64 v[50:53], v70 offset0:109 offset1:110
	ds_read2_b64 v[46:49], v70 offset0:111 offset1:112
	ds_read2_b64 v[42:45], v70 offset0:113 offset1:114
	ds_read2_b64 v[18:21], v70 offset0:115 offset1:116
	v_cmp_lt_u32_e32 vcc, 31, v0
	s_waitcnt vmcnt(14) lgkmcnt(10)
	v_mul_f32_e32 v64, v92, v73
	v_mul_f32_e32 v66, v94, v75
	v_fmac_f32_e32 v64, v93, v72
	s_waitcnt vmcnt(13) lgkmcnt(9)
	v_mul_f32_e32 v68, v96, v77
	v_fmac_f32_e32 v66, v95, v74
	s_waitcnt vmcnt(9) lgkmcnt(5)
	v_mul_f32_e32 v117, v58, v23
	v_mul_f32_e32 v23, v59, v23
	v_fmac_f32_e32 v117, v59, v22
	v_fma_f32 v58, v58, v22, -v23
	scratch_load_dwordx2 v[22:23], off, off offset:256
	v_add_f32_e32 v64, 0, v64
	v_mul_f32_e32 v69, v98, v79
	v_fmac_f32_e32 v68, v97, v76
	v_add_f32_e32 v64, v64, v66
	v_mul_f32_e32 v71, v100, v81
	v_fmac_f32_e32 v69, v99, v78
	;; [unrolled: 3-line block ×7, first 2 shown]
	v_add_f32_e32 v64, v64, v114
	v_fmac_f32_e32 v116, v111, v90
	v_add_f32_e32 v64, v64, v115
	v_mul_f32_e32 v118, v60, v25
	v_add_f32_e32 v64, v64, v116
	s_waitcnt vmcnt(9) lgkmcnt(4)
	v_mul_f32_e32 v119, v54, v27
	v_fmac_f32_e32 v118, v61, v24
	v_add_f32_e32 v64, v64, v117
	v_mul_f32_e32 v120, v56, v29
	v_fmac_f32_e32 v119, v55, v26
	v_add_f32_e32 v64, v64, v118
	s_waitcnt vmcnt(8) lgkmcnt(3)
	v_mul_f32_e32 v121, v50, v31
	v_fmac_f32_e32 v120, v57, v28
	v_add_f32_e32 v64, v64, v119
	v_mul_f32_e32 v122, v52, v33
	v_mul_f32_e32 v73, v93, v73
	v_fmac_f32_e32 v121, v51, v30
	v_add_f32_e32 v64, v64, v120
	s_waitcnt vmcnt(7) lgkmcnt(2)
	v_mul_f32_e32 v123, v46, v35
	v_mul_f32_e32 v75, v95, v75
	v_fmac_f32_e32 v122, v53, v32
	v_fma_f32 v72, v92, v72, -v73
	v_add_f32_e32 v64, v64, v121
	v_mul_f32_e32 v124, v48, v37
	v_mul_f32_e32 v77, v97, v77
	v_fmac_f32_e32 v123, v47, v34
	v_fma_f32 v73, v94, v74, -v75
	v_add_f32_e32 v72, 0, v72
	v_add_f32_e32 v64, v64, v122
	s_waitcnt vmcnt(6) lgkmcnt(1)
	v_mul_f32_e32 v125, v42, v39
	v_mul_f32_e32 v79, v99, v79
	v_fmac_f32_e32 v124, v49, v36
	v_fma_f32 v74, v96, v76, -v77
	v_add_f32_e32 v66, v72, v73
	v_add_f32_e32 v64, v64, v123
	v_fmac_f32_e32 v125, v43, v38
	v_fma_f32 v75, v98, v78, -v79
	v_add_f32_e32 v66, v66, v74
	v_add_f32_e32 v64, v64, v124
	;; [unrolled: 1-line block ×4, first 2 shown]
	v_mul_f32_e32 v66, v101, v81
	v_fma_f32 v66, v100, v80, -v66
	v_add_f32_e32 v64, v64, v66
	v_mul_f32_e32 v66, v103, v83
	v_fma_f32 v66, v102, v82, -v66
	v_add_f32_e32 v64, v64, v66
	;; [unrolled: 3-line block ×6, first 2 shown]
	v_mul_f32_e32 v25, v61, v25
	v_add_f32_e32 v58, v64, v58
	v_fma_f32 v24, v60, v24, -v25
	v_mul_f32_e32 v25, v55, v27
	v_add_f32_e32 v24, v58, v24
	v_fma_f32 v25, v54, v26, -v25
	v_add_f32_e32 v24, v24, v25
	v_mul_f32_e32 v25, v57, v29
	v_fma_f32 v25, v56, v28, -v25
	v_add_f32_e32 v24, v24, v25
	v_mul_f32_e32 v25, v51, v31
	;; [unrolled: 3-line block ×6, first 2 shown]
	v_fma_f32 v25, v42, v38, -v25
	v_mul_f32_e32 v67, v44, v41
	v_add_f32_e32 v68, v24, v25
	v_mul_f32_e32 v24, v45, v41
	s_waitcnt vmcnt(5)
	v_mov_b32_e32 v36, v13
	s_waitcnt lgkmcnt(0)
	v_mul_f32_e32 v65, v18, v11
	v_fmac_f32_e32 v67, v45, v40
	v_fma_f32 v66, v44, v40, -v24
	v_mul_f32_e32 v11, v19, v11
	v_pk_mul_f32 v[36:37], v[20:21], v[36:37] op_sel:[1,0] op_sel_hi:[0,0]
	v_fmac_f32_e32 v65, v19, v10
	v_fma_f32 v64, v18, v10, -v11
	ds_read2_b64 v[24:27], v70 offset0:117 offset1:118
	ds_read2_b64 v[28:31], v70 offset0:119 offset1:120
	;; [unrolled: 1-line block ×3, first 2 shown]
	ds_read_b64 v[10:11], v70 offset:984
	v_pk_add_f32 v[18:19], v[68:69], v[66:67]
	v_pk_fma_f32 v[38:39], v[20:21], v[12:13], v[36:37] neg_lo:[0,0,1] neg_hi:[0,0,1]
	v_pk_fma_f32 v[12:13], v[20:21], v[12:13], v[36:37] op_sel_hi:[1,0,1]
	v_pk_add_f32 v[18:19], v[18:19], v[64:65]
	v_mov_b32_e32 v39, v13
	v_pk_add_f32 v[12:13], v[18:19], v[38:39]
	s_waitcnt vmcnt(4) lgkmcnt(3)
	v_pk_mul_f32 v[18:19], v[24:25], v[14:15] op_sel:[1,1] op_sel_hi:[0,1]
	v_pk_fma_f32 v[20:21], v[24:25], v[14:15], v[18:19] neg_lo:[0,0,1] neg_hi:[0,0,1]
	v_pk_fma_f32 v[14:15], v[24:25], v[14:15], v[18:19] op_sel_hi:[1,0,1]
	s_nop 0
	v_mov_b32_e32 v14, v17
	v_mov_b32_e32 v21, v15
	v_pk_mul_f32 v[14:15], v[26:27], v[14:15] op_sel:[1,0] op_sel_hi:[0,0]
	v_pk_fma_f32 v[18:19], v[26:27], v[16:17], v[14:15] neg_lo:[0,0,1] neg_hi:[0,0,1]
	v_pk_fma_f32 v[14:15], v[26:27], v[16:17], v[14:15] op_sel_hi:[1,0,1]
	v_pk_add_f32 v[12:13], v[12:13], v[20:21]
	v_mov_b32_e32 v19, v15
	s_waitcnt vmcnt(3) lgkmcnt(2)
	v_pk_mul_f32 v[14:15], v[28:29], v[6:7] op_sel:[1,1] op_sel_hi:[0,1]
	v_pk_fma_f32 v[16:17], v[28:29], v[6:7], v[14:15] neg_lo:[0,0,1] neg_hi:[0,0,1]
	v_pk_fma_f32 v[6:7], v[28:29], v[6:7], v[14:15] op_sel_hi:[1,0,1]
	v_pk_add_f32 v[12:13], v[12:13], v[18:19]
	v_mov_b32_e32 v17, v7
	v_pk_add_f32 v[6:7], v[12:13], v[16:17]
	v_mov_b32_e32 v12, v9
	v_pk_mul_f32 v[12:13], v[30:31], v[12:13] op_sel:[1,0] op_sel_hi:[0,0]
	v_pk_fma_f32 v[14:15], v[30:31], v[8:9], v[12:13] neg_lo:[0,0,1] neg_hi:[0,0,1]
	v_pk_fma_f32 v[8:9], v[30:31], v[8:9], v[12:13] op_sel_hi:[1,0,1]
	s_nop 0
	v_mov_b32_e32 v15, v9
	s_waitcnt vmcnt(2) lgkmcnt(1)
	v_pk_mul_f32 v[8:9], v[32:33], v[2:3] op_sel:[1,1] op_sel_hi:[0,1]
	v_pk_fma_f32 v[12:13], v[32:33], v[2:3], v[8:9] neg_lo:[0,0,1] neg_hi:[0,0,1]
	v_pk_fma_f32 v[2:3], v[32:33], v[2:3], v[8:9] op_sel_hi:[1,0,1]
	v_pk_add_f32 v[6:7], v[6:7], v[14:15]
	v_mov_b32_e32 v13, v3
	v_pk_add_f32 v[2:3], v[6:7], v[12:13]
	v_mov_b32_e32 v6, v5
	v_pk_mul_f32 v[6:7], v[34:35], v[6:7] op_sel:[1,0] op_sel_hi:[0,0]
	v_pk_fma_f32 v[8:9], v[34:35], v[4:5], v[6:7] neg_lo:[0,0,1] neg_hi:[0,0,1]
	v_pk_fma_f32 v[4:5], v[34:35], v[4:5], v[6:7] op_sel_hi:[1,0,1]
	s_nop 0
	v_mov_b32_e32 v9, v5
	s_waitcnt vmcnt(1) lgkmcnt(0)
	v_pk_mul_f32 v[4:5], v[10:11], v[62:63] op_sel:[1,1] op_sel_hi:[0,1]
	v_pk_fma_f32 v[6:7], v[10:11], v[62:63], v[4:5] neg_lo:[0,0,1] neg_hi:[0,0,1]
	v_pk_fma_f32 v[4:5], v[10:11], v[62:63], v[4:5] op_sel_hi:[1,0,1]
	v_pk_add_f32 v[2:3], v[2:3], v[8:9]
	v_mov_b32_e32 v7, v5
	v_pk_add_f32 v[2:3], v[2:3], v[6:7]
	s_waitcnt vmcnt(0)
	v_pk_add_f32 v[2:3], v[22:23], v[2:3] neg_lo:[0,1] neg_hi:[0,1]
	scratch_store_dwordx2 off, v[2:3], off offset:256
	s_and_saveexec_b64 s[0:1], vcc
	s_cbranch_execz .LBB61_323
; %bb.322:
	scratch_load_dwordx2 v[2:3], off, off offset:248
	v_mov_b32_e32 v71, v70
	scratch_store_dwordx2 off, v[70:71], off offset:248
	s_waitcnt vmcnt(1)
	ds_write_b64 v1, v[2:3]
.LBB61_323:
	s_or_b64 exec, exec, s[0:1]
	s_waitcnt lgkmcnt(0)
	; wave barrier
	scratch_load_dwordx4 v[66:69], off, off offset:256
	scratch_load_dwordx4 v[58:61], off, off offset:272
	;; [unrolled: 1-line block ×11, first 2 shown]
	ds_read_b128 v[88:91], v70 offset:752
	ds_read_b128 v[92:95], v70 offset:768
	;; [unrolled: 1-line block ×11, first 2 shown]
	scratch_load_dwordx4 v[14:17], off, off offset:432
	scratch_load_dwordx4 v[10:13], off, off offset:448
	;; [unrolled: 1-line block ×4, first 2 shown]
	v_cmp_lt_u32_e32 vcc, 30, v0
	s_waitcnt vmcnt(14) lgkmcnt(10)
	v_mul_f32_e32 v71, v88, v67
	v_mul_f32_e32 v67, v89, v67
	;; [unrolled: 1-line block ×4, first 2 shown]
	v_fmac_f32_e32 v71, v89, v66
	v_fma_f32 v66, v88, v66, -v67
	s_waitcnt vmcnt(13) lgkmcnt(9)
	v_mul_f32_e32 v74, v92, v59
	v_mul_f32_e32 v59, v93, v59
	v_fma_f32 v67, v90, v68, -v69
	v_add_f32_e32 v66, 0, v66
	v_mul_f32_e32 v112, v94, v61
	v_mul_f32_e32 v61, v95, v61
	v_fmac_f32_e32 v74, v93, v58
	v_fma_f32 v58, v92, v58, -v59
	v_add_f32_e32 v66, v66, v67
	v_fmac_f32_e32 v112, v95, v60
	v_add_f32_e32 v58, v66, v58
	v_fma_f32 v60, v94, v60, -v61
	v_add_f32_e32 v58, v58, v60
	s_waitcnt vmcnt(12) lgkmcnt(8)
	v_mul_f32_e32 v60, v97, v63
	v_fma_f32 v60, v96, v62, -v60
	v_add_f32_e32 v58, v58, v60
	v_mul_f32_e32 v60, v99, v65
	v_fma_f32 v60, v98, v64, -v60
	v_add_f32_e32 v58, v58, v60
	s_waitcnt vmcnt(11) lgkmcnt(7)
	v_mul_f32_e32 v60, v101, v77
	v_fma_f32 v60, v100, v76, -v60
	v_add_f32_e32 v58, v58, v60
	v_mul_f32_e32 v60, v103, v79
	;; [unrolled: 7-line block ×3, first 2 shown]
	v_fma_f32 v60, v106, v82, -v60
	v_add_f32_e32 v58, v58, v60
	s_waitcnt vmcnt(9) lgkmcnt(5)
	v_mul_f32_e32 v60, v109, v85
	v_fma_f32 v60, v108, v84, -v60
	v_mul_f32_e32 v113, v96, v63
	v_add_f32_e32 v58, v58, v60
	v_mul_f32_e32 v60, v111, v87
	v_fmac_f32_e32 v113, v97, v62
	v_fma_f32 v62, v110, v86, -v60
	scratch_load_dwordx2 v[60:61], off, off offset:248
	s_waitcnt vmcnt(9) lgkmcnt(4)
	v_mul_f32_e32 v121, v54, v19
	v_fmac_f32_e32 v72, v91, v68
	v_add_f32_e32 v59, 0, v71
	v_mul_f32_e32 v19, v55, v19
	v_fmac_f32_e32 v121, v55, v18
	v_add_f32_e32 v59, v59, v72
	v_add_f32_e32 v58, v58, v62
	v_fma_f32 v18, v54, v18, -v19
	v_mul_f32_e32 v19, v57, v21
	v_add_f32_e32 v59, v59, v74
	v_add_f32_e32 v18, v58, v18
	v_fma_f32 v19, v56, v20, -v19
	v_mul_f32_e32 v114, v98, v65
	v_add_f32_e32 v59, v59, v112
	v_add_f32_e32 v18, v18, v19
	s_waitcnt vmcnt(8) lgkmcnt(3)
	v_mul_f32_e32 v19, v51, v23
	v_mul_f32_e32 v115, v100, v77
	v_fmac_f32_e32 v114, v99, v64
	v_add_f32_e32 v59, v59, v113
	v_fma_f32 v19, v50, v22, -v19
	v_mul_f32_e32 v116, v102, v79
	v_fmac_f32_e32 v115, v101, v76
	v_add_f32_e32 v59, v59, v114
	v_add_f32_e32 v18, v18, v19
	v_mul_f32_e32 v19, v53, v25
	v_mul_f32_e32 v117, v104, v81
	v_fmac_f32_e32 v116, v103, v78
	v_add_f32_e32 v59, v59, v115
	v_fma_f32 v19, v52, v24, -v19
	v_mul_f32_e32 v118, v106, v83
	v_fmac_f32_e32 v117, v105, v80
	v_add_f32_e32 v59, v59, v116
	v_add_f32_e32 v18, v18, v19
	s_waitcnt vmcnt(7) lgkmcnt(2)
	v_mul_f32_e32 v19, v47, v27
	v_mul_f32_e32 v119, v108, v85
	v_fmac_f32_e32 v118, v107, v82
	v_add_f32_e32 v59, v59, v117
	v_fma_f32 v19, v46, v26, -v19
	v_mul_f32_e32 v120, v110, v87
	v_fmac_f32_e32 v119, v109, v84
	v_add_f32_e32 v59, v59, v118
	v_add_f32_e32 v18, v18, v19
	v_mul_f32_e32 v19, v49, v29
	v_fmac_f32_e32 v120, v111, v86
	v_add_f32_e32 v59, v59, v119
	v_fma_f32 v19, v48, v28, -v19
	v_mul_f32_e32 v122, v56, v21
	v_add_f32_e32 v59, v59, v120
	v_add_f32_e32 v18, v18, v19
	s_waitcnt vmcnt(6) lgkmcnt(1)
	v_mul_f32_e32 v19, v43, v31
	v_mul_f32_e32 v123, v50, v23
	v_fmac_f32_e32 v122, v57, v20
	v_add_f32_e32 v59, v59, v121
	v_fma_f32 v19, v42, v30, -v19
	v_mul_f32_e32 v124, v52, v25
	v_fmac_f32_e32 v123, v51, v22
	v_add_f32_e32 v59, v59, v122
	v_add_f32_e32 v18, v18, v19
	v_mul_f32_e32 v19, v45, v33
	v_mul_f32_e32 v125, v46, v27
	v_fmac_f32_e32 v124, v53, v24
	v_add_f32_e32 v59, v59, v123
	v_fma_f32 v19, v44, v32, -v19
	v_mul_f32_e32 v126, v48, v29
	v_fmac_f32_e32 v125, v47, v26
	v_add_f32_e32 v59, v59, v124
	v_add_f32_e32 v58, v18, v19
	s_waitcnt vmcnt(5) lgkmcnt(0)
	v_mul_f32_e32 v18, v39, v35
	v_mul_f32_e32 v127, v42, v31
	;; [unrolled: 1-line block ×3, first 2 shown]
	v_fmac_f32_e32 v126, v49, v28
	v_add_f32_e32 v59, v59, v125
	v_fma_f32 v74, v38, v34, -v18
	v_mul_f32_e32 v18, v41, v37
	v_fmac_f32_e32 v127, v43, v30
	v_fmac_f32_e32 v128, v45, v32
	v_add_f32_e32 v59, v59, v126
	v_fma_f32 v72, v40, v36, -v18
	ds_read_b128 v[18:21], v70 offset:928
	ds_read_b128 v[22:25], v70 offset:944
	;; [unrolled: 1-line block ×4, first 2 shown]
	v_mul_f32_e32 v75, v38, v35
	v_mul_f32_e32 v73, v40, v37
	v_add_f32_e32 v59, v59, v127
	v_fmac_f32_e32 v75, v39, v34
	v_fmac_f32_e32 v73, v41, v36
	v_add_f32_e32 v59, v59, v128
	s_waitcnt vmcnt(4) lgkmcnt(3)
	v_pk_mul_f32 v[36:37], v[18:19], v[14:15] op_sel:[1,1] op_sel_hi:[0,1]
	v_pk_add_f32 v[34:35], v[58:59], v[74:75]
	v_pk_fma_f32 v[38:39], v[18:19], v[14:15], v[36:37] neg_lo:[0,0,1] neg_hi:[0,0,1]
	v_pk_fma_f32 v[14:15], v[18:19], v[14:15], v[36:37] op_sel_hi:[1,0,1]
	v_mov_b32_e32 v18, v17
	v_pk_add_f32 v[34:35], v[34:35], v[72:73]
	v_mov_b32_e32 v39, v15
	v_pk_mul_f32 v[18:19], v[20:21], v[18:19] op_sel:[1,0] op_sel_hi:[0,0]
	v_pk_add_f32 v[14:15], v[34:35], v[38:39]
	v_pk_fma_f32 v[34:35], v[20:21], v[16:17], v[18:19] neg_lo:[0,0,1] neg_hi:[0,0,1]
	v_pk_fma_f32 v[16:17], v[20:21], v[16:17], v[18:19] op_sel_hi:[1,0,1]
	s_nop 0
	v_mov_b32_e32 v35, v17
	s_waitcnt vmcnt(3) lgkmcnt(2)
	v_pk_mul_f32 v[16:17], v[22:23], v[10:11] op_sel:[1,1] op_sel_hi:[0,1]
	v_pk_fma_f32 v[18:19], v[22:23], v[10:11], v[16:17] neg_lo:[0,0,1] neg_hi:[0,0,1]
	v_pk_fma_f32 v[10:11], v[22:23], v[10:11], v[16:17] op_sel_hi:[1,0,1]
	v_pk_add_f32 v[14:15], v[14:15], v[34:35]
	v_mov_b32_e32 v19, v11
	v_pk_add_f32 v[10:11], v[14:15], v[18:19]
	v_mov_b32_e32 v14, v13
	v_pk_mul_f32 v[14:15], v[24:25], v[14:15] op_sel:[1,0] op_sel_hi:[0,0]
	v_pk_fma_f32 v[16:17], v[24:25], v[12:13], v[14:15] neg_lo:[0,0,1] neg_hi:[0,0,1]
	v_pk_fma_f32 v[12:13], v[24:25], v[12:13], v[14:15] op_sel_hi:[1,0,1]
	s_nop 0
	v_mov_b32_e32 v17, v13
	s_waitcnt vmcnt(2) lgkmcnt(1)
	v_pk_mul_f32 v[12:13], v[26:27], v[6:7] op_sel:[1,1] op_sel_hi:[0,1]
	v_pk_fma_f32 v[14:15], v[26:27], v[6:7], v[12:13] neg_lo:[0,0,1] neg_hi:[0,0,1]
	v_pk_fma_f32 v[6:7], v[26:27], v[6:7], v[12:13] op_sel_hi:[1,0,1]
	v_pk_add_f32 v[10:11], v[10:11], v[16:17]
	v_mov_b32_e32 v15, v7
	v_pk_add_f32 v[6:7], v[10:11], v[14:15]
	v_mov_b32_e32 v10, v9
	v_pk_mul_f32 v[10:11], v[28:29], v[10:11] op_sel:[1,0] op_sel_hi:[0,0]
	v_pk_fma_f32 v[12:13], v[28:29], v[8:9], v[10:11] neg_lo:[0,0,1] neg_hi:[0,0,1]
	v_pk_fma_f32 v[8:9], v[28:29], v[8:9], v[10:11] op_sel_hi:[1,0,1]
	s_nop 0
	v_mov_b32_e32 v13, v9
	s_waitcnt vmcnt(1) lgkmcnt(0)
	v_pk_mul_f32 v[8:9], v[30:31], v[2:3] op_sel:[1,1] op_sel_hi:[0,1]
	v_pk_fma_f32 v[10:11], v[30:31], v[2:3], v[8:9] neg_lo:[0,0,1] neg_hi:[0,0,1]
	v_pk_fma_f32 v[2:3], v[30:31], v[2:3], v[8:9] op_sel_hi:[1,0,1]
	v_pk_add_f32 v[6:7], v[6:7], v[12:13]
	v_mov_b32_e32 v11, v3
	v_pk_add_f32 v[2:3], v[6:7], v[10:11]
	v_mov_b32_e32 v6, v5
	v_pk_mul_f32 v[6:7], v[32:33], v[6:7] op_sel:[1,0] op_sel_hi:[0,0]
	v_pk_fma_f32 v[8:9], v[32:33], v[4:5], v[6:7] neg_lo:[0,0,1] neg_hi:[0,0,1]
	v_pk_fma_f32 v[4:5], v[32:33], v[4:5], v[6:7] op_sel_hi:[1,0,1]
	s_nop 0
	v_mov_b32_e32 v9, v5
	v_pk_add_f32 v[2:3], v[2:3], v[8:9]
	s_waitcnt vmcnt(0)
	v_pk_add_f32 v[2:3], v[60:61], v[2:3] neg_lo:[0,1] neg_hi:[0,1]
	scratch_store_dwordx2 off, v[2:3], off offset:248
	s_and_saveexec_b64 s[0:1], vcc
	s_cbranch_execz .LBB61_325
; %bb.324:
	scratch_load_dwordx2 v[2:3], off, off offset:240
	v_mov_b32_e32 v4, 0
	v_mov_b32_e32 v5, v4
	scratch_store_dwordx2 off, v[4:5], off offset:240
	s_waitcnt vmcnt(1)
	ds_write_b64 v1, v[2:3]
.LBB61_325:
	s_or_b64 exec, exec, s[0:1]
	s_waitcnt lgkmcnt(0)
	; wave barrier
	scratch_load_dwordx4 v[6:9], off, off offset:248
	scratch_load_dwordx4 v[14:17], off, off offset:264
	;; [unrolled: 1-line block ×10, first 2 shown]
	v_mov_b32_e32 v62, 0
	ds_read2_b64 v[2:5], v62 offset0:93 offset1:94
	scratch_load_dwordx4 v[88:91], off, off offset:408
	scratch_load_dwordx4 v[96:99], off, off offset:424
	v_cmp_lt_u32_e32 vcc, 29, v0
	s_waitcnt vmcnt(11) lgkmcnt(0)
	v_mul_f32_e32 v10, v2, v7
	v_fmac_f32_e32 v10, v3, v6
	v_mul_f32_e32 v11, v4, v9
	v_add_f32_e32 v10, 0, v10
	v_fmac_f32_e32 v11, v5, v8
	v_add_f32_e32 v18, v10, v11
	ds_read2_b64 v[10:13], v62 offset0:95 offset1:96
	v_mul_f32_e32 v3, v3, v7
	v_fma_f32 v2, v2, v6, -v3
	v_mul_f32_e32 v3, v5, v9
	v_add_f32_e32 v2, 0, v2
	s_waitcnt vmcnt(10) lgkmcnt(0)
	v_mul_f32_e32 v19, v10, v15
	v_fmac_f32_e32 v19, v11, v14
	v_add_f32_e32 v18, v18, v19
	v_mul_f32_e32 v19, v12, v17
	v_fmac_f32_e32 v19, v13, v16
	v_add_f32_e32 v26, v18, v19
	ds_read2_b64 v[18:21], v62 offset0:97 offset1:98
	v_fma_f32 v3, v4, v8, -v3
	v_add_f32_e32 v2, v2, v3
	v_mul_f32_e32 v3, v11, v15
	v_fma_f32 v3, v10, v14, -v3
	s_waitcnt vmcnt(9) lgkmcnt(0)
	v_mul_f32_e32 v27, v18, v23
	v_fmac_f32_e32 v27, v19, v22
	v_add_f32_e32 v26, v26, v27
	v_mul_f32_e32 v27, v20, v25
	v_fmac_f32_e32 v27, v21, v24
	v_add_f32_e32 v34, v26, v27
	ds_read2_b64 v[26:29], v62 offset0:99 offset1:100
	v_add_f32_e32 v2, v2, v3
	v_mul_f32_e32 v3, v13, v17
	v_fma_f32 v3, v12, v16, -v3
	v_add_f32_e32 v2, v2, v3
	s_waitcnt vmcnt(8) lgkmcnt(0)
	v_mul_f32_e32 v35, v26, v31
	v_fmac_f32_e32 v35, v27, v30
	v_add_f32_e32 v34, v34, v35
	v_mul_f32_e32 v35, v28, v33
	v_fmac_f32_e32 v35, v29, v32
	v_add_f32_e32 v42, v34, v35
	ds_read2_b64 v[34:37], v62 offset0:101 offset1:102
	v_mul_f32_e32 v3, v19, v23
	v_fma_f32 v3, v18, v22, -v3
	v_add_f32_e32 v2, v2, v3
	v_mul_f32_e32 v3, v21, v25
	s_waitcnt vmcnt(7) lgkmcnt(0)
	v_mul_f32_e32 v43, v34, v39
	v_fmac_f32_e32 v43, v35, v38
	v_add_f32_e32 v42, v42, v43
	v_mul_f32_e32 v43, v36, v41
	v_fmac_f32_e32 v43, v37, v40
	v_add_f32_e32 v50, v42, v43
	ds_read2_b64 v[42:45], v62 offset0:103 offset1:104
	v_fma_f32 v3, v20, v24, -v3
	v_add_f32_e32 v2, v2, v3
	v_mul_f32_e32 v3, v27, v31
	v_fma_f32 v3, v26, v30, -v3
	s_waitcnt vmcnt(6) lgkmcnt(0)
	v_mul_f32_e32 v51, v42, v47
	v_fmac_f32_e32 v51, v43, v46
	v_add_f32_e32 v50, v50, v51
	v_mul_f32_e32 v51, v44, v49
	v_fmac_f32_e32 v51, v45, v48
	v_add_f32_e32 v58, v50, v51
	ds_read2_b64 v[50:53], v62 offset0:105 offset1:106
	v_add_f32_e32 v2, v2, v3
	v_mul_f32_e32 v3, v29, v33
	v_fma_f32 v3, v28, v32, -v3
	v_add_f32_e32 v2, v2, v3
	s_waitcnt vmcnt(5) lgkmcnt(0)
	v_mul_f32_e32 v59, v50, v55
	v_fmac_f32_e32 v59, v51, v54
	v_add_f32_e32 v58, v58, v59
	v_mul_f32_e32 v59, v52, v57
	v_fmac_f32_e32 v59, v53, v56
	v_add_f32_e32 v63, v58, v59
	ds_read2_b64 v[58:61], v62 offset0:107 offset1:108
	v_mul_f32_e32 v3, v35, v39
	v_fma_f32 v3, v34, v38, -v3
	v_add_f32_e32 v2, v2, v3
	v_mul_f32_e32 v3, v37, v41
	;; [unrolled: 36-line block ×3, first 2 shown]
	s_waitcnt vmcnt(1) lgkmcnt(0)
	v_mul_f32_e32 v92, v84, v89
	v_fmac_f32_e32 v92, v85, v88
	v_add_f32_e32 v113, v63, v92
	ds_read2_b64 v[92:95], v62 offset0:115 offset1:116
	scratch_load_dwordx4 v[100:103], off, off offset:440
	scratch_load_dwordx4 v[104:107], off, off offset:456
	;; [unrolled: 1-line block ×3, first 2 shown]
	scratch_load_dwordx2 v[118:119], off, off offset:488
	v_fma_f32 v3, v52, v56, -v3
	v_add_f32_e32 v2, v2, v3
	v_mul_f32_e32 v3, v59, v65
	v_fma_f32 v3, v58, v64, -v3
	v_add_f32_e32 v2, v2, v3
	v_mul_f32_e32 v3, v61, v67
	;; [unrolled: 3-line block ×8, first 2 shown]
	v_mul_f32_e32 v115, v86, v91
	v_fma_f32 v114, v86, v90, -v2
	s_waitcnt vmcnt(4) lgkmcnt(0)
	v_mul_f32_e32 v2, v93, v97
	v_mov_b32_e32 v18, v99
	v_fmac_f32_e32 v115, v87, v90
	v_mul_f32_e32 v117, v92, v97
	v_fma_f32 v116, v92, v96, -v2
	ds_read2_b64 v[2:5], v62 offset0:117 offset1:118
	ds_read2_b64 v[6:9], v62 offset0:119 offset1:120
	;; [unrolled: 1-line block ×3, first 2 shown]
	ds_read_b64 v[14:15], v62 offset:984
	v_pk_mul_f32 v[18:19], v[94:95], v[18:19] op_sel:[1,0] op_sel_hi:[0,0]
	v_fmac_f32_e32 v117, v93, v96
	v_pk_add_f32 v[16:17], v[112:113], v[114:115]
	v_pk_fma_f32 v[20:21], v[94:95], v[98:99], v[18:19] neg_lo:[0,0,1] neg_hi:[0,0,1]
	v_pk_fma_f32 v[18:19], v[94:95], v[98:99], v[18:19] op_sel_hi:[1,0,1]
	v_pk_add_f32 v[16:17], v[16:17], v[116:117]
	v_mov_b32_e32 v21, v19
	v_pk_add_f32 v[16:17], v[16:17], v[20:21]
	s_waitcnt vmcnt(3) lgkmcnt(3)
	v_pk_mul_f32 v[18:19], v[2:3], v[100:101] op_sel:[1,1] op_sel_hi:[0,1]
	v_pk_fma_f32 v[20:21], v[2:3], v[100:101], v[18:19] neg_lo:[0,0,1] neg_hi:[0,0,1]
	v_pk_fma_f32 v[2:3], v[2:3], v[100:101], v[18:19] op_sel_hi:[1,0,1]
	s_nop 0
	v_mov_b32_e32 v21, v3
	v_pk_add_f32 v[2:3], v[16:17], v[20:21]
	v_mov_b32_e32 v16, v103
	v_pk_mul_f32 v[16:17], v[4:5], v[16:17] op_sel:[1,0] op_sel_hi:[0,0]
	v_pk_fma_f32 v[18:19], v[4:5], v[102:103], v[16:17] neg_lo:[0,0,1] neg_hi:[0,0,1]
	v_pk_fma_f32 v[4:5], v[4:5], v[102:103], v[16:17] op_sel_hi:[1,0,1]
	s_nop 0
	v_mov_b32_e32 v19, v5
	s_waitcnt vmcnt(2) lgkmcnt(2)
	v_pk_mul_f32 v[4:5], v[6:7], v[104:105] op_sel:[1,1] op_sel_hi:[0,1]
	v_pk_fma_f32 v[16:17], v[6:7], v[104:105], v[4:5] neg_lo:[0,0,1] neg_hi:[0,0,1]
	v_pk_fma_f32 v[4:5], v[6:7], v[104:105], v[4:5] op_sel_hi:[1,0,1]
	v_pk_add_f32 v[2:3], v[2:3], v[18:19]
	v_mov_b32_e32 v4, v107
	v_mov_b32_e32 v17, v5
	v_pk_mul_f32 v[4:5], v[8:9], v[4:5] op_sel:[1,0] op_sel_hi:[0,0]
	v_pk_fma_f32 v[6:7], v[8:9], v[106:107], v[4:5] neg_lo:[0,0,1] neg_hi:[0,0,1]
	v_pk_fma_f32 v[4:5], v[8:9], v[106:107], v[4:5] op_sel_hi:[1,0,1]
	v_pk_add_f32 v[2:3], v[2:3], v[16:17]
	v_mov_b32_e32 v7, v5
	s_waitcnt vmcnt(1) lgkmcnt(1)
	v_pk_mul_f32 v[4:5], v[10:11], v[108:109] op_sel:[1,1] op_sel_hi:[0,1]
	v_pk_add_f32 v[2:3], v[2:3], v[6:7]
	v_pk_fma_f32 v[6:7], v[10:11], v[108:109], v[4:5] neg_lo:[0,0,1] neg_hi:[0,0,1]
	v_pk_fma_f32 v[4:5], v[10:11], v[108:109], v[4:5] op_sel_hi:[1,0,1]
	s_nop 0
	v_mov_b32_e32 v4, v111
	v_mov_b32_e32 v7, v5
	v_pk_mul_f32 v[4:5], v[12:13], v[4:5] op_sel:[1,0] op_sel_hi:[0,0]
	v_pk_add_f32 v[2:3], v[2:3], v[6:7]
	v_pk_fma_f32 v[6:7], v[12:13], v[110:111], v[4:5] neg_lo:[0,0,1] neg_hi:[0,0,1]
	v_pk_fma_f32 v[4:5], v[12:13], v[110:111], v[4:5] op_sel_hi:[1,0,1]
	s_nop 0
	v_mov_b32_e32 v7, v5
	s_waitcnt vmcnt(0) lgkmcnt(0)
	v_pk_mul_f32 v[4:5], v[14:15], v[118:119] op_sel:[1,1] op_sel_hi:[0,1]
	v_pk_add_f32 v[2:3], v[2:3], v[6:7]
	v_pk_fma_f32 v[6:7], v[14:15], v[118:119], v[4:5] neg_lo:[0,0,1] neg_hi:[0,0,1]
	v_pk_fma_f32 v[4:5], v[14:15], v[118:119], v[4:5] op_sel_hi:[1,0,1]
	s_nop 0
	v_mov_b32_e32 v7, v5
	scratch_load_dwordx2 v[4:5], off, off offset:240
	v_pk_add_f32 v[2:3], v[2:3], v[6:7]
	s_waitcnt vmcnt(0)
	v_pk_add_f32 v[2:3], v[4:5], v[2:3] neg_lo:[0,1] neg_hi:[0,1]
	scratch_store_dwordx2 off, v[2:3], off offset:240
	s_and_saveexec_b64 s[0:1], vcc
	s_cbranch_execz .LBB61_327
; %bb.326:
	scratch_load_dwordx2 v[2:3], off, off offset:232
	v_mov_b32_e32 v63, v62
	scratch_store_dwordx2 off, v[62:63], off offset:232
	s_waitcnt vmcnt(1)
	ds_write_b64 v1, v[2:3]
.LBB61_327:
	s_or_b64 exec, exec, s[0:1]
	s_waitcnt lgkmcnt(0)
	; wave barrier
	ds_read_b128 v[14:17], v62 offset:736
	ds_read_b128 v[10:13], v62 offset:752
	;; [unrolled: 1-line block ×4, first 2 shown]
	scratch_load_dwordx4 v[18:21], off, off offset:240
	scratch_load_dwordx4 v[38:41], off, off offset:304
	;; [unrolled: 1-line block ×6, first 2 shown]
	v_cmp_lt_u32_e32 vcc, 28, v0
	scratch_load_dwordx4 v[46:49], off, off offset:320
	scratch_load_dwordx4 v[54:57], off, off offset:336
	scratch_load_dwordx4 v[64:67], off, off offset:352
	s_waitcnt vmcnt(8) lgkmcnt(3)
	v_mul_f32_e32 v22, v14, v19
	v_fmac_f32_e32 v22, v15, v18
	v_mul_f32_e32 v23, v16, v21
	v_add_f32_e32 v22, 0, v22
	v_fmac_f32_e32 v23, v17, v20
	v_add_f32_e32 v26, v22, v23
	scratch_load_dwordx4 v[22:25], off, off offset:256
	v_mul_f32_e32 v15, v15, v19
	v_fma_f32 v14, v14, v18, -v15
	v_mul_f32_e32 v15, v17, v21
	v_add_f32_e32 v14, 0, v14
	v_fma_f32 v15, v16, v20, -v15
	v_add_f32_e32 v14, v14, v15
	s_waitcnt vmcnt(0) lgkmcnt(2)
	v_mul_f32_e32 v27, v10, v23
	v_fmac_f32_e32 v27, v11, v22
	v_add_f32_e32 v26, v26, v27
	v_mul_f32_e32 v27, v12, v25
	v_fmac_f32_e32 v27, v13, v24
	v_add_f32_e32 v30, v26, v27
	scratch_load_dwordx4 v[26:29], off, off offset:272
	v_mul_f32_e32 v11, v11, v23
	v_fma_f32 v10, v10, v22, -v11
	v_mul_f32_e32 v11, v13, v25
	v_add_f32_e32 v10, v14, v10
	v_fma_f32 v11, v12, v24, -v11
	v_add_f32_e32 v10, v10, v11
	s_waitcnt vmcnt(0) lgkmcnt(1)
	v_mul_f32_e32 v31, v6, v27
	v_fmac_f32_e32 v31, v7, v26
	v_add_f32_e32 v30, v30, v31
	v_mul_f32_e32 v31, v8, v29
	;; [unrolled: 14-line block ×3, first 2 shown]
	v_fmac_f32_e32 v35, v5, v32
	v_add_f32_e32 v42, v34, v35
	ds_read_b128 v[34:37], v62 offset:800
	v_mul_f32_e32 v3, v3, v31
	v_fma_f32 v2, v2, v30, -v3
	v_mul_f32_e32 v3, v5, v33
	v_add_f32_e32 v2, v6, v2
	s_waitcnt lgkmcnt(0)
	v_mul_f32_e32 v43, v34, v39
	v_fmac_f32_e32 v43, v35, v38
	v_add_f32_e32 v42, v42, v43
	v_mul_f32_e32 v43, v36, v41
	v_fmac_f32_e32 v43, v37, v40
	v_add_f32_e32 v50, v42, v43
	ds_read_b128 v[42:45], v62 offset:816
	v_fma_f32 v3, v4, v32, -v3
	v_add_f32_e32 v2, v2, v3
	v_mul_f32_e32 v3, v35, v39
	v_fma_f32 v3, v34, v38, -v3
	s_waitcnt lgkmcnt(0)
	v_mul_f32_e32 v51, v42, v47
	v_fmac_f32_e32 v51, v43, v46
	v_add_f32_e32 v50, v50, v51
	v_mul_f32_e32 v51, v44, v49
	v_fmac_f32_e32 v51, v45, v48
	v_add_f32_e32 v58, v50, v51
	ds_read_b128 v[50:53], v62 offset:832
	v_add_f32_e32 v2, v2, v3
	v_mul_f32_e32 v3, v37, v41
	v_fma_f32 v3, v36, v40, -v3
	v_add_f32_e32 v2, v2, v3
	s_waitcnt lgkmcnt(0)
	v_mul_f32_e32 v59, v50, v55
	v_fmac_f32_e32 v59, v51, v54
	v_add_f32_e32 v58, v58, v59
	v_mul_f32_e32 v59, v52, v57
	v_fmac_f32_e32 v59, v53, v56
	v_add_f32_e32 v63, v58, v59
	ds_read_b128 v[58:61], v62 offset:848
	v_mul_f32_e32 v3, v43, v47
	v_fma_f32 v3, v42, v46, -v3
	v_add_f32_e32 v2, v2, v3
	v_mul_f32_e32 v3, v45, v49
	s_waitcnt lgkmcnt(0)
	v_mul_f32_e32 v68, v58, v65
	v_fmac_f32_e32 v68, v59, v64
	v_add_f32_e32 v63, v63, v68
	v_mul_f32_e32 v68, v60, v67
	v_fmac_f32_e32 v68, v61, v66
	v_add_f32_e32 v63, v63, v68
	ds_read_b128 v[68:71], v62 offset:864
	v_fma_f32 v3, v44, v48, -v3
	v_add_f32_e32 v2, v2, v3
	v_mul_f32_e32 v3, v51, v55
	v_fma_f32 v3, v50, v54, -v3
	s_waitcnt lgkmcnt(0)
	v_mul_f32_e32 v76, v68, v73
	v_fmac_f32_e32 v76, v69, v72
	v_add_f32_e32 v63, v63, v76
	v_mul_f32_e32 v76, v70, v75
	v_fmac_f32_e32 v76, v71, v74
	v_add_f32_e32 v63, v63, v76
	ds_read_b128 v[76:79], v62 offset:880
	v_add_f32_e32 v2, v2, v3
	v_mul_f32_e32 v3, v53, v57
	v_fma_f32 v3, v52, v56, -v3
	v_add_f32_e32 v2, v2, v3
	s_waitcnt lgkmcnt(0)
	v_mul_f32_e32 v84, v76, v81
	v_fmac_f32_e32 v84, v77, v80
	v_add_f32_e32 v63, v63, v84
	v_mul_f32_e32 v84, v78, v83
	v_fmac_f32_e32 v84, v79, v82
	v_add_f32_e32 v63, v63, v84
	ds_read_b128 v[84:87], v62 offset:896
	v_mul_f32_e32 v3, v59, v65
	v_fma_f32 v3, v58, v64, -v3
	v_add_f32_e32 v2, v2, v3
	v_mul_f32_e32 v3, v61, v67
	s_waitcnt lgkmcnt(0)
	v_mul_f32_e32 v92, v84, v89
	v_fmac_f32_e32 v92, v85, v88
	v_add_f32_e32 v63, v63, v92
	v_mul_f32_e32 v92, v86, v91
	v_fmac_f32_e32 v92, v87, v90
	v_add_f32_e32 v117, v63, v92
	ds_read_b128 v[92:95], v62 offset:912
	scratch_load_dwordx4 v[100:103], off, off offset:432
	scratch_load_dwordx4 v[104:107], off, off offset:448
	;; [unrolled: 1-line block ×4, first 2 shown]
	v_fma_f32 v3, v60, v66, -v3
	v_add_f32_e32 v2, v2, v3
	v_mul_f32_e32 v3, v69, v73
	v_fma_f32 v3, v68, v72, -v3
	v_add_f32_e32 v2, v2, v3
	v_mul_f32_e32 v3, v71, v75
	;; [unrolled: 3-line block ×6, first 2 shown]
	v_fma_f32 v3, v86, v90, -v3
	v_add_f32_e32 v116, v2, v3
	s_waitcnt lgkmcnt(0)
	v_mul_f32_e32 v2, v93, v97
	v_fma_f32 v118, v92, v96, -v2
	v_mul_f32_e32 v2, v95, v99
	v_fma_f32 v120, v94, v98, -v2
	ds_read_b128 v[2:5], v62 offset:928
	ds_read_b128 v[6:9], v62 offset:944
	;; [unrolled: 1-line block ×4, first 2 shown]
	v_mul_f32_e32 v119, v92, v97
	v_fmac_f32_e32 v119, v93, v96
	v_mul_f32_e32 v121, v94, v99
	v_fmac_f32_e32 v121, v95, v98
	v_pk_add_f32 v[18:19], v[116:117], v[118:119]
	s_waitcnt vmcnt(3) lgkmcnt(3)
	v_pk_mul_f32 v[20:21], v[2:3], v[100:101] op_sel:[1,1] op_sel_hi:[0,1]
	v_pk_fma_f32 v[22:23], v[2:3], v[100:101], v[20:21] neg_lo:[0,0,1] neg_hi:[0,0,1]
	v_pk_fma_f32 v[2:3], v[2:3], v[100:101], v[20:21] op_sel_hi:[1,0,1]
	v_pk_add_f32 v[18:19], v[18:19], v[120:121]
	v_mov_b32_e32 v23, v3
	v_pk_add_f32 v[2:3], v[18:19], v[22:23]
	v_mov_b32_e32 v18, v103
	v_pk_mul_f32 v[18:19], v[4:5], v[18:19] op_sel:[1,0] op_sel_hi:[0,0]
	v_pk_fma_f32 v[20:21], v[4:5], v[102:103], v[18:19] neg_lo:[0,0,1] neg_hi:[0,0,1]
	v_pk_fma_f32 v[4:5], v[4:5], v[102:103], v[18:19] op_sel_hi:[1,0,1]
	s_nop 0
	v_mov_b32_e32 v21, v5
	s_waitcnt vmcnt(2) lgkmcnt(2)
	v_pk_mul_f32 v[4:5], v[6:7], v[104:105] op_sel:[1,1] op_sel_hi:[0,1]
	v_pk_fma_f32 v[18:19], v[6:7], v[104:105], v[4:5] neg_lo:[0,0,1] neg_hi:[0,0,1]
	v_pk_fma_f32 v[4:5], v[6:7], v[104:105], v[4:5] op_sel_hi:[1,0,1]
	v_pk_add_f32 v[2:3], v[2:3], v[20:21]
	v_mov_b32_e32 v4, v107
	v_mov_b32_e32 v19, v5
	v_pk_mul_f32 v[4:5], v[8:9], v[4:5] op_sel:[1,0] op_sel_hi:[0,0]
	v_pk_fma_f32 v[6:7], v[8:9], v[106:107], v[4:5] neg_lo:[0,0,1] neg_hi:[0,0,1]
	v_pk_fma_f32 v[4:5], v[8:9], v[106:107], v[4:5] op_sel_hi:[1,0,1]
	v_pk_add_f32 v[2:3], v[2:3], v[18:19]
	v_mov_b32_e32 v7, v5
	s_waitcnt vmcnt(1) lgkmcnt(1)
	v_pk_mul_f32 v[4:5], v[10:11], v[108:109] op_sel:[1,1] op_sel_hi:[0,1]
	v_pk_add_f32 v[2:3], v[2:3], v[6:7]
	v_pk_fma_f32 v[6:7], v[10:11], v[108:109], v[4:5] neg_lo:[0,0,1] neg_hi:[0,0,1]
	v_pk_fma_f32 v[4:5], v[10:11], v[108:109], v[4:5] op_sel_hi:[1,0,1]
	s_nop 0
	v_mov_b32_e32 v4, v111
	v_mov_b32_e32 v7, v5
	v_pk_mul_f32 v[4:5], v[12:13], v[4:5] op_sel:[1,0] op_sel_hi:[0,0]
	v_pk_add_f32 v[2:3], v[2:3], v[6:7]
	v_pk_fma_f32 v[6:7], v[12:13], v[110:111], v[4:5] neg_lo:[0,0,1] neg_hi:[0,0,1]
	v_pk_fma_f32 v[4:5], v[12:13], v[110:111], v[4:5] op_sel_hi:[1,0,1]
	s_nop 0
	v_mov_b32_e32 v7, v5
	s_waitcnt vmcnt(0) lgkmcnt(0)
	v_pk_mul_f32 v[4:5], v[14:15], v[112:113] op_sel:[1,1] op_sel_hi:[0,1]
	v_pk_add_f32 v[2:3], v[2:3], v[6:7]
	v_pk_fma_f32 v[6:7], v[14:15], v[112:113], v[4:5] neg_lo:[0,0,1] neg_hi:[0,0,1]
	v_pk_fma_f32 v[4:5], v[14:15], v[112:113], v[4:5] op_sel_hi:[1,0,1]
	s_nop 0
	v_mov_b32_e32 v4, v115
	v_mov_b32_e32 v7, v5
	v_pk_mul_f32 v[4:5], v[16:17], v[4:5] op_sel:[1,0] op_sel_hi:[0,0]
	v_pk_add_f32 v[2:3], v[2:3], v[6:7]
	v_pk_fma_f32 v[6:7], v[16:17], v[114:115], v[4:5] neg_lo:[0,0,1] neg_hi:[0,0,1]
	v_pk_fma_f32 v[4:5], v[16:17], v[114:115], v[4:5] op_sel_hi:[1,0,1]
	s_nop 0
	v_mov_b32_e32 v7, v5
	scratch_load_dwordx2 v[4:5], off, off offset:232
	v_pk_add_f32 v[2:3], v[2:3], v[6:7]
	s_waitcnt vmcnt(0)
	v_pk_add_f32 v[2:3], v[4:5], v[2:3] neg_lo:[0,1] neg_hi:[0,1]
	scratch_store_dwordx2 off, v[2:3], off offset:232
	s_and_saveexec_b64 s[0:1], vcc
	s_cbranch_execz .LBB61_329
; %bb.328:
	scratch_load_dwordx2 v[2:3], off, off offset:224
	v_mov_b32_e32 v4, 0
	v_mov_b32_e32 v5, v4
	scratch_store_dwordx2 off, v[4:5], off offset:224
	s_waitcnt vmcnt(1)
	ds_write_b64 v1, v[2:3]
.LBB61_329:
	s_or_b64 exec, exec, s[0:1]
	s_waitcnt lgkmcnt(0)
	; wave barrier
	scratch_load_dwordx4 v[6:9], off, off offset:232
	scratch_load_dwordx4 v[14:17], off, off offset:248
	;; [unrolled: 1-line block ×10, first 2 shown]
	v_mov_b32_e32 v70, 0
	ds_read2_b64 v[2:5], v70 offset0:91 offset1:92
	scratch_load_dwordx4 v[88:91], off, off offset:392
	scratch_load_dwordx4 v[96:99], off, off offset:408
	;; [unrolled: 1-line block ×3, first 2 shown]
	v_cmp_lt_u32_e32 vcc, 27, v0
	s_waitcnt vmcnt(12) lgkmcnt(0)
	v_mul_f32_e32 v10, v2, v7
	v_fmac_f32_e32 v10, v3, v6
	v_mul_f32_e32 v11, v4, v9
	v_add_f32_e32 v10, 0, v10
	v_fmac_f32_e32 v11, v5, v8
	v_add_f32_e32 v18, v10, v11
	ds_read2_b64 v[10:13], v70 offset0:93 offset1:94
	v_mul_f32_e32 v3, v3, v7
	v_fma_f32 v2, v2, v6, -v3
	v_mul_f32_e32 v3, v5, v9
	v_add_f32_e32 v2, 0, v2
	s_waitcnt vmcnt(11) lgkmcnt(0)
	v_mul_f32_e32 v19, v10, v15
	v_fmac_f32_e32 v19, v11, v14
	v_add_f32_e32 v18, v18, v19
	v_mul_f32_e32 v19, v12, v17
	v_fmac_f32_e32 v19, v13, v16
	v_add_f32_e32 v26, v18, v19
	ds_read2_b64 v[18:21], v70 offset0:95 offset1:96
	v_fma_f32 v3, v4, v8, -v3
	v_add_f32_e32 v2, v2, v3
	v_mul_f32_e32 v3, v11, v15
	v_fma_f32 v3, v10, v14, -v3
	s_waitcnt vmcnt(10) lgkmcnt(0)
	v_mul_f32_e32 v27, v18, v23
	v_fmac_f32_e32 v27, v19, v22
	v_add_f32_e32 v26, v26, v27
	v_mul_f32_e32 v27, v20, v25
	v_fmac_f32_e32 v27, v21, v24
	v_add_f32_e32 v34, v26, v27
	ds_read2_b64 v[26:29], v70 offset0:97 offset1:98
	v_add_f32_e32 v2, v2, v3
	v_mul_f32_e32 v3, v13, v17
	v_fma_f32 v3, v12, v16, -v3
	v_add_f32_e32 v2, v2, v3
	s_waitcnt vmcnt(9) lgkmcnt(0)
	v_mul_f32_e32 v35, v26, v31
	v_fmac_f32_e32 v35, v27, v30
	v_add_f32_e32 v34, v34, v35
	v_mul_f32_e32 v35, v28, v33
	v_fmac_f32_e32 v35, v29, v32
	v_add_f32_e32 v42, v34, v35
	ds_read2_b64 v[34:37], v70 offset0:99 offset1:100
	v_mul_f32_e32 v3, v19, v23
	v_fma_f32 v3, v18, v22, -v3
	v_add_f32_e32 v2, v2, v3
	v_mul_f32_e32 v3, v21, v25
	s_waitcnt vmcnt(8) lgkmcnt(0)
	v_mul_f32_e32 v43, v34, v39
	v_fmac_f32_e32 v43, v35, v38
	v_add_f32_e32 v42, v42, v43
	v_mul_f32_e32 v43, v36, v41
	v_fmac_f32_e32 v43, v37, v40
	v_add_f32_e32 v50, v42, v43
	ds_read2_b64 v[42:45], v70 offset0:101 offset1:102
	v_fma_f32 v3, v20, v24, -v3
	v_add_f32_e32 v2, v2, v3
	v_mul_f32_e32 v3, v27, v31
	v_fma_f32 v3, v26, v30, -v3
	s_waitcnt vmcnt(7) lgkmcnt(0)
	v_mul_f32_e32 v51, v42, v47
	v_fmac_f32_e32 v51, v43, v46
	v_add_f32_e32 v50, v50, v51
	v_mul_f32_e32 v51, v44, v49
	v_fmac_f32_e32 v51, v45, v48
	v_add_f32_e32 v58, v50, v51
	ds_read2_b64 v[50:53], v70 offset0:103 offset1:104
	v_add_f32_e32 v2, v2, v3
	v_mul_f32_e32 v3, v29, v33
	v_fma_f32 v3, v28, v32, -v3
	v_add_f32_e32 v2, v2, v3
	s_waitcnt vmcnt(6) lgkmcnt(0)
	v_mul_f32_e32 v59, v50, v55
	v_fmac_f32_e32 v59, v51, v54
	v_add_f32_e32 v58, v58, v59
	v_mul_f32_e32 v59, v52, v57
	v_fmac_f32_e32 v59, v53, v56
	v_add_f32_e32 v66, v58, v59
	ds_read2_b64 v[58:61], v70 offset0:105 offset1:106
	v_mul_f32_e32 v3, v35, v39
	v_fma_f32 v3, v34, v38, -v3
	v_add_f32_e32 v2, v2, v3
	v_mul_f32_e32 v3, v37, v41
	s_waitcnt vmcnt(5) lgkmcnt(0)
	v_mul_f32_e32 v67, v58, v63
	v_fmac_f32_e32 v67, v59, v62
	v_add_f32_e32 v66, v66, v67
	v_mul_f32_e32 v67, v60, v65
	v_fmac_f32_e32 v67, v61, v64
	v_add_f32_e32 v71, v66, v67
	ds_read2_b64 v[66:69], v70 offset0:107 offset1:108
	v_fma_f32 v3, v36, v40, -v3
	v_add_f32_e32 v2, v2, v3
	v_mul_f32_e32 v3, v43, v47
	v_fma_f32 v3, v42, v46, -v3
	s_waitcnt vmcnt(4) lgkmcnt(0)
	v_mul_f32_e32 v76, v66, v73
	v_fmac_f32_e32 v76, v67, v72
	v_add_f32_e32 v71, v71, v76
	v_mul_f32_e32 v76, v68, v75
	v_fmac_f32_e32 v76, v69, v74
	v_add_f32_e32 v71, v71, v76
	ds_read2_b64 v[76:79], v70 offset0:109 offset1:110
	v_add_f32_e32 v2, v2, v3
	v_mul_f32_e32 v3, v45, v49
	v_fma_f32 v3, v44, v48, -v3
	v_add_f32_e32 v2, v2, v3
	s_waitcnt vmcnt(3) lgkmcnt(0)
	v_mul_f32_e32 v84, v76, v81
	v_fmac_f32_e32 v84, v77, v80
	v_add_f32_e32 v71, v71, v84
	v_mul_f32_e32 v84, v78, v83
	v_fmac_f32_e32 v84, v79, v82
	v_add_f32_e32 v71, v71, v84
	ds_read2_b64 v[84:87], v70 offset0:111 offset1:112
	v_mul_f32_e32 v3, v51, v55
	v_fma_f32 v3, v50, v54, -v3
	v_add_f32_e32 v2, v2, v3
	v_mul_f32_e32 v3, v53, v57
	s_waitcnt vmcnt(2) lgkmcnt(0)
	v_mul_f32_e32 v92, v84, v89
	v_fmac_f32_e32 v92, v85, v88
	v_add_f32_e32 v71, v71, v92
	v_mul_f32_e32 v92, v86, v91
	v_fmac_f32_e32 v92, v87, v90
	v_add_f32_e32 v71, v71, v92
	ds_read2_b64 v[92:95], v70 offset0:113 offset1:114
	v_fma_f32 v3, v52, v56, -v3
	v_add_f32_e32 v2, v2, v3
	v_mul_f32_e32 v3, v59, v63
	v_fma_f32 v3, v58, v62, -v3
	s_waitcnt vmcnt(1) lgkmcnt(0)
	v_mul_f32_e32 v100, v92, v97
	v_fmac_f32_e32 v100, v93, v96
	v_add_f32_e32 v121, v71, v100
	ds_read2_b64 v[100:103], v70 offset0:115 offset1:116
	scratch_load_dwordx4 v[108:111], off, off offset:440
	scratch_load_dwordx4 v[112:115], off, off offset:456
	;; [unrolled: 1-line block ×3, first 2 shown]
	scratch_load_dwordx2 v[126:127], off, off offset:488
	v_add_f32_e32 v2, v2, v3
	v_mul_f32_e32 v3, v61, v65
	v_fma_f32 v3, v60, v64, -v3
	v_add_f32_e32 v2, v2, v3
	v_mul_f32_e32 v3, v67, v73
	v_fma_f32 v3, v66, v72, -v3
	;; [unrolled: 3-line block ×8, first 2 shown]
	v_add_f32_e32 v120, v2, v3
	v_mul_f32_e32 v2, v95, v99
	v_mul_f32_e32 v123, v94, v99
	v_fma_f32 v122, v94, v98, -v2
	s_waitcnt vmcnt(4) lgkmcnt(0)
	v_mul_f32_e32 v2, v101, v105
	v_mov_b32_e32 v18, v107
	v_fmac_f32_e32 v123, v95, v98
	v_mul_f32_e32 v125, v100, v105
	v_fma_f32 v124, v100, v104, -v2
	ds_read2_b64 v[2:5], v70 offset0:117 offset1:118
	ds_read2_b64 v[6:9], v70 offset0:119 offset1:120
	;; [unrolled: 1-line block ×3, first 2 shown]
	ds_read_b64 v[14:15], v70 offset:984
	v_pk_mul_f32 v[18:19], v[102:103], v[18:19] op_sel:[1,0] op_sel_hi:[0,0]
	v_fmac_f32_e32 v125, v101, v104
	v_pk_add_f32 v[16:17], v[120:121], v[122:123]
	v_pk_fma_f32 v[20:21], v[102:103], v[106:107], v[18:19] neg_lo:[0,0,1] neg_hi:[0,0,1]
	v_pk_fma_f32 v[18:19], v[102:103], v[106:107], v[18:19] op_sel_hi:[1,0,1]
	v_pk_add_f32 v[16:17], v[16:17], v[124:125]
	v_mov_b32_e32 v21, v19
	v_pk_add_f32 v[16:17], v[16:17], v[20:21]
	s_waitcnt vmcnt(3) lgkmcnt(3)
	v_pk_mul_f32 v[18:19], v[2:3], v[108:109] op_sel:[1,1] op_sel_hi:[0,1]
	v_pk_fma_f32 v[20:21], v[2:3], v[108:109], v[18:19] neg_lo:[0,0,1] neg_hi:[0,0,1]
	v_pk_fma_f32 v[2:3], v[2:3], v[108:109], v[18:19] op_sel_hi:[1,0,1]
	s_nop 0
	v_mov_b32_e32 v21, v3
	v_pk_add_f32 v[2:3], v[16:17], v[20:21]
	v_mov_b32_e32 v16, v111
	v_pk_mul_f32 v[16:17], v[4:5], v[16:17] op_sel:[1,0] op_sel_hi:[0,0]
	v_pk_fma_f32 v[18:19], v[4:5], v[110:111], v[16:17] neg_lo:[0,0,1] neg_hi:[0,0,1]
	v_pk_fma_f32 v[4:5], v[4:5], v[110:111], v[16:17] op_sel_hi:[1,0,1]
	s_nop 0
	v_mov_b32_e32 v19, v5
	s_waitcnt vmcnt(2) lgkmcnt(2)
	v_pk_mul_f32 v[4:5], v[6:7], v[112:113] op_sel:[1,1] op_sel_hi:[0,1]
	v_pk_fma_f32 v[16:17], v[6:7], v[112:113], v[4:5] neg_lo:[0,0,1] neg_hi:[0,0,1]
	v_pk_fma_f32 v[4:5], v[6:7], v[112:113], v[4:5] op_sel_hi:[1,0,1]
	v_pk_add_f32 v[2:3], v[2:3], v[18:19]
	v_mov_b32_e32 v4, v115
	v_mov_b32_e32 v17, v5
	v_pk_mul_f32 v[4:5], v[8:9], v[4:5] op_sel:[1,0] op_sel_hi:[0,0]
	v_pk_fma_f32 v[6:7], v[8:9], v[114:115], v[4:5] neg_lo:[0,0,1] neg_hi:[0,0,1]
	v_pk_fma_f32 v[4:5], v[8:9], v[114:115], v[4:5] op_sel_hi:[1,0,1]
	v_pk_add_f32 v[2:3], v[2:3], v[16:17]
	v_mov_b32_e32 v7, v5
	s_waitcnt vmcnt(1) lgkmcnt(1)
	v_pk_mul_f32 v[4:5], v[10:11], v[116:117] op_sel:[1,1] op_sel_hi:[0,1]
	v_pk_add_f32 v[2:3], v[2:3], v[6:7]
	v_pk_fma_f32 v[6:7], v[10:11], v[116:117], v[4:5] neg_lo:[0,0,1] neg_hi:[0,0,1]
	v_pk_fma_f32 v[4:5], v[10:11], v[116:117], v[4:5] op_sel_hi:[1,0,1]
	s_nop 0
	v_mov_b32_e32 v4, v119
	v_mov_b32_e32 v7, v5
	v_pk_mul_f32 v[4:5], v[12:13], v[4:5] op_sel:[1,0] op_sel_hi:[0,0]
	v_pk_add_f32 v[2:3], v[2:3], v[6:7]
	v_pk_fma_f32 v[6:7], v[12:13], v[118:119], v[4:5] neg_lo:[0,0,1] neg_hi:[0,0,1]
	v_pk_fma_f32 v[4:5], v[12:13], v[118:119], v[4:5] op_sel_hi:[1,0,1]
	s_nop 0
	v_mov_b32_e32 v7, v5
	s_waitcnt vmcnt(0) lgkmcnt(0)
	v_pk_mul_f32 v[4:5], v[14:15], v[126:127] op_sel:[1,1] op_sel_hi:[0,1]
	v_pk_add_f32 v[2:3], v[2:3], v[6:7]
	v_pk_fma_f32 v[6:7], v[14:15], v[126:127], v[4:5] neg_lo:[0,0,1] neg_hi:[0,0,1]
	v_pk_fma_f32 v[4:5], v[14:15], v[126:127], v[4:5] op_sel_hi:[1,0,1]
	s_nop 0
	v_mov_b32_e32 v7, v5
	scratch_load_dwordx2 v[4:5], off, off offset:224
	v_pk_add_f32 v[2:3], v[2:3], v[6:7]
	s_waitcnt vmcnt(0)
	v_pk_add_f32 v[2:3], v[4:5], v[2:3] neg_lo:[0,1] neg_hi:[0,1]
	scratch_store_dwordx2 off, v[2:3], off offset:224
	s_and_saveexec_b64 s[0:1], vcc
	s_cbranch_execz .LBB61_331
; %bb.330:
	scratch_load_dwordx2 v[2:3], off, off offset:216
	v_mov_b32_e32 v71, v70
	scratch_store_dwordx2 off, v[70:71], off offset:216
	s_waitcnt vmcnt(1)
	ds_write_b64 v1, v[2:3]
.LBB61_331:
	s_or_b64 exec, exec, s[0:1]
	s_waitcnt lgkmcnt(0)
	; wave barrier
	ds_read_b128 v[14:17], v70 offset:720
	ds_read_b128 v[10:13], v70 offset:736
	;; [unrolled: 1-line block ×4, first 2 shown]
	scratch_load_dwordx4 v[18:21], off, off offset:224
	scratch_load_dwordx4 v[34:37], off, off offset:272
	;; [unrolled: 1-line block ×8, first 2 shown]
	ds_read_b128 v[38:41], v70 offset:784
	ds_read_b128 v[54:57], v70 offset:800
	;; [unrolled: 1-line block ×8, first 2 shown]
	scratch_load_dwordx4 v[126:129], off, off offset:416
	ds_read_b128 v[122:125], v70 offset:912
	v_cmp_lt_u32_e32 vcc, 26, v0
	scratch_load_dwordx4 v[50:53], off, off offset:288
	scratch_load_dwordx4 v[62:65], off, off offset:304
	s_waitcnt vmcnt(10) lgkmcnt(12)
	v_mul_f32_e32 v22, v14, v19
	v_fmac_f32_e32 v22, v15, v18
	v_mul_f32_e32 v23, v16, v21
	v_add_f32_e32 v22, 0, v22
	v_fmac_f32_e32 v23, v17, v20
	v_add_f32_e32 v26, v22, v23
	scratch_load_dwordx4 v[22:25], off, off offset:240
	v_mul_f32_e32 v15, v15, v19
	v_fma_f32 v14, v14, v18, -v15
	v_mul_f32_e32 v15, v17, v21
	v_add_f32_e32 v14, 0, v14
	v_fma_f32 v15, v16, v20, -v15
	v_add_f32_e32 v14, v14, v15
	s_waitcnt vmcnt(3) lgkmcnt(0)
	v_mul_f32_e32 v75, v122, v127
	v_fmac_f32_e32 v75, v123, v126
	v_mul_f32_e32 v77, v124, v129
	v_fmac_f32_e32 v77, v125, v128
	s_waitcnt vmcnt(0)
	v_mul_f32_e32 v27, v10, v23
	v_fmac_f32_e32 v27, v11, v22
	v_add_f32_e32 v26, v26, v27
	v_mul_f32_e32 v27, v12, v25
	v_fmac_f32_e32 v27, v13, v24
	v_add_f32_e32 v30, v26, v27
	scratch_load_dwordx4 v[26:29], off, off offset:256
	v_mul_f32_e32 v11, v11, v23
	v_fma_f32 v10, v10, v22, -v11
	v_mul_f32_e32 v11, v13, v25
	v_add_f32_e32 v10, v14, v10
	v_fma_f32 v11, v12, v24, -v11
	v_add_f32_e32 v10, v10, v11
	s_waitcnt vmcnt(0)
	v_mul_f32_e32 v31, v6, v27
	v_fmac_f32_e32 v31, v7, v26
	v_add_f32_e32 v30, v30, v31
	v_mul_f32_e32 v31, v8, v29
	v_fmac_f32_e32 v31, v9, v28
	v_add_f32_e32 v30, v30, v31
	;; [unrolled: 3-line block ×20, first 2 shown]
	scratch_load_dwordx4 v[58:61], off, off offset:432
	scratch_load_dwordx4 v[46:49], off, off offset:448
	;; [unrolled: 1-line block ×4, first 2 shown]
	v_mul_f32_e32 v7, v7, v27
	v_fma_f32 v6, v6, v26, -v7
	v_mul_f32_e32 v7, v9, v29
	v_add_f32_e32 v6, v10, v6
	v_fma_f32 v7, v8, v28, -v7
	v_mul_f32_e32 v3, v3, v35
	v_add_f32_e32 v6, v6, v7
	;; [unrolled: 3-line block ×3, first 2 shown]
	v_fma_f32 v3, v4, v36, -v3
	v_add_f32_e32 v2, v2, v3
	v_mul_f32_e32 v3, v39, v51
	v_fma_f32 v3, v38, v50, -v3
	v_add_f32_e32 v2, v2, v3
	v_mul_f32_e32 v3, v41, v53
	;; [unrolled: 3-line block ×17, first 2 shown]
	v_fma_f32 v74, v122, v126, -v2
	v_mul_f32_e32 v2, v125, v129
	v_fma_f32 v76, v124, v128, -v2
	ds_read_b128 v[2:5], v70 offset:928
	ds_read_b128 v[6:9], v70 offset:944
	;; [unrolled: 1-line block ×4, first 2 shown]
	v_pk_add_f32 v[18:19], v[72:73], v[74:75]
	s_waitcnt vmcnt(3) lgkmcnt(3)
	v_pk_mul_f32 v[20:21], v[2:3], v[58:59] op_sel:[1,1] op_sel_hi:[0,1]
	v_pk_fma_f32 v[22:23], v[2:3], v[58:59], v[20:21] neg_lo:[0,0,1] neg_hi:[0,0,1]
	v_pk_fma_f32 v[2:3], v[2:3], v[58:59], v[20:21] op_sel_hi:[1,0,1]
	v_pk_add_f32 v[18:19], v[18:19], v[76:77]
	v_mov_b32_e32 v23, v3
	v_pk_add_f32 v[2:3], v[18:19], v[22:23]
	v_mov_b32_e32 v18, v61
	v_pk_mul_f32 v[18:19], v[4:5], v[18:19] op_sel:[1,0] op_sel_hi:[0,0]
	v_pk_fma_f32 v[20:21], v[4:5], v[60:61], v[18:19] neg_lo:[0,0,1] neg_hi:[0,0,1]
	v_pk_fma_f32 v[4:5], v[4:5], v[60:61], v[18:19] op_sel_hi:[1,0,1]
	s_nop 0
	v_mov_b32_e32 v21, v5
	s_waitcnt vmcnt(2) lgkmcnt(2)
	v_pk_mul_f32 v[4:5], v[6:7], v[46:47] op_sel:[1,1] op_sel_hi:[0,1]
	v_pk_fma_f32 v[18:19], v[6:7], v[46:47], v[4:5] neg_lo:[0,0,1] neg_hi:[0,0,1]
	v_pk_fma_f32 v[4:5], v[6:7], v[46:47], v[4:5] op_sel_hi:[1,0,1]
	v_pk_add_f32 v[2:3], v[2:3], v[20:21]
	v_mov_b32_e32 v4, v49
	v_mov_b32_e32 v19, v5
	v_pk_mul_f32 v[4:5], v[8:9], v[4:5] op_sel:[1,0] op_sel_hi:[0,0]
	v_pk_fma_f32 v[6:7], v[8:9], v[48:49], v[4:5] neg_lo:[0,0,1] neg_hi:[0,0,1]
	v_pk_fma_f32 v[4:5], v[8:9], v[48:49], v[4:5] op_sel_hi:[1,0,1]
	v_pk_add_f32 v[2:3], v[2:3], v[18:19]
	v_mov_b32_e32 v7, v5
	s_waitcnt vmcnt(1) lgkmcnt(1)
	v_pk_mul_f32 v[4:5], v[10:11], v[42:43] op_sel:[1,1] op_sel_hi:[0,1]
	v_pk_add_f32 v[2:3], v[2:3], v[6:7]
	v_pk_fma_f32 v[6:7], v[10:11], v[42:43], v[4:5] neg_lo:[0,0,1] neg_hi:[0,0,1]
	v_pk_fma_f32 v[4:5], v[10:11], v[42:43], v[4:5] op_sel_hi:[1,0,1]
	s_nop 0
	v_mov_b32_e32 v4, v45
	v_mov_b32_e32 v7, v5
	v_pk_mul_f32 v[4:5], v[12:13], v[4:5] op_sel:[1,0] op_sel_hi:[0,0]
	v_pk_add_f32 v[2:3], v[2:3], v[6:7]
	v_pk_fma_f32 v[6:7], v[12:13], v[44:45], v[4:5] neg_lo:[0,0,1] neg_hi:[0,0,1]
	v_pk_fma_f32 v[4:5], v[12:13], v[44:45], v[4:5] op_sel_hi:[1,0,1]
	s_nop 0
	v_mov_b32_e32 v7, v5
	s_waitcnt vmcnt(0) lgkmcnt(0)
	v_pk_mul_f32 v[4:5], v[14:15], v[30:31] op_sel:[1,1] op_sel_hi:[0,1]
	v_pk_add_f32 v[2:3], v[2:3], v[6:7]
	v_pk_fma_f32 v[6:7], v[14:15], v[30:31], v[4:5] neg_lo:[0,0,1] neg_hi:[0,0,1]
	v_pk_fma_f32 v[4:5], v[14:15], v[30:31], v[4:5] op_sel_hi:[1,0,1]
	s_nop 0
	v_mov_b32_e32 v4, v33
	v_mov_b32_e32 v7, v5
	v_pk_mul_f32 v[4:5], v[16:17], v[4:5] op_sel:[1,0] op_sel_hi:[0,0]
	v_pk_add_f32 v[2:3], v[2:3], v[6:7]
	v_pk_fma_f32 v[6:7], v[16:17], v[32:33], v[4:5] neg_lo:[0,0,1] neg_hi:[0,0,1]
	v_pk_fma_f32 v[4:5], v[16:17], v[32:33], v[4:5] op_sel_hi:[1,0,1]
	s_nop 0
	v_mov_b32_e32 v7, v5
	scratch_load_dwordx2 v[4:5], off, off offset:216
	v_pk_add_f32 v[2:3], v[2:3], v[6:7]
	s_waitcnt vmcnt(0)
	v_pk_add_f32 v[2:3], v[4:5], v[2:3] neg_lo:[0,1] neg_hi:[0,1]
	scratch_store_dwordx2 off, v[2:3], off offset:216
	s_and_saveexec_b64 s[0:1], vcc
	s_cbranch_execz .LBB61_333
; %bb.332:
	scratch_load_dwordx2 v[2:3], off, off offset:208
	v_mov_b32_e32 v4, 0
	v_mov_b32_e32 v5, v4
	scratch_store_dwordx2 off, v[4:5], off offset:208
	s_waitcnt vmcnt(1)
	ds_write_b64 v1, v[2:3]
.LBB61_333:
	s_or_b64 exec, exec, s[0:1]
	s_waitcnt lgkmcnt(0)
	; wave barrier
	scratch_load_dwordx4 v[6:9], off, off offset:216
	scratch_load_dwordx4 v[14:17], off, off offset:232
	;; [unrolled: 1-line block ×10, first 2 shown]
	v_mov_b32_e32 v70, 0
	ds_read2_b64 v[2:5], v70 offset0:89 offset1:90
	scratch_load_dwordx4 v[88:91], off, off offset:376
	scratch_load_dwordx4 v[96:99], off, off offset:392
	;; [unrolled: 1-line block ×4, first 2 shown]
	v_cmp_lt_u32_e32 vcc, 25, v0
	s_waitcnt vmcnt(13) lgkmcnt(0)
	v_mul_f32_e32 v10, v2, v7
	v_fmac_f32_e32 v10, v3, v6
	v_mul_f32_e32 v11, v4, v9
	v_add_f32_e32 v10, 0, v10
	v_fmac_f32_e32 v11, v5, v8
	v_add_f32_e32 v18, v10, v11
	ds_read2_b64 v[10:13], v70 offset0:91 offset1:92
	v_mul_f32_e32 v3, v3, v7
	v_fma_f32 v2, v2, v6, -v3
	v_mul_f32_e32 v3, v5, v9
	v_add_f32_e32 v2, 0, v2
	s_waitcnt vmcnt(12) lgkmcnt(0)
	v_mul_f32_e32 v19, v10, v15
	v_fmac_f32_e32 v19, v11, v14
	v_add_f32_e32 v18, v18, v19
	v_mul_f32_e32 v19, v12, v17
	v_fmac_f32_e32 v19, v13, v16
	v_add_f32_e32 v26, v18, v19
	ds_read2_b64 v[18:21], v70 offset0:93 offset1:94
	v_fma_f32 v3, v4, v8, -v3
	v_add_f32_e32 v2, v2, v3
	v_mul_f32_e32 v3, v11, v15
	v_fma_f32 v3, v10, v14, -v3
	s_waitcnt vmcnt(11) lgkmcnt(0)
	v_mul_f32_e32 v27, v18, v23
	v_fmac_f32_e32 v27, v19, v22
	v_add_f32_e32 v26, v26, v27
	v_mul_f32_e32 v27, v20, v25
	v_fmac_f32_e32 v27, v21, v24
	v_add_f32_e32 v34, v26, v27
	ds_read2_b64 v[26:29], v70 offset0:95 offset1:96
	v_add_f32_e32 v2, v2, v3
	v_mul_f32_e32 v3, v13, v17
	v_fma_f32 v3, v12, v16, -v3
	v_add_f32_e32 v2, v2, v3
	s_waitcnt vmcnt(10) lgkmcnt(0)
	v_mul_f32_e32 v35, v26, v31
	v_fmac_f32_e32 v35, v27, v30
	v_add_f32_e32 v34, v34, v35
	v_mul_f32_e32 v35, v28, v33
	v_fmac_f32_e32 v35, v29, v32
	v_add_f32_e32 v42, v34, v35
	ds_read2_b64 v[34:37], v70 offset0:97 offset1:98
	v_mul_f32_e32 v3, v19, v23
	v_fma_f32 v3, v18, v22, -v3
	v_add_f32_e32 v2, v2, v3
	v_mul_f32_e32 v3, v21, v25
	s_waitcnt vmcnt(9) lgkmcnt(0)
	v_mul_f32_e32 v43, v34, v39
	v_fmac_f32_e32 v43, v35, v38
	v_add_f32_e32 v42, v42, v43
	v_mul_f32_e32 v43, v36, v41
	v_fmac_f32_e32 v43, v37, v40
	v_add_f32_e32 v50, v42, v43
	ds_read2_b64 v[42:45], v70 offset0:99 offset1:100
	v_fma_f32 v3, v20, v24, -v3
	v_add_f32_e32 v2, v2, v3
	v_mul_f32_e32 v3, v27, v31
	v_fma_f32 v3, v26, v30, -v3
	s_waitcnt vmcnt(8) lgkmcnt(0)
	v_mul_f32_e32 v51, v42, v47
	v_fmac_f32_e32 v51, v43, v46
	v_add_f32_e32 v50, v50, v51
	v_mul_f32_e32 v51, v44, v49
	v_fmac_f32_e32 v51, v45, v48
	v_add_f32_e32 v58, v50, v51
	ds_read2_b64 v[50:53], v70 offset0:101 offset1:102
	v_add_f32_e32 v2, v2, v3
	v_mul_f32_e32 v3, v29, v33
	v_fma_f32 v3, v28, v32, -v3
	v_add_f32_e32 v2, v2, v3
	s_waitcnt vmcnt(7) lgkmcnt(0)
	v_mul_f32_e32 v59, v50, v55
	v_fmac_f32_e32 v59, v51, v54
	v_add_f32_e32 v58, v58, v59
	v_mul_f32_e32 v59, v52, v57
	v_fmac_f32_e32 v59, v53, v56
	v_add_f32_e32 v66, v58, v59
	ds_read2_b64 v[58:61], v70 offset0:103 offset1:104
	v_mul_f32_e32 v3, v35, v39
	v_fma_f32 v3, v34, v38, -v3
	v_add_f32_e32 v2, v2, v3
	v_mul_f32_e32 v3, v37, v41
	;; [unrolled: 36-line block ×3, first 2 shown]
	s_waitcnt vmcnt(3) lgkmcnt(0)
	v_mul_f32_e32 v92, v84, v89
	v_fmac_f32_e32 v92, v85, v88
	v_add_f32_e32 v71, v71, v92
	v_mul_f32_e32 v92, v86, v91
	v_fmac_f32_e32 v92, v87, v90
	v_add_f32_e32 v71, v71, v92
	ds_read2_b64 v[92:95], v70 offset0:111 offset1:112
	v_fma_f32 v3, v52, v56, -v3
	v_add_f32_e32 v2, v2, v3
	v_mul_f32_e32 v3, v59, v63
	v_fma_f32 v3, v58, v62, -v3
	s_waitcnt vmcnt(2) lgkmcnt(0)
	v_mul_f32_e32 v100, v92, v97
	v_fmac_f32_e32 v100, v93, v96
	v_add_f32_e32 v71, v71, v100
	v_mul_f32_e32 v100, v94, v99
	v_fmac_f32_e32 v100, v95, v98
	v_add_f32_e32 v71, v71, v100
	ds_read2_b64 v[100:103], v70 offset0:113 offset1:114
	v_add_f32_e32 v2, v2, v3
	v_mul_f32_e32 v3, v61, v65
	v_fma_f32 v3, v60, v64, -v3
	v_add_f32_e32 v2, v2, v3
	s_waitcnt vmcnt(1) lgkmcnt(0)
	v_mul_f32_e32 v108, v100, v105
	v_fmac_f32_e32 v108, v101, v104
	v_add_f32_e32 v129, v71, v108
	ds_read2_b64 v[108:111], v70 offset0:115 offset1:116
	scratch_load_dwordx4 v[116:119], off, off offset:440
	scratch_load_dwordx4 v[120:123], off, off offset:456
	;; [unrolled: 1-line block ×3, first 2 shown]
	scratch_load_dwordx2 v[134:135], off, off offset:488
	v_mul_f32_e32 v3, v67, v73
	v_fma_f32 v3, v66, v72, -v3
	v_add_f32_e32 v2, v2, v3
	v_mul_f32_e32 v3, v69, v75
	v_fma_f32 v3, v68, v74, -v3
	v_add_f32_e32 v2, v2, v3
	v_mul_f32_e32 v3, v77, v81
	v_fma_f32 v3, v76, v80, -v3
	v_add_f32_e32 v2, v2, v3
	v_mul_f32_e32 v3, v79, v83
	v_fma_f32 v3, v78, v82, -v3
	v_add_f32_e32 v2, v2, v3
	v_mul_f32_e32 v3, v85, v89
	v_fma_f32 v3, v84, v88, -v3
	v_add_f32_e32 v2, v2, v3
	v_mul_f32_e32 v3, v87, v91
	v_fma_f32 v3, v86, v90, -v3
	v_add_f32_e32 v2, v2, v3
	v_mul_f32_e32 v3, v93, v97
	v_fma_f32 v3, v92, v96, -v3
	v_add_f32_e32 v2, v2, v3
	v_mul_f32_e32 v3, v95, v99
	v_fma_f32 v3, v94, v98, -v3
	v_add_f32_e32 v2, v2, v3
	v_mul_f32_e32 v3, v101, v105
	v_fma_f32 v3, v100, v104, -v3
	v_add_f32_e32 v128, v2, v3
	v_mul_f32_e32 v2, v103, v107
	v_mul_f32_e32 v131, v102, v107
	v_fma_f32 v130, v102, v106, -v2
	s_waitcnt vmcnt(4) lgkmcnt(0)
	v_mul_f32_e32 v2, v109, v113
	v_mov_b32_e32 v18, v115
	v_fmac_f32_e32 v131, v103, v106
	v_mul_f32_e32 v133, v108, v113
	v_fma_f32 v132, v108, v112, -v2
	ds_read2_b64 v[2:5], v70 offset0:117 offset1:118
	ds_read2_b64 v[6:9], v70 offset0:119 offset1:120
	;; [unrolled: 1-line block ×3, first 2 shown]
	ds_read_b64 v[14:15], v70 offset:984
	v_pk_mul_f32 v[18:19], v[110:111], v[18:19] op_sel:[1,0] op_sel_hi:[0,0]
	v_fmac_f32_e32 v133, v109, v112
	v_pk_add_f32 v[16:17], v[128:129], v[130:131]
	v_pk_fma_f32 v[20:21], v[110:111], v[114:115], v[18:19] neg_lo:[0,0,1] neg_hi:[0,0,1]
	v_pk_fma_f32 v[18:19], v[110:111], v[114:115], v[18:19] op_sel_hi:[1,0,1]
	v_pk_add_f32 v[16:17], v[16:17], v[132:133]
	v_mov_b32_e32 v21, v19
	v_pk_add_f32 v[16:17], v[16:17], v[20:21]
	s_waitcnt vmcnt(3) lgkmcnt(3)
	v_pk_mul_f32 v[18:19], v[2:3], v[116:117] op_sel:[1,1] op_sel_hi:[0,1]
	v_pk_fma_f32 v[20:21], v[2:3], v[116:117], v[18:19] neg_lo:[0,0,1] neg_hi:[0,0,1]
	v_pk_fma_f32 v[2:3], v[2:3], v[116:117], v[18:19] op_sel_hi:[1,0,1]
	s_nop 0
	v_mov_b32_e32 v21, v3
	v_pk_add_f32 v[2:3], v[16:17], v[20:21]
	v_mov_b32_e32 v16, v119
	v_pk_mul_f32 v[16:17], v[4:5], v[16:17] op_sel:[1,0] op_sel_hi:[0,0]
	v_pk_fma_f32 v[18:19], v[4:5], v[118:119], v[16:17] neg_lo:[0,0,1] neg_hi:[0,0,1]
	v_pk_fma_f32 v[4:5], v[4:5], v[118:119], v[16:17] op_sel_hi:[1,0,1]
	s_nop 0
	v_mov_b32_e32 v19, v5
	s_waitcnt vmcnt(2) lgkmcnt(2)
	v_pk_mul_f32 v[4:5], v[6:7], v[120:121] op_sel:[1,1] op_sel_hi:[0,1]
	v_pk_fma_f32 v[16:17], v[6:7], v[120:121], v[4:5] neg_lo:[0,0,1] neg_hi:[0,0,1]
	v_pk_fma_f32 v[4:5], v[6:7], v[120:121], v[4:5] op_sel_hi:[1,0,1]
	v_pk_add_f32 v[2:3], v[2:3], v[18:19]
	v_mov_b32_e32 v4, v123
	v_mov_b32_e32 v17, v5
	v_pk_mul_f32 v[4:5], v[8:9], v[4:5] op_sel:[1,0] op_sel_hi:[0,0]
	v_pk_fma_f32 v[6:7], v[8:9], v[122:123], v[4:5] neg_lo:[0,0,1] neg_hi:[0,0,1]
	v_pk_fma_f32 v[4:5], v[8:9], v[122:123], v[4:5] op_sel_hi:[1,0,1]
	v_pk_add_f32 v[2:3], v[2:3], v[16:17]
	v_mov_b32_e32 v7, v5
	s_waitcnt vmcnt(1) lgkmcnt(1)
	v_pk_mul_f32 v[4:5], v[10:11], v[124:125] op_sel:[1,1] op_sel_hi:[0,1]
	v_pk_add_f32 v[2:3], v[2:3], v[6:7]
	v_pk_fma_f32 v[6:7], v[10:11], v[124:125], v[4:5] neg_lo:[0,0,1] neg_hi:[0,0,1]
	v_pk_fma_f32 v[4:5], v[10:11], v[124:125], v[4:5] op_sel_hi:[1,0,1]
	s_nop 0
	v_mov_b32_e32 v4, v127
	v_mov_b32_e32 v7, v5
	v_pk_mul_f32 v[4:5], v[12:13], v[4:5] op_sel:[1,0] op_sel_hi:[0,0]
	v_pk_add_f32 v[2:3], v[2:3], v[6:7]
	v_pk_fma_f32 v[6:7], v[12:13], v[126:127], v[4:5] neg_lo:[0,0,1] neg_hi:[0,0,1]
	v_pk_fma_f32 v[4:5], v[12:13], v[126:127], v[4:5] op_sel_hi:[1,0,1]
	s_nop 0
	v_mov_b32_e32 v7, v5
	s_waitcnt vmcnt(0) lgkmcnt(0)
	v_pk_mul_f32 v[4:5], v[14:15], v[134:135] op_sel:[1,1] op_sel_hi:[0,1]
	v_pk_add_f32 v[2:3], v[2:3], v[6:7]
	v_pk_fma_f32 v[6:7], v[14:15], v[134:135], v[4:5] neg_lo:[0,0,1] neg_hi:[0,0,1]
	v_pk_fma_f32 v[4:5], v[14:15], v[134:135], v[4:5] op_sel_hi:[1,0,1]
	s_nop 0
	v_mov_b32_e32 v7, v5
	scratch_load_dwordx2 v[4:5], off, off offset:208
	v_pk_add_f32 v[2:3], v[2:3], v[6:7]
	s_waitcnt vmcnt(0)
	v_pk_add_f32 v[2:3], v[4:5], v[2:3] neg_lo:[0,1] neg_hi:[0,1]
	scratch_store_dwordx2 off, v[2:3], off offset:208
	s_and_saveexec_b64 s[0:1], vcc
	s_cbranch_execz .LBB61_335
; %bb.334:
	scratch_load_dwordx2 v[2:3], off, off offset:200
	v_mov_b32_e32 v71, v70
	scratch_store_dwordx2 off, v[70:71], off offset:200
	s_waitcnt vmcnt(1)
	ds_write_b64 v1, v[2:3]
.LBB61_335:
	s_or_b64 exec, exec, s[0:1]
	s_waitcnt lgkmcnt(0)
	; wave barrier
	ds_read_b128 v[14:17], v70 offset:704
	ds_read_b128 v[10:13], v70 offset:720
	;; [unrolled: 1-line block ×4, first 2 shown]
	scratch_load_dwordx4 v[18:21], off, off offset:208
	scratch_load_dwordx4 v[38:41], off, off offset:272
	;; [unrolled: 1-line block ×8, first 2 shown]
	v_cmp_lt_u32_e32 vcc, 24, v0
	scratch_load_dwordx4 v[46:49], off, off offset:288
	scratch_load_dwordx4 v[54:57], off, off offset:304
	;; [unrolled: 1-line block ×3, first 2 shown]
	s_waitcnt vmcnt(10) lgkmcnt(3)
	v_mul_f32_e32 v22, v14, v19
	v_fmac_f32_e32 v22, v15, v18
	v_mul_f32_e32 v23, v16, v21
	v_add_f32_e32 v22, 0, v22
	v_fmac_f32_e32 v23, v17, v20
	v_add_f32_e32 v26, v22, v23
	scratch_load_dwordx4 v[22:25], off, off offset:224
	v_mul_f32_e32 v15, v15, v19
	v_fma_f32 v14, v14, v18, -v15
	v_mul_f32_e32 v15, v17, v21
	v_add_f32_e32 v14, 0, v14
	v_fma_f32 v15, v16, v20, -v15
	v_add_f32_e32 v14, v14, v15
	s_waitcnt vmcnt(0) lgkmcnt(2)
	v_mul_f32_e32 v27, v10, v23
	v_fmac_f32_e32 v27, v11, v22
	v_add_f32_e32 v26, v26, v27
	v_mul_f32_e32 v27, v12, v25
	v_fmac_f32_e32 v27, v13, v24
	v_add_f32_e32 v30, v26, v27
	scratch_load_dwordx4 v[26:29], off, off offset:240
	v_mul_f32_e32 v11, v11, v23
	v_fma_f32 v10, v10, v22, -v11
	v_mul_f32_e32 v11, v13, v25
	v_add_f32_e32 v10, v14, v10
	v_fma_f32 v11, v12, v24, -v11
	v_add_f32_e32 v10, v10, v11
	s_waitcnt vmcnt(0) lgkmcnt(1)
	v_mul_f32_e32 v31, v6, v27
	v_fmac_f32_e32 v31, v7, v26
	v_add_f32_e32 v30, v30, v31
	v_mul_f32_e32 v31, v8, v29
	;; [unrolled: 14-line block ×3, first 2 shown]
	v_fmac_f32_e32 v35, v5, v32
	v_add_f32_e32 v42, v34, v35
	ds_read_b128 v[34:37], v70 offset:768
	v_mul_f32_e32 v3, v3, v31
	v_fma_f32 v2, v2, v30, -v3
	v_mul_f32_e32 v3, v5, v33
	v_add_f32_e32 v2, v6, v2
	s_waitcnt lgkmcnt(0)
	v_mul_f32_e32 v43, v34, v39
	v_fmac_f32_e32 v43, v35, v38
	v_add_f32_e32 v42, v42, v43
	v_mul_f32_e32 v43, v36, v41
	v_fmac_f32_e32 v43, v37, v40
	v_add_f32_e32 v50, v42, v43
	ds_read_b128 v[42:45], v70 offset:784
	v_fma_f32 v3, v4, v32, -v3
	v_add_f32_e32 v2, v2, v3
	v_mul_f32_e32 v3, v35, v39
	v_fma_f32 v3, v34, v38, -v3
	s_waitcnt lgkmcnt(0)
	v_mul_f32_e32 v51, v42, v47
	v_fmac_f32_e32 v51, v43, v46
	v_add_f32_e32 v50, v50, v51
	v_mul_f32_e32 v51, v44, v49
	v_fmac_f32_e32 v51, v45, v48
	v_add_f32_e32 v58, v50, v51
	ds_read_b128 v[50:53], v70 offset:800
	v_add_f32_e32 v2, v2, v3
	v_mul_f32_e32 v3, v37, v41
	v_fma_f32 v3, v36, v40, -v3
	v_add_f32_e32 v2, v2, v3
	s_waitcnt lgkmcnt(0)
	v_mul_f32_e32 v59, v50, v55
	v_fmac_f32_e32 v59, v51, v54
	v_add_f32_e32 v58, v58, v59
	v_mul_f32_e32 v59, v52, v57
	v_fmac_f32_e32 v59, v53, v56
	v_add_f32_e32 v66, v58, v59
	ds_read_b128 v[58:61], v70 offset:816
	v_mul_f32_e32 v3, v43, v47
	v_fma_f32 v3, v42, v46, -v3
	v_add_f32_e32 v2, v2, v3
	v_mul_f32_e32 v3, v45, v49
	s_waitcnt lgkmcnt(0)
	v_mul_f32_e32 v67, v58, v63
	v_fmac_f32_e32 v67, v59, v62
	v_add_f32_e32 v66, v66, v67
	v_mul_f32_e32 v67, v60, v65
	v_fmac_f32_e32 v67, v61, v64
	v_add_f32_e32 v71, v66, v67
	ds_read_b128 v[66:69], v70 offset:832
	v_fma_f32 v3, v44, v48, -v3
	v_add_f32_e32 v2, v2, v3
	v_mul_f32_e32 v3, v51, v55
	v_fma_f32 v3, v50, v54, -v3
	s_waitcnt lgkmcnt(0)
	v_mul_f32_e32 v76, v66, v73
	v_fmac_f32_e32 v76, v67, v72
	v_add_f32_e32 v71, v71, v76
	v_mul_f32_e32 v76, v68, v75
	v_fmac_f32_e32 v76, v69, v74
	v_add_f32_e32 v71, v71, v76
	ds_read_b128 v[76:79], v70 offset:848
	v_add_f32_e32 v2, v2, v3
	v_mul_f32_e32 v3, v53, v57
	v_fma_f32 v3, v52, v56, -v3
	v_add_f32_e32 v2, v2, v3
	s_waitcnt lgkmcnt(0)
	v_mul_f32_e32 v84, v76, v81
	v_fmac_f32_e32 v84, v77, v80
	v_add_f32_e32 v71, v71, v84
	v_mul_f32_e32 v84, v78, v83
	v_fmac_f32_e32 v84, v79, v82
	v_add_f32_e32 v71, v71, v84
	ds_read_b128 v[84:87], v70 offset:864
	v_mul_f32_e32 v3, v59, v63
	v_fma_f32 v3, v58, v62, -v3
	v_add_f32_e32 v2, v2, v3
	v_mul_f32_e32 v3, v61, v65
	s_waitcnt lgkmcnt(0)
	v_mul_f32_e32 v92, v84, v89
	v_fmac_f32_e32 v92, v85, v88
	v_add_f32_e32 v71, v71, v92
	v_mul_f32_e32 v92, v86, v91
	v_fmac_f32_e32 v92, v87, v90
	v_add_f32_e32 v71, v71, v92
	ds_read_b128 v[92:95], v70 offset:880
	v_fma_f32 v3, v60, v64, -v3
	v_add_f32_e32 v2, v2, v3
	v_mul_f32_e32 v3, v67, v73
	v_fma_f32 v3, v66, v72, -v3
	s_waitcnt lgkmcnt(0)
	v_mul_f32_e32 v100, v92, v97
	v_fmac_f32_e32 v100, v93, v96
	v_add_f32_e32 v71, v71, v100
	v_mul_f32_e32 v100, v94, v99
	v_fmac_f32_e32 v100, v95, v98
	v_add_f32_e32 v71, v71, v100
	ds_read_b128 v[100:103], v70 offset:896
	v_add_f32_e32 v2, v2, v3
	v_mul_f32_e32 v3, v69, v75
	v_fma_f32 v3, v68, v74, -v3
	v_add_f32_e32 v2, v2, v3
	s_waitcnt lgkmcnt(0)
	v_mul_f32_e32 v108, v100, v105
	v_fmac_f32_e32 v108, v101, v104
	v_add_f32_e32 v71, v71, v108
	v_mul_f32_e32 v108, v102, v107
	v_fmac_f32_e32 v108, v103, v106
	v_add_f32_e32 v133, v71, v108
	ds_read_b128 v[108:111], v70 offset:912
	scratch_load_dwordx4 v[116:119], off, off offset:432
	scratch_load_dwordx4 v[120:123], off, off offset:448
	;; [unrolled: 1-line block ×4, first 2 shown]
	v_mul_f32_e32 v3, v77, v81
	v_fma_f32 v3, v76, v80, -v3
	v_add_f32_e32 v2, v2, v3
	v_mul_f32_e32 v3, v79, v83
	v_fma_f32 v3, v78, v82, -v3
	v_add_f32_e32 v2, v2, v3
	;; [unrolled: 3-line block ×8, first 2 shown]
	s_waitcnt lgkmcnt(0)
	v_mul_f32_e32 v2, v109, v113
	v_fma_f32 v134, v108, v112, -v2
	v_mul_f32_e32 v2, v111, v115
	v_fma_f32 v136, v110, v114, -v2
	ds_read_b128 v[2:5], v70 offset:928
	ds_read_b128 v[6:9], v70 offset:944
	;; [unrolled: 1-line block ×4, first 2 shown]
	v_mul_f32_e32 v135, v108, v113
	v_fmac_f32_e32 v135, v109, v112
	v_mul_f32_e32 v137, v110, v115
	v_fmac_f32_e32 v137, v111, v114
	v_pk_add_f32 v[18:19], v[132:133], v[134:135]
	s_waitcnt vmcnt(3) lgkmcnt(3)
	v_pk_mul_f32 v[20:21], v[2:3], v[116:117] op_sel:[1,1] op_sel_hi:[0,1]
	v_pk_fma_f32 v[22:23], v[2:3], v[116:117], v[20:21] neg_lo:[0,0,1] neg_hi:[0,0,1]
	v_pk_fma_f32 v[2:3], v[2:3], v[116:117], v[20:21] op_sel_hi:[1,0,1]
	v_pk_add_f32 v[18:19], v[18:19], v[136:137]
	v_mov_b32_e32 v23, v3
	v_pk_add_f32 v[2:3], v[18:19], v[22:23]
	v_mov_b32_e32 v18, v119
	v_pk_mul_f32 v[18:19], v[4:5], v[18:19] op_sel:[1,0] op_sel_hi:[0,0]
	v_pk_fma_f32 v[20:21], v[4:5], v[118:119], v[18:19] neg_lo:[0,0,1] neg_hi:[0,0,1]
	v_pk_fma_f32 v[4:5], v[4:5], v[118:119], v[18:19] op_sel_hi:[1,0,1]
	s_nop 0
	v_mov_b32_e32 v21, v5
	s_waitcnt vmcnt(2) lgkmcnt(2)
	v_pk_mul_f32 v[4:5], v[6:7], v[120:121] op_sel:[1,1] op_sel_hi:[0,1]
	v_pk_fma_f32 v[18:19], v[6:7], v[120:121], v[4:5] neg_lo:[0,0,1] neg_hi:[0,0,1]
	v_pk_fma_f32 v[4:5], v[6:7], v[120:121], v[4:5] op_sel_hi:[1,0,1]
	v_pk_add_f32 v[2:3], v[2:3], v[20:21]
	v_mov_b32_e32 v4, v123
	v_mov_b32_e32 v19, v5
	v_pk_mul_f32 v[4:5], v[8:9], v[4:5] op_sel:[1,0] op_sel_hi:[0,0]
	v_pk_fma_f32 v[6:7], v[8:9], v[122:123], v[4:5] neg_lo:[0,0,1] neg_hi:[0,0,1]
	v_pk_fma_f32 v[4:5], v[8:9], v[122:123], v[4:5] op_sel_hi:[1,0,1]
	v_pk_add_f32 v[2:3], v[2:3], v[18:19]
	v_mov_b32_e32 v7, v5
	s_waitcnt vmcnt(1) lgkmcnt(1)
	v_pk_mul_f32 v[4:5], v[10:11], v[124:125] op_sel:[1,1] op_sel_hi:[0,1]
	v_pk_add_f32 v[2:3], v[2:3], v[6:7]
	v_pk_fma_f32 v[6:7], v[10:11], v[124:125], v[4:5] neg_lo:[0,0,1] neg_hi:[0,0,1]
	v_pk_fma_f32 v[4:5], v[10:11], v[124:125], v[4:5] op_sel_hi:[1,0,1]
	s_nop 0
	v_mov_b32_e32 v4, v127
	v_mov_b32_e32 v7, v5
	v_pk_mul_f32 v[4:5], v[12:13], v[4:5] op_sel:[1,0] op_sel_hi:[0,0]
	v_pk_add_f32 v[2:3], v[2:3], v[6:7]
	v_pk_fma_f32 v[6:7], v[12:13], v[126:127], v[4:5] neg_lo:[0,0,1] neg_hi:[0,0,1]
	v_pk_fma_f32 v[4:5], v[12:13], v[126:127], v[4:5] op_sel_hi:[1,0,1]
	s_nop 0
	v_mov_b32_e32 v7, v5
	s_waitcnt vmcnt(0) lgkmcnt(0)
	v_pk_mul_f32 v[4:5], v[14:15], v[128:129] op_sel:[1,1] op_sel_hi:[0,1]
	v_pk_add_f32 v[2:3], v[2:3], v[6:7]
	v_pk_fma_f32 v[6:7], v[14:15], v[128:129], v[4:5] neg_lo:[0,0,1] neg_hi:[0,0,1]
	v_pk_fma_f32 v[4:5], v[14:15], v[128:129], v[4:5] op_sel_hi:[1,0,1]
	s_nop 0
	v_mov_b32_e32 v4, v131
	v_mov_b32_e32 v7, v5
	v_pk_mul_f32 v[4:5], v[16:17], v[4:5] op_sel:[1,0] op_sel_hi:[0,0]
	v_pk_add_f32 v[2:3], v[2:3], v[6:7]
	v_pk_fma_f32 v[6:7], v[16:17], v[130:131], v[4:5] neg_lo:[0,0,1] neg_hi:[0,0,1]
	v_pk_fma_f32 v[4:5], v[16:17], v[130:131], v[4:5] op_sel_hi:[1,0,1]
	s_nop 0
	v_mov_b32_e32 v7, v5
	scratch_load_dwordx2 v[4:5], off, off offset:200
	v_pk_add_f32 v[2:3], v[2:3], v[6:7]
	s_waitcnt vmcnt(0)
	v_pk_add_f32 v[2:3], v[4:5], v[2:3] neg_lo:[0,1] neg_hi:[0,1]
	scratch_store_dwordx2 off, v[2:3], off offset:200
	s_and_saveexec_b64 s[0:1], vcc
	s_cbranch_execz .LBB61_337
; %bb.336:
	scratch_load_dwordx2 v[2:3], off, off offset:192
	v_mov_b32_e32 v4, 0
	v_mov_b32_e32 v5, v4
	scratch_store_dwordx2 off, v[4:5], off offset:192
	s_waitcnt vmcnt(1)
	ds_write_b64 v1, v[2:3]
.LBB61_337:
	s_or_b64 exec, exec, s[0:1]
	s_waitcnt lgkmcnt(0)
	; wave barrier
	scratch_load_dwordx4 v[6:9], off, off offset:200
	scratch_load_dwordx4 v[14:17], off, off offset:216
	;; [unrolled: 1-line block ×10, first 2 shown]
	v_mov_b32_e32 v86, 0
	ds_read2_b64 v[2:5], v86 offset0:87 offset1:88
	scratch_load_dwordx4 v[88:91], off, off offset:360
	scratch_load_dwordx4 v[96:99], off, off offset:376
	;; [unrolled: 1-line block ×5, first 2 shown]
	v_cmp_lt_u32_e32 vcc, 23, v0
	s_waitcnt vmcnt(14) lgkmcnt(0)
	v_mul_f32_e32 v10, v2, v7
	v_fmac_f32_e32 v10, v3, v6
	v_mul_f32_e32 v11, v4, v9
	v_add_f32_e32 v10, 0, v10
	v_fmac_f32_e32 v11, v5, v8
	v_add_f32_e32 v18, v10, v11
	ds_read2_b64 v[10:13], v86 offset0:89 offset1:90
	v_mul_f32_e32 v3, v3, v7
	v_fma_f32 v2, v2, v6, -v3
	v_mul_f32_e32 v3, v5, v9
	v_add_f32_e32 v2, 0, v2
	s_waitcnt vmcnt(13) lgkmcnt(0)
	v_mul_f32_e32 v19, v10, v15
	v_fmac_f32_e32 v19, v11, v14
	v_add_f32_e32 v18, v18, v19
	v_mul_f32_e32 v19, v12, v17
	v_fmac_f32_e32 v19, v13, v16
	v_add_f32_e32 v26, v18, v19
	ds_read2_b64 v[18:21], v86 offset0:91 offset1:92
	v_fma_f32 v3, v4, v8, -v3
	v_add_f32_e32 v2, v2, v3
	v_mul_f32_e32 v3, v11, v15
	v_fma_f32 v3, v10, v14, -v3
	s_waitcnt vmcnt(12) lgkmcnt(0)
	v_mul_f32_e32 v27, v18, v23
	v_fmac_f32_e32 v27, v19, v22
	v_add_f32_e32 v26, v26, v27
	v_mul_f32_e32 v27, v20, v25
	v_fmac_f32_e32 v27, v21, v24
	v_add_f32_e32 v34, v26, v27
	ds_read2_b64 v[26:29], v86 offset0:93 offset1:94
	v_add_f32_e32 v2, v2, v3
	v_mul_f32_e32 v3, v13, v17
	v_fma_f32 v3, v12, v16, -v3
	v_add_f32_e32 v2, v2, v3
	s_waitcnt vmcnt(11) lgkmcnt(0)
	v_mul_f32_e32 v35, v26, v31
	v_fmac_f32_e32 v35, v27, v30
	v_add_f32_e32 v34, v34, v35
	v_mul_f32_e32 v35, v28, v33
	v_fmac_f32_e32 v35, v29, v32
	v_add_f32_e32 v42, v34, v35
	ds_read2_b64 v[34:37], v86 offset0:95 offset1:96
	v_mul_f32_e32 v3, v19, v23
	v_fma_f32 v3, v18, v22, -v3
	v_add_f32_e32 v2, v2, v3
	v_mul_f32_e32 v3, v21, v25
	s_waitcnt vmcnt(10) lgkmcnt(0)
	v_mul_f32_e32 v43, v34, v39
	v_fmac_f32_e32 v43, v35, v38
	v_add_f32_e32 v42, v42, v43
	v_mul_f32_e32 v43, v36, v41
	v_fmac_f32_e32 v43, v37, v40
	v_add_f32_e32 v50, v42, v43
	ds_read2_b64 v[42:45], v86 offset0:97 offset1:98
	v_fma_f32 v3, v20, v24, -v3
	v_add_f32_e32 v2, v2, v3
	v_mul_f32_e32 v3, v27, v31
	v_fma_f32 v3, v26, v30, -v3
	s_waitcnt vmcnt(9) lgkmcnt(0)
	v_mul_f32_e32 v51, v42, v47
	v_fmac_f32_e32 v51, v43, v46
	v_add_f32_e32 v50, v50, v51
	v_mul_f32_e32 v51, v44, v49
	v_fmac_f32_e32 v51, v45, v48
	v_add_f32_e32 v58, v50, v51
	ds_read2_b64 v[50:53], v86 offset0:99 offset1:100
	v_add_f32_e32 v2, v2, v3
	v_mul_f32_e32 v3, v29, v33
	v_fma_f32 v3, v28, v32, -v3
	v_add_f32_e32 v2, v2, v3
	s_waitcnt vmcnt(8) lgkmcnt(0)
	v_mul_f32_e32 v59, v50, v55
	v_fmac_f32_e32 v59, v51, v54
	v_add_f32_e32 v58, v58, v59
	v_mul_f32_e32 v59, v52, v57
	v_fmac_f32_e32 v59, v53, v56
	v_add_f32_e32 v66, v58, v59
	ds_read2_b64 v[58:61], v86 offset0:101 offset1:102
	v_mul_f32_e32 v3, v35, v39
	v_fma_f32 v3, v34, v38, -v3
	v_add_f32_e32 v2, v2, v3
	v_mul_f32_e32 v3, v37, v41
	;; [unrolled: 36-line block ×4, first 2 shown]
	s_waitcnt vmcnt(1) lgkmcnt(0)
	v_mul_f32_e32 v116, v108, v113
	v_fmac_f32_e32 v116, v109, v112
	v_add_f32_e32 v137, v87, v116
	ds_read2_b64 v[116:119], v86 offset0:115 offset1:116
	scratch_load_dwordx4 v[124:127], off, off offset:440
	scratch_load_dwordx4 v[128:131], off, off offset:456
	;; [unrolled: 1-line block ×3, first 2 shown]
	scratch_load_dwordx2 v[142:143], off, off offset:488
	v_fma_f32 v3, v68, v72, -v3
	v_add_f32_e32 v2, v2, v3
	v_mul_f32_e32 v3, v75, v79
	v_fma_f32 v3, v74, v78, -v3
	v_add_f32_e32 v2, v2, v3
	v_mul_f32_e32 v3, v77, v81
	;; [unrolled: 3-line block ×10, first 2 shown]
	v_mul_f32_e32 v139, v110, v115
	v_fma_f32 v138, v110, v114, -v2
	s_waitcnt vmcnt(4) lgkmcnt(0)
	v_mul_f32_e32 v2, v117, v121
	v_mov_b32_e32 v18, v123
	v_fmac_f32_e32 v139, v111, v114
	v_mul_f32_e32 v141, v116, v121
	v_fma_f32 v140, v116, v120, -v2
	ds_read2_b64 v[2:5], v86 offset0:117 offset1:118
	ds_read2_b64 v[6:9], v86 offset0:119 offset1:120
	;; [unrolled: 1-line block ×3, first 2 shown]
	ds_read_b64 v[14:15], v86 offset:984
	v_pk_mul_f32 v[18:19], v[118:119], v[18:19] op_sel:[1,0] op_sel_hi:[0,0]
	v_fmac_f32_e32 v141, v117, v120
	v_pk_add_f32 v[16:17], v[136:137], v[138:139]
	v_pk_fma_f32 v[20:21], v[118:119], v[122:123], v[18:19] neg_lo:[0,0,1] neg_hi:[0,0,1]
	v_pk_fma_f32 v[18:19], v[118:119], v[122:123], v[18:19] op_sel_hi:[1,0,1]
	v_pk_add_f32 v[16:17], v[16:17], v[140:141]
	v_mov_b32_e32 v21, v19
	v_pk_add_f32 v[16:17], v[16:17], v[20:21]
	s_waitcnt vmcnt(3) lgkmcnt(3)
	v_pk_mul_f32 v[18:19], v[2:3], v[124:125] op_sel:[1,1] op_sel_hi:[0,1]
	v_pk_fma_f32 v[20:21], v[2:3], v[124:125], v[18:19] neg_lo:[0,0,1] neg_hi:[0,0,1]
	v_pk_fma_f32 v[2:3], v[2:3], v[124:125], v[18:19] op_sel_hi:[1,0,1]
	s_nop 0
	v_mov_b32_e32 v21, v3
	v_pk_add_f32 v[2:3], v[16:17], v[20:21]
	v_mov_b32_e32 v16, v127
	v_pk_mul_f32 v[16:17], v[4:5], v[16:17] op_sel:[1,0] op_sel_hi:[0,0]
	v_pk_fma_f32 v[18:19], v[4:5], v[126:127], v[16:17] neg_lo:[0,0,1] neg_hi:[0,0,1]
	v_pk_fma_f32 v[4:5], v[4:5], v[126:127], v[16:17] op_sel_hi:[1,0,1]
	s_nop 0
	v_mov_b32_e32 v19, v5
	s_waitcnt vmcnt(2) lgkmcnt(2)
	v_pk_mul_f32 v[4:5], v[6:7], v[128:129] op_sel:[1,1] op_sel_hi:[0,1]
	v_pk_fma_f32 v[16:17], v[6:7], v[128:129], v[4:5] neg_lo:[0,0,1] neg_hi:[0,0,1]
	v_pk_fma_f32 v[4:5], v[6:7], v[128:129], v[4:5] op_sel_hi:[1,0,1]
	v_pk_add_f32 v[2:3], v[2:3], v[18:19]
	v_mov_b32_e32 v4, v131
	v_mov_b32_e32 v17, v5
	v_pk_mul_f32 v[4:5], v[8:9], v[4:5] op_sel:[1,0] op_sel_hi:[0,0]
	v_pk_fma_f32 v[6:7], v[8:9], v[130:131], v[4:5] neg_lo:[0,0,1] neg_hi:[0,0,1]
	v_pk_fma_f32 v[4:5], v[8:9], v[130:131], v[4:5] op_sel_hi:[1,0,1]
	v_pk_add_f32 v[2:3], v[2:3], v[16:17]
	v_mov_b32_e32 v7, v5
	s_waitcnt vmcnt(1) lgkmcnt(1)
	v_pk_mul_f32 v[4:5], v[10:11], v[132:133] op_sel:[1,1] op_sel_hi:[0,1]
	v_pk_add_f32 v[2:3], v[2:3], v[6:7]
	v_pk_fma_f32 v[6:7], v[10:11], v[132:133], v[4:5] neg_lo:[0,0,1] neg_hi:[0,0,1]
	v_pk_fma_f32 v[4:5], v[10:11], v[132:133], v[4:5] op_sel_hi:[1,0,1]
	s_nop 0
	v_mov_b32_e32 v4, v135
	v_mov_b32_e32 v7, v5
	v_pk_mul_f32 v[4:5], v[12:13], v[4:5] op_sel:[1,0] op_sel_hi:[0,0]
	v_pk_add_f32 v[2:3], v[2:3], v[6:7]
	v_pk_fma_f32 v[6:7], v[12:13], v[134:135], v[4:5] neg_lo:[0,0,1] neg_hi:[0,0,1]
	v_pk_fma_f32 v[4:5], v[12:13], v[134:135], v[4:5] op_sel_hi:[1,0,1]
	s_nop 0
	v_mov_b32_e32 v7, v5
	s_waitcnt vmcnt(0) lgkmcnt(0)
	v_pk_mul_f32 v[4:5], v[14:15], v[142:143] op_sel:[1,1] op_sel_hi:[0,1]
	v_pk_add_f32 v[2:3], v[2:3], v[6:7]
	v_pk_fma_f32 v[6:7], v[14:15], v[142:143], v[4:5] neg_lo:[0,0,1] neg_hi:[0,0,1]
	v_pk_fma_f32 v[4:5], v[14:15], v[142:143], v[4:5] op_sel_hi:[1,0,1]
	s_nop 0
	v_mov_b32_e32 v7, v5
	scratch_load_dwordx2 v[4:5], off, off offset:192
	v_pk_add_f32 v[2:3], v[2:3], v[6:7]
	s_waitcnt vmcnt(0)
	v_pk_add_f32 v[2:3], v[4:5], v[2:3] neg_lo:[0,1] neg_hi:[0,1]
	scratch_store_dwordx2 off, v[2:3], off offset:192
	s_and_saveexec_b64 s[0:1], vcc
	s_cbranch_execz .LBB61_339
; %bb.338:
	scratch_load_dwordx2 v[2:3], off, off offset:184
	v_mov_b32_e32 v87, v86
	scratch_store_dwordx2 off, v[86:87], off offset:184
	s_waitcnt vmcnt(1)
	ds_write_b64 v1, v[2:3]
.LBB61_339:
	s_or_b64 exec, exec, s[0:1]
	s_waitcnt lgkmcnt(0)
	; wave barrier
	ds_read_b128 v[14:17], v86 offset:688
	ds_read_b128 v[10:13], v86 offset:704
	;; [unrolled: 1-line block ×4, first 2 shown]
	scratch_load_dwordx4 v[18:21], off, off offset:192
	scratch_load_dwordx4 v[38:41], off, off offset:256
	scratch_load_dwordx4 v[70:73], off, off offset:320
	scratch_load_dwordx4 v[78:81], off, off offset:336
	scratch_load_dwordx4 v[88:91], off, off offset:352
	scratch_load_dwordx4 v[96:99], off, off offset:368
	scratch_load_dwordx4 v[104:107], off, off offset:384
	scratch_load_dwordx4 v[112:115], off, off offset:400
	scratch_load_dwordx4 v[120:123], off, off offset:416
	v_cmp_lt_u32_e32 vcc, 22, v0
	scratch_load_dwordx4 v[46:49], off, off offset:272
	scratch_load_dwordx4 v[54:57], off, off offset:288
	;; [unrolled: 1-line block ×3, first 2 shown]
	s_waitcnt vmcnt(11) lgkmcnt(3)
	v_mul_f32_e32 v22, v14, v19
	v_fmac_f32_e32 v22, v15, v18
	v_mul_f32_e32 v23, v16, v21
	v_add_f32_e32 v22, 0, v22
	v_fmac_f32_e32 v23, v17, v20
	v_add_f32_e32 v26, v22, v23
	scratch_load_dwordx4 v[22:25], off, off offset:208
	v_mul_f32_e32 v15, v15, v19
	v_fma_f32 v14, v14, v18, -v15
	v_mul_f32_e32 v15, v17, v21
	v_add_f32_e32 v14, 0, v14
	v_fma_f32 v15, v16, v20, -v15
	v_add_f32_e32 v14, v14, v15
	s_waitcnt vmcnt(0) lgkmcnt(2)
	v_mul_f32_e32 v27, v10, v23
	v_fmac_f32_e32 v27, v11, v22
	v_add_f32_e32 v26, v26, v27
	v_mul_f32_e32 v27, v12, v25
	v_fmac_f32_e32 v27, v13, v24
	v_add_f32_e32 v30, v26, v27
	scratch_load_dwordx4 v[26:29], off, off offset:224
	v_mul_f32_e32 v11, v11, v23
	v_fma_f32 v10, v10, v22, -v11
	v_mul_f32_e32 v11, v13, v25
	v_add_f32_e32 v10, v14, v10
	v_fma_f32 v11, v12, v24, -v11
	v_add_f32_e32 v10, v10, v11
	s_waitcnt vmcnt(0) lgkmcnt(1)
	v_mul_f32_e32 v31, v6, v27
	v_fmac_f32_e32 v31, v7, v26
	v_add_f32_e32 v30, v30, v31
	v_mul_f32_e32 v31, v8, v29
	;; [unrolled: 14-line block ×3, first 2 shown]
	v_fmac_f32_e32 v35, v5, v32
	v_add_f32_e32 v42, v34, v35
	ds_read_b128 v[34:37], v86 offset:752
	v_mul_f32_e32 v3, v3, v31
	v_fma_f32 v2, v2, v30, -v3
	v_mul_f32_e32 v3, v5, v33
	v_add_f32_e32 v2, v6, v2
	s_waitcnt lgkmcnt(0)
	v_mul_f32_e32 v43, v34, v39
	v_fmac_f32_e32 v43, v35, v38
	v_add_f32_e32 v42, v42, v43
	v_mul_f32_e32 v43, v36, v41
	v_fmac_f32_e32 v43, v37, v40
	v_add_f32_e32 v50, v42, v43
	ds_read_b128 v[42:45], v86 offset:768
	v_fma_f32 v3, v4, v32, -v3
	v_add_f32_e32 v2, v2, v3
	v_mul_f32_e32 v3, v35, v39
	v_fma_f32 v3, v34, v38, -v3
	s_waitcnt lgkmcnt(0)
	v_mul_f32_e32 v51, v42, v47
	v_fmac_f32_e32 v51, v43, v46
	v_add_f32_e32 v50, v50, v51
	v_mul_f32_e32 v51, v44, v49
	v_fmac_f32_e32 v51, v45, v48
	v_add_f32_e32 v58, v50, v51
	ds_read_b128 v[50:53], v86 offset:784
	v_add_f32_e32 v2, v2, v3
	v_mul_f32_e32 v3, v37, v41
	v_fma_f32 v3, v36, v40, -v3
	v_add_f32_e32 v2, v2, v3
	s_waitcnt lgkmcnt(0)
	v_mul_f32_e32 v59, v50, v55
	v_fmac_f32_e32 v59, v51, v54
	v_add_f32_e32 v58, v58, v59
	v_mul_f32_e32 v59, v52, v57
	v_fmac_f32_e32 v59, v53, v56
	v_add_f32_e32 v66, v58, v59
	ds_read_b128 v[58:61], v86 offset:800
	v_mul_f32_e32 v3, v43, v47
	v_fma_f32 v3, v42, v46, -v3
	v_add_f32_e32 v2, v2, v3
	v_mul_f32_e32 v3, v45, v49
	s_waitcnt lgkmcnt(0)
	v_mul_f32_e32 v67, v58, v63
	v_fmac_f32_e32 v67, v59, v62
	v_add_f32_e32 v66, v66, v67
	v_mul_f32_e32 v67, v60, v65
	v_fmac_f32_e32 v67, v61, v64
	v_add_f32_e32 v74, v66, v67
	ds_read_b128 v[66:69], v86 offset:816
	v_fma_f32 v3, v44, v48, -v3
	v_add_f32_e32 v2, v2, v3
	v_mul_f32_e32 v3, v51, v55
	v_fma_f32 v3, v50, v54, -v3
	s_waitcnt lgkmcnt(0)
	v_mul_f32_e32 v75, v66, v71
	v_fmac_f32_e32 v75, v67, v70
	v_add_f32_e32 v74, v74, v75
	v_mul_f32_e32 v75, v68, v73
	v_fmac_f32_e32 v75, v69, v72
	v_add_f32_e32 v82, v74, v75
	ds_read_b128 v[74:77], v86 offset:832
	v_add_f32_e32 v2, v2, v3
	v_mul_f32_e32 v3, v53, v57
	v_fma_f32 v3, v52, v56, -v3
	v_add_f32_e32 v2, v2, v3
	s_waitcnt lgkmcnt(0)
	v_mul_f32_e32 v83, v74, v79
	v_fmac_f32_e32 v83, v75, v78
	v_add_f32_e32 v82, v82, v83
	v_mul_f32_e32 v83, v76, v81
	v_fmac_f32_e32 v83, v77, v80
	v_add_f32_e32 v87, v82, v83
	ds_read_b128 v[82:85], v86 offset:848
	v_mul_f32_e32 v3, v59, v63
	v_fma_f32 v3, v58, v62, -v3
	v_add_f32_e32 v2, v2, v3
	v_mul_f32_e32 v3, v61, v65
	;; [unrolled: 36-line block ×3, first 2 shown]
	s_waitcnt lgkmcnt(0)
	v_mul_f32_e32 v116, v108, v113
	v_fmac_f32_e32 v116, v109, v112
	v_add_f32_e32 v87, v87, v116
	v_mul_f32_e32 v116, v110, v115
	v_fmac_f32_e32 v116, v111, v114
	v_add_f32_e32 v141, v87, v116
	ds_read_b128 v[116:119], v86 offset:912
	scratch_load_dwordx4 v[124:127], off, off offset:432
	scratch_load_dwordx4 v[128:131], off, off offset:448
	;; [unrolled: 1-line block ×4, first 2 shown]
	v_fma_f32 v3, v76, v80, -v3
	v_add_f32_e32 v2, v2, v3
	v_mul_f32_e32 v3, v83, v89
	v_fma_f32 v3, v82, v88, -v3
	v_add_f32_e32 v2, v2, v3
	v_mul_f32_e32 v3, v85, v91
	;; [unrolled: 3-line block ×8, first 2 shown]
	v_fma_f32 v3, v110, v114, -v3
	v_add_f32_e32 v140, v2, v3
	s_waitcnt lgkmcnt(0)
	v_mul_f32_e32 v2, v117, v121
	v_fma_f32 v142, v116, v120, -v2
	v_mul_f32_e32 v2, v119, v123
	v_fma_f32 v144, v118, v122, -v2
	ds_read_b128 v[2:5], v86 offset:928
	ds_read_b128 v[6:9], v86 offset:944
	;; [unrolled: 1-line block ×4, first 2 shown]
	v_mul_f32_e32 v143, v116, v121
	v_fmac_f32_e32 v143, v117, v120
	v_mul_f32_e32 v145, v118, v123
	v_fmac_f32_e32 v145, v119, v122
	v_pk_add_f32 v[18:19], v[140:141], v[142:143]
	s_waitcnt vmcnt(3) lgkmcnt(3)
	v_pk_mul_f32 v[20:21], v[2:3], v[124:125] op_sel:[1,1] op_sel_hi:[0,1]
	v_pk_fma_f32 v[22:23], v[2:3], v[124:125], v[20:21] neg_lo:[0,0,1] neg_hi:[0,0,1]
	v_pk_fma_f32 v[2:3], v[2:3], v[124:125], v[20:21] op_sel_hi:[1,0,1]
	v_pk_add_f32 v[18:19], v[18:19], v[144:145]
	v_mov_b32_e32 v23, v3
	v_pk_add_f32 v[2:3], v[18:19], v[22:23]
	v_mov_b32_e32 v18, v127
	v_pk_mul_f32 v[18:19], v[4:5], v[18:19] op_sel:[1,0] op_sel_hi:[0,0]
	v_pk_fma_f32 v[20:21], v[4:5], v[126:127], v[18:19] neg_lo:[0,0,1] neg_hi:[0,0,1]
	v_pk_fma_f32 v[4:5], v[4:5], v[126:127], v[18:19] op_sel_hi:[1,0,1]
	s_nop 0
	v_mov_b32_e32 v21, v5
	s_waitcnt vmcnt(2) lgkmcnt(2)
	v_pk_mul_f32 v[4:5], v[6:7], v[128:129] op_sel:[1,1] op_sel_hi:[0,1]
	v_pk_fma_f32 v[18:19], v[6:7], v[128:129], v[4:5] neg_lo:[0,0,1] neg_hi:[0,0,1]
	v_pk_fma_f32 v[4:5], v[6:7], v[128:129], v[4:5] op_sel_hi:[1,0,1]
	v_pk_add_f32 v[2:3], v[2:3], v[20:21]
	v_mov_b32_e32 v4, v131
	v_mov_b32_e32 v19, v5
	v_pk_mul_f32 v[4:5], v[8:9], v[4:5] op_sel:[1,0] op_sel_hi:[0,0]
	v_pk_fma_f32 v[6:7], v[8:9], v[130:131], v[4:5] neg_lo:[0,0,1] neg_hi:[0,0,1]
	v_pk_fma_f32 v[4:5], v[8:9], v[130:131], v[4:5] op_sel_hi:[1,0,1]
	v_pk_add_f32 v[2:3], v[2:3], v[18:19]
	v_mov_b32_e32 v7, v5
	s_waitcnt vmcnt(1) lgkmcnt(1)
	v_pk_mul_f32 v[4:5], v[10:11], v[132:133] op_sel:[1,1] op_sel_hi:[0,1]
	v_pk_add_f32 v[2:3], v[2:3], v[6:7]
	v_pk_fma_f32 v[6:7], v[10:11], v[132:133], v[4:5] neg_lo:[0,0,1] neg_hi:[0,0,1]
	v_pk_fma_f32 v[4:5], v[10:11], v[132:133], v[4:5] op_sel_hi:[1,0,1]
	s_nop 0
	v_mov_b32_e32 v4, v135
	v_mov_b32_e32 v7, v5
	v_pk_mul_f32 v[4:5], v[12:13], v[4:5] op_sel:[1,0] op_sel_hi:[0,0]
	v_pk_add_f32 v[2:3], v[2:3], v[6:7]
	v_pk_fma_f32 v[6:7], v[12:13], v[134:135], v[4:5] neg_lo:[0,0,1] neg_hi:[0,0,1]
	v_pk_fma_f32 v[4:5], v[12:13], v[134:135], v[4:5] op_sel_hi:[1,0,1]
	s_nop 0
	v_mov_b32_e32 v7, v5
	s_waitcnt vmcnt(0) lgkmcnt(0)
	v_pk_mul_f32 v[4:5], v[14:15], v[136:137] op_sel:[1,1] op_sel_hi:[0,1]
	v_pk_add_f32 v[2:3], v[2:3], v[6:7]
	v_pk_fma_f32 v[6:7], v[14:15], v[136:137], v[4:5] neg_lo:[0,0,1] neg_hi:[0,0,1]
	v_pk_fma_f32 v[4:5], v[14:15], v[136:137], v[4:5] op_sel_hi:[1,0,1]
	s_nop 0
	v_mov_b32_e32 v4, v139
	v_mov_b32_e32 v7, v5
	v_pk_mul_f32 v[4:5], v[16:17], v[4:5] op_sel:[1,0] op_sel_hi:[0,0]
	v_pk_add_f32 v[2:3], v[2:3], v[6:7]
	v_pk_fma_f32 v[6:7], v[16:17], v[138:139], v[4:5] neg_lo:[0,0,1] neg_hi:[0,0,1]
	v_pk_fma_f32 v[4:5], v[16:17], v[138:139], v[4:5] op_sel_hi:[1,0,1]
	s_nop 0
	v_mov_b32_e32 v7, v5
	scratch_load_dwordx2 v[4:5], off, off offset:184
	v_pk_add_f32 v[2:3], v[2:3], v[6:7]
	s_waitcnt vmcnt(0)
	v_pk_add_f32 v[2:3], v[4:5], v[2:3] neg_lo:[0,1] neg_hi:[0,1]
	scratch_store_dwordx2 off, v[2:3], off offset:184
	s_and_saveexec_b64 s[0:1], vcc
	s_cbranch_execz .LBB61_341
; %bb.340:
	scratch_load_dwordx2 v[2:3], off, off offset:176
	v_mov_b32_e32 v4, 0
	v_mov_b32_e32 v5, v4
	scratch_store_dwordx2 off, v[4:5], off offset:176
	s_waitcnt vmcnt(1)
	ds_write_b64 v1, v[2:3]
.LBB61_341:
	s_or_b64 exec, exec, s[0:1]
	s_waitcnt lgkmcnt(0)
	; wave barrier
	scratch_load_dwordx4 v[6:9], off, off offset:184
	scratch_load_dwordx4 v[14:17], off, off offset:200
	;; [unrolled: 1-line block ×10, first 2 shown]
	v_mov_b32_e32 v94, 0
	ds_read2_b64 v[2:5], v94 offset0:85 offset1:86
	scratch_load_dwordx4 v[86:89], off, off offset:344
	scratch_load_dwordx4 v[96:99], off, off offset:360
	;; [unrolled: 1-line block ×6, first 2 shown]
	v_cmp_lt_u32_e32 vcc, 21, v0
	s_waitcnt vmcnt(15) lgkmcnt(0)
	v_mul_f32_e32 v10, v2, v7
	v_fmac_f32_e32 v10, v3, v6
	v_mul_f32_e32 v11, v4, v9
	v_add_f32_e32 v10, 0, v10
	v_fmac_f32_e32 v11, v5, v8
	v_add_f32_e32 v18, v10, v11
	ds_read2_b64 v[10:13], v94 offset0:87 offset1:88
	v_mul_f32_e32 v3, v3, v7
	v_fma_f32 v2, v2, v6, -v3
	v_mul_f32_e32 v3, v5, v9
	v_add_f32_e32 v2, 0, v2
	s_waitcnt vmcnt(14) lgkmcnt(0)
	v_mul_f32_e32 v19, v10, v15
	v_fmac_f32_e32 v19, v11, v14
	v_add_f32_e32 v18, v18, v19
	v_mul_f32_e32 v19, v12, v17
	v_fmac_f32_e32 v19, v13, v16
	v_add_f32_e32 v26, v18, v19
	ds_read2_b64 v[18:21], v94 offset0:89 offset1:90
	v_fma_f32 v3, v4, v8, -v3
	v_add_f32_e32 v2, v2, v3
	v_mul_f32_e32 v3, v11, v15
	v_fma_f32 v3, v10, v14, -v3
	s_waitcnt vmcnt(13) lgkmcnt(0)
	v_mul_f32_e32 v27, v18, v23
	v_fmac_f32_e32 v27, v19, v22
	v_add_f32_e32 v26, v26, v27
	v_mul_f32_e32 v27, v20, v25
	v_fmac_f32_e32 v27, v21, v24
	v_add_f32_e32 v34, v26, v27
	ds_read2_b64 v[26:29], v94 offset0:91 offset1:92
	v_add_f32_e32 v2, v2, v3
	v_mul_f32_e32 v3, v13, v17
	v_fma_f32 v3, v12, v16, -v3
	v_add_f32_e32 v2, v2, v3
	s_waitcnt vmcnt(12) lgkmcnt(0)
	v_mul_f32_e32 v35, v26, v31
	v_fmac_f32_e32 v35, v27, v30
	v_add_f32_e32 v34, v34, v35
	v_mul_f32_e32 v35, v28, v33
	v_fmac_f32_e32 v35, v29, v32
	v_add_f32_e32 v42, v34, v35
	ds_read2_b64 v[34:37], v94 offset0:93 offset1:94
	v_mul_f32_e32 v3, v19, v23
	v_fma_f32 v3, v18, v22, -v3
	v_add_f32_e32 v2, v2, v3
	v_mul_f32_e32 v3, v21, v25
	s_waitcnt vmcnt(11) lgkmcnt(0)
	v_mul_f32_e32 v43, v34, v39
	v_fmac_f32_e32 v43, v35, v38
	v_add_f32_e32 v42, v42, v43
	v_mul_f32_e32 v43, v36, v41
	v_fmac_f32_e32 v43, v37, v40
	v_add_f32_e32 v50, v42, v43
	ds_read2_b64 v[42:45], v94 offset0:95 offset1:96
	v_fma_f32 v3, v20, v24, -v3
	v_add_f32_e32 v2, v2, v3
	v_mul_f32_e32 v3, v27, v31
	v_fma_f32 v3, v26, v30, -v3
	s_waitcnt vmcnt(10) lgkmcnt(0)
	v_mul_f32_e32 v51, v42, v47
	v_fmac_f32_e32 v51, v43, v46
	v_add_f32_e32 v50, v50, v51
	v_mul_f32_e32 v51, v44, v49
	v_fmac_f32_e32 v51, v45, v48
	v_add_f32_e32 v58, v50, v51
	ds_read2_b64 v[50:53], v94 offset0:97 offset1:98
	v_add_f32_e32 v2, v2, v3
	v_mul_f32_e32 v3, v29, v33
	v_fma_f32 v3, v28, v32, -v3
	v_add_f32_e32 v2, v2, v3
	s_waitcnt vmcnt(9) lgkmcnt(0)
	v_mul_f32_e32 v59, v50, v55
	v_fmac_f32_e32 v59, v51, v54
	v_add_f32_e32 v58, v58, v59
	v_mul_f32_e32 v59, v52, v57
	v_fmac_f32_e32 v59, v53, v56
	v_add_f32_e32 v66, v58, v59
	ds_read2_b64 v[58:61], v94 offset0:99 offset1:100
	v_mul_f32_e32 v3, v35, v39
	v_fma_f32 v3, v34, v38, -v3
	v_add_f32_e32 v2, v2, v3
	v_mul_f32_e32 v3, v37, v41
	;; [unrolled: 36-line block ×4, first 2 shown]
	s_waitcnt vmcnt(2) lgkmcnt(0)
	v_mul_f32_e32 v116, v108, v113
	v_fmac_f32_e32 v116, v109, v112
	v_add_f32_e32 v95, v95, v116
	v_mul_f32_e32 v116, v110, v115
	v_fmac_f32_e32 v116, v111, v114
	v_add_f32_e32 v95, v95, v116
	ds_read2_b64 v[116:119], v94 offset0:113 offset1:114
	v_fma_f32 v3, v68, v72, -v3
	v_add_f32_e32 v2, v2, v3
	v_mul_f32_e32 v3, v75, v79
	v_fma_f32 v3, v74, v78, -v3
	s_waitcnt vmcnt(1) lgkmcnt(0)
	v_mul_f32_e32 v124, v116, v121
	v_fmac_f32_e32 v124, v117, v120
	v_add_f32_e32 v145, v95, v124
	ds_read2_b64 v[124:127], v94 offset0:115 offset1:116
	scratch_load_dwordx4 v[132:135], off, off offset:440
	scratch_load_dwordx4 v[136:139], off, off offset:456
	;; [unrolled: 1-line block ×3, first 2 shown]
	scratch_load_dwordx2 v[168:169], off, off offset:488
	v_add_f32_e32 v2, v2, v3
	v_mul_f32_e32 v3, v77, v81
	v_fma_f32 v3, v76, v80, -v3
	v_add_f32_e32 v2, v2, v3
	v_mul_f32_e32 v3, v83, v87
	v_fma_f32 v3, v82, v86, -v3
	;; [unrolled: 3-line block ×10, first 2 shown]
	v_add_f32_e32 v144, v2, v3
	v_mul_f32_e32 v2, v119, v123
	v_mul_f32_e32 v147, v118, v123
	v_fma_f32 v146, v118, v122, -v2
	s_waitcnt vmcnt(4) lgkmcnt(0)
	v_mul_f32_e32 v2, v125, v129
	v_mov_b32_e32 v18, v131
	v_fmac_f32_e32 v147, v119, v122
	v_mul_f32_e32 v149, v124, v129
	v_fma_f32 v148, v124, v128, -v2
	ds_read2_b64 v[2:5], v94 offset0:117 offset1:118
	ds_read2_b64 v[6:9], v94 offset0:119 offset1:120
	;; [unrolled: 1-line block ×3, first 2 shown]
	ds_read_b64 v[14:15], v94 offset:984
	v_pk_mul_f32 v[18:19], v[126:127], v[18:19] op_sel:[1,0] op_sel_hi:[0,0]
	v_fmac_f32_e32 v149, v125, v128
	v_pk_add_f32 v[16:17], v[144:145], v[146:147]
	v_pk_fma_f32 v[20:21], v[126:127], v[130:131], v[18:19] neg_lo:[0,0,1] neg_hi:[0,0,1]
	v_pk_fma_f32 v[18:19], v[126:127], v[130:131], v[18:19] op_sel_hi:[1,0,1]
	v_pk_add_f32 v[16:17], v[16:17], v[148:149]
	v_mov_b32_e32 v21, v19
	v_pk_add_f32 v[16:17], v[16:17], v[20:21]
	s_waitcnt vmcnt(3) lgkmcnt(3)
	v_pk_mul_f32 v[18:19], v[2:3], v[132:133] op_sel:[1,1] op_sel_hi:[0,1]
	v_pk_fma_f32 v[20:21], v[2:3], v[132:133], v[18:19] neg_lo:[0,0,1] neg_hi:[0,0,1]
	v_pk_fma_f32 v[2:3], v[2:3], v[132:133], v[18:19] op_sel_hi:[1,0,1]
	s_nop 0
	v_mov_b32_e32 v21, v3
	v_pk_add_f32 v[2:3], v[16:17], v[20:21]
	v_mov_b32_e32 v16, v135
	v_pk_mul_f32 v[16:17], v[4:5], v[16:17] op_sel:[1,0] op_sel_hi:[0,0]
	v_pk_fma_f32 v[18:19], v[4:5], v[134:135], v[16:17] neg_lo:[0,0,1] neg_hi:[0,0,1]
	v_pk_fma_f32 v[4:5], v[4:5], v[134:135], v[16:17] op_sel_hi:[1,0,1]
	s_nop 0
	v_mov_b32_e32 v19, v5
	s_waitcnt vmcnt(2) lgkmcnt(2)
	v_pk_mul_f32 v[4:5], v[6:7], v[136:137] op_sel:[1,1] op_sel_hi:[0,1]
	v_pk_fma_f32 v[16:17], v[6:7], v[136:137], v[4:5] neg_lo:[0,0,1] neg_hi:[0,0,1]
	v_pk_fma_f32 v[4:5], v[6:7], v[136:137], v[4:5] op_sel_hi:[1,0,1]
	v_pk_add_f32 v[2:3], v[2:3], v[18:19]
	v_mov_b32_e32 v4, v139
	v_mov_b32_e32 v17, v5
	v_pk_mul_f32 v[4:5], v[8:9], v[4:5] op_sel:[1,0] op_sel_hi:[0,0]
	v_pk_fma_f32 v[6:7], v[8:9], v[138:139], v[4:5] neg_lo:[0,0,1] neg_hi:[0,0,1]
	v_pk_fma_f32 v[4:5], v[8:9], v[138:139], v[4:5] op_sel_hi:[1,0,1]
	v_pk_add_f32 v[2:3], v[2:3], v[16:17]
	v_mov_b32_e32 v7, v5
	s_waitcnt vmcnt(1) lgkmcnt(1)
	v_pk_mul_f32 v[4:5], v[10:11], v[140:141] op_sel:[1,1] op_sel_hi:[0,1]
	v_pk_add_f32 v[2:3], v[2:3], v[6:7]
	v_pk_fma_f32 v[6:7], v[10:11], v[140:141], v[4:5] neg_lo:[0,0,1] neg_hi:[0,0,1]
	v_pk_fma_f32 v[4:5], v[10:11], v[140:141], v[4:5] op_sel_hi:[1,0,1]
	s_nop 0
	v_mov_b32_e32 v4, v143
	v_mov_b32_e32 v7, v5
	v_pk_mul_f32 v[4:5], v[12:13], v[4:5] op_sel:[1,0] op_sel_hi:[0,0]
	v_pk_add_f32 v[2:3], v[2:3], v[6:7]
	v_pk_fma_f32 v[6:7], v[12:13], v[142:143], v[4:5] neg_lo:[0,0,1] neg_hi:[0,0,1]
	v_pk_fma_f32 v[4:5], v[12:13], v[142:143], v[4:5] op_sel_hi:[1,0,1]
	s_nop 0
	v_mov_b32_e32 v7, v5
	s_waitcnt vmcnt(0) lgkmcnt(0)
	v_pk_mul_f32 v[4:5], v[14:15], v[168:169] op_sel:[1,1] op_sel_hi:[0,1]
	v_pk_add_f32 v[2:3], v[2:3], v[6:7]
	v_pk_fma_f32 v[6:7], v[14:15], v[168:169], v[4:5] neg_lo:[0,0,1] neg_hi:[0,0,1]
	v_pk_fma_f32 v[4:5], v[14:15], v[168:169], v[4:5] op_sel_hi:[1,0,1]
	s_nop 0
	v_mov_b32_e32 v7, v5
	scratch_load_dwordx2 v[4:5], off, off offset:176
	v_pk_add_f32 v[2:3], v[2:3], v[6:7]
	s_waitcnt vmcnt(0)
	v_pk_add_f32 v[2:3], v[4:5], v[2:3] neg_lo:[0,1] neg_hi:[0,1]
	scratch_store_dwordx2 off, v[2:3], off offset:176
	s_and_saveexec_b64 s[0:1], vcc
	s_cbranch_execz .LBB61_343
; %bb.342:
	scratch_load_dwordx2 v[2:3], off, off offset:168
	v_mov_b32_e32 v95, v94
	scratch_store_dwordx2 off, v[94:95], off offset:168
	s_waitcnt vmcnt(1)
	ds_write_b64 v1, v[2:3]
.LBB61_343:
	s_or_b64 exec, exec, s[0:1]
	s_waitcnt lgkmcnt(0)
	; wave barrier
	ds_read_b128 v[14:17], v94 offset:672
	ds_read_b128 v[10:13], v94 offset:688
	;; [unrolled: 1-line block ×4, first 2 shown]
	scratch_load_dwordx4 v[18:21], off, off offset:176
	scratch_load_dwordx4 v[38:41], off, off offset:240
	;; [unrolled: 1-line block ×10, first 2 shown]
	v_cmp_lt_u32_e32 vcc, 20, v0
	scratch_load_dwordx4 v[46:49], off, off offset:256
	scratch_load_dwordx4 v[54:57], off, off offset:272
	;; [unrolled: 1-line block ×3, first 2 shown]
	s_waitcnt vmcnt(12) lgkmcnt(3)
	v_mul_f32_e32 v22, v14, v19
	v_fmac_f32_e32 v22, v15, v18
	v_mul_f32_e32 v23, v16, v21
	v_add_f32_e32 v22, 0, v22
	v_fmac_f32_e32 v23, v17, v20
	v_add_f32_e32 v26, v22, v23
	scratch_load_dwordx4 v[22:25], off, off offset:192
	v_mul_f32_e32 v15, v15, v19
	v_fma_f32 v14, v14, v18, -v15
	v_mul_f32_e32 v15, v17, v21
	v_add_f32_e32 v14, 0, v14
	v_fma_f32 v15, v16, v20, -v15
	v_add_f32_e32 v14, v14, v15
	s_waitcnt vmcnt(0) lgkmcnt(2)
	v_mul_f32_e32 v27, v10, v23
	v_fmac_f32_e32 v27, v11, v22
	v_add_f32_e32 v26, v26, v27
	v_mul_f32_e32 v27, v12, v25
	v_fmac_f32_e32 v27, v13, v24
	v_add_f32_e32 v30, v26, v27
	scratch_load_dwordx4 v[26:29], off, off offset:208
	v_mul_f32_e32 v11, v11, v23
	v_fma_f32 v10, v10, v22, -v11
	v_mul_f32_e32 v11, v13, v25
	v_add_f32_e32 v10, v14, v10
	v_fma_f32 v11, v12, v24, -v11
	v_add_f32_e32 v10, v10, v11
	s_waitcnt vmcnt(0) lgkmcnt(1)
	v_mul_f32_e32 v31, v6, v27
	v_fmac_f32_e32 v31, v7, v26
	v_add_f32_e32 v30, v30, v31
	v_mul_f32_e32 v31, v8, v29
	;; [unrolled: 14-line block ×3, first 2 shown]
	v_fmac_f32_e32 v35, v5, v32
	v_add_f32_e32 v42, v34, v35
	ds_read_b128 v[34:37], v94 offset:736
	v_mul_f32_e32 v3, v3, v31
	v_fma_f32 v2, v2, v30, -v3
	v_mul_f32_e32 v3, v5, v33
	v_add_f32_e32 v2, v6, v2
	s_waitcnt lgkmcnt(0)
	v_mul_f32_e32 v43, v34, v39
	v_fmac_f32_e32 v43, v35, v38
	v_add_f32_e32 v42, v42, v43
	v_mul_f32_e32 v43, v36, v41
	v_fmac_f32_e32 v43, v37, v40
	v_add_f32_e32 v50, v42, v43
	ds_read_b128 v[42:45], v94 offset:752
	v_fma_f32 v3, v4, v32, -v3
	v_add_f32_e32 v2, v2, v3
	v_mul_f32_e32 v3, v35, v39
	v_fma_f32 v3, v34, v38, -v3
	s_waitcnt lgkmcnt(0)
	v_mul_f32_e32 v51, v42, v47
	v_fmac_f32_e32 v51, v43, v46
	v_add_f32_e32 v50, v50, v51
	v_mul_f32_e32 v51, v44, v49
	v_fmac_f32_e32 v51, v45, v48
	v_add_f32_e32 v58, v50, v51
	ds_read_b128 v[50:53], v94 offset:768
	v_add_f32_e32 v2, v2, v3
	v_mul_f32_e32 v3, v37, v41
	v_fma_f32 v3, v36, v40, -v3
	v_add_f32_e32 v2, v2, v3
	s_waitcnt lgkmcnt(0)
	v_mul_f32_e32 v59, v50, v55
	v_fmac_f32_e32 v59, v51, v54
	v_add_f32_e32 v58, v58, v59
	v_mul_f32_e32 v59, v52, v57
	v_fmac_f32_e32 v59, v53, v56
	v_add_f32_e32 v66, v58, v59
	ds_read_b128 v[58:61], v94 offset:784
	v_mul_f32_e32 v3, v43, v47
	v_fma_f32 v3, v42, v46, -v3
	v_add_f32_e32 v2, v2, v3
	v_mul_f32_e32 v3, v45, v49
	s_waitcnt lgkmcnt(0)
	v_mul_f32_e32 v67, v58, v63
	v_fmac_f32_e32 v67, v59, v62
	v_add_f32_e32 v66, v66, v67
	v_mul_f32_e32 v67, v60, v65
	v_fmac_f32_e32 v67, v61, v64
	v_add_f32_e32 v74, v66, v67
	ds_read_b128 v[66:69], v94 offset:800
	v_fma_f32 v3, v44, v48, -v3
	v_add_f32_e32 v2, v2, v3
	v_mul_f32_e32 v3, v51, v55
	v_fma_f32 v3, v50, v54, -v3
	s_waitcnt lgkmcnt(0)
	v_mul_f32_e32 v75, v66, v71
	v_fmac_f32_e32 v75, v67, v70
	v_add_f32_e32 v74, v74, v75
	v_mul_f32_e32 v75, v68, v73
	v_fmac_f32_e32 v75, v69, v72
	v_add_f32_e32 v82, v74, v75
	ds_read_b128 v[74:77], v94 offset:816
	v_add_f32_e32 v2, v2, v3
	v_mul_f32_e32 v3, v53, v57
	v_fma_f32 v3, v52, v56, -v3
	v_add_f32_e32 v2, v2, v3
	s_waitcnt lgkmcnt(0)
	v_mul_f32_e32 v83, v74, v79
	v_fmac_f32_e32 v83, v75, v78
	v_add_f32_e32 v82, v82, v83
	v_mul_f32_e32 v83, v76, v81
	v_fmac_f32_e32 v83, v77, v80
	v_add_f32_e32 v90, v82, v83
	ds_read_b128 v[82:85], v94 offset:832
	v_mul_f32_e32 v3, v59, v63
	v_fma_f32 v3, v58, v62, -v3
	v_add_f32_e32 v2, v2, v3
	v_mul_f32_e32 v3, v61, v65
	;; [unrolled: 36-line block ×3, first 2 shown]
	s_waitcnt lgkmcnt(0)
	v_mul_f32_e32 v116, v108, v113
	v_fmac_f32_e32 v116, v109, v112
	v_add_f32_e32 v95, v95, v116
	v_mul_f32_e32 v116, v110, v115
	v_fmac_f32_e32 v116, v111, v114
	v_add_f32_e32 v95, v95, v116
	ds_read_b128 v[116:119], v94 offset:896
	v_fma_f32 v3, v76, v80, -v3
	v_add_f32_e32 v2, v2, v3
	v_mul_f32_e32 v3, v83, v87
	v_fma_f32 v3, v82, v86, -v3
	s_waitcnt lgkmcnt(0)
	v_mul_f32_e32 v124, v116, v121
	v_fmac_f32_e32 v124, v117, v120
	v_add_f32_e32 v95, v95, v124
	v_mul_f32_e32 v124, v118, v123
	v_fmac_f32_e32 v124, v119, v122
	v_add_f32_e32 v149, v95, v124
	ds_read_b128 v[124:127], v94 offset:912
	scratch_load_dwordx4 v[132:135], off, off offset:432
	scratch_load_dwordx4 v[136:139], off, off offset:448
	scratch_load_dwordx4 v[140:143], off, off offset:464
	scratch_load_dwordx4 v[144:147], off, off offset:480
	v_add_f32_e32 v2, v2, v3
	v_mul_f32_e32 v3, v85, v89
	v_fma_f32 v3, v84, v88, -v3
	v_add_f32_e32 v2, v2, v3
	v_mul_f32_e32 v3, v91, v97
	v_fma_f32 v3, v90, v96, -v3
	;; [unrolled: 3-line block ×9, first 2 shown]
	v_add_f32_e32 v148, v2, v3
	s_waitcnt lgkmcnt(0)
	v_mul_f32_e32 v2, v125, v129
	v_fma_f32 v168, v124, v128, -v2
	v_mul_f32_e32 v2, v127, v131
	v_fma_f32 v170, v126, v130, -v2
	ds_read_b128 v[2:5], v94 offset:928
	ds_read_b128 v[6:9], v94 offset:944
	;; [unrolled: 1-line block ×4, first 2 shown]
	v_mul_f32_e32 v169, v124, v129
	v_fmac_f32_e32 v169, v125, v128
	v_mul_f32_e32 v171, v126, v131
	v_fmac_f32_e32 v171, v127, v130
	v_pk_add_f32 v[18:19], v[148:149], v[168:169]
	s_waitcnt vmcnt(3) lgkmcnt(3)
	v_pk_mul_f32 v[20:21], v[2:3], v[132:133] op_sel:[1,1] op_sel_hi:[0,1]
	v_pk_fma_f32 v[22:23], v[2:3], v[132:133], v[20:21] neg_lo:[0,0,1] neg_hi:[0,0,1]
	v_pk_fma_f32 v[2:3], v[2:3], v[132:133], v[20:21] op_sel_hi:[1,0,1]
	v_pk_add_f32 v[18:19], v[18:19], v[170:171]
	v_mov_b32_e32 v23, v3
	v_pk_add_f32 v[2:3], v[18:19], v[22:23]
	v_mov_b32_e32 v18, v135
	v_pk_mul_f32 v[18:19], v[4:5], v[18:19] op_sel:[1,0] op_sel_hi:[0,0]
	v_pk_fma_f32 v[20:21], v[4:5], v[134:135], v[18:19] neg_lo:[0,0,1] neg_hi:[0,0,1]
	v_pk_fma_f32 v[4:5], v[4:5], v[134:135], v[18:19] op_sel_hi:[1,0,1]
	s_nop 0
	v_mov_b32_e32 v21, v5
	s_waitcnt vmcnt(2) lgkmcnt(2)
	v_pk_mul_f32 v[4:5], v[6:7], v[136:137] op_sel:[1,1] op_sel_hi:[0,1]
	v_pk_fma_f32 v[18:19], v[6:7], v[136:137], v[4:5] neg_lo:[0,0,1] neg_hi:[0,0,1]
	v_pk_fma_f32 v[4:5], v[6:7], v[136:137], v[4:5] op_sel_hi:[1,0,1]
	v_pk_add_f32 v[2:3], v[2:3], v[20:21]
	v_mov_b32_e32 v4, v139
	v_mov_b32_e32 v19, v5
	v_pk_mul_f32 v[4:5], v[8:9], v[4:5] op_sel:[1,0] op_sel_hi:[0,0]
	v_pk_fma_f32 v[6:7], v[8:9], v[138:139], v[4:5] neg_lo:[0,0,1] neg_hi:[0,0,1]
	v_pk_fma_f32 v[4:5], v[8:9], v[138:139], v[4:5] op_sel_hi:[1,0,1]
	v_pk_add_f32 v[2:3], v[2:3], v[18:19]
	v_mov_b32_e32 v7, v5
	s_waitcnt vmcnt(1) lgkmcnt(1)
	v_pk_mul_f32 v[4:5], v[10:11], v[140:141] op_sel:[1,1] op_sel_hi:[0,1]
	v_pk_add_f32 v[2:3], v[2:3], v[6:7]
	v_pk_fma_f32 v[6:7], v[10:11], v[140:141], v[4:5] neg_lo:[0,0,1] neg_hi:[0,0,1]
	v_pk_fma_f32 v[4:5], v[10:11], v[140:141], v[4:5] op_sel_hi:[1,0,1]
	s_nop 0
	v_mov_b32_e32 v4, v143
	v_mov_b32_e32 v7, v5
	v_pk_mul_f32 v[4:5], v[12:13], v[4:5] op_sel:[1,0] op_sel_hi:[0,0]
	v_pk_add_f32 v[2:3], v[2:3], v[6:7]
	v_pk_fma_f32 v[6:7], v[12:13], v[142:143], v[4:5] neg_lo:[0,0,1] neg_hi:[0,0,1]
	v_pk_fma_f32 v[4:5], v[12:13], v[142:143], v[4:5] op_sel_hi:[1,0,1]
	s_nop 0
	v_mov_b32_e32 v7, v5
	s_waitcnt vmcnt(0) lgkmcnt(0)
	v_pk_mul_f32 v[4:5], v[14:15], v[144:145] op_sel:[1,1] op_sel_hi:[0,1]
	v_pk_add_f32 v[2:3], v[2:3], v[6:7]
	v_pk_fma_f32 v[6:7], v[14:15], v[144:145], v[4:5] neg_lo:[0,0,1] neg_hi:[0,0,1]
	v_pk_fma_f32 v[4:5], v[14:15], v[144:145], v[4:5] op_sel_hi:[1,0,1]
	s_nop 0
	v_mov_b32_e32 v4, v147
	v_mov_b32_e32 v7, v5
	v_pk_mul_f32 v[4:5], v[16:17], v[4:5] op_sel:[1,0] op_sel_hi:[0,0]
	v_pk_add_f32 v[2:3], v[2:3], v[6:7]
	v_pk_fma_f32 v[6:7], v[16:17], v[146:147], v[4:5] neg_lo:[0,0,1] neg_hi:[0,0,1]
	v_pk_fma_f32 v[4:5], v[16:17], v[146:147], v[4:5] op_sel_hi:[1,0,1]
	s_nop 0
	v_mov_b32_e32 v7, v5
	scratch_load_dwordx2 v[4:5], off, off offset:168
	v_pk_add_f32 v[2:3], v[2:3], v[6:7]
	s_waitcnt vmcnt(0)
	v_pk_add_f32 v[2:3], v[4:5], v[2:3] neg_lo:[0,1] neg_hi:[0,1]
	scratch_store_dwordx2 off, v[2:3], off offset:168
	s_and_saveexec_b64 s[0:1], vcc
	s_cbranch_execz .LBB61_345
; %bb.344:
	scratch_load_dwordx2 v[2:3], off, off offset:160
	v_mov_b32_e32 v4, 0
	v_mov_b32_e32 v5, v4
	scratch_store_dwordx2 off, v[4:5], off offset:160
	s_waitcnt vmcnt(1)
	ds_write_b64 v1, v[2:3]
.LBB61_345:
	s_or_b64 exec, exec, s[0:1]
	s_waitcnt lgkmcnt(0)
	; wave barrier
	scratch_load_dwordx4 v[6:9], off, off offset:168
	scratch_load_dwordx4 v[14:17], off, off offset:184
	;; [unrolled: 1-line block ×10, first 2 shown]
	v_mov_b32_e32 v102, 0
	ds_read2_b64 v[2:5], v102 offset0:83 offset1:84
	scratch_load_dwordx4 v[86:89], off, off offset:328
	scratch_load_dwordx4 v[94:97], off, off offset:344
	;; [unrolled: 1-line block ×7, first 2 shown]
	v_cmp_lt_u32_e32 vcc, 19, v0
	s_waitcnt vmcnt(16) lgkmcnt(0)
	v_mul_f32_e32 v10, v2, v7
	v_fmac_f32_e32 v10, v3, v6
	v_mul_f32_e32 v11, v4, v9
	v_add_f32_e32 v10, 0, v10
	v_fmac_f32_e32 v11, v5, v8
	v_add_f32_e32 v18, v10, v11
	ds_read2_b64 v[10:13], v102 offset0:85 offset1:86
	v_mul_f32_e32 v3, v3, v7
	v_fma_f32 v2, v2, v6, -v3
	v_mul_f32_e32 v3, v5, v9
	v_add_f32_e32 v2, 0, v2
	s_waitcnt vmcnt(15) lgkmcnt(0)
	v_mul_f32_e32 v19, v10, v15
	v_fmac_f32_e32 v19, v11, v14
	v_add_f32_e32 v18, v18, v19
	v_mul_f32_e32 v19, v12, v17
	v_fmac_f32_e32 v19, v13, v16
	v_add_f32_e32 v26, v18, v19
	ds_read2_b64 v[18:21], v102 offset0:87 offset1:88
	v_fma_f32 v3, v4, v8, -v3
	v_add_f32_e32 v2, v2, v3
	v_mul_f32_e32 v3, v11, v15
	v_fma_f32 v3, v10, v14, -v3
	s_waitcnt vmcnt(14) lgkmcnt(0)
	v_mul_f32_e32 v27, v18, v23
	v_fmac_f32_e32 v27, v19, v22
	v_add_f32_e32 v26, v26, v27
	v_mul_f32_e32 v27, v20, v25
	v_fmac_f32_e32 v27, v21, v24
	v_add_f32_e32 v34, v26, v27
	ds_read2_b64 v[26:29], v102 offset0:89 offset1:90
	v_add_f32_e32 v2, v2, v3
	v_mul_f32_e32 v3, v13, v17
	v_fma_f32 v3, v12, v16, -v3
	v_add_f32_e32 v2, v2, v3
	s_waitcnt vmcnt(13) lgkmcnt(0)
	v_mul_f32_e32 v35, v26, v31
	v_fmac_f32_e32 v35, v27, v30
	v_add_f32_e32 v34, v34, v35
	v_mul_f32_e32 v35, v28, v33
	v_fmac_f32_e32 v35, v29, v32
	v_add_f32_e32 v42, v34, v35
	ds_read2_b64 v[34:37], v102 offset0:91 offset1:92
	v_mul_f32_e32 v3, v19, v23
	v_fma_f32 v3, v18, v22, -v3
	v_add_f32_e32 v2, v2, v3
	v_mul_f32_e32 v3, v21, v25
	s_waitcnt vmcnt(12) lgkmcnt(0)
	v_mul_f32_e32 v43, v34, v39
	v_fmac_f32_e32 v43, v35, v38
	v_add_f32_e32 v42, v42, v43
	v_mul_f32_e32 v43, v36, v41
	v_fmac_f32_e32 v43, v37, v40
	v_add_f32_e32 v50, v42, v43
	ds_read2_b64 v[42:45], v102 offset0:93 offset1:94
	v_fma_f32 v3, v20, v24, -v3
	v_add_f32_e32 v2, v2, v3
	v_mul_f32_e32 v3, v27, v31
	v_fma_f32 v3, v26, v30, -v3
	s_waitcnt vmcnt(11) lgkmcnt(0)
	v_mul_f32_e32 v51, v42, v47
	v_fmac_f32_e32 v51, v43, v46
	v_add_f32_e32 v50, v50, v51
	v_mul_f32_e32 v51, v44, v49
	v_fmac_f32_e32 v51, v45, v48
	v_add_f32_e32 v58, v50, v51
	ds_read2_b64 v[50:53], v102 offset0:95 offset1:96
	v_add_f32_e32 v2, v2, v3
	v_mul_f32_e32 v3, v29, v33
	v_fma_f32 v3, v28, v32, -v3
	v_add_f32_e32 v2, v2, v3
	s_waitcnt vmcnt(10) lgkmcnt(0)
	v_mul_f32_e32 v59, v50, v55
	v_fmac_f32_e32 v59, v51, v54
	v_add_f32_e32 v58, v58, v59
	v_mul_f32_e32 v59, v52, v57
	v_fmac_f32_e32 v59, v53, v56
	v_add_f32_e32 v66, v58, v59
	ds_read2_b64 v[58:61], v102 offset0:97 offset1:98
	v_mul_f32_e32 v3, v35, v39
	v_fma_f32 v3, v34, v38, -v3
	v_add_f32_e32 v2, v2, v3
	v_mul_f32_e32 v3, v37, v41
	;; [unrolled: 36-line block ×4, first 2 shown]
	s_waitcnt vmcnt(3) lgkmcnt(0)
	v_mul_f32_e32 v116, v108, v113
	v_fmac_f32_e32 v116, v109, v112
	v_add_f32_e32 v103, v103, v116
	v_mul_f32_e32 v116, v110, v115
	v_fmac_f32_e32 v116, v111, v114
	v_add_f32_e32 v103, v103, v116
	ds_read2_b64 v[116:119], v102 offset0:111 offset1:112
	v_fma_f32 v3, v68, v72, -v3
	v_add_f32_e32 v2, v2, v3
	v_mul_f32_e32 v3, v75, v79
	v_fma_f32 v3, v74, v78, -v3
	s_waitcnt vmcnt(2) lgkmcnt(0)
	v_mul_f32_e32 v124, v116, v121
	v_fmac_f32_e32 v124, v117, v120
	v_add_f32_e32 v103, v103, v124
	v_mul_f32_e32 v124, v118, v123
	v_fmac_f32_e32 v124, v119, v122
	v_add_f32_e32 v103, v103, v124
	ds_read2_b64 v[124:127], v102 offset0:113 offset1:114
	v_add_f32_e32 v2, v2, v3
	v_mul_f32_e32 v3, v77, v81
	v_fma_f32 v3, v76, v80, -v3
	v_add_f32_e32 v2, v2, v3
	s_waitcnt vmcnt(1) lgkmcnt(0)
	v_mul_f32_e32 v132, v124, v129
	v_fmac_f32_e32 v132, v125, v128
	v_add_f32_e32 v149, v103, v132
	ds_read2_b64 v[132:135], v102 offset0:115 offset1:116
	scratch_load_dwordx4 v[140:143], off, off offset:440
	scratch_load_dwordx4 v[144:147], off, off offset:456
	scratch_load_dwordx4 v[168:171], off, off offset:472
	scratch_load_dwordx2 v[176:177], off, off offset:488
	v_mul_f32_e32 v3, v83, v87
	v_fma_f32 v3, v82, v86, -v3
	v_add_f32_e32 v2, v2, v3
	v_mul_f32_e32 v3, v85, v89
	v_fma_f32 v3, v84, v88, -v3
	v_add_f32_e32 v2, v2, v3
	;; [unrolled: 3-line block ×11, first 2 shown]
	v_mul_f32_e32 v2, v127, v131
	v_mul_f32_e32 v173, v126, v131
	v_fma_f32 v172, v126, v130, -v2
	s_waitcnt vmcnt(4) lgkmcnt(0)
	v_mul_f32_e32 v2, v133, v137
	v_mov_b32_e32 v18, v139
	v_fmac_f32_e32 v173, v127, v130
	v_mul_f32_e32 v175, v132, v137
	v_fma_f32 v174, v132, v136, -v2
	ds_read2_b64 v[2:5], v102 offset0:117 offset1:118
	ds_read2_b64 v[6:9], v102 offset0:119 offset1:120
	;; [unrolled: 1-line block ×3, first 2 shown]
	ds_read_b64 v[14:15], v102 offset:984
	v_pk_mul_f32 v[18:19], v[134:135], v[18:19] op_sel:[1,0] op_sel_hi:[0,0]
	v_fmac_f32_e32 v175, v133, v136
	v_pk_add_f32 v[16:17], v[148:149], v[172:173]
	v_pk_fma_f32 v[20:21], v[134:135], v[138:139], v[18:19] neg_lo:[0,0,1] neg_hi:[0,0,1]
	v_pk_fma_f32 v[18:19], v[134:135], v[138:139], v[18:19] op_sel_hi:[1,0,1]
	v_pk_add_f32 v[16:17], v[16:17], v[174:175]
	v_mov_b32_e32 v21, v19
	v_pk_add_f32 v[16:17], v[16:17], v[20:21]
	s_waitcnt vmcnt(3) lgkmcnt(3)
	v_pk_mul_f32 v[18:19], v[2:3], v[140:141] op_sel:[1,1] op_sel_hi:[0,1]
	v_pk_fma_f32 v[20:21], v[2:3], v[140:141], v[18:19] neg_lo:[0,0,1] neg_hi:[0,0,1]
	v_pk_fma_f32 v[2:3], v[2:3], v[140:141], v[18:19] op_sel_hi:[1,0,1]
	s_nop 0
	v_mov_b32_e32 v21, v3
	v_pk_add_f32 v[2:3], v[16:17], v[20:21]
	v_mov_b32_e32 v16, v143
	v_pk_mul_f32 v[16:17], v[4:5], v[16:17] op_sel:[1,0] op_sel_hi:[0,0]
	v_pk_fma_f32 v[18:19], v[4:5], v[142:143], v[16:17] neg_lo:[0,0,1] neg_hi:[0,0,1]
	v_pk_fma_f32 v[4:5], v[4:5], v[142:143], v[16:17] op_sel_hi:[1,0,1]
	s_nop 0
	v_mov_b32_e32 v19, v5
	s_waitcnt vmcnt(2) lgkmcnt(2)
	v_pk_mul_f32 v[4:5], v[6:7], v[144:145] op_sel:[1,1] op_sel_hi:[0,1]
	v_pk_fma_f32 v[16:17], v[6:7], v[144:145], v[4:5] neg_lo:[0,0,1] neg_hi:[0,0,1]
	v_pk_fma_f32 v[4:5], v[6:7], v[144:145], v[4:5] op_sel_hi:[1,0,1]
	v_pk_add_f32 v[2:3], v[2:3], v[18:19]
	v_mov_b32_e32 v4, v147
	v_mov_b32_e32 v17, v5
	v_pk_mul_f32 v[4:5], v[8:9], v[4:5] op_sel:[1,0] op_sel_hi:[0,0]
	v_pk_fma_f32 v[6:7], v[8:9], v[146:147], v[4:5] neg_lo:[0,0,1] neg_hi:[0,0,1]
	v_pk_fma_f32 v[4:5], v[8:9], v[146:147], v[4:5] op_sel_hi:[1,0,1]
	v_pk_add_f32 v[2:3], v[2:3], v[16:17]
	v_mov_b32_e32 v7, v5
	s_waitcnt vmcnt(1) lgkmcnt(1)
	v_pk_mul_f32 v[4:5], v[10:11], v[168:169] op_sel:[1,1] op_sel_hi:[0,1]
	v_pk_add_f32 v[2:3], v[2:3], v[6:7]
	v_pk_fma_f32 v[6:7], v[10:11], v[168:169], v[4:5] neg_lo:[0,0,1] neg_hi:[0,0,1]
	v_pk_fma_f32 v[4:5], v[10:11], v[168:169], v[4:5] op_sel_hi:[1,0,1]
	s_nop 0
	v_mov_b32_e32 v4, v171
	v_mov_b32_e32 v7, v5
	v_pk_mul_f32 v[4:5], v[12:13], v[4:5] op_sel:[1,0] op_sel_hi:[0,0]
	v_pk_add_f32 v[2:3], v[2:3], v[6:7]
	v_pk_fma_f32 v[6:7], v[12:13], v[170:171], v[4:5] neg_lo:[0,0,1] neg_hi:[0,0,1]
	v_pk_fma_f32 v[4:5], v[12:13], v[170:171], v[4:5] op_sel_hi:[1,0,1]
	s_nop 0
	v_mov_b32_e32 v7, v5
	s_waitcnt vmcnt(0) lgkmcnt(0)
	v_pk_mul_f32 v[4:5], v[14:15], v[176:177] op_sel:[1,1] op_sel_hi:[0,1]
	v_pk_add_f32 v[2:3], v[2:3], v[6:7]
	v_pk_fma_f32 v[6:7], v[14:15], v[176:177], v[4:5] neg_lo:[0,0,1] neg_hi:[0,0,1]
	v_pk_fma_f32 v[4:5], v[14:15], v[176:177], v[4:5] op_sel_hi:[1,0,1]
	s_nop 0
	v_mov_b32_e32 v7, v5
	scratch_load_dwordx2 v[4:5], off, off offset:160
	v_pk_add_f32 v[2:3], v[2:3], v[6:7]
	s_waitcnt vmcnt(0)
	v_pk_add_f32 v[2:3], v[4:5], v[2:3] neg_lo:[0,1] neg_hi:[0,1]
	scratch_store_dwordx2 off, v[2:3], off offset:160
	s_and_saveexec_b64 s[0:1], vcc
	s_cbranch_execz .LBB61_347
; %bb.346:
	scratch_load_dwordx2 v[2:3], off, off offset:152
	v_mov_b32_e32 v103, v102
	scratch_store_dwordx2 off, v[102:103], off offset:152
	s_waitcnt vmcnt(1)
	ds_write_b64 v1, v[2:3]
.LBB61_347:
	s_or_b64 exec, exec, s[0:1]
	s_waitcnt lgkmcnt(0)
	; wave barrier
	ds_read_b128 v[14:17], v102 offset:656
	ds_read_b128 v[10:13], v102 offset:672
	;; [unrolled: 1-line block ×4, first 2 shown]
	scratch_load_dwordx4 v[18:21], off, off offset:160
	scratch_load_dwordx4 v[38:41], off, off offset:224
	;; [unrolled: 1-line block ×11, first 2 shown]
	v_cmp_lt_u32_e32 vcc, 18, v0
	scratch_load_dwordx4 v[46:49], off, off offset:240
	scratch_load_dwordx4 v[54:57], off, off offset:256
	;; [unrolled: 1-line block ×3, first 2 shown]
	s_waitcnt vmcnt(13) lgkmcnt(3)
	v_mul_f32_e32 v22, v14, v19
	v_fmac_f32_e32 v22, v15, v18
	v_mul_f32_e32 v23, v16, v21
	v_add_f32_e32 v22, 0, v22
	v_fmac_f32_e32 v23, v17, v20
	v_add_f32_e32 v26, v22, v23
	scratch_load_dwordx4 v[22:25], off, off offset:176
	v_mul_f32_e32 v15, v15, v19
	v_fma_f32 v14, v14, v18, -v15
	v_mul_f32_e32 v15, v17, v21
	v_add_f32_e32 v14, 0, v14
	v_fma_f32 v15, v16, v20, -v15
	v_add_f32_e32 v14, v14, v15
	s_waitcnt vmcnt(0) lgkmcnt(2)
	v_mul_f32_e32 v27, v10, v23
	v_fmac_f32_e32 v27, v11, v22
	v_add_f32_e32 v26, v26, v27
	v_mul_f32_e32 v27, v12, v25
	v_fmac_f32_e32 v27, v13, v24
	v_add_f32_e32 v30, v26, v27
	scratch_load_dwordx4 v[26:29], off, off offset:192
	v_mul_f32_e32 v11, v11, v23
	v_fma_f32 v10, v10, v22, -v11
	v_mul_f32_e32 v11, v13, v25
	v_add_f32_e32 v10, v14, v10
	v_fma_f32 v11, v12, v24, -v11
	v_add_f32_e32 v10, v10, v11
	s_waitcnt vmcnt(0) lgkmcnt(1)
	v_mul_f32_e32 v31, v6, v27
	v_fmac_f32_e32 v31, v7, v26
	v_add_f32_e32 v30, v30, v31
	v_mul_f32_e32 v31, v8, v29
	;; [unrolled: 14-line block ×3, first 2 shown]
	v_fmac_f32_e32 v35, v5, v32
	v_add_f32_e32 v42, v34, v35
	ds_read_b128 v[34:37], v102 offset:720
	v_mul_f32_e32 v3, v3, v31
	v_fma_f32 v2, v2, v30, -v3
	v_mul_f32_e32 v3, v5, v33
	v_add_f32_e32 v2, v6, v2
	s_waitcnt lgkmcnt(0)
	v_mul_f32_e32 v43, v34, v39
	v_fmac_f32_e32 v43, v35, v38
	v_add_f32_e32 v42, v42, v43
	v_mul_f32_e32 v43, v36, v41
	v_fmac_f32_e32 v43, v37, v40
	v_add_f32_e32 v50, v42, v43
	ds_read_b128 v[42:45], v102 offset:736
	v_fma_f32 v3, v4, v32, -v3
	v_add_f32_e32 v2, v2, v3
	v_mul_f32_e32 v3, v35, v39
	v_fma_f32 v3, v34, v38, -v3
	s_waitcnt lgkmcnt(0)
	v_mul_f32_e32 v51, v42, v47
	v_fmac_f32_e32 v51, v43, v46
	v_add_f32_e32 v50, v50, v51
	v_mul_f32_e32 v51, v44, v49
	v_fmac_f32_e32 v51, v45, v48
	v_add_f32_e32 v58, v50, v51
	ds_read_b128 v[50:53], v102 offset:752
	v_add_f32_e32 v2, v2, v3
	v_mul_f32_e32 v3, v37, v41
	v_fma_f32 v3, v36, v40, -v3
	v_add_f32_e32 v2, v2, v3
	s_waitcnt lgkmcnt(0)
	v_mul_f32_e32 v59, v50, v55
	v_fmac_f32_e32 v59, v51, v54
	v_add_f32_e32 v58, v58, v59
	v_mul_f32_e32 v59, v52, v57
	v_fmac_f32_e32 v59, v53, v56
	v_add_f32_e32 v66, v58, v59
	ds_read_b128 v[58:61], v102 offset:768
	v_mul_f32_e32 v3, v43, v47
	v_fma_f32 v3, v42, v46, -v3
	v_add_f32_e32 v2, v2, v3
	v_mul_f32_e32 v3, v45, v49
	s_waitcnt lgkmcnt(0)
	v_mul_f32_e32 v67, v58, v63
	v_fmac_f32_e32 v67, v59, v62
	v_add_f32_e32 v66, v66, v67
	v_mul_f32_e32 v67, v60, v65
	v_fmac_f32_e32 v67, v61, v64
	v_add_f32_e32 v74, v66, v67
	ds_read_b128 v[66:69], v102 offset:784
	v_fma_f32 v3, v44, v48, -v3
	v_add_f32_e32 v2, v2, v3
	v_mul_f32_e32 v3, v51, v55
	v_fma_f32 v3, v50, v54, -v3
	s_waitcnt lgkmcnt(0)
	v_mul_f32_e32 v75, v66, v71
	v_fmac_f32_e32 v75, v67, v70
	v_add_f32_e32 v74, v74, v75
	v_mul_f32_e32 v75, v68, v73
	v_fmac_f32_e32 v75, v69, v72
	v_add_f32_e32 v82, v74, v75
	ds_read_b128 v[74:77], v102 offset:800
	v_add_f32_e32 v2, v2, v3
	v_mul_f32_e32 v3, v53, v57
	v_fma_f32 v3, v52, v56, -v3
	v_add_f32_e32 v2, v2, v3
	s_waitcnt lgkmcnt(0)
	v_mul_f32_e32 v83, v74, v79
	v_fmac_f32_e32 v83, v75, v78
	v_add_f32_e32 v82, v82, v83
	v_mul_f32_e32 v83, v76, v81
	v_fmac_f32_e32 v83, v77, v80
	v_add_f32_e32 v90, v82, v83
	ds_read_b128 v[82:85], v102 offset:816
	v_mul_f32_e32 v3, v59, v63
	v_fma_f32 v3, v58, v62, -v3
	v_add_f32_e32 v2, v2, v3
	v_mul_f32_e32 v3, v61, v65
	s_waitcnt lgkmcnt(0)
	v_mul_f32_e32 v91, v82, v87
	v_fmac_f32_e32 v91, v83, v86
	v_add_f32_e32 v90, v90, v91
	v_mul_f32_e32 v91, v84, v89
	v_fmac_f32_e32 v91, v85, v88
	v_add_f32_e32 v98, v90, v91
	ds_read_b128 v[90:93], v102 offset:832
	v_fma_f32 v3, v60, v64, -v3
	v_add_f32_e32 v2, v2, v3
	v_mul_f32_e32 v3, v67, v71
	v_fma_f32 v3, v66, v70, -v3
	s_waitcnt lgkmcnt(0)
	v_mul_f32_e32 v99, v90, v95
	v_fmac_f32_e32 v99, v91, v94
	v_add_f32_e32 v98, v98, v99
	v_mul_f32_e32 v99, v92, v97
	v_fmac_f32_e32 v99, v93, v96
	v_add_f32_e32 v103, v98, v99
	ds_read_b128 v[98:101], v102 offset:848
	v_add_f32_e32 v2, v2, v3
	v_mul_f32_e32 v3, v69, v73
	v_fma_f32 v3, v68, v72, -v3
	v_add_f32_e32 v2, v2, v3
	s_waitcnt lgkmcnt(0)
	v_mul_f32_e32 v108, v98, v105
	v_fmac_f32_e32 v108, v99, v104
	v_add_f32_e32 v103, v103, v108
	v_mul_f32_e32 v108, v100, v107
	v_fmac_f32_e32 v108, v101, v106
	v_add_f32_e32 v103, v103, v108
	ds_read_b128 v[108:111], v102 offset:864
	v_mul_f32_e32 v3, v75, v79
	v_fma_f32 v3, v74, v78, -v3
	v_add_f32_e32 v2, v2, v3
	v_mul_f32_e32 v3, v77, v81
	s_waitcnt lgkmcnt(0)
	v_mul_f32_e32 v116, v108, v113
	v_fmac_f32_e32 v116, v109, v112
	v_add_f32_e32 v103, v103, v116
	v_mul_f32_e32 v116, v110, v115
	v_fmac_f32_e32 v116, v111, v114
	v_add_f32_e32 v103, v103, v116
	ds_read_b128 v[116:119], v102 offset:880
	v_fma_f32 v3, v76, v80, -v3
	v_add_f32_e32 v2, v2, v3
	v_mul_f32_e32 v3, v83, v87
	v_fma_f32 v3, v82, v86, -v3
	s_waitcnt lgkmcnt(0)
	v_mul_f32_e32 v124, v116, v121
	v_fmac_f32_e32 v124, v117, v120
	v_add_f32_e32 v103, v103, v124
	v_mul_f32_e32 v124, v118, v123
	v_fmac_f32_e32 v124, v119, v122
	v_add_f32_e32 v103, v103, v124
	ds_read_b128 v[124:127], v102 offset:896
	v_add_f32_e32 v2, v2, v3
	v_mul_f32_e32 v3, v85, v89
	v_fma_f32 v3, v84, v88, -v3
	v_add_f32_e32 v2, v2, v3
	s_waitcnt lgkmcnt(0)
	v_mul_f32_e32 v132, v124, v129
	v_fmac_f32_e32 v132, v125, v128
	v_add_f32_e32 v103, v103, v132
	v_mul_f32_e32 v132, v126, v131
	v_fmac_f32_e32 v132, v127, v130
	v_add_f32_e32 v149, v103, v132
	ds_read_b128 v[132:135], v102 offset:912
	scratch_load_dwordx4 v[140:143], off, off offset:432
	scratch_load_dwordx4 v[144:147], off, off offset:448
	;; [unrolled: 1-line block ×4, first 2 shown]
	v_mul_f32_e32 v3, v91, v95
	v_fma_f32 v3, v90, v94, -v3
	v_add_f32_e32 v2, v2, v3
	v_mul_f32_e32 v3, v93, v97
	v_fma_f32 v3, v92, v96, -v3
	v_add_f32_e32 v2, v2, v3
	;; [unrolled: 3-line block ×10, first 2 shown]
	s_waitcnt lgkmcnt(0)
	v_mul_f32_e32 v2, v133, v137
	v_fma_f32 v176, v132, v136, -v2
	v_mul_f32_e32 v2, v135, v139
	v_fma_f32 v178, v134, v138, -v2
	ds_read_b128 v[2:5], v102 offset:928
	ds_read_b128 v[6:9], v102 offset:944
	;; [unrolled: 1-line block ×4, first 2 shown]
	v_mul_f32_e32 v177, v132, v137
	v_fmac_f32_e32 v177, v133, v136
	v_mul_f32_e32 v179, v134, v139
	v_fmac_f32_e32 v179, v135, v138
	v_pk_add_f32 v[18:19], v[148:149], v[176:177]
	s_waitcnt vmcnt(3) lgkmcnt(3)
	v_pk_mul_f32 v[20:21], v[2:3], v[140:141] op_sel:[1,1] op_sel_hi:[0,1]
	v_pk_fma_f32 v[22:23], v[2:3], v[140:141], v[20:21] neg_lo:[0,0,1] neg_hi:[0,0,1]
	v_pk_fma_f32 v[2:3], v[2:3], v[140:141], v[20:21] op_sel_hi:[1,0,1]
	v_pk_add_f32 v[18:19], v[18:19], v[178:179]
	v_mov_b32_e32 v23, v3
	v_pk_add_f32 v[2:3], v[18:19], v[22:23]
	v_mov_b32_e32 v18, v143
	v_pk_mul_f32 v[18:19], v[4:5], v[18:19] op_sel:[1,0] op_sel_hi:[0,0]
	v_pk_fma_f32 v[20:21], v[4:5], v[142:143], v[18:19] neg_lo:[0,0,1] neg_hi:[0,0,1]
	v_pk_fma_f32 v[4:5], v[4:5], v[142:143], v[18:19] op_sel_hi:[1,0,1]
	s_nop 0
	v_mov_b32_e32 v21, v5
	s_waitcnt vmcnt(2) lgkmcnt(2)
	v_pk_mul_f32 v[4:5], v[6:7], v[144:145] op_sel:[1,1] op_sel_hi:[0,1]
	v_pk_fma_f32 v[18:19], v[6:7], v[144:145], v[4:5] neg_lo:[0,0,1] neg_hi:[0,0,1]
	v_pk_fma_f32 v[4:5], v[6:7], v[144:145], v[4:5] op_sel_hi:[1,0,1]
	v_pk_add_f32 v[2:3], v[2:3], v[20:21]
	v_mov_b32_e32 v4, v147
	v_mov_b32_e32 v19, v5
	v_pk_mul_f32 v[4:5], v[8:9], v[4:5] op_sel:[1,0] op_sel_hi:[0,0]
	v_pk_fma_f32 v[6:7], v[8:9], v[146:147], v[4:5] neg_lo:[0,0,1] neg_hi:[0,0,1]
	v_pk_fma_f32 v[4:5], v[8:9], v[146:147], v[4:5] op_sel_hi:[1,0,1]
	v_pk_add_f32 v[2:3], v[2:3], v[18:19]
	v_mov_b32_e32 v7, v5
	s_waitcnt vmcnt(1) lgkmcnt(1)
	v_pk_mul_f32 v[4:5], v[10:11], v[168:169] op_sel:[1,1] op_sel_hi:[0,1]
	v_pk_add_f32 v[2:3], v[2:3], v[6:7]
	v_pk_fma_f32 v[6:7], v[10:11], v[168:169], v[4:5] neg_lo:[0,0,1] neg_hi:[0,0,1]
	v_pk_fma_f32 v[4:5], v[10:11], v[168:169], v[4:5] op_sel_hi:[1,0,1]
	s_nop 0
	v_mov_b32_e32 v4, v171
	v_mov_b32_e32 v7, v5
	v_pk_mul_f32 v[4:5], v[12:13], v[4:5] op_sel:[1,0] op_sel_hi:[0,0]
	v_pk_add_f32 v[2:3], v[2:3], v[6:7]
	v_pk_fma_f32 v[6:7], v[12:13], v[170:171], v[4:5] neg_lo:[0,0,1] neg_hi:[0,0,1]
	v_pk_fma_f32 v[4:5], v[12:13], v[170:171], v[4:5] op_sel_hi:[1,0,1]
	s_nop 0
	v_mov_b32_e32 v7, v5
	s_waitcnt vmcnt(0) lgkmcnt(0)
	v_pk_mul_f32 v[4:5], v[14:15], v[172:173] op_sel:[1,1] op_sel_hi:[0,1]
	v_pk_add_f32 v[2:3], v[2:3], v[6:7]
	v_pk_fma_f32 v[6:7], v[14:15], v[172:173], v[4:5] neg_lo:[0,0,1] neg_hi:[0,0,1]
	v_pk_fma_f32 v[4:5], v[14:15], v[172:173], v[4:5] op_sel_hi:[1,0,1]
	s_nop 0
	v_mov_b32_e32 v4, v175
	v_mov_b32_e32 v7, v5
	v_pk_mul_f32 v[4:5], v[16:17], v[4:5] op_sel:[1,0] op_sel_hi:[0,0]
	v_pk_add_f32 v[2:3], v[2:3], v[6:7]
	v_pk_fma_f32 v[6:7], v[16:17], v[174:175], v[4:5] neg_lo:[0,0,1] neg_hi:[0,0,1]
	v_pk_fma_f32 v[4:5], v[16:17], v[174:175], v[4:5] op_sel_hi:[1,0,1]
	s_nop 0
	v_mov_b32_e32 v7, v5
	scratch_load_dwordx2 v[4:5], off, off offset:152
	v_pk_add_f32 v[2:3], v[2:3], v[6:7]
	s_waitcnt vmcnt(0)
	v_pk_add_f32 v[2:3], v[4:5], v[2:3] neg_lo:[0,1] neg_hi:[0,1]
	scratch_store_dwordx2 off, v[2:3], off offset:152
	s_and_saveexec_b64 s[0:1], vcc
	s_cbranch_execz .LBB61_349
; %bb.348:
	scratch_load_dwordx2 v[2:3], off, off offset:144
	v_mov_b32_e32 v4, 0
	v_mov_b32_e32 v5, v4
	scratch_store_dwordx2 off, v[4:5], off offset:144
	s_waitcnt vmcnt(1)
	ds_write_b64 v1, v[2:3]
.LBB61_349:
	s_or_b64 exec, exec, s[0:1]
	s_waitcnt lgkmcnt(0)
	; wave barrier
	scratch_load_dwordx4 v[6:9], off, off offset:152
	scratch_load_dwordx4 v[14:17], off, off offset:168
	scratch_load_dwordx4 v[22:25], off, off offset:184
	scratch_load_dwordx4 v[30:33], off, off offset:200
	scratch_load_dwordx4 v[38:41], off, off offset:216
	scratch_load_dwordx4 v[46:49], off, off offset:232
	scratch_load_dwordx4 v[54:57], off, off offset:248
	scratch_load_dwordx4 v[62:65], off, off offset:264
	scratch_load_dwordx4 v[70:73], off, off offset:280
	scratch_load_dwordx4 v[78:81], off, off offset:296
	v_mov_b32_e32 v102, 0
	ds_read2_b64 v[2:5], v102 offset0:81 offset1:82
	scratch_load_dwordx4 v[86:89], off, off offset:312
	scratch_load_dwordx4 v[94:97], off, off offset:328
	;; [unrolled: 1-line block ×8, first 2 shown]
	v_cmp_lt_u32_e32 vcc, 17, v0
	s_waitcnt vmcnt(17) lgkmcnt(0)
	v_mul_f32_e32 v10, v2, v7
	v_fmac_f32_e32 v10, v3, v6
	v_mul_f32_e32 v11, v4, v9
	v_add_f32_e32 v10, 0, v10
	v_fmac_f32_e32 v11, v5, v8
	v_add_f32_e32 v18, v10, v11
	ds_read2_b64 v[10:13], v102 offset0:83 offset1:84
	v_mul_f32_e32 v3, v3, v7
	v_fma_f32 v2, v2, v6, -v3
	v_mul_f32_e32 v3, v5, v9
	v_add_f32_e32 v2, 0, v2
	s_waitcnt vmcnt(16) lgkmcnt(0)
	v_mul_f32_e32 v19, v10, v15
	v_fmac_f32_e32 v19, v11, v14
	v_add_f32_e32 v18, v18, v19
	v_mul_f32_e32 v19, v12, v17
	v_fmac_f32_e32 v19, v13, v16
	v_add_f32_e32 v26, v18, v19
	ds_read2_b64 v[18:21], v102 offset0:85 offset1:86
	v_fma_f32 v3, v4, v8, -v3
	v_add_f32_e32 v2, v2, v3
	v_mul_f32_e32 v3, v11, v15
	v_fma_f32 v3, v10, v14, -v3
	s_waitcnt vmcnt(15) lgkmcnt(0)
	v_mul_f32_e32 v27, v18, v23
	v_fmac_f32_e32 v27, v19, v22
	v_add_f32_e32 v26, v26, v27
	v_mul_f32_e32 v27, v20, v25
	v_fmac_f32_e32 v27, v21, v24
	v_add_f32_e32 v34, v26, v27
	ds_read2_b64 v[26:29], v102 offset0:87 offset1:88
	v_add_f32_e32 v2, v2, v3
	v_mul_f32_e32 v3, v13, v17
	v_fma_f32 v3, v12, v16, -v3
	v_add_f32_e32 v2, v2, v3
	s_waitcnt vmcnt(14) lgkmcnt(0)
	v_mul_f32_e32 v35, v26, v31
	v_fmac_f32_e32 v35, v27, v30
	v_add_f32_e32 v34, v34, v35
	v_mul_f32_e32 v35, v28, v33
	v_fmac_f32_e32 v35, v29, v32
	v_add_f32_e32 v42, v34, v35
	ds_read2_b64 v[34:37], v102 offset0:89 offset1:90
	v_mul_f32_e32 v3, v19, v23
	v_fma_f32 v3, v18, v22, -v3
	v_add_f32_e32 v2, v2, v3
	v_mul_f32_e32 v3, v21, v25
	s_waitcnt vmcnt(13) lgkmcnt(0)
	v_mul_f32_e32 v43, v34, v39
	v_fmac_f32_e32 v43, v35, v38
	v_add_f32_e32 v42, v42, v43
	v_mul_f32_e32 v43, v36, v41
	v_fmac_f32_e32 v43, v37, v40
	v_add_f32_e32 v50, v42, v43
	ds_read2_b64 v[42:45], v102 offset0:91 offset1:92
	v_fma_f32 v3, v20, v24, -v3
	v_add_f32_e32 v2, v2, v3
	v_mul_f32_e32 v3, v27, v31
	v_fma_f32 v3, v26, v30, -v3
	s_waitcnt vmcnt(12) lgkmcnt(0)
	v_mul_f32_e32 v51, v42, v47
	v_fmac_f32_e32 v51, v43, v46
	v_add_f32_e32 v50, v50, v51
	v_mul_f32_e32 v51, v44, v49
	v_fmac_f32_e32 v51, v45, v48
	v_add_f32_e32 v58, v50, v51
	ds_read2_b64 v[50:53], v102 offset0:93 offset1:94
	v_add_f32_e32 v2, v2, v3
	v_mul_f32_e32 v3, v29, v33
	v_fma_f32 v3, v28, v32, -v3
	v_add_f32_e32 v2, v2, v3
	s_waitcnt vmcnt(11) lgkmcnt(0)
	v_mul_f32_e32 v59, v50, v55
	v_fmac_f32_e32 v59, v51, v54
	v_add_f32_e32 v58, v58, v59
	v_mul_f32_e32 v59, v52, v57
	v_fmac_f32_e32 v59, v53, v56
	v_add_f32_e32 v66, v58, v59
	ds_read2_b64 v[58:61], v102 offset0:95 offset1:96
	v_mul_f32_e32 v3, v35, v39
	v_fma_f32 v3, v34, v38, -v3
	v_add_f32_e32 v2, v2, v3
	v_mul_f32_e32 v3, v37, v41
	;; [unrolled: 36-line block ×5, first 2 shown]
	s_waitcnt vmcnt(1) lgkmcnt(0)
	v_mul_f32_e32 v140, v132, v137
	v_fmac_f32_e32 v140, v133, v136
	v_add_f32_e32 v149, v103, v140
	ds_read2_b64 v[140:143], v102 offset0:115 offset1:116
	scratch_load_dwordx4 v[168:171], off, off offset:440
	scratch_load_dwordx4 v[172:175], off, off offset:456
	;; [unrolled: 1-line block ×3, first 2 shown]
	scratch_load_dwordx2 v[184:185], off, off offset:488
	v_fma_f32 v3, v84, v88, -v3
	v_add_f32_e32 v2, v2, v3
	v_mul_f32_e32 v3, v91, v95
	v_fma_f32 v3, v90, v94, -v3
	v_add_f32_e32 v2, v2, v3
	v_mul_f32_e32 v3, v93, v97
	;; [unrolled: 3-line block ×12, first 2 shown]
	v_mul_f32_e32 v181, v134, v139
	v_fma_f32 v180, v134, v138, -v2
	s_waitcnt vmcnt(4) lgkmcnt(0)
	v_mul_f32_e32 v2, v141, v145
	v_mov_b32_e32 v18, v147
	v_fmac_f32_e32 v181, v135, v138
	v_mul_f32_e32 v183, v140, v145
	v_fma_f32 v182, v140, v144, -v2
	ds_read2_b64 v[2:5], v102 offset0:117 offset1:118
	ds_read2_b64 v[6:9], v102 offset0:119 offset1:120
	;; [unrolled: 1-line block ×3, first 2 shown]
	ds_read_b64 v[14:15], v102 offset:984
	v_pk_mul_f32 v[18:19], v[142:143], v[18:19] op_sel:[1,0] op_sel_hi:[0,0]
	v_fmac_f32_e32 v183, v141, v144
	v_pk_add_f32 v[16:17], v[148:149], v[180:181]
	v_pk_fma_f32 v[20:21], v[142:143], v[146:147], v[18:19] neg_lo:[0,0,1] neg_hi:[0,0,1]
	v_pk_fma_f32 v[18:19], v[142:143], v[146:147], v[18:19] op_sel_hi:[1,0,1]
	v_pk_add_f32 v[16:17], v[16:17], v[182:183]
	v_mov_b32_e32 v21, v19
	v_pk_add_f32 v[16:17], v[16:17], v[20:21]
	s_waitcnt vmcnt(3) lgkmcnt(3)
	v_pk_mul_f32 v[18:19], v[2:3], v[168:169] op_sel:[1,1] op_sel_hi:[0,1]
	v_pk_fma_f32 v[20:21], v[2:3], v[168:169], v[18:19] neg_lo:[0,0,1] neg_hi:[0,0,1]
	v_pk_fma_f32 v[2:3], v[2:3], v[168:169], v[18:19] op_sel_hi:[1,0,1]
	s_nop 0
	v_mov_b32_e32 v21, v3
	v_pk_add_f32 v[2:3], v[16:17], v[20:21]
	v_mov_b32_e32 v16, v171
	v_pk_mul_f32 v[16:17], v[4:5], v[16:17] op_sel:[1,0] op_sel_hi:[0,0]
	v_pk_fma_f32 v[18:19], v[4:5], v[170:171], v[16:17] neg_lo:[0,0,1] neg_hi:[0,0,1]
	v_pk_fma_f32 v[4:5], v[4:5], v[170:171], v[16:17] op_sel_hi:[1,0,1]
	s_nop 0
	v_mov_b32_e32 v19, v5
	s_waitcnt vmcnt(2) lgkmcnt(2)
	v_pk_mul_f32 v[4:5], v[6:7], v[172:173] op_sel:[1,1] op_sel_hi:[0,1]
	v_pk_fma_f32 v[16:17], v[6:7], v[172:173], v[4:5] neg_lo:[0,0,1] neg_hi:[0,0,1]
	v_pk_fma_f32 v[4:5], v[6:7], v[172:173], v[4:5] op_sel_hi:[1,0,1]
	v_pk_add_f32 v[2:3], v[2:3], v[18:19]
	v_mov_b32_e32 v4, v175
	v_mov_b32_e32 v17, v5
	v_pk_mul_f32 v[4:5], v[8:9], v[4:5] op_sel:[1,0] op_sel_hi:[0,0]
	v_pk_fma_f32 v[6:7], v[8:9], v[174:175], v[4:5] neg_lo:[0,0,1] neg_hi:[0,0,1]
	v_pk_fma_f32 v[4:5], v[8:9], v[174:175], v[4:5] op_sel_hi:[1,0,1]
	v_pk_add_f32 v[2:3], v[2:3], v[16:17]
	v_mov_b32_e32 v7, v5
	s_waitcnt vmcnt(1) lgkmcnt(1)
	v_pk_mul_f32 v[4:5], v[10:11], v[176:177] op_sel:[1,1] op_sel_hi:[0,1]
	v_pk_add_f32 v[2:3], v[2:3], v[6:7]
	v_pk_fma_f32 v[6:7], v[10:11], v[176:177], v[4:5] neg_lo:[0,0,1] neg_hi:[0,0,1]
	v_pk_fma_f32 v[4:5], v[10:11], v[176:177], v[4:5] op_sel_hi:[1,0,1]
	s_nop 0
	v_mov_b32_e32 v4, v179
	v_mov_b32_e32 v7, v5
	v_pk_mul_f32 v[4:5], v[12:13], v[4:5] op_sel:[1,0] op_sel_hi:[0,0]
	v_pk_add_f32 v[2:3], v[2:3], v[6:7]
	v_pk_fma_f32 v[6:7], v[12:13], v[178:179], v[4:5] neg_lo:[0,0,1] neg_hi:[0,0,1]
	v_pk_fma_f32 v[4:5], v[12:13], v[178:179], v[4:5] op_sel_hi:[1,0,1]
	s_nop 0
	v_mov_b32_e32 v7, v5
	s_waitcnt vmcnt(0) lgkmcnt(0)
	v_pk_mul_f32 v[4:5], v[14:15], v[184:185] op_sel:[1,1] op_sel_hi:[0,1]
	v_pk_add_f32 v[2:3], v[2:3], v[6:7]
	v_pk_fma_f32 v[6:7], v[14:15], v[184:185], v[4:5] neg_lo:[0,0,1] neg_hi:[0,0,1]
	v_pk_fma_f32 v[4:5], v[14:15], v[184:185], v[4:5] op_sel_hi:[1,0,1]
	s_nop 0
	v_mov_b32_e32 v7, v5
	scratch_load_dwordx2 v[4:5], off, off offset:144
	v_pk_add_f32 v[2:3], v[2:3], v[6:7]
	s_waitcnt vmcnt(0)
	v_pk_add_f32 v[2:3], v[4:5], v[2:3] neg_lo:[0,1] neg_hi:[0,1]
	scratch_store_dwordx2 off, v[2:3], off offset:144
	s_and_saveexec_b64 s[0:1], vcc
	s_cbranch_execz .LBB61_351
; %bb.350:
	scratch_load_dwordx2 v[2:3], off, off offset:136
	v_mov_b32_e32 v103, v102
	scratch_store_dwordx2 off, v[102:103], off offset:136
	s_waitcnt vmcnt(1)
	ds_write_b64 v1, v[2:3]
.LBB61_351:
	s_or_b64 exec, exec, s[0:1]
	s_waitcnt lgkmcnt(0)
	; wave barrier
	ds_read_b128 v[14:17], v102 offset:640
	ds_read_b128 v[10:13], v102 offset:656
	;; [unrolled: 1-line block ×4, first 2 shown]
	scratch_load_dwordx4 v[18:21], off, off offset:144
	scratch_load_dwordx4 v[38:41], off, off offset:208
	;; [unrolled: 1-line block ×12, first 2 shown]
	v_cmp_lt_u32_e32 vcc, 16, v0
	scratch_load_dwordx4 v[46:49], off, off offset:224
	scratch_load_dwordx4 v[54:57], off, off offset:240
	;; [unrolled: 1-line block ×3, first 2 shown]
	s_waitcnt vmcnt(14) lgkmcnt(3)
	v_mul_f32_e32 v22, v14, v19
	v_fmac_f32_e32 v22, v15, v18
	v_mul_f32_e32 v23, v16, v21
	v_add_f32_e32 v22, 0, v22
	v_fmac_f32_e32 v23, v17, v20
	v_add_f32_e32 v26, v22, v23
	scratch_load_dwordx4 v[22:25], off, off offset:160
	v_mul_f32_e32 v15, v15, v19
	v_fma_f32 v14, v14, v18, -v15
	v_mul_f32_e32 v15, v17, v21
	v_add_f32_e32 v14, 0, v14
	v_fma_f32 v15, v16, v20, -v15
	v_add_f32_e32 v14, v14, v15
	s_waitcnt vmcnt(0) lgkmcnt(2)
	v_mul_f32_e32 v27, v10, v23
	v_fmac_f32_e32 v27, v11, v22
	v_add_f32_e32 v26, v26, v27
	v_mul_f32_e32 v27, v12, v25
	v_fmac_f32_e32 v27, v13, v24
	v_add_f32_e32 v30, v26, v27
	scratch_load_dwordx4 v[26:29], off, off offset:176
	v_mul_f32_e32 v11, v11, v23
	v_fma_f32 v10, v10, v22, -v11
	v_mul_f32_e32 v11, v13, v25
	v_add_f32_e32 v10, v14, v10
	v_fma_f32 v11, v12, v24, -v11
	v_add_f32_e32 v10, v10, v11
	s_waitcnt vmcnt(0) lgkmcnt(1)
	v_mul_f32_e32 v31, v6, v27
	v_fmac_f32_e32 v31, v7, v26
	v_add_f32_e32 v30, v30, v31
	v_mul_f32_e32 v31, v8, v29
	;; [unrolled: 14-line block ×3, first 2 shown]
	v_fmac_f32_e32 v35, v5, v32
	v_add_f32_e32 v42, v34, v35
	ds_read_b128 v[34:37], v102 offset:704
	v_mul_f32_e32 v3, v3, v31
	v_fma_f32 v2, v2, v30, -v3
	v_mul_f32_e32 v3, v5, v33
	v_add_f32_e32 v2, v6, v2
	s_waitcnt lgkmcnt(0)
	v_mul_f32_e32 v43, v34, v39
	v_fmac_f32_e32 v43, v35, v38
	v_add_f32_e32 v42, v42, v43
	v_mul_f32_e32 v43, v36, v41
	v_fmac_f32_e32 v43, v37, v40
	v_add_f32_e32 v50, v42, v43
	ds_read_b128 v[42:45], v102 offset:720
	v_fma_f32 v3, v4, v32, -v3
	v_add_f32_e32 v2, v2, v3
	v_mul_f32_e32 v3, v35, v39
	v_fma_f32 v3, v34, v38, -v3
	s_waitcnt lgkmcnt(0)
	v_mul_f32_e32 v51, v42, v47
	v_fmac_f32_e32 v51, v43, v46
	v_add_f32_e32 v50, v50, v51
	v_mul_f32_e32 v51, v44, v49
	v_fmac_f32_e32 v51, v45, v48
	v_add_f32_e32 v58, v50, v51
	ds_read_b128 v[50:53], v102 offset:736
	v_add_f32_e32 v2, v2, v3
	v_mul_f32_e32 v3, v37, v41
	v_fma_f32 v3, v36, v40, -v3
	v_add_f32_e32 v2, v2, v3
	s_waitcnt lgkmcnt(0)
	v_mul_f32_e32 v59, v50, v55
	v_fmac_f32_e32 v59, v51, v54
	v_add_f32_e32 v58, v58, v59
	v_mul_f32_e32 v59, v52, v57
	v_fmac_f32_e32 v59, v53, v56
	v_add_f32_e32 v66, v58, v59
	ds_read_b128 v[58:61], v102 offset:752
	v_mul_f32_e32 v3, v43, v47
	v_fma_f32 v3, v42, v46, -v3
	v_add_f32_e32 v2, v2, v3
	v_mul_f32_e32 v3, v45, v49
	s_waitcnt lgkmcnt(0)
	v_mul_f32_e32 v67, v58, v63
	v_fmac_f32_e32 v67, v59, v62
	v_add_f32_e32 v66, v66, v67
	v_mul_f32_e32 v67, v60, v65
	v_fmac_f32_e32 v67, v61, v64
	v_add_f32_e32 v74, v66, v67
	ds_read_b128 v[66:69], v102 offset:768
	v_fma_f32 v3, v44, v48, -v3
	v_add_f32_e32 v2, v2, v3
	v_mul_f32_e32 v3, v51, v55
	v_fma_f32 v3, v50, v54, -v3
	s_waitcnt lgkmcnt(0)
	v_mul_f32_e32 v75, v66, v71
	v_fmac_f32_e32 v75, v67, v70
	v_add_f32_e32 v74, v74, v75
	v_mul_f32_e32 v75, v68, v73
	v_fmac_f32_e32 v75, v69, v72
	v_add_f32_e32 v82, v74, v75
	ds_read_b128 v[74:77], v102 offset:784
	v_add_f32_e32 v2, v2, v3
	v_mul_f32_e32 v3, v53, v57
	v_fma_f32 v3, v52, v56, -v3
	v_add_f32_e32 v2, v2, v3
	s_waitcnt lgkmcnt(0)
	v_mul_f32_e32 v83, v74, v79
	v_fmac_f32_e32 v83, v75, v78
	v_add_f32_e32 v82, v82, v83
	v_mul_f32_e32 v83, v76, v81
	v_fmac_f32_e32 v83, v77, v80
	v_add_f32_e32 v90, v82, v83
	ds_read_b128 v[82:85], v102 offset:800
	v_mul_f32_e32 v3, v59, v63
	v_fma_f32 v3, v58, v62, -v3
	v_add_f32_e32 v2, v2, v3
	v_mul_f32_e32 v3, v61, v65
	;; [unrolled: 36-line block ×4, first 2 shown]
	s_waitcnt lgkmcnt(0)
	v_mul_f32_e32 v140, v132, v137
	v_fmac_f32_e32 v140, v133, v136
	v_add_f32_e32 v103, v103, v140
	v_mul_f32_e32 v140, v134, v139
	v_fmac_f32_e32 v140, v135, v138
	v_add_f32_e32 v149, v103, v140
	ds_read_b128 v[140:143], v102 offset:912
	scratch_load_dwordx4 v[168:171], off, off offset:432
	scratch_load_dwordx4 v[172:175], off, off offset:448
	;; [unrolled: 1-line block ×4, first 2 shown]
	v_fma_f32 v3, v92, v96, -v3
	v_add_f32_e32 v2, v2, v3
	v_mul_f32_e32 v3, v99, v105
	v_fma_f32 v3, v98, v104, -v3
	v_add_f32_e32 v2, v2, v3
	v_mul_f32_e32 v3, v101, v107
	;; [unrolled: 3-line block ×10, first 2 shown]
	v_fma_f32 v3, v134, v138, -v3
	v_add_f32_e32 v148, v2, v3
	s_waitcnt lgkmcnt(0)
	v_mul_f32_e32 v2, v141, v145
	v_fma_f32 v184, v140, v144, -v2
	v_mul_f32_e32 v2, v143, v147
	v_fma_f32 v186, v142, v146, -v2
	ds_read_b128 v[2:5], v102 offset:928
	ds_read_b128 v[6:9], v102 offset:944
	;; [unrolled: 1-line block ×4, first 2 shown]
	v_mul_f32_e32 v185, v140, v145
	v_fmac_f32_e32 v185, v141, v144
	v_mul_f32_e32 v187, v142, v147
	v_fmac_f32_e32 v187, v143, v146
	v_pk_add_f32 v[18:19], v[148:149], v[184:185]
	s_waitcnt vmcnt(3) lgkmcnt(3)
	v_pk_mul_f32 v[20:21], v[2:3], v[168:169] op_sel:[1,1] op_sel_hi:[0,1]
	v_pk_fma_f32 v[22:23], v[2:3], v[168:169], v[20:21] neg_lo:[0,0,1] neg_hi:[0,0,1]
	v_pk_fma_f32 v[2:3], v[2:3], v[168:169], v[20:21] op_sel_hi:[1,0,1]
	v_pk_add_f32 v[18:19], v[18:19], v[186:187]
	v_mov_b32_e32 v23, v3
	v_pk_add_f32 v[2:3], v[18:19], v[22:23]
	v_mov_b32_e32 v18, v171
	v_pk_mul_f32 v[18:19], v[4:5], v[18:19] op_sel:[1,0] op_sel_hi:[0,0]
	v_pk_fma_f32 v[20:21], v[4:5], v[170:171], v[18:19] neg_lo:[0,0,1] neg_hi:[0,0,1]
	v_pk_fma_f32 v[4:5], v[4:5], v[170:171], v[18:19] op_sel_hi:[1,0,1]
	s_nop 0
	v_mov_b32_e32 v21, v5
	s_waitcnt vmcnt(2) lgkmcnt(2)
	v_pk_mul_f32 v[4:5], v[6:7], v[172:173] op_sel:[1,1] op_sel_hi:[0,1]
	v_pk_fma_f32 v[18:19], v[6:7], v[172:173], v[4:5] neg_lo:[0,0,1] neg_hi:[0,0,1]
	v_pk_fma_f32 v[4:5], v[6:7], v[172:173], v[4:5] op_sel_hi:[1,0,1]
	v_pk_add_f32 v[2:3], v[2:3], v[20:21]
	v_mov_b32_e32 v4, v175
	v_mov_b32_e32 v19, v5
	v_pk_mul_f32 v[4:5], v[8:9], v[4:5] op_sel:[1,0] op_sel_hi:[0,0]
	v_pk_fma_f32 v[6:7], v[8:9], v[174:175], v[4:5] neg_lo:[0,0,1] neg_hi:[0,0,1]
	v_pk_fma_f32 v[4:5], v[8:9], v[174:175], v[4:5] op_sel_hi:[1,0,1]
	v_pk_add_f32 v[2:3], v[2:3], v[18:19]
	v_mov_b32_e32 v7, v5
	s_waitcnt vmcnt(1) lgkmcnt(1)
	v_pk_mul_f32 v[4:5], v[10:11], v[176:177] op_sel:[1,1] op_sel_hi:[0,1]
	v_pk_add_f32 v[2:3], v[2:3], v[6:7]
	v_pk_fma_f32 v[6:7], v[10:11], v[176:177], v[4:5] neg_lo:[0,0,1] neg_hi:[0,0,1]
	v_pk_fma_f32 v[4:5], v[10:11], v[176:177], v[4:5] op_sel_hi:[1,0,1]
	s_nop 0
	v_mov_b32_e32 v4, v179
	v_mov_b32_e32 v7, v5
	v_pk_mul_f32 v[4:5], v[12:13], v[4:5] op_sel:[1,0] op_sel_hi:[0,0]
	v_pk_add_f32 v[2:3], v[2:3], v[6:7]
	v_pk_fma_f32 v[6:7], v[12:13], v[178:179], v[4:5] neg_lo:[0,0,1] neg_hi:[0,0,1]
	v_pk_fma_f32 v[4:5], v[12:13], v[178:179], v[4:5] op_sel_hi:[1,0,1]
	s_nop 0
	v_mov_b32_e32 v7, v5
	s_waitcnt vmcnt(0) lgkmcnt(0)
	v_pk_mul_f32 v[4:5], v[14:15], v[180:181] op_sel:[1,1] op_sel_hi:[0,1]
	v_pk_add_f32 v[2:3], v[2:3], v[6:7]
	v_pk_fma_f32 v[6:7], v[14:15], v[180:181], v[4:5] neg_lo:[0,0,1] neg_hi:[0,0,1]
	v_pk_fma_f32 v[4:5], v[14:15], v[180:181], v[4:5] op_sel_hi:[1,0,1]
	s_nop 0
	v_mov_b32_e32 v4, v183
	v_mov_b32_e32 v7, v5
	v_pk_mul_f32 v[4:5], v[16:17], v[4:5] op_sel:[1,0] op_sel_hi:[0,0]
	v_pk_add_f32 v[2:3], v[2:3], v[6:7]
	v_pk_fma_f32 v[6:7], v[16:17], v[182:183], v[4:5] neg_lo:[0,0,1] neg_hi:[0,0,1]
	v_pk_fma_f32 v[4:5], v[16:17], v[182:183], v[4:5] op_sel_hi:[1,0,1]
	s_nop 0
	v_mov_b32_e32 v7, v5
	scratch_load_dwordx2 v[4:5], off, off offset:136
	v_pk_add_f32 v[2:3], v[2:3], v[6:7]
	s_waitcnt vmcnt(0)
	v_pk_add_f32 v[2:3], v[4:5], v[2:3] neg_lo:[0,1] neg_hi:[0,1]
	scratch_store_dwordx2 off, v[2:3], off offset:136
	s_and_saveexec_b64 s[0:1], vcc
	s_cbranch_execz .LBB61_353
; %bb.352:
	scratch_load_dwordx2 v[2:3], off, off offset:128
	v_mov_b32_e32 v4, 0
	v_mov_b32_e32 v5, v4
	scratch_store_dwordx2 off, v[4:5], off offset:128
	s_waitcnt vmcnt(1)
	ds_write_b64 v1, v[2:3]
.LBB61_353:
	s_or_b64 exec, exec, s[0:1]
	s_waitcnt lgkmcnt(0)
	; wave barrier
	scratch_load_dwordx4 v[6:9], off, off offset:136
	scratch_load_dwordx4 v[14:17], off, off offset:152
	;; [unrolled: 1-line block ×10, first 2 shown]
	v_mov_b32_e32 v110, 0
	ds_read2_b64 v[2:5], v110 offset0:79 offset1:80
	ds_read2_b64 v[168:171], v110 offset0:115 offset1:116
	scratch_load_dwordx4 v[86:89], off, off offset:296
	scratch_load_dwordx4 v[94:97], off, off offset:312
	;; [unrolled: 1-line block ×9, first 2 shown]
	v_cmp_lt_u32_e32 vcc, 15, v0
	s_waitcnt vmcnt(18) lgkmcnt(1)
	v_mul_f32_e32 v10, v2, v7
	v_fmac_f32_e32 v10, v3, v6
	v_mul_f32_e32 v11, v4, v9
	v_add_f32_e32 v10, 0, v10
	v_fmac_f32_e32 v11, v5, v8
	v_add_f32_e32 v18, v10, v11
	ds_read2_b64 v[10:13], v110 offset0:81 offset1:82
	v_mul_f32_e32 v3, v3, v7
	v_fma_f32 v2, v2, v6, -v3
	v_mul_f32_e32 v3, v5, v9
	v_add_f32_e32 v2, 0, v2
	s_waitcnt vmcnt(17) lgkmcnt(0)
	v_mul_f32_e32 v19, v10, v15
	v_fmac_f32_e32 v19, v11, v14
	v_add_f32_e32 v18, v18, v19
	v_mul_f32_e32 v19, v12, v17
	v_fmac_f32_e32 v19, v13, v16
	v_add_f32_e32 v26, v18, v19
	ds_read2_b64 v[18:21], v110 offset0:83 offset1:84
	v_fma_f32 v3, v4, v8, -v3
	v_add_f32_e32 v2, v2, v3
	v_mul_f32_e32 v3, v11, v15
	v_fma_f32 v3, v10, v14, -v3
	s_waitcnt vmcnt(16) lgkmcnt(0)
	v_mul_f32_e32 v27, v18, v23
	v_fmac_f32_e32 v27, v19, v22
	v_add_f32_e32 v26, v26, v27
	v_mul_f32_e32 v27, v20, v25
	v_fmac_f32_e32 v27, v21, v24
	v_add_f32_e32 v34, v26, v27
	ds_read2_b64 v[26:29], v110 offset0:85 offset1:86
	v_add_f32_e32 v2, v2, v3
	v_mul_f32_e32 v3, v13, v17
	v_fma_f32 v3, v12, v16, -v3
	v_add_f32_e32 v2, v2, v3
	s_waitcnt vmcnt(15) lgkmcnt(0)
	v_mul_f32_e32 v35, v26, v31
	v_fmac_f32_e32 v35, v27, v30
	v_add_f32_e32 v34, v34, v35
	v_mul_f32_e32 v35, v28, v33
	v_fmac_f32_e32 v35, v29, v32
	v_add_f32_e32 v42, v34, v35
	ds_read2_b64 v[34:37], v110 offset0:87 offset1:88
	v_mul_f32_e32 v3, v19, v23
	v_fma_f32 v3, v18, v22, -v3
	v_add_f32_e32 v2, v2, v3
	v_mul_f32_e32 v3, v21, v25
	s_waitcnt vmcnt(14) lgkmcnt(0)
	v_mul_f32_e32 v43, v34, v39
	v_fmac_f32_e32 v43, v35, v38
	v_add_f32_e32 v42, v42, v43
	v_mul_f32_e32 v43, v36, v41
	v_fmac_f32_e32 v43, v37, v40
	v_add_f32_e32 v50, v42, v43
	ds_read2_b64 v[42:45], v110 offset0:89 offset1:90
	v_fma_f32 v3, v20, v24, -v3
	v_add_f32_e32 v2, v2, v3
	v_mul_f32_e32 v3, v27, v31
	v_fma_f32 v3, v26, v30, -v3
	s_waitcnt vmcnt(13) lgkmcnt(0)
	v_mul_f32_e32 v51, v42, v47
	v_fmac_f32_e32 v51, v43, v46
	v_add_f32_e32 v50, v50, v51
	v_mul_f32_e32 v51, v44, v49
	v_fmac_f32_e32 v51, v45, v48
	v_add_f32_e32 v58, v50, v51
	ds_read2_b64 v[50:53], v110 offset0:91 offset1:92
	v_add_f32_e32 v2, v2, v3
	v_mul_f32_e32 v3, v29, v33
	v_fma_f32 v3, v28, v32, -v3
	v_add_f32_e32 v2, v2, v3
	s_waitcnt vmcnt(12) lgkmcnt(0)
	v_mul_f32_e32 v59, v50, v55
	v_fmac_f32_e32 v59, v51, v54
	v_add_f32_e32 v58, v58, v59
	v_mul_f32_e32 v59, v52, v57
	v_fmac_f32_e32 v59, v53, v56
	v_add_f32_e32 v66, v58, v59
	ds_read2_b64 v[58:61], v110 offset0:93 offset1:94
	v_mul_f32_e32 v3, v35, v39
	v_fma_f32 v3, v34, v38, -v3
	v_add_f32_e32 v2, v2, v3
	v_mul_f32_e32 v3, v37, v41
	;; [unrolled: 36-line block ×5, first 2 shown]
	s_waitcnt vmcnt(2) lgkmcnt(0)
	v_mul_f32_e32 v140, v132, v137
	v_fmac_f32_e32 v140, v133, v136
	v_add_f32_e32 v111, v111, v140
	v_mul_f32_e32 v140, v134, v139
	v_fmac_f32_e32 v140, v135, v138
	v_add_f32_e32 v111, v111, v140
	ds_read2_b64 v[140:143], v110 offset0:113 offset1:114
	scratch_load_dwordx4 v[176:179], off, off offset:440
	scratch_load_dwordx4 v[180:183], off, off offset:456
	;; [unrolled: 1-line block ×3, first 2 shown]
	scratch_load_dwordx2 v[192:193], off, off offset:488
	v_fma_f32 v3, v84, v88, -v3
	v_add_f32_e32 v2, v2, v3
	v_mul_f32_e32 v3, v91, v95
	v_fma_f32 v3, v90, v94, -v3
	v_add_f32_e32 v2, v2, v3
	v_mul_f32_e32 v3, v93, v97
	;; [unrolled: 3-line block ×12, first 2 shown]
	v_fma_f32 v3, v134, v138, -v3
	s_waitcnt vmcnt(5) lgkmcnt(0)
	v_mul_f32_e32 v148, v140, v145
	v_add_f32_e32 v2, v2, v3
	v_mul_f32_e32 v3, v141, v145
	v_fmac_f32_e32 v148, v141, v144
	v_fma_f32 v3, v140, v144, -v3
	v_add_f32_e32 v149, v111, v148
	v_add_f32_e32 v148, v2, v3
	v_mul_f32_e32 v2, v143, v147
	v_mul_f32_e32 v189, v142, v147
	v_fma_f32 v188, v142, v146, -v2
	s_waitcnt vmcnt(4)
	v_mul_f32_e32 v2, v169, v173
	v_mov_b32_e32 v18, v175
	v_fmac_f32_e32 v189, v143, v146
	v_mul_f32_e32 v191, v168, v173
	v_fma_f32 v190, v168, v172, -v2
	ds_read2_b64 v[2:5], v110 offset0:117 offset1:118
	ds_read2_b64 v[6:9], v110 offset0:119 offset1:120
	;; [unrolled: 1-line block ×3, first 2 shown]
	ds_read_b64 v[14:15], v110 offset:984
	v_pk_mul_f32 v[18:19], v[170:171], v[18:19] op_sel:[1,0] op_sel_hi:[0,0]
	v_fmac_f32_e32 v191, v169, v172
	v_pk_add_f32 v[16:17], v[148:149], v[188:189]
	v_pk_fma_f32 v[20:21], v[170:171], v[174:175], v[18:19] neg_lo:[0,0,1] neg_hi:[0,0,1]
	v_pk_fma_f32 v[18:19], v[170:171], v[174:175], v[18:19] op_sel_hi:[1,0,1]
	v_pk_add_f32 v[16:17], v[16:17], v[190:191]
	v_mov_b32_e32 v21, v19
	v_pk_add_f32 v[16:17], v[16:17], v[20:21]
	s_waitcnt vmcnt(3) lgkmcnt(3)
	v_pk_mul_f32 v[18:19], v[2:3], v[176:177] op_sel:[1,1] op_sel_hi:[0,1]
	v_pk_fma_f32 v[20:21], v[2:3], v[176:177], v[18:19] neg_lo:[0,0,1] neg_hi:[0,0,1]
	v_pk_fma_f32 v[2:3], v[2:3], v[176:177], v[18:19] op_sel_hi:[1,0,1]
	s_nop 0
	v_mov_b32_e32 v21, v3
	v_pk_add_f32 v[2:3], v[16:17], v[20:21]
	v_mov_b32_e32 v16, v179
	v_pk_mul_f32 v[16:17], v[4:5], v[16:17] op_sel:[1,0] op_sel_hi:[0,0]
	v_pk_fma_f32 v[18:19], v[4:5], v[178:179], v[16:17] neg_lo:[0,0,1] neg_hi:[0,0,1]
	v_pk_fma_f32 v[4:5], v[4:5], v[178:179], v[16:17] op_sel_hi:[1,0,1]
	s_nop 0
	v_mov_b32_e32 v19, v5
	s_waitcnt vmcnt(2) lgkmcnt(2)
	v_pk_mul_f32 v[4:5], v[6:7], v[180:181] op_sel:[1,1] op_sel_hi:[0,1]
	v_pk_fma_f32 v[16:17], v[6:7], v[180:181], v[4:5] neg_lo:[0,0,1] neg_hi:[0,0,1]
	v_pk_fma_f32 v[4:5], v[6:7], v[180:181], v[4:5] op_sel_hi:[1,0,1]
	v_pk_add_f32 v[2:3], v[2:3], v[18:19]
	v_mov_b32_e32 v4, v183
	v_mov_b32_e32 v17, v5
	v_pk_mul_f32 v[4:5], v[8:9], v[4:5] op_sel:[1,0] op_sel_hi:[0,0]
	v_pk_fma_f32 v[6:7], v[8:9], v[182:183], v[4:5] neg_lo:[0,0,1] neg_hi:[0,0,1]
	v_pk_fma_f32 v[4:5], v[8:9], v[182:183], v[4:5] op_sel_hi:[1,0,1]
	v_pk_add_f32 v[2:3], v[2:3], v[16:17]
	v_mov_b32_e32 v7, v5
	s_waitcnt vmcnt(1) lgkmcnt(1)
	v_pk_mul_f32 v[4:5], v[10:11], v[184:185] op_sel:[1,1] op_sel_hi:[0,1]
	v_pk_add_f32 v[2:3], v[2:3], v[6:7]
	v_pk_fma_f32 v[6:7], v[10:11], v[184:185], v[4:5] neg_lo:[0,0,1] neg_hi:[0,0,1]
	v_pk_fma_f32 v[4:5], v[10:11], v[184:185], v[4:5] op_sel_hi:[1,0,1]
	s_nop 0
	v_mov_b32_e32 v4, v187
	v_mov_b32_e32 v7, v5
	v_pk_mul_f32 v[4:5], v[12:13], v[4:5] op_sel:[1,0] op_sel_hi:[0,0]
	v_pk_add_f32 v[2:3], v[2:3], v[6:7]
	v_pk_fma_f32 v[6:7], v[12:13], v[186:187], v[4:5] neg_lo:[0,0,1] neg_hi:[0,0,1]
	v_pk_fma_f32 v[4:5], v[12:13], v[186:187], v[4:5] op_sel_hi:[1,0,1]
	s_nop 0
	v_mov_b32_e32 v7, v5
	s_waitcnt vmcnt(0) lgkmcnt(0)
	v_pk_mul_f32 v[4:5], v[14:15], v[192:193] op_sel:[1,1] op_sel_hi:[0,1]
	v_pk_add_f32 v[2:3], v[2:3], v[6:7]
	v_pk_fma_f32 v[6:7], v[14:15], v[192:193], v[4:5] neg_lo:[0,0,1] neg_hi:[0,0,1]
	v_pk_fma_f32 v[4:5], v[14:15], v[192:193], v[4:5] op_sel_hi:[1,0,1]
	s_nop 0
	v_mov_b32_e32 v7, v5
	scratch_load_dwordx2 v[4:5], off, off offset:128
	v_pk_add_f32 v[2:3], v[2:3], v[6:7]
	s_waitcnt vmcnt(0)
	v_pk_add_f32 v[2:3], v[4:5], v[2:3] neg_lo:[0,1] neg_hi:[0,1]
	scratch_store_dwordx2 off, v[2:3], off offset:128
	s_and_saveexec_b64 s[0:1], vcc
	s_cbranch_execz .LBB61_355
; %bb.354:
	scratch_load_dwordx2 v[2:3], off, off offset:120
	v_mov_b32_e32 v111, v110
	scratch_store_dwordx2 off, v[110:111], off offset:120
	s_waitcnt vmcnt(1)
	ds_write_b64 v1, v[2:3]
.LBB61_355:
	s_or_b64 exec, exec, s[0:1]
	s_waitcnt lgkmcnt(0)
	; wave barrier
	ds_read_b128 v[14:17], v110 offset:624
	ds_read_b128 v[10:13], v110 offset:640
	;; [unrolled: 1-line block ×4, first 2 shown]
	scratch_load_dwordx4 v[18:21], off, off offset:128
	scratch_load_dwordx4 v[38:41], off, off offset:192
	;; [unrolled: 1-line block ×13, first 2 shown]
	v_cmp_lt_u32_e32 vcc, 14, v0
	scratch_load_dwordx4 v[46:49], off, off offset:208
	scratch_load_dwordx4 v[54:57], off, off offset:224
	;; [unrolled: 1-line block ×3, first 2 shown]
	ds_read_b128 v[168:171], v110 offset:912
	s_waitcnt vmcnt(15) lgkmcnt(4)
	v_mul_f32_e32 v22, v14, v19
	v_fmac_f32_e32 v22, v15, v18
	v_mul_f32_e32 v23, v16, v21
	v_add_f32_e32 v22, 0, v22
	v_fmac_f32_e32 v23, v17, v20
	v_add_f32_e32 v26, v22, v23
	scratch_load_dwordx4 v[22:25], off, off offset:144
	v_mul_f32_e32 v15, v15, v19
	v_fma_f32 v14, v14, v18, -v15
	v_mul_f32_e32 v15, v17, v21
	v_add_f32_e32 v14, 0, v14
	v_fma_f32 v15, v16, v20, -v15
	v_add_f32_e32 v14, v14, v15
	s_waitcnt vmcnt(4) lgkmcnt(0)
	v_mul_f32_e32 v193, v168, v173
	v_mul_f32_e32 v195, v170, v175
	v_fmac_f32_e32 v193, v169, v172
	v_fmac_f32_e32 v195, v171, v174
	s_waitcnt vmcnt(0)
	v_mul_f32_e32 v27, v10, v23
	v_fmac_f32_e32 v27, v11, v22
	v_add_f32_e32 v26, v26, v27
	v_mul_f32_e32 v27, v12, v25
	v_fmac_f32_e32 v27, v13, v24
	v_add_f32_e32 v30, v26, v27
	scratch_load_dwordx4 v[26:29], off, off offset:160
	v_mul_f32_e32 v11, v11, v23
	v_fma_f32 v10, v10, v22, -v11
	v_mul_f32_e32 v11, v13, v25
	v_add_f32_e32 v10, v14, v10
	v_fma_f32 v11, v12, v24, -v11
	v_add_f32_e32 v10, v10, v11
	s_waitcnt vmcnt(0)
	v_mul_f32_e32 v31, v6, v27
	v_fmac_f32_e32 v31, v7, v26
	v_add_f32_e32 v30, v30, v31
	v_mul_f32_e32 v31, v8, v29
	v_fmac_f32_e32 v31, v9, v28
	v_add_f32_e32 v34, v30, v31
	scratch_load_dwordx4 v[30:33], off, off offset:176
	v_mul_f32_e32 v7, v7, v27
	v_fma_f32 v6, v6, v26, -v7
	v_mul_f32_e32 v7, v9, v29
	v_add_f32_e32 v6, v10, v6
	v_fma_f32 v7, v8, v28, -v7
	v_add_f32_e32 v6, v6, v7
	s_waitcnt vmcnt(0)
	v_mul_f32_e32 v35, v2, v31
	v_fmac_f32_e32 v35, v3, v30
	v_add_f32_e32 v34, v34, v35
	v_mul_f32_e32 v35, v4, v33
	v_fmac_f32_e32 v35, v5, v32
	v_add_f32_e32 v42, v34, v35
	ds_read_b128 v[34:37], v110 offset:688
	v_mul_f32_e32 v3, v3, v31
	v_fma_f32 v2, v2, v30, -v3
	v_mul_f32_e32 v3, v5, v33
	v_add_f32_e32 v2, v6, v2
	s_waitcnt lgkmcnt(0)
	v_mul_f32_e32 v43, v34, v39
	v_fmac_f32_e32 v43, v35, v38
	v_add_f32_e32 v42, v42, v43
	v_mul_f32_e32 v43, v36, v41
	v_fmac_f32_e32 v43, v37, v40
	v_add_f32_e32 v50, v42, v43
	ds_read_b128 v[42:45], v110 offset:704
	v_fma_f32 v3, v4, v32, -v3
	v_add_f32_e32 v2, v2, v3
	v_mul_f32_e32 v3, v35, v39
	v_fma_f32 v3, v34, v38, -v3
	s_waitcnt lgkmcnt(0)
	v_mul_f32_e32 v51, v42, v47
	v_fmac_f32_e32 v51, v43, v46
	v_add_f32_e32 v50, v50, v51
	v_mul_f32_e32 v51, v44, v49
	v_fmac_f32_e32 v51, v45, v48
	v_add_f32_e32 v58, v50, v51
	ds_read_b128 v[50:53], v110 offset:720
	v_add_f32_e32 v2, v2, v3
	v_mul_f32_e32 v3, v37, v41
	v_fma_f32 v3, v36, v40, -v3
	v_add_f32_e32 v2, v2, v3
	s_waitcnt lgkmcnt(0)
	v_mul_f32_e32 v59, v50, v55
	v_fmac_f32_e32 v59, v51, v54
	v_add_f32_e32 v58, v58, v59
	v_mul_f32_e32 v59, v52, v57
	v_fmac_f32_e32 v59, v53, v56
	v_add_f32_e32 v66, v58, v59
	ds_read_b128 v[58:61], v110 offset:736
	v_mul_f32_e32 v3, v43, v47
	v_fma_f32 v3, v42, v46, -v3
	v_add_f32_e32 v2, v2, v3
	v_mul_f32_e32 v3, v45, v49
	s_waitcnt lgkmcnt(0)
	v_mul_f32_e32 v67, v58, v63
	v_fmac_f32_e32 v67, v59, v62
	v_add_f32_e32 v66, v66, v67
	v_mul_f32_e32 v67, v60, v65
	v_fmac_f32_e32 v67, v61, v64
	v_add_f32_e32 v74, v66, v67
	ds_read_b128 v[66:69], v110 offset:752
	v_fma_f32 v3, v44, v48, -v3
	v_add_f32_e32 v2, v2, v3
	v_mul_f32_e32 v3, v51, v55
	v_fma_f32 v3, v50, v54, -v3
	s_waitcnt lgkmcnt(0)
	v_mul_f32_e32 v75, v66, v71
	v_fmac_f32_e32 v75, v67, v70
	v_add_f32_e32 v74, v74, v75
	v_mul_f32_e32 v75, v68, v73
	v_fmac_f32_e32 v75, v69, v72
	v_add_f32_e32 v82, v74, v75
	ds_read_b128 v[74:77], v110 offset:768
	v_add_f32_e32 v2, v2, v3
	v_mul_f32_e32 v3, v53, v57
	v_fma_f32 v3, v52, v56, -v3
	v_add_f32_e32 v2, v2, v3
	s_waitcnt lgkmcnt(0)
	v_mul_f32_e32 v83, v74, v79
	v_fmac_f32_e32 v83, v75, v78
	v_add_f32_e32 v82, v82, v83
	v_mul_f32_e32 v83, v76, v81
	v_fmac_f32_e32 v83, v77, v80
	v_add_f32_e32 v90, v82, v83
	ds_read_b128 v[82:85], v110 offset:784
	v_mul_f32_e32 v3, v59, v63
	v_fma_f32 v3, v58, v62, -v3
	v_add_f32_e32 v2, v2, v3
	v_mul_f32_e32 v3, v61, v65
	;; [unrolled: 36-line block ×4, first 2 shown]
	s_waitcnt lgkmcnt(0)
	v_mul_f32_e32 v140, v132, v137
	v_fmac_f32_e32 v140, v133, v136
	v_add_f32_e32 v111, v111, v140
	v_mul_f32_e32 v140, v134, v139
	v_fmac_f32_e32 v140, v135, v138
	v_add_f32_e32 v111, v111, v140
	ds_read_b128 v[140:143], v110 offset:896
	scratch_load_dwordx4 v[176:179], off, off offset:432
	scratch_load_dwordx4 v[180:183], off, off offset:448
	;; [unrolled: 1-line block ×4, first 2 shown]
	v_fma_f32 v3, v92, v96, -v3
	v_add_f32_e32 v2, v2, v3
	v_mul_f32_e32 v3, v99, v103
	v_fma_f32 v3, v98, v102, -v3
	v_add_f32_e32 v2, v2, v3
	v_mul_f32_e32 v3, v101, v105
	;; [unrolled: 3-line block ×10, first 2 shown]
	v_fma_f32 v3, v134, v138, -v3
	s_waitcnt lgkmcnt(0)
	v_mul_f32_e32 v148, v140, v145
	v_add_f32_e32 v2, v2, v3
	v_mul_f32_e32 v3, v141, v145
	v_fmac_f32_e32 v148, v141, v144
	v_fma_f32 v3, v140, v144, -v3
	v_add_f32_e32 v111, v111, v148
	v_mul_f32_e32 v148, v142, v147
	v_add_f32_e32 v2, v2, v3
	v_mul_f32_e32 v3, v143, v147
	v_fmac_f32_e32 v148, v143, v146
	v_fma_f32 v3, v142, v146, -v3
	v_add_f32_e32 v149, v111, v148
	v_add_f32_e32 v148, v2, v3
	v_mul_f32_e32 v2, v169, v173
	v_fma_f32 v192, v168, v172, -v2
	v_mul_f32_e32 v2, v171, v175
	v_fma_f32 v194, v170, v174, -v2
	ds_read_b128 v[2:5], v110 offset:928
	ds_read_b128 v[6:9], v110 offset:944
	;; [unrolled: 1-line block ×4, first 2 shown]
	v_pk_add_f32 v[18:19], v[148:149], v[192:193]
	s_waitcnt vmcnt(3) lgkmcnt(3)
	v_pk_mul_f32 v[20:21], v[2:3], v[176:177] op_sel:[1,1] op_sel_hi:[0,1]
	v_pk_fma_f32 v[22:23], v[2:3], v[176:177], v[20:21] neg_lo:[0,0,1] neg_hi:[0,0,1]
	v_pk_fma_f32 v[2:3], v[2:3], v[176:177], v[20:21] op_sel_hi:[1,0,1]
	v_pk_add_f32 v[18:19], v[18:19], v[194:195]
	v_mov_b32_e32 v23, v3
	v_pk_add_f32 v[2:3], v[18:19], v[22:23]
	v_mov_b32_e32 v18, v179
	v_pk_mul_f32 v[18:19], v[4:5], v[18:19] op_sel:[1,0] op_sel_hi:[0,0]
	v_pk_fma_f32 v[20:21], v[4:5], v[178:179], v[18:19] neg_lo:[0,0,1] neg_hi:[0,0,1]
	v_pk_fma_f32 v[4:5], v[4:5], v[178:179], v[18:19] op_sel_hi:[1,0,1]
	s_nop 0
	v_mov_b32_e32 v21, v5
	s_waitcnt vmcnt(2) lgkmcnt(2)
	v_pk_mul_f32 v[4:5], v[6:7], v[180:181] op_sel:[1,1] op_sel_hi:[0,1]
	v_pk_fma_f32 v[18:19], v[6:7], v[180:181], v[4:5] neg_lo:[0,0,1] neg_hi:[0,0,1]
	v_pk_fma_f32 v[4:5], v[6:7], v[180:181], v[4:5] op_sel_hi:[1,0,1]
	v_pk_add_f32 v[2:3], v[2:3], v[20:21]
	v_mov_b32_e32 v4, v183
	v_mov_b32_e32 v19, v5
	v_pk_mul_f32 v[4:5], v[8:9], v[4:5] op_sel:[1,0] op_sel_hi:[0,0]
	v_pk_fma_f32 v[6:7], v[8:9], v[182:183], v[4:5] neg_lo:[0,0,1] neg_hi:[0,0,1]
	v_pk_fma_f32 v[4:5], v[8:9], v[182:183], v[4:5] op_sel_hi:[1,0,1]
	v_pk_add_f32 v[2:3], v[2:3], v[18:19]
	v_mov_b32_e32 v7, v5
	s_waitcnt vmcnt(1) lgkmcnt(1)
	v_pk_mul_f32 v[4:5], v[10:11], v[184:185] op_sel:[1,1] op_sel_hi:[0,1]
	v_pk_add_f32 v[2:3], v[2:3], v[6:7]
	v_pk_fma_f32 v[6:7], v[10:11], v[184:185], v[4:5] neg_lo:[0,0,1] neg_hi:[0,0,1]
	v_pk_fma_f32 v[4:5], v[10:11], v[184:185], v[4:5] op_sel_hi:[1,0,1]
	s_nop 0
	v_mov_b32_e32 v4, v187
	v_mov_b32_e32 v7, v5
	v_pk_mul_f32 v[4:5], v[12:13], v[4:5] op_sel:[1,0] op_sel_hi:[0,0]
	v_pk_add_f32 v[2:3], v[2:3], v[6:7]
	v_pk_fma_f32 v[6:7], v[12:13], v[186:187], v[4:5] neg_lo:[0,0,1] neg_hi:[0,0,1]
	v_pk_fma_f32 v[4:5], v[12:13], v[186:187], v[4:5] op_sel_hi:[1,0,1]
	s_nop 0
	v_mov_b32_e32 v7, v5
	s_waitcnt vmcnt(0) lgkmcnt(0)
	v_pk_mul_f32 v[4:5], v[14:15], v[188:189] op_sel:[1,1] op_sel_hi:[0,1]
	v_pk_add_f32 v[2:3], v[2:3], v[6:7]
	v_pk_fma_f32 v[6:7], v[14:15], v[188:189], v[4:5] neg_lo:[0,0,1] neg_hi:[0,0,1]
	v_pk_fma_f32 v[4:5], v[14:15], v[188:189], v[4:5] op_sel_hi:[1,0,1]
	s_nop 0
	v_mov_b32_e32 v4, v191
	v_mov_b32_e32 v7, v5
	v_pk_mul_f32 v[4:5], v[16:17], v[4:5] op_sel:[1,0] op_sel_hi:[0,0]
	v_pk_add_f32 v[2:3], v[2:3], v[6:7]
	v_pk_fma_f32 v[6:7], v[16:17], v[190:191], v[4:5] neg_lo:[0,0,1] neg_hi:[0,0,1]
	v_pk_fma_f32 v[4:5], v[16:17], v[190:191], v[4:5] op_sel_hi:[1,0,1]
	s_nop 0
	v_mov_b32_e32 v7, v5
	scratch_load_dwordx2 v[4:5], off, off offset:120
	v_pk_add_f32 v[2:3], v[2:3], v[6:7]
	s_waitcnt vmcnt(0)
	v_pk_add_f32 v[2:3], v[4:5], v[2:3] neg_lo:[0,1] neg_hi:[0,1]
	scratch_store_dwordx2 off, v[2:3], off offset:120
	s_and_saveexec_b64 s[0:1], vcc
	s_cbranch_execz .LBB61_357
; %bb.356:
	scratch_load_dwordx2 v[2:3], off, off offset:112
	v_mov_b32_e32 v4, 0
	v_mov_b32_e32 v5, v4
	scratch_store_dwordx2 off, v[4:5], off offset:112
	s_waitcnt vmcnt(1)
	ds_write_b64 v1, v[2:3]
.LBB61_357:
	s_or_b64 exec, exec, s[0:1]
	s_waitcnt lgkmcnt(0)
	; wave barrier
	scratch_load_dwordx4 v[6:9], off, off offset:120
	scratch_load_dwordx4 v[14:17], off, off offset:136
	;; [unrolled: 1-line block ×10, first 2 shown]
	v_mov_b32_e32 v118, 0
	ds_read2_b64 v[2:5], v118 offset0:77 offset1:78
	ds_read2_b64 v[168:171], v118 offset0:113 offset1:114
	scratch_load_dwordx4 v[86:89], off, off offset:280
	scratch_load_dwordx4 v[94:97], off, off offset:296
	;; [unrolled: 1-line block ×10, first 2 shown]
	v_cmp_lt_u32_e32 vcc, 13, v0
	ds_read2_b64 v[176:179], v118 offset0:115 offset1:116
	s_waitcnt vmcnt(19) lgkmcnt(2)
	v_mul_f32_e32 v10, v2, v7
	v_fmac_f32_e32 v10, v3, v6
	v_mul_f32_e32 v11, v4, v9
	v_add_f32_e32 v10, 0, v10
	v_fmac_f32_e32 v11, v5, v8
	v_add_f32_e32 v18, v10, v11
	ds_read2_b64 v[10:13], v118 offset0:79 offset1:80
	v_mul_f32_e32 v3, v3, v7
	v_fma_f32 v2, v2, v6, -v3
	v_mul_f32_e32 v3, v5, v9
	v_add_f32_e32 v2, 0, v2
	s_waitcnt vmcnt(18) lgkmcnt(0)
	v_mul_f32_e32 v19, v10, v15
	v_fmac_f32_e32 v19, v11, v14
	v_add_f32_e32 v18, v18, v19
	v_mul_f32_e32 v19, v12, v17
	v_fmac_f32_e32 v19, v13, v16
	v_add_f32_e32 v26, v18, v19
	ds_read2_b64 v[18:21], v118 offset0:81 offset1:82
	v_fma_f32 v3, v4, v8, -v3
	v_add_f32_e32 v2, v2, v3
	v_mul_f32_e32 v3, v11, v15
	v_fma_f32 v3, v10, v14, -v3
	s_waitcnt vmcnt(17) lgkmcnt(0)
	v_mul_f32_e32 v27, v18, v23
	v_fmac_f32_e32 v27, v19, v22
	v_add_f32_e32 v26, v26, v27
	v_mul_f32_e32 v27, v20, v25
	v_fmac_f32_e32 v27, v21, v24
	v_add_f32_e32 v34, v26, v27
	ds_read2_b64 v[26:29], v118 offset0:83 offset1:84
	v_add_f32_e32 v2, v2, v3
	v_mul_f32_e32 v3, v13, v17
	v_fma_f32 v3, v12, v16, -v3
	v_add_f32_e32 v2, v2, v3
	s_waitcnt vmcnt(16) lgkmcnt(0)
	v_mul_f32_e32 v35, v26, v31
	v_fmac_f32_e32 v35, v27, v30
	v_add_f32_e32 v34, v34, v35
	v_mul_f32_e32 v35, v28, v33
	v_fmac_f32_e32 v35, v29, v32
	v_add_f32_e32 v42, v34, v35
	ds_read2_b64 v[34:37], v118 offset0:85 offset1:86
	v_mul_f32_e32 v3, v19, v23
	v_fma_f32 v3, v18, v22, -v3
	v_add_f32_e32 v2, v2, v3
	v_mul_f32_e32 v3, v21, v25
	s_waitcnt vmcnt(15) lgkmcnt(0)
	v_mul_f32_e32 v43, v34, v39
	v_fmac_f32_e32 v43, v35, v38
	v_add_f32_e32 v42, v42, v43
	v_mul_f32_e32 v43, v36, v41
	v_fmac_f32_e32 v43, v37, v40
	v_add_f32_e32 v50, v42, v43
	ds_read2_b64 v[42:45], v118 offset0:87 offset1:88
	v_fma_f32 v3, v20, v24, -v3
	v_add_f32_e32 v2, v2, v3
	v_mul_f32_e32 v3, v27, v31
	v_fma_f32 v3, v26, v30, -v3
	s_waitcnt vmcnt(14) lgkmcnt(0)
	v_mul_f32_e32 v51, v42, v47
	v_fmac_f32_e32 v51, v43, v46
	v_add_f32_e32 v50, v50, v51
	v_mul_f32_e32 v51, v44, v49
	v_fmac_f32_e32 v51, v45, v48
	v_add_f32_e32 v58, v50, v51
	ds_read2_b64 v[50:53], v118 offset0:89 offset1:90
	v_add_f32_e32 v2, v2, v3
	v_mul_f32_e32 v3, v29, v33
	v_fma_f32 v3, v28, v32, -v3
	v_add_f32_e32 v2, v2, v3
	s_waitcnt vmcnt(13) lgkmcnt(0)
	v_mul_f32_e32 v59, v50, v55
	v_fmac_f32_e32 v59, v51, v54
	v_add_f32_e32 v58, v58, v59
	v_mul_f32_e32 v59, v52, v57
	v_fmac_f32_e32 v59, v53, v56
	v_add_f32_e32 v66, v58, v59
	ds_read2_b64 v[58:61], v118 offset0:91 offset1:92
	v_mul_f32_e32 v3, v35, v39
	v_fma_f32 v3, v34, v38, -v3
	v_add_f32_e32 v2, v2, v3
	v_mul_f32_e32 v3, v37, v41
	;; [unrolled: 36-line block ×5, first 2 shown]
	s_waitcnt vmcnt(3) lgkmcnt(0)
	v_mul_f32_e32 v140, v132, v137
	v_fmac_f32_e32 v140, v133, v136
	v_add_f32_e32 v119, v119, v140
	v_mul_f32_e32 v140, v134, v139
	v_fmac_f32_e32 v140, v135, v138
	v_add_f32_e32 v119, v119, v140
	ds_read2_b64 v[140:143], v118 offset0:111 offset1:112
	scratch_load_dwordx4 v[184:187], off, off offset:440
	scratch_load_dwordx4 v[188:191], off, off offset:456
	;; [unrolled: 1-line block ×3, first 2 shown]
	scratch_load_dwordx2 v[200:201], off, off offset:488
	v_fma_f32 v3, v84, v88, -v3
	v_add_f32_e32 v2, v2, v3
	v_mul_f32_e32 v3, v91, v95
	v_fma_f32 v3, v90, v94, -v3
	v_add_f32_e32 v2, v2, v3
	v_mul_f32_e32 v3, v93, v97
	;; [unrolled: 3-line block ×12, first 2 shown]
	v_fma_f32 v3, v134, v138, -v3
	s_waitcnt vmcnt(6) lgkmcnt(0)
	v_mul_f32_e32 v148, v140, v145
	v_add_f32_e32 v2, v2, v3
	v_mul_f32_e32 v3, v141, v145
	v_fmac_f32_e32 v148, v141, v144
	v_fma_f32 v3, v140, v144, -v3
	v_add_f32_e32 v119, v119, v148
	v_mul_f32_e32 v148, v142, v147
	v_add_f32_e32 v2, v2, v3
	v_mul_f32_e32 v3, v143, v147
	v_fmac_f32_e32 v148, v143, v146
	v_fma_f32 v3, v142, v146, -v3
	v_add_f32_e32 v119, v119, v148
	s_waitcnt vmcnt(5)
	v_mul_f32_e32 v148, v168, v173
	v_add_f32_e32 v2, v2, v3
	v_mul_f32_e32 v3, v169, v173
	v_fmac_f32_e32 v148, v169, v172
	v_fma_f32 v3, v168, v172, -v3
	v_add_f32_e32 v149, v119, v148
	v_add_f32_e32 v148, v2, v3
	v_mul_f32_e32 v2, v171, v175
	v_mul_f32_e32 v197, v170, v175
	v_fma_f32 v196, v170, v174, -v2
	s_waitcnt vmcnt(4)
	v_mul_f32_e32 v2, v177, v181
	v_mov_b32_e32 v18, v183
	v_fmac_f32_e32 v197, v171, v174
	v_mul_f32_e32 v199, v176, v181
	v_fma_f32 v198, v176, v180, -v2
	ds_read2_b64 v[2:5], v118 offset0:117 offset1:118
	ds_read2_b64 v[6:9], v118 offset0:119 offset1:120
	ds_read2_b64 v[10:13], v118 offset0:121 offset1:122
	ds_read_b64 v[14:15], v118 offset:984
	v_pk_mul_f32 v[18:19], v[178:179], v[18:19] op_sel:[1,0] op_sel_hi:[0,0]
	v_fmac_f32_e32 v199, v177, v180
	v_pk_add_f32 v[16:17], v[148:149], v[196:197]
	v_pk_fma_f32 v[20:21], v[178:179], v[182:183], v[18:19] neg_lo:[0,0,1] neg_hi:[0,0,1]
	v_pk_fma_f32 v[18:19], v[178:179], v[182:183], v[18:19] op_sel_hi:[1,0,1]
	v_pk_add_f32 v[16:17], v[16:17], v[198:199]
	v_mov_b32_e32 v21, v19
	v_pk_add_f32 v[16:17], v[16:17], v[20:21]
	s_waitcnt vmcnt(3) lgkmcnt(3)
	v_pk_mul_f32 v[18:19], v[2:3], v[184:185] op_sel:[1,1] op_sel_hi:[0,1]
	v_pk_fma_f32 v[20:21], v[2:3], v[184:185], v[18:19] neg_lo:[0,0,1] neg_hi:[0,0,1]
	v_pk_fma_f32 v[2:3], v[2:3], v[184:185], v[18:19] op_sel_hi:[1,0,1]
	s_nop 0
	v_mov_b32_e32 v21, v3
	v_pk_add_f32 v[2:3], v[16:17], v[20:21]
	v_mov_b32_e32 v16, v187
	v_pk_mul_f32 v[16:17], v[4:5], v[16:17] op_sel:[1,0] op_sel_hi:[0,0]
	v_pk_fma_f32 v[18:19], v[4:5], v[186:187], v[16:17] neg_lo:[0,0,1] neg_hi:[0,0,1]
	v_pk_fma_f32 v[4:5], v[4:5], v[186:187], v[16:17] op_sel_hi:[1,0,1]
	s_nop 0
	v_mov_b32_e32 v19, v5
	s_waitcnt vmcnt(2) lgkmcnt(2)
	v_pk_mul_f32 v[4:5], v[6:7], v[188:189] op_sel:[1,1] op_sel_hi:[0,1]
	v_pk_fma_f32 v[16:17], v[6:7], v[188:189], v[4:5] neg_lo:[0,0,1] neg_hi:[0,0,1]
	v_pk_fma_f32 v[4:5], v[6:7], v[188:189], v[4:5] op_sel_hi:[1,0,1]
	v_pk_add_f32 v[2:3], v[2:3], v[18:19]
	v_mov_b32_e32 v4, v191
	v_mov_b32_e32 v17, v5
	v_pk_mul_f32 v[4:5], v[8:9], v[4:5] op_sel:[1,0] op_sel_hi:[0,0]
	v_pk_fma_f32 v[6:7], v[8:9], v[190:191], v[4:5] neg_lo:[0,0,1] neg_hi:[0,0,1]
	v_pk_fma_f32 v[4:5], v[8:9], v[190:191], v[4:5] op_sel_hi:[1,0,1]
	v_pk_add_f32 v[2:3], v[2:3], v[16:17]
	v_mov_b32_e32 v7, v5
	s_waitcnt vmcnt(1) lgkmcnt(1)
	v_pk_mul_f32 v[4:5], v[10:11], v[192:193] op_sel:[1,1] op_sel_hi:[0,1]
	v_pk_add_f32 v[2:3], v[2:3], v[6:7]
	v_pk_fma_f32 v[6:7], v[10:11], v[192:193], v[4:5] neg_lo:[0,0,1] neg_hi:[0,0,1]
	v_pk_fma_f32 v[4:5], v[10:11], v[192:193], v[4:5] op_sel_hi:[1,0,1]
	s_nop 0
	v_mov_b32_e32 v4, v195
	v_mov_b32_e32 v7, v5
	v_pk_mul_f32 v[4:5], v[12:13], v[4:5] op_sel:[1,0] op_sel_hi:[0,0]
	v_pk_add_f32 v[2:3], v[2:3], v[6:7]
	v_pk_fma_f32 v[6:7], v[12:13], v[194:195], v[4:5] neg_lo:[0,0,1] neg_hi:[0,0,1]
	v_pk_fma_f32 v[4:5], v[12:13], v[194:195], v[4:5] op_sel_hi:[1,0,1]
	s_nop 0
	v_mov_b32_e32 v7, v5
	s_waitcnt vmcnt(0) lgkmcnt(0)
	v_pk_mul_f32 v[4:5], v[14:15], v[200:201] op_sel:[1,1] op_sel_hi:[0,1]
	v_pk_add_f32 v[2:3], v[2:3], v[6:7]
	v_pk_fma_f32 v[6:7], v[14:15], v[200:201], v[4:5] neg_lo:[0,0,1] neg_hi:[0,0,1]
	v_pk_fma_f32 v[4:5], v[14:15], v[200:201], v[4:5] op_sel_hi:[1,0,1]
	s_nop 0
	v_mov_b32_e32 v7, v5
	scratch_load_dwordx2 v[4:5], off, off offset:112
	v_pk_add_f32 v[2:3], v[2:3], v[6:7]
	s_waitcnt vmcnt(0)
	v_pk_add_f32 v[2:3], v[4:5], v[2:3] neg_lo:[0,1] neg_hi:[0,1]
	scratch_store_dwordx2 off, v[2:3], off offset:112
	s_and_saveexec_b64 s[0:1], vcc
	s_cbranch_execz .LBB61_359
; %bb.358:
	scratch_load_dwordx2 v[2:3], off, off offset:104
	v_mov_b32_e32 v119, v118
	scratch_store_dwordx2 off, v[118:119], off offset:104
	s_waitcnt vmcnt(1)
	ds_write_b64 v1, v[2:3]
.LBB61_359:
	s_or_b64 exec, exec, s[0:1]
	s_waitcnt lgkmcnt(0)
	; wave barrier
	ds_read_b128 v[14:17], v118 offset:608
	ds_read_b128 v[10:13], v118 offset:624
	;; [unrolled: 1-line block ×4, first 2 shown]
	scratch_load_dwordx4 v[18:21], off, off offset:112
	scratch_load_dwordx4 v[38:41], off, off offset:176
	;; [unrolled: 1-line block ×14, first 2 shown]
	v_cmp_lt_u32_e32 vcc, 12, v0
	scratch_load_dwordx4 v[46:49], off, off offset:192
	scratch_load_dwordx4 v[54:57], off, off offset:208
	;; [unrolled: 1-line block ×3, first 2 shown]
	ds_read_b128 v[168:171], v118 offset:896
	ds_read_b128 v[176:179], v118 offset:912
	s_waitcnt vmcnt(16) lgkmcnt(5)
	v_mul_f32_e32 v22, v14, v19
	v_fmac_f32_e32 v22, v15, v18
	v_mul_f32_e32 v23, v16, v21
	v_add_f32_e32 v22, 0, v22
	v_fmac_f32_e32 v23, v17, v20
	v_add_f32_e32 v26, v22, v23
	scratch_load_dwordx4 v[22:25], off, off offset:128
	v_mul_f32_e32 v15, v15, v19
	v_fma_f32 v14, v14, v18, -v15
	v_mul_f32_e32 v15, v17, v21
	v_add_f32_e32 v14, 0, v14
	v_fma_f32 v15, v16, v20, -v15
	v_add_f32_e32 v14, v14, v15
	s_waitcnt vmcnt(4) lgkmcnt(0)
	v_mul_f32_e32 v201, v176, v181
	v_mul_f32_e32 v203, v178, v183
	v_fmac_f32_e32 v201, v177, v180
	v_fmac_f32_e32 v203, v179, v182
	s_waitcnt vmcnt(0)
	v_mul_f32_e32 v27, v10, v23
	v_fmac_f32_e32 v27, v11, v22
	v_add_f32_e32 v26, v26, v27
	v_mul_f32_e32 v27, v12, v25
	v_fmac_f32_e32 v27, v13, v24
	v_add_f32_e32 v30, v26, v27
	scratch_load_dwordx4 v[26:29], off, off offset:144
	v_mul_f32_e32 v11, v11, v23
	v_fma_f32 v10, v10, v22, -v11
	v_mul_f32_e32 v11, v13, v25
	v_add_f32_e32 v10, v14, v10
	v_fma_f32 v11, v12, v24, -v11
	v_add_f32_e32 v10, v10, v11
	s_waitcnt vmcnt(0)
	v_mul_f32_e32 v31, v6, v27
	v_fmac_f32_e32 v31, v7, v26
	v_add_f32_e32 v30, v30, v31
	v_mul_f32_e32 v31, v8, v29
	v_fmac_f32_e32 v31, v9, v28
	v_add_f32_e32 v34, v30, v31
	scratch_load_dwordx4 v[30:33], off, off offset:160
	v_mul_f32_e32 v7, v7, v27
	v_fma_f32 v6, v6, v26, -v7
	v_mul_f32_e32 v7, v9, v29
	v_add_f32_e32 v6, v10, v6
	v_fma_f32 v7, v8, v28, -v7
	v_add_f32_e32 v6, v6, v7
	s_waitcnt vmcnt(0)
	v_mul_f32_e32 v35, v2, v31
	v_fmac_f32_e32 v35, v3, v30
	v_add_f32_e32 v34, v34, v35
	v_mul_f32_e32 v35, v4, v33
	v_fmac_f32_e32 v35, v5, v32
	v_add_f32_e32 v42, v34, v35
	ds_read_b128 v[34:37], v118 offset:672
	v_mul_f32_e32 v3, v3, v31
	v_fma_f32 v2, v2, v30, -v3
	v_mul_f32_e32 v3, v5, v33
	v_add_f32_e32 v2, v6, v2
	s_waitcnt lgkmcnt(0)
	v_mul_f32_e32 v43, v34, v39
	v_fmac_f32_e32 v43, v35, v38
	v_add_f32_e32 v42, v42, v43
	v_mul_f32_e32 v43, v36, v41
	v_fmac_f32_e32 v43, v37, v40
	v_add_f32_e32 v50, v42, v43
	ds_read_b128 v[42:45], v118 offset:688
	v_fma_f32 v3, v4, v32, -v3
	v_add_f32_e32 v2, v2, v3
	v_mul_f32_e32 v3, v35, v39
	v_fma_f32 v3, v34, v38, -v3
	s_waitcnt lgkmcnt(0)
	v_mul_f32_e32 v51, v42, v47
	v_fmac_f32_e32 v51, v43, v46
	v_add_f32_e32 v50, v50, v51
	v_mul_f32_e32 v51, v44, v49
	v_fmac_f32_e32 v51, v45, v48
	v_add_f32_e32 v58, v50, v51
	ds_read_b128 v[50:53], v118 offset:704
	v_add_f32_e32 v2, v2, v3
	v_mul_f32_e32 v3, v37, v41
	v_fma_f32 v3, v36, v40, -v3
	v_add_f32_e32 v2, v2, v3
	s_waitcnt lgkmcnt(0)
	v_mul_f32_e32 v59, v50, v55
	v_fmac_f32_e32 v59, v51, v54
	v_add_f32_e32 v58, v58, v59
	v_mul_f32_e32 v59, v52, v57
	v_fmac_f32_e32 v59, v53, v56
	v_add_f32_e32 v66, v58, v59
	ds_read_b128 v[58:61], v118 offset:720
	v_mul_f32_e32 v3, v43, v47
	v_fma_f32 v3, v42, v46, -v3
	v_add_f32_e32 v2, v2, v3
	v_mul_f32_e32 v3, v45, v49
	s_waitcnt lgkmcnt(0)
	v_mul_f32_e32 v67, v58, v63
	v_fmac_f32_e32 v67, v59, v62
	v_add_f32_e32 v66, v66, v67
	v_mul_f32_e32 v67, v60, v65
	v_fmac_f32_e32 v67, v61, v64
	v_add_f32_e32 v74, v66, v67
	ds_read_b128 v[66:69], v118 offset:736
	v_fma_f32 v3, v44, v48, -v3
	v_add_f32_e32 v2, v2, v3
	v_mul_f32_e32 v3, v51, v55
	v_fma_f32 v3, v50, v54, -v3
	s_waitcnt lgkmcnt(0)
	v_mul_f32_e32 v75, v66, v71
	v_fmac_f32_e32 v75, v67, v70
	v_add_f32_e32 v74, v74, v75
	v_mul_f32_e32 v75, v68, v73
	v_fmac_f32_e32 v75, v69, v72
	v_add_f32_e32 v82, v74, v75
	ds_read_b128 v[74:77], v118 offset:752
	v_add_f32_e32 v2, v2, v3
	v_mul_f32_e32 v3, v53, v57
	v_fma_f32 v3, v52, v56, -v3
	v_add_f32_e32 v2, v2, v3
	s_waitcnt lgkmcnt(0)
	v_mul_f32_e32 v83, v74, v79
	v_fmac_f32_e32 v83, v75, v78
	v_add_f32_e32 v82, v82, v83
	v_mul_f32_e32 v83, v76, v81
	v_fmac_f32_e32 v83, v77, v80
	v_add_f32_e32 v90, v82, v83
	ds_read_b128 v[82:85], v118 offset:768
	v_mul_f32_e32 v3, v59, v63
	v_fma_f32 v3, v58, v62, -v3
	v_add_f32_e32 v2, v2, v3
	v_mul_f32_e32 v3, v61, v65
	;; [unrolled: 36-line block ×4, first 2 shown]
	s_waitcnt lgkmcnt(0)
	v_mul_f32_e32 v140, v132, v137
	v_fmac_f32_e32 v140, v133, v136
	v_add_f32_e32 v119, v119, v140
	v_mul_f32_e32 v140, v134, v139
	v_fmac_f32_e32 v140, v135, v138
	v_add_f32_e32 v119, v119, v140
	ds_read_b128 v[140:143], v118 offset:880
	scratch_load_dwordx4 v[184:187], off, off offset:432
	scratch_load_dwordx4 v[188:191], off, off offset:448
	;; [unrolled: 1-line block ×4, first 2 shown]
	v_fma_f32 v3, v92, v96, -v3
	v_add_f32_e32 v2, v2, v3
	v_mul_f32_e32 v3, v99, v103
	v_fma_f32 v3, v98, v102, -v3
	v_add_f32_e32 v2, v2, v3
	v_mul_f32_e32 v3, v101, v105
	;; [unrolled: 3-line block ×10, first 2 shown]
	v_fma_f32 v3, v134, v138, -v3
	s_waitcnt lgkmcnt(0)
	v_mul_f32_e32 v148, v140, v145
	v_add_f32_e32 v2, v2, v3
	v_mul_f32_e32 v3, v141, v145
	v_fmac_f32_e32 v148, v141, v144
	v_fma_f32 v3, v140, v144, -v3
	v_add_f32_e32 v119, v119, v148
	v_mul_f32_e32 v148, v142, v147
	v_add_f32_e32 v2, v2, v3
	v_mul_f32_e32 v3, v143, v147
	v_fmac_f32_e32 v148, v143, v146
	v_fma_f32 v3, v142, v146, -v3
	v_add_f32_e32 v119, v119, v148
	;; [unrolled: 6-line block ×4, first 2 shown]
	v_add_f32_e32 v148, v2, v3
	v_mul_f32_e32 v2, v177, v181
	v_fma_f32 v200, v176, v180, -v2
	v_mul_f32_e32 v2, v179, v183
	v_fma_f32 v202, v178, v182, -v2
	ds_read_b128 v[2:5], v118 offset:928
	ds_read_b128 v[6:9], v118 offset:944
	;; [unrolled: 1-line block ×4, first 2 shown]
	v_pk_add_f32 v[18:19], v[148:149], v[200:201]
	s_waitcnt vmcnt(3) lgkmcnt(3)
	v_pk_mul_f32 v[20:21], v[2:3], v[184:185] op_sel:[1,1] op_sel_hi:[0,1]
	v_pk_fma_f32 v[22:23], v[2:3], v[184:185], v[20:21] neg_lo:[0,0,1] neg_hi:[0,0,1]
	v_pk_fma_f32 v[2:3], v[2:3], v[184:185], v[20:21] op_sel_hi:[1,0,1]
	v_pk_add_f32 v[18:19], v[18:19], v[202:203]
	v_mov_b32_e32 v23, v3
	v_pk_add_f32 v[2:3], v[18:19], v[22:23]
	v_mov_b32_e32 v18, v187
	v_pk_mul_f32 v[18:19], v[4:5], v[18:19] op_sel:[1,0] op_sel_hi:[0,0]
	v_pk_fma_f32 v[20:21], v[4:5], v[186:187], v[18:19] neg_lo:[0,0,1] neg_hi:[0,0,1]
	v_pk_fma_f32 v[4:5], v[4:5], v[186:187], v[18:19] op_sel_hi:[1,0,1]
	s_nop 0
	v_mov_b32_e32 v21, v5
	s_waitcnt vmcnt(2) lgkmcnt(2)
	v_pk_mul_f32 v[4:5], v[6:7], v[188:189] op_sel:[1,1] op_sel_hi:[0,1]
	v_pk_fma_f32 v[18:19], v[6:7], v[188:189], v[4:5] neg_lo:[0,0,1] neg_hi:[0,0,1]
	v_pk_fma_f32 v[4:5], v[6:7], v[188:189], v[4:5] op_sel_hi:[1,0,1]
	v_pk_add_f32 v[2:3], v[2:3], v[20:21]
	v_mov_b32_e32 v4, v191
	v_mov_b32_e32 v19, v5
	v_pk_mul_f32 v[4:5], v[8:9], v[4:5] op_sel:[1,0] op_sel_hi:[0,0]
	v_pk_fma_f32 v[6:7], v[8:9], v[190:191], v[4:5] neg_lo:[0,0,1] neg_hi:[0,0,1]
	v_pk_fma_f32 v[4:5], v[8:9], v[190:191], v[4:5] op_sel_hi:[1,0,1]
	v_pk_add_f32 v[2:3], v[2:3], v[18:19]
	v_mov_b32_e32 v7, v5
	s_waitcnt vmcnt(1) lgkmcnt(1)
	v_pk_mul_f32 v[4:5], v[10:11], v[192:193] op_sel:[1,1] op_sel_hi:[0,1]
	v_pk_add_f32 v[2:3], v[2:3], v[6:7]
	v_pk_fma_f32 v[6:7], v[10:11], v[192:193], v[4:5] neg_lo:[0,0,1] neg_hi:[0,0,1]
	v_pk_fma_f32 v[4:5], v[10:11], v[192:193], v[4:5] op_sel_hi:[1,0,1]
	s_nop 0
	v_mov_b32_e32 v4, v195
	v_mov_b32_e32 v7, v5
	v_pk_mul_f32 v[4:5], v[12:13], v[4:5] op_sel:[1,0] op_sel_hi:[0,0]
	v_pk_add_f32 v[2:3], v[2:3], v[6:7]
	v_pk_fma_f32 v[6:7], v[12:13], v[194:195], v[4:5] neg_lo:[0,0,1] neg_hi:[0,0,1]
	v_pk_fma_f32 v[4:5], v[12:13], v[194:195], v[4:5] op_sel_hi:[1,0,1]
	s_nop 0
	v_mov_b32_e32 v7, v5
	s_waitcnt vmcnt(0) lgkmcnt(0)
	v_pk_mul_f32 v[4:5], v[14:15], v[196:197] op_sel:[1,1] op_sel_hi:[0,1]
	v_pk_add_f32 v[2:3], v[2:3], v[6:7]
	v_pk_fma_f32 v[6:7], v[14:15], v[196:197], v[4:5] neg_lo:[0,0,1] neg_hi:[0,0,1]
	v_pk_fma_f32 v[4:5], v[14:15], v[196:197], v[4:5] op_sel_hi:[1,0,1]
	s_nop 0
	v_mov_b32_e32 v4, v199
	v_mov_b32_e32 v7, v5
	v_pk_mul_f32 v[4:5], v[16:17], v[4:5] op_sel:[1,0] op_sel_hi:[0,0]
	v_pk_add_f32 v[2:3], v[2:3], v[6:7]
	v_pk_fma_f32 v[6:7], v[16:17], v[198:199], v[4:5] neg_lo:[0,0,1] neg_hi:[0,0,1]
	v_pk_fma_f32 v[4:5], v[16:17], v[198:199], v[4:5] op_sel_hi:[1,0,1]
	s_nop 0
	v_mov_b32_e32 v7, v5
	scratch_load_dwordx2 v[4:5], off, off offset:104
	v_pk_add_f32 v[2:3], v[2:3], v[6:7]
	s_waitcnt vmcnt(0)
	v_pk_add_f32 v[2:3], v[4:5], v[2:3] neg_lo:[0,1] neg_hi:[0,1]
	scratch_store_dwordx2 off, v[2:3], off offset:104
	s_and_saveexec_b64 s[0:1], vcc
	s_cbranch_execz .LBB61_361
; %bb.360:
	scratch_load_dwordx2 v[2:3], off, off offset:96
	v_mov_b32_e32 v4, 0
	v_mov_b32_e32 v5, v4
	scratch_store_dwordx2 off, v[4:5], off offset:96
	s_waitcnt vmcnt(1)
	ds_write_b64 v1, v[2:3]
.LBB61_361:
	s_or_b64 exec, exec, s[0:1]
	s_waitcnt lgkmcnt(0)
	; wave barrier
	scratch_load_dwordx4 v[6:9], off, off offset:104
	scratch_load_dwordx4 v[14:17], off, off offset:120
	;; [unrolled: 1-line block ×10, first 2 shown]
	v_mov_b32_e32 v134, 0
	ds_read2_b64 v[2:5], v134 offset0:75 offset1:76
	ds_read2_b64 v[168:171], v134 offset0:111 offset1:112
	scratch_load_dwordx4 v[86:89], off, off offset:264
	scratch_load_dwordx4 v[94:97], off, off offset:280
	scratch_load_dwordx4 v[102:105], off, off offset:296
	scratch_load_dwordx4 v[110:113], off, off offset:312
	scratch_load_dwordx4 v[118:121], off, off offset:328
	scratch_load_dwordx4 v[126:129], off, off offset:344
	scratch_load_dwordx4 v[136:139], off, off offset:360
	scratch_load_dwordx4 v[144:147], off, off offset:376
	scratch_load_dwordx4 v[172:175], off, off offset:392
	scratch_load_dwordx4 v[180:183], off, off offset:408
	scratch_load_dwordx4 v[188:191], off, off offset:424
	v_cmp_lt_u32_e32 vcc, 11, v0
	ds_read2_b64 v[176:179], v134 offset0:113 offset1:114
	ds_read2_b64 v[184:187], v134 offset0:115 offset1:116
	s_waitcnt vmcnt(20) lgkmcnt(3)
	v_mul_f32_e32 v10, v2, v7
	v_fmac_f32_e32 v10, v3, v6
	v_mul_f32_e32 v11, v4, v9
	v_add_f32_e32 v10, 0, v10
	v_fmac_f32_e32 v11, v5, v8
	v_add_f32_e32 v18, v10, v11
	ds_read2_b64 v[10:13], v134 offset0:77 offset1:78
	v_mul_f32_e32 v3, v3, v7
	v_fma_f32 v2, v2, v6, -v3
	v_mul_f32_e32 v3, v5, v9
	v_add_f32_e32 v2, 0, v2
	s_waitcnt vmcnt(19) lgkmcnt(0)
	v_mul_f32_e32 v19, v10, v15
	v_fmac_f32_e32 v19, v11, v14
	v_add_f32_e32 v18, v18, v19
	v_mul_f32_e32 v19, v12, v17
	v_fmac_f32_e32 v19, v13, v16
	v_add_f32_e32 v26, v18, v19
	ds_read2_b64 v[18:21], v134 offset0:79 offset1:80
	v_fma_f32 v3, v4, v8, -v3
	v_add_f32_e32 v2, v2, v3
	v_mul_f32_e32 v3, v11, v15
	v_fma_f32 v3, v10, v14, -v3
	s_waitcnt vmcnt(18) lgkmcnt(0)
	v_mul_f32_e32 v27, v18, v23
	v_fmac_f32_e32 v27, v19, v22
	v_add_f32_e32 v26, v26, v27
	v_mul_f32_e32 v27, v20, v25
	v_fmac_f32_e32 v27, v21, v24
	v_add_f32_e32 v34, v26, v27
	ds_read2_b64 v[26:29], v134 offset0:81 offset1:82
	v_add_f32_e32 v2, v2, v3
	v_mul_f32_e32 v3, v13, v17
	v_fma_f32 v3, v12, v16, -v3
	v_add_f32_e32 v2, v2, v3
	s_waitcnt vmcnt(17) lgkmcnt(0)
	v_mul_f32_e32 v35, v26, v31
	v_fmac_f32_e32 v35, v27, v30
	v_add_f32_e32 v34, v34, v35
	v_mul_f32_e32 v35, v28, v33
	v_fmac_f32_e32 v35, v29, v32
	v_add_f32_e32 v42, v34, v35
	ds_read2_b64 v[34:37], v134 offset0:83 offset1:84
	v_mul_f32_e32 v3, v19, v23
	v_fma_f32 v3, v18, v22, -v3
	v_add_f32_e32 v2, v2, v3
	v_mul_f32_e32 v3, v21, v25
	s_waitcnt vmcnt(16) lgkmcnt(0)
	v_mul_f32_e32 v43, v34, v39
	v_fmac_f32_e32 v43, v35, v38
	v_add_f32_e32 v42, v42, v43
	v_mul_f32_e32 v43, v36, v41
	v_fmac_f32_e32 v43, v37, v40
	v_add_f32_e32 v50, v42, v43
	ds_read2_b64 v[42:45], v134 offset0:85 offset1:86
	v_fma_f32 v3, v20, v24, -v3
	v_add_f32_e32 v2, v2, v3
	v_mul_f32_e32 v3, v27, v31
	v_fma_f32 v3, v26, v30, -v3
	s_waitcnt vmcnt(15) lgkmcnt(0)
	v_mul_f32_e32 v51, v42, v47
	v_fmac_f32_e32 v51, v43, v46
	v_add_f32_e32 v50, v50, v51
	v_mul_f32_e32 v51, v44, v49
	v_fmac_f32_e32 v51, v45, v48
	v_add_f32_e32 v58, v50, v51
	ds_read2_b64 v[50:53], v134 offset0:87 offset1:88
	v_add_f32_e32 v2, v2, v3
	v_mul_f32_e32 v3, v29, v33
	v_fma_f32 v3, v28, v32, -v3
	v_add_f32_e32 v2, v2, v3
	s_waitcnt vmcnt(14) lgkmcnt(0)
	v_mul_f32_e32 v59, v50, v55
	v_fmac_f32_e32 v59, v51, v54
	v_add_f32_e32 v58, v58, v59
	v_mul_f32_e32 v59, v52, v57
	v_fmac_f32_e32 v59, v53, v56
	v_add_f32_e32 v66, v58, v59
	ds_read2_b64 v[58:61], v134 offset0:89 offset1:90
	v_mul_f32_e32 v3, v35, v39
	v_fma_f32 v3, v34, v38, -v3
	v_add_f32_e32 v2, v2, v3
	v_mul_f32_e32 v3, v37, v41
	;; [unrolled: 36-line block ×5, first 2 shown]
	s_waitcnt vmcnt(4) lgkmcnt(0)
	v_mul_f32_e32 v140, v130, v137
	v_fmac_f32_e32 v140, v131, v136
	v_add_f32_e32 v135, v135, v140
	v_mul_f32_e32 v140, v132, v139
	v_fmac_f32_e32 v140, v133, v138
	v_add_f32_e32 v135, v135, v140
	ds_read2_b64 v[140:143], v134 offset0:109 offset1:110
	scratch_load_dwordx4 v[192:195], off, off offset:440
	scratch_load_dwordx4 v[196:199], off, off offset:456
	;; [unrolled: 1-line block ×3, first 2 shown]
	scratch_load_dwordx2 v[208:209], off, off offset:488
	v_fma_f32 v3, v84, v88, -v3
	v_add_f32_e32 v2, v2, v3
	v_mul_f32_e32 v3, v91, v95
	v_fma_f32 v3, v90, v94, -v3
	v_add_f32_e32 v2, v2, v3
	v_mul_f32_e32 v3, v93, v97
	;; [unrolled: 3-line block ×12, first 2 shown]
	v_fma_f32 v3, v132, v138, -v3
	s_waitcnt vmcnt(7) lgkmcnt(0)
	v_mul_f32_e32 v148, v140, v145
	v_add_f32_e32 v2, v2, v3
	v_mul_f32_e32 v3, v141, v145
	v_fmac_f32_e32 v148, v141, v144
	v_fma_f32 v3, v140, v144, -v3
	v_add_f32_e32 v135, v135, v148
	v_mul_f32_e32 v148, v142, v147
	v_add_f32_e32 v2, v2, v3
	v_mul_f32_e32 v3, v143, v147
	v_fmac_f32_e32 v148, v143, v146
	v_fma_f32 v3, v142, v146, -v3
	v_add_f32_e32 v135, v135, v148
	s_waitcnt vmcnt(6)
	v_mul_f32_e32 v148, v168, v173
	v_add_f32_e32 v2, v2, v3
	v_mul_f32_e32 v3, v169, v173
	v_fmac_f32_e32 v148, v169, v172
	v_fma_f32 v3, v168, v172, -v3
	v_add_f32_e32 v135, v135, v148
	v_mul_f32_e32 v148, v170, v175
	v_add_f32_e32 v2, v2, v3
	v_mul_f32_e32 v3, v171, v175
	v_fmac_f32_e32 v148, v171, v174
	v_fma_f32 v3, v170, v174, -v3
	v_add_f32_e32 v135, v135, v148
	s_waitcnt vmcnt(5)
	v_mul_f32_e32 v148, v176, v181
	v_add_f32_e32 v2, v2, v3
	v_mul_f32_e32 v3, v177, v181
	v_fmac_f32_e32 v148, v177, v180
	v_fma_f32 v3, v176, v180, -v3
	v_add_f32_e32 v149, v135, v148
	v_add_f32_e32 v148, v2, v3
	v_mul_f32_e32 v2, v179, v183
	v_mul_f32_e32 v205, v178, v183
	v_fma_f32 v204, v178, v182, -v2
	s_waitcnt vmcnt(4)
	v_mul_f32_e32 v2, v185, v189
	v_mov_b32_e32 v18, v191
	v_fmac_f32_e32 v205, v179, v182
	v_mul_f32_e32 v207, v184, v189
	v_fma_f32 v206, v184, v188, -v2
	ds_read2_b64 v[2:5], v134 offset0:117 offset1:118
	ds_read2_b64 v[6:9], v134 offset0:119 offset1:120
	;; [unrolled: 1-line block ×3, first 2 shown]
	ds_read_b64 v[14:15], v134 offset:984
	v_pk_mul_f32 v[18:19], v[186:187], v[18:19] op_sel:[1,0] op_sel_hi:[0,0]
	v_fmac_f32_e32 v207, v185, v188
	v_pk_add_f32 v[16:17], v[148:149], v[204:205]
	v_pk_fma_f32 v[20:21], v[186:187], v[190:191], v[18:19] neg_lo:[0,0,1] neg_hi:[0,0,1]
	v_pk_fma_f32 v[18:19], v[186:187], v[190:191], v[18:19] op_sel_hi:[1,0,1]
	v_pk_add_f32 v[16:17], v[16:17], v[206:207]
	v_mov_b32_e32 v21, v19
	s_waitcnt vmcnt(3) lgkmcnt(3)
	v_pk_mul_f32 v[18:19], v[2:3], v[192:193] op_sel:[1,1] op_sel_hi:[0,1]
	v_pk_add_f32 v[16:17], v[16:17], v[20:21]
	v_pk_fma_f32 v[20:21], v[2:3], v[192:193], v[18:19] neg_lo:[0,0,1] neg_hi:[0,0,1]
	v_pk_fma_f32 v[2:3], v[2:3], v[192:193], v[18:19] op_sel_hi:[1,0,1]
	s_nop 0
	v_mov_b32_e32 v21, v3
	v_pk_add_f32 v[2:3], v[16:17], v[20:21]
	v_mov_b32_e32 v16, v195
	v_pk_mul_f32 v[16:17], v[4:5], v[16:17] op_sel:[1,0] op_sel_hi:[0,0]
	v_pk_fma_f32 v[18:19], v[4:5], v[194:195], v[16:17] neg_lo:[0,0,1] neg_hi:[0,0,1]
	v_pk_fma_f32 v[4:5], v[4:5], v[194:195], v[16:17] op_sel_hi:[1,0,1]
	s_nop 0
	v_mov_b32_e32 v19, v5
	s_waitcnt vmcnt(2) lgkmcnt(2)
	v_pk_mul_f32 v[4:5], v[6:7], v[196:197] op_sel:[1,1] op_sel_hi:[0,1]
	v_pk_fma_f32 v[16:17], v[6:7], v[196:197], v[4:5] neg_lo:[0,0,1] neg_hi:[0,0,1]
	v_pk_fma_f32 v[4:5], v[6:7], v[196:197], v[4:5] op_sel_hi:[1,0,1]
	v_pk_add_f32 v[2:3], v[2:3], v[18:19]
	v_mov_b32_e32 v4, v199
	v_mov_b32_e32 v17, v5
	v_pk_mul_f32 v[4:5], v[8:9], v[4:5] op_sel:[1,0] op_sel_hi:[0,0]
	v_pk_fma_f32 v[6:7], v[8:9], v[198:199], v[4:5] neg_lo:[0,0,1] neg_hi:[0,0,1]
	v_pk_fma_f32 v[4:5], v[8:9], v[198:199], v[4:5] op_sel_hi:[1,0,1]
	v_pk_add_f32 v[2:3], v[2:3], v[16:17]
	v_mov_b32_e32 v7, v5
	s_waitcnt vmcnt(1) lgkmcnt(1)
	v_pk_mul_f32 v[4:5], v[10:11], v[200:201] op_sel:[1,1] op_sel_hi:[0,1]
	v_pk_add_f32 v[2:3], v[2:3], v[6:7]
	v_pk_fma_f32 v[6:7], v[10:11], v[200:201], v[4:5] neg_lo:[0,0,1] neg_hi:[0,0,1]
	v_pk_fma_f32 v[4:5], v[10:11], v[200:201], v[4:5] op_sel_hi:[1,0,1]
	s_nop 0
	v_mov_b32_e32 v4, v203
	v_mov_b32_e32 v7, v5
	v_pk_mul_f32 v[4:5], v[12:13], v[4:5] op_sel:[1,0] op_sel_hi:[0,0]
	v_pk_add_f32 v[2:3], v[2:3], v[6:7]
	v_pk_fma_f32 v[6:7], v[12:13], v[202:203], v[4:5] neg_lo:[0,0,1] neg_hi:[0,0,1]
	v_pk_fma_f32 v[4:5], v[12:13], v[202:203], v[4:5] op_sel_hi:[1,0,1]
	s_nop 0
	v_mov_b32_e32 v7, v5
	s_waitcnt vmcnt(0) lgkmcnt(0)
	v_pk_mul_f32 v[4:5], v[14:15], v[208:209] op_sel:[1,1] op_sel_hi:[0,1]
	v_pk_add_f32 v[2:3], v[2:3], v[6:7]
	v_pk_fma_f32 v[6:7], v[14:15], v[208:209], v[4:5] neg_lo:[0,0,1] neg_hi:[0,0,1]
	v_pk_fma_f32 v[4:5], v[14:15], v[208:209], v[4:5] op_sel_hi:[1,0,1]
	s_nop 0
	v_mov_b32_e32 v7, v5
	scratch_load_dwordx2 v[4:5], off, off offset:96
	v_pk_add_f32 v[2:3], v[2:3], v[6:7]
	s_waitcnt vmcnt(0)
	v_pk_add_f32 v[2:3], v[4:5], v[2:3] neg_lo:[0,1] neg_hi:[0,1]
	scratch_store_dwordx2 off, v[2:3], off offset:96
	s_and_saveexec_b64 s[0:1], vcc
	s_cbranch_execz .LBB61_363
; %bb.362:
	scratch_load_dwordx2 v[2:3], off, off offset:88
	v_mov_b32_e32 v135, v134
	scratch_store_dwordx2 off, v[134:135], off offset:88
	s_waitcnt vmcnt(1)
	ds_write_b64 v1, v[2:3]
.LBB61_363:
	s_or_b64 exec, exec, s[0:1]
	s_waitcnt lgkmcnt(0)
	; wave barrier
	ds_read_b128 v[14:17], v134 offset:592
	ds_read_b128 v[10:13], v134 offset:608
	;; [unrolled: 1-line block ×4, first 2 shown]
	scratch_load_dwordx4 v[18:21], off, off offset:96
	scratch_load_dwordx4 v[38:41], off, off offset:160
	;; [unrolled: 1-line block ×15, first 2 shown]
	v_cmp_lt_u32_e32 vcc, 10, v0
	scratch_load_dwordx4 v[46:49], off, off offset:176
	scratch_load_dwordx4 v[54:57], off, off offset:192
	;; [unrolled: 1-line block ×3, first 2 shown]
	ds_read_b128 v[168:171], v134 offset:880
	ds_read_b128 v[176:179], v134 offset:896
	ds_read_b128 v[184:187], v134 offset:912
	s_waitcnt vmcnt(17) lgkmcnt(6)
	v_mul_f32_e32 v22, v14, v19
	v_fmac_f32_e32 v22, v15, v18
	v_mul_f32_e32 v23, v16, v21
	v_add_f32_e32 v22, 0, v22
	v_fmac_f32_e32 v23, v17, v20
	v_add_f32_e32 v26, v22, v23
	scratch_load_dwordx4 v[22:25], off, off offset:112
	v_mul_f32_e32 v15, v15, v19
	v_fma_f32 v14, v14, v18, -v15
	v_mul_f32_e32 v15, v17, v21
	v_add_f32_e32 v14, 0, v14
	v_fma_f32 v15, v16, v20, -v15
	v_add_f32_e32 v14, v14, v15
	s_waitcnt vmcnt(4) lgkmcnt(0)
	v_mul_f32_e32 v209, v184, v189
	v_mul_f32_e32 v211, v186, v191
	v_fmac_f32_e32 v209, v185, v188
	v_fmac_f32_e32 v211, v187, v190
	s_waitcnt vmcnt(0)
	v_mul_f32_e32 v27, v10, v23
	v_fmac_f32_e32 v27, v11, v22
	v_add_f32_e32 v26, v26, v27
	v_mul_f32_e32 v27, v12, v25
	v_fmac_f32_e32 v27, v13, v24
	v_add_f32_e32 v30, v26, v27
	scratch_load_dwordx4 v[26:29], off, off offset:128
	v_mul_f32_e32 v11, v11, v23
	v_fma_f32 v10, v10, v22, -v11
	v_mul_f32_e32 v11, v13, v25
	v_add_f32_e32 v10, v14, v10
	v_fma_f32 v11, v12, v24, -v11
	v_add_f32_e32 v10, v10, v11
	s_waitcnt vmcnt(0)
	v_mul_f32_e32 v31, v6, v27
	v_fmac_f32_e32 v31, v7, v26
	v_add_f32_e32 v30, v30, v31
	v_mul_f32_e32 v31, v8, v29
	v_fmac_f32_e32 v31, v9, v28
	v_add_f32_e32 v34, v30, v31
	scratch_load_dwordx4 v[30:33], off, off offset:144
	v_mul_f32_e32 v7, v7, v27
	v_fma_f32 v6, v6, v26, -v7
	v_mul_f32_e32 v7, v9, v29
	v_add_f32_e32 v6, v10, v6
	v_fma_f32 v7, v8, v28, -v7
	v_add_f32_e32 v6, v6, v7
	s_waitcnt vmcnt(0)
	v_mul_f32_e32 v35, v2, v31
	v_fmac_f32_e32 v35, v3, v30
	v_add_f32_e32 v34, v34, v35
	v_mul_f32_e32 v35, v4, v33
	v_fmac_f32_e32 v35, v5, v32
	v_add_f32_e32 v42, v34, v35
	ds_read_b128 v[34:37], v134 offset:656
	v_mul_f32_e32 v3, v3, v31
	v_fma_f32 v2, v2, v30, -v3
	v_mul_f32_e32 v3, v5, v33
	v_add_f32_e32 v2, v6, v2
	s_waitcnt lgkmcnt(0)
	v_mul_f32_e32 v43, v34, v39
	v_fmac_f32_e32 v43, v35, v38
	v_add_f32_e32 v42, v42, v43
	v_mul_f32_e32 v43, v36, v41
	v_fmac_f32_e32 v43, v37, v40
	v_add_f32_e32 v50, v42, v43
	ds_read_b128 v[42:45], v134 offset:672
	v_fma_f32 v3, v4, v32, -v3
	v_add_f32_e32 v2, v2, v3
	v_mul_f32_e32 v3, v35, v39
	v_fma_f32 v3, v34, v38, -v3
	s_waitcnt lgkmcnt(0)
	v_mul_f32_e32 v51, v42, v47
	v_fmac_f32_e32 v51, v43, v46
	v_add_f32_e32 v50, v50, v51
	v_mul_f32_e32 v51, v44, v49
	v_fmac_f32_e32 v51, v45, v48
	v_add_f32_e32 v58, v50, v51
	ds_read_b128 v[50:53], v134 offset:688
	v_add_f32_e32 v2, v2, v3
	v_mul_f32_e32 v3, v37, v41
	v_fma_f32 v3, v36, v40, -v3
	v_add_f32_e32 v2, v2, v3
	s_waitcnt lgkmcnt(0)
	v_mul_f32_e32 v59, v50, v55
	v_fmac_f32_e32 v59, v51, v54
	v_add_f32_e32 v58, v58, v59
	v_mul_f32_e32 v59, v52, v57
	v_fmac_f32_e32 v59, v53, v56
	v_add_f32_e32 v66, v58, v59
	ds_read_b128 v[58:61], v134 offset:704
	v_mul_f32_e32 v3, v43, v47
	v_fma_f32 v3, v42, v46, -v3
	v_add_f32_e32 v2, v2, v3
	v_mul_f32_e32 v3, v45, v49
	s_waitcnt lgkmcnt(0)
	v_mul_f32_e32 v67, v58, v63
	v_fmac_f32_e32 v67, v59, v62
	v_add_f32_e32 v66, v66, v67
	v_mul_f32_e32 v67, v60, v65
	v_fmac_f32_e32 v67, v61, v64
	v_add_f32_e32 v74, v66, v67
	ds_read_b128 v[66:69], v134 offset:720
	v_fma_f32 v3, v44, v48, -v3
	v_add_f32_e32 v2, v2, v3
	v_mul_f32_e32 v3, v51, v55
	v_fma_f32 v3, v50, v54, -v3
	s_waitcnt lgkmcnt(0)
	v_mul_f32_e32 v75, v66, v71
	v_fmac_f32_e32 v75, v67, v70
	v_add_f32_e32 v74, v74, v75
	v_mul_f32_e32 v75, v68, v73
	v_fmac_f32_e32 v75, v69, v72
	v_add_f32_e32 v82, v74, v75
	ds_read_b128 v[74:77], v134 offset:736
	v_add_f32_e32 v2, v2, v3
	v_mul_f32_e32 v3, v53, v57
	v_fma_f32 v3, v52, v56, -v3
	v_add_f32_e32 v2, v2, v3
	s_waitcnt lgkmcnt(0)
	v_mul_f32_e32 v83, v74, v79
	v_fmac_f32_e32 v83, v75, v78
	v_add_f32_e32 v82, v82, v83
	v_mul_f32_e32 v83, v76, v81
	v_fmac_f32_e32 v83, v77, v80
	v_add_f32_e32 v90, v82, v83
	ds_read_b128 v[82:85], v134 offset:752
	v_mul_f32_e32 v3, v59, v63
	v_fma_f32 v3, v58, v62, -v3
	v_add_f32_e32 v2, v2, v3
	v_mul_f32_e32 v3, v61, v65
	;; [unrolled: 36-line block ×4, first 2 shown]
	s_waitcnt lgkmcnt(0)
	v_mul_f32_e32 v140, v130, v137
	v_fmac_f32_e32 v140, v131, v136
	v_add_f32_e32 v135, v135, v140
	v_mul_f32_e32 v140, v132, v139
	v_fmac_f32_e32 v140, v133, v138
	v_add_f32_e32 v135, v135, v140
	ds_read_b128 v[140:143], v134 offset:864
	scratch_load_dwordx4 v[192:195], off, off offset:432
	scratch_load_dwordx4 v[196:199], off, off offset:448
	;; [unrolled: 1-line block ×4, first 2 shown]
	v_fma_f32 v3, v92, v96, -v3
	v_add_f32_e32 v2, v2, v3
	v_mul_f32_e32 v3, v99, v103
	v_fma_f32 v3, v98, v102, -v3
	v_add_f32_e32 v2, v2, v3
	v_mul_f32_e32 v3, v101, v105
	;; [unrolled: 3-line block ×10, first 2 shown]
	v_fma_f32 v3, v132, v138, -v3
	s_waitcnt lgkmcnt(0)
	v_mul_f32_e32 v148, v140, v145
	v_add_f32_e32 v2, v2, v3
	v_mul_f32_e32 v3, v141, v145
	v_fmac_f32_e32 v148, v141, v144
	v_fma_f32 v3, v140, v144, -v3
	v_add_f32_e32 v135, v135, v148
	v_mul_f32_e32 v148, v142, v147
	v_add_f32_e32 v2, v2, v3
	v_mul_f32_e32 v3, v143, v147
	v_fmac_f32_e32 v148, v143, v146
	v_fma_f32 v3, v142, v146, -v3
	v_add_f32_e32 v135, v135, v148
	;; [unrolled: 6-line block ×6, first 2 shown]
	v_add_f32_e32 v148, v2, v3
	v_mul_f32_e32 v2, v185, v189
	v_fma_f32 v208, v184, v188, -v2
	v_mul_f32_e32 v2, v187, v191
	v_fma_f32 v210, v186, v190, -v2
	ds_read_b128 v[2:5], v134 offset:928
	ds_read_b128 v[6:9], v134 offset:944
	;; [unrolled: 1-line block ×4, first 2 shown]
	v_pk_add_f32 v[18:19], v[148:149], v[208:209]
	s_waitcnt vmcnt(3) lgkmcnt(3)
	v_pk_mul_f32 v[20:21], v[2:3], v[192:193] op_sel:[1,1] op_sel_hi:[0,1]
	v_pk_fma_f32 v[22:23], v[2:3], v[192:193], v[20:21] neg_lo:[0,0,1] neg_hi:[0,0,1]
	v_pk_fma_f32 v[2:3], v[2:3], v[192:193], v[20:21] op_sel_hi:[1,0,1]
	v_pk_add_f32 v[18:19], v[18:19], v[210:211]
	v_mov_b32_e32 v23, v3
	v_pk_add_f32 v[2:3], v[18:19], v[22:23]
	v_mov_b32_e32 v18, v195
	v_pk_mul_f32 v[18:19], v[4:5], v[18:19] op_sel:[1,0] op_sel_hi:[0,0]
	v_pk_fma_f32 v[20:21], v[4:5], v[194:195], v[18:19] neg_lo:[0,0,1] neg_hi:[0,0,1]
	v_pk_fma_f32 v[4:5], v[4:5], v[194:195], v[18:19] op_sel_hi:[1,0,1]
	s_nop 0
	v_mov_b32_e32 v21, v5
	s_waitcnt vmcnt(2) lgkmcnt(2)
	v_pk_mul_f32 v[4:5], v[6:7], v[196:197] op_sel:[1,1] op_sel_hi:[0,1]
	v_pk_fma_f32 v[18:19], v[6:7], v[196:197], v[4:5] neg_lo:[0,0,1] neg_hi:[0,0,1]
	v_pk_fma_f32 v[4:5], v[6:7], v[196:197], v[4:5] op_sel_hi:[1,0,1]
	v_pk_add_f32 v[2:3], v[2:3], v[20:21]
	v_mov_b32_e32 v4, v199
	v_mov_b32_e32 v19, v5
	v_pk_mul_f32 v[4:5], v[8:9], v[4:5] op_sel:[1,0] op_sel_hi:[0,0]
	v_pk_fma_f32 v[6:7], v[8:9], v[198:199], v[4:5] neg_lo:[0,0,1] neg_hi:[0,0,1]
	v_pk_fma_f32 v[4:5], v[8:9], v[198:199], v[4:5] op_sel_hi:[1,0,1]
	v_pk_add_f32 v[2:3], v[2:3], v[18:19]
	v_mov_b32_e32 v7, v5
	s_waitcnt vmcnt(1) lgkmcnt(1)
	v_pk_mul_f32 v[4:5], v[10:11], v[200:201] op_sel:[1,1] op_sel_hi:[0,1]
	v_pk_add_f32 v[2:3], v[2:3], v[6:7]
	v_pk_fma_f32 v[6:7], v[10:11], v[200:201], v[4:5] neg_lo:[0,0,1] neg_hi:[0,0,1]
	v_pk_fma_f32 v[4:5], v[10:11], v[200:201], v[4:5] op_sel_hi:[1,0,1]
	s_nop 0
	v_mov_b32_e32 v4, v203
	v_mov_b32_e32 v7, v5
	v_pk_mul_f32 v[4:5], v[12:13], v[4:5] op_sel:[1,0] op_sel_hi:[0,0]
	v_pk_add_f32 v[2:3], v[2:3], v[6:7]
	v_pk_fma_f32 v[6:7], v[12:13], v[202:203], v[4:5] neg_lo:[0,0,1] neg_hi:[0,0,1]
	v_pk_fma_f32 v[4:5], v[12:13], v[202:203], v[4:5] op_sel_hi:[1,0,1]
	s_nop 0
	v_mov_b32_e32 v7, v5
	s_waitcnt vmcnt(0) lgkmcnt(0)
	v_pk_mul_f32 v[4:5], v[14:15], v[204:205] op_sel:[1,1] op_sel_hi:[0,1]
	v_pk_add_f32 v[2:3], v[2:3], v[6:7]
	v_pk_fma_f32 v[6:7], v[14:15], v[204:205], v[4:5] neg_lo:[0,0,1] neg_hi:[0,0,1]
	v_pk_fma_f32 v[4:5], v[14:15], v[204:205], v[4:5] op_sel_hi:[1,0,1]
	s_nop 0
	v_mov_b32_e32 v4, v207
	v_mov_b32_e32 v7, v5
	v_pk_mul_f32 v[4:5], v[16:17], v[4:5] op_sel:[1,0] op_sel_hi:[0,0]
	v_pk_add_f32 v[2:3], v[2:3], v[6:7]
	v_pk_fma_f32 v[6:7], v[16:17], v[206:207], v[4:5] neg_lo:[0,0,1] neg_hi:[0,0,1]
	v_pk_fma_f32 v[4:5], v[16:17], v[206:207], v[4:5] op_sel_hi:[1,0,1]
	s_nop 0
	v_mov_b32_e32 v7, v5
	scratch_load_dwordx2 v[4:5], off, off offset:88
	v_pk_add_f32 v[2:3], v[2:3], v[6:7]
	s_waitcnt vmcnt(0)
	v_pk_add_f32 v[2:3], v[4:5], v[2:3] neg_lo:[0,1] neg_hi:[0,1]
	scratch_store_dwordx2 off, v[2:3], off offset:88
	s_and_saveexec_b64 s[0:1], vcc
	s_cbranch_execz .LBB61_365
; %bb.364:
	scratch_load_dwordx2 v[2:3], off, off offset:80
	v_mov_b32_e32 v4, 0
	v_mov_b32_e32 v5, v4
	scratch_store_dwordx2 off, v[4:5], off offset:80
	s_waitcnt vmcnt(1)
	ds_write_b64 v1, v[2:3]
.LBB61_365:
	s_or_b64 exec, exec, s[0:1]
	s_waitcnt lgkmcnt(0)
	; wave barrier
	scratch_load_dwordx4 v[6:9], off, off offset:88
	scratch_load_dwordx4 v[14:17], off, off offset:104
	;; [unrolled: 1-line block ×10, first 2 shown]
	v_mov_b32_e32 v142, 0
	ds_read2_b64 v[2:5], v142 offset0:73 offset1:74
	ds_read2_b64 v[168:171], v142 offset0:109 offset1:110
	scratch_load_dwordx4 v[86:89], off, off offset:248
	scratch_load_dwordx4 v[94:97], off, off offset:264
	;; [unrolled: 1-line block ×12, first 2 shown]
	v_cmp_lt_u32_e32 vcc, 9, v0
	ds_read2_b64 v[176:179], v142 offset0:111 offset1:112
	ds_read2_b64 v[184:187], v142 offset0:113 offset1:114
	;; [unrolled: 1-line block ×3, first 2 shown]
	s_waitcnt vmcnt(21) lgkmcnt(4)
	v_mul_f32_e32 v10, v2, v7
	v_fmac_f32_e32 v10, v3, v6
	v_mul_f32_e32 v11, v4, v9
	v_add_f32_e32 v10, 0, v10
	v_fmac_f32_e32 v11, v5, v8
	v_add_f32_e32 v18, v10, v11
	ds_read2_b64 v[10:13], v142 offset0:75 offset1:76
	v_mul_f32_e32 v3, v3, v7
	v_fma_f32 v2, v2, v6, -v3
	v_mul_f32_e32 v3, v5, v9
	v_add_f32_e32 v2, 0, v2
	s_waitcnt vmcnt(20) lgkmcnt(0)
	v_mul_f32_e32 v19, v10, v15
	v_fmac_f32_e32 v19, v11, v14
	v_add_f32_e32 v18, v18, v19
	v_mul_f32_e32 v19, v12, v17
	v_fmac_f32_e32 v19, v13, v16
	v_add_f32_e32 v26, v18, v19
	ds_read2_b64 v[18:21], v142 offset0:77 offset1:78
	v_fma_f32 v3, v4, v8, -v3
	v_add_f32_e32 v2, v2, v3
	v_mul_f32_e32 v3, v11, v15
	v_fma_f32 v3, v10, v14, -v3
	s_waitcnt vmcnt(19) lgkmcnt(0)
	v_mul_f32_e32 v27, v18, v23
	v_fmac_f32_e32 v27, v19, v22
	v_add_f32_e32 v26, v26, v27
	v_mul_f32_e32 v27, v20, v25
	v_fmac_f32_e32 v27, v21, v24
	v_add_f32_e32 v34, v26, v27
	ds_read2_b64 v[26:29], v142 offset0:79 offset1:80
	v_add_f32_e32 v2, v2, v3
	v_mul_f32_e32 v3, v13, v17
	v_fma_f32 v3, v12, v16, -v3
	v_add_f32_e32 v2, v2, v3
	s_waitcnt vmcnt(18) lgkmcnt(0)
	v_mul_f32_e32 v35, v26, v31
	v_fmac_f32_e32 v35, v27, v30
	v_add_f32_e32 v34, v34, v35
	v_mul_f32_e32 v35, v28, v33
	v_fmac_f32_e32 v35, v29, v32
	v_add_f32_e32 v42, v34, v35
	ds_read2_b64 v[34:37], v142 offset0:81 offset1:82
	v_mul_f32_e32 v3, v19, v23
	v_fma_f32 v3, v18, v22, -v3
	v_add_f32_e32 v2, v2, v3
	v_mul_f32_e32 v3, v21, v25
	s_waitcnt vmcnt(17) lgkmcnt(0)
	v_mul_f32_e32 v43, v34, v39
	v_fmac_f32_e32 v43, v35, v38
	v_add_f32_e32 v42, v42, v43
	v_mul_f32_e32 v43, v36, v41
	v_fmac_f32_e32 v43, v37, v40
	v_add_f32_e32 v50, v42, v43
	ds_read2_b64 v[42:45], v142 offset0:83 offset1:84
	v_fma_f32 v3, v20, v24, -v3
	v_add_f32_e32 v2, v2, v3
	v_mul_f32_e32 v3, v27, v31
	v_fma_f32 v3, v26, v30, -v3
	s_waitcnt vmcnt(16) lgkmcnt(0)
	v_mul_f32_e32 v51, v42, v47
	v_fmac_f32_e32 v51, v43, v46
	v_add_f32_e32 v50, v50, v51
	v_mul_f32_e32 v51, v44, v49
	v_fmac_f32_e32 v51, v45, v48
	v_add_f32_e32 v58, v50, v51
	ds_read2_b64 v[50:53], v142 offset0:85 offset1:86
	v_add_f32_e32 v2, v2, v3
	v_mul_f32_e32 v3, v29, v33
	v_fma_f32 v3, v28, v32, -v3
	v_add_f32_e32 v2, v2, v3
	s_waitcnt vmcnt(15) lgkmcnt(0)
	v_mul_f32_e32 v59, v50, v55
	v_fmac_f32_e32 v59, v51, v54
	v_add_f32_e32 v58, v58, v59
	v_mul_f32_e32 v59, v52, v57
	v_fmac_f32_e32 v59, v53, v56
	v_add_f32_e32 v66, v58, v59
	ds_read2_b64 v[58:61], v142 offset0:87 offset1:88
	v_mul_f32_e32 v3, v35, v39
	v_fma_f32 v3, v34, v38, -v3
	v_add_f32_e32 v2, v2, v3
	v_mul_f32_e32 v3, v37, v41
	;; [unrolled: 36-line block ×5, first 2 shown]
	s_waitcnt vmcnt(5) lgkmcnt(0)
	v_mul_f32_e32 v139, v130, v135
	v_fmac_f32_e32 v139, v131, v134
	v_add_f32_e32 v138, v138, v139
	v_mul_f32_e32 v139, v132, v137
	v_fmac_f32_e32 v139, v133, v136
	v_add_f32_e32 v143, v138, v139
	ds_read2_b64 v[138:141], v142 offset0:107 offset1:108
	scratch_load_dwordx4 v[200:203], off, off offset:440
	scratch_load_dwordx4 v[204:207], off, off offset:456
	;; [unrolled: 1-line block ×3, first 2 shown]
	scratch_load_dwordx2 v[216:217], off, off offset:488
	v_fma_f32 v3, v84, v88, -v3
	v_add_f32_e32 v2, v2, v3
	v_mul_f32_e32 v3, v91, v95
	v_fma_f32 v3, v90, v94, -v3
	v_add_f32_e32 v2, v2, v3
	v_mul_f32_e32 v3, v93, v97
	;; [unrolled: 3-line block ×12, first 2 shown]
	v_fma_f32 v3, v132, v136, -v3
	s_waitcnt vmcnt(8) lgkmcnt(0)
	v_mul_f32_e32 v148, v138, v145
	v_add_f32_e32 v2, v2, v3
	v_mul_f32_e32 v3, v139, v145
	v_fmac_f32_e32 v148, v139, v144
	v_fma_f32 v3, v138, v144, -v3
	v_add_f32_e32 v143, v143, v148
	v_mul_f32_e32 v148, v140, v147
	v_add_f32_e32 v2, v2, v3
	v_mul_f32_e32 v3, v141, v147
	v_fmac_f32_e32 v148, v141, v146
	v_fma_f32 v3, v140, v146, -v3
	v_add_f32_e32 v143, v143, v148
	s_waitcnt vmcnt(7)
	v_mul_f32_e32 v148, v168, v173
	v_add_f32_e32 v2, v2, v3
	v_mul_f32_e32 v3, v169, v173
	v_fmac_f32_e32 v148, v169, v172
	v_fma_f32 v3, v168, v172, -v3
	v_add_f32_e32 v143, v143, v148
	v_mul_f32_e32 v148, v170, v175
	v_add_f32_e32 v2, v2, v3
	v_mul_f32_e32 v3, v171, v175
	v_fmac_f32_e32 v148, v171, v174
	v_fma_f32 v3, v170, v174, -v3
	v_add_f32_e32 v143, v143, v148
	s_waitcnt vmcnt(6)
	;; [unrolled: 13-line block ×3, first 2 shown]
	v_mul_f32_e32 v148, v184, v189
	v_add_f32_e32 v2, v2, v3
	v_mul_f32_e32 v3, v185, v189
	v_fmac_f32_e32 v148, v185, v188
	v_fma_f32 v3, v184, v188, -v3
	v_add_f32_e32 v149, v143, v148
	v_add_f32_e32 v148, v2, v3
	v_mul_f32_e32 v2, v187, v191
	v_mul_f32_e32 v213, v186, v191
	v_fma_f32 v212, v186, v190, -v2
	s_waitcnt vmcnt(4)
	v_mul_f32_e32 v2, v193, v197
	v_mov_b32_e32 v18, v199
	v_fmac_f32_e32 v213, v187, v190
	v_mul_f32_e32 v215, v192, v197
	v_fma_f32 v214, v192, v196, -v2
	ds_read2_b64 v[2:5], v142 offset0:117 offset1:118
	ds_read2_b64 v[6:9], v142 offset0:119 offset1:120
	;; [unrolled: 1-line block ×3, first 2 shown]
	ds_read_b64 v[14:15], v142 offset:984
	v_pk_mul_f32 v[18:19], v[194:195], v[18:19] op_sel:[1,0] op_sel_hi:[0,0]
	v_fmac_f32_e32 v215, v193, v196
	v_pk_add_f32 v[16:17], v[148:149], v[212:213]
	v_pk_fma_f32 v[20:21], v[194:195], v[198:199], v[18:19] neg_lo:[0,0,1] neg_hi:[0,0,1]
	v_pk_fma_f32 v[18:19], v[194:195], v[198:199], v[18:19] op_sel_hi:[1,0,1]
	v_pk_add_f32 v[16:17], v[16:17], v[214:215]
	v_mov_b32_e32 v21, v19
	s_waitcnt vmcnt(3) lgkmcnt(3)
	v_pk_mul_f32 v[18:19], v[2:3], v[200:201] op_sel:[1,1] op_sel_hi:[0,1]
	v_pk_add_f32 v[16:17], v[16:17], v[20:21]
	v_pk_fma_f32 v[20:21], v[2:3], v[200:201], v[18:19] neg_lo:[0,0,1] neg_hi:[0,0,1]
	v_pk_fma_f32 v[2:3], v[2:3], v[200:201], v[18:19] op_sel_hi:[1,0,1]
	s_nop 0
	v_mov_b32_e32 v21, v3
	v_pk_add_f32 v[2:3], v[16:17], v[20:21]
	v_mov_b32_e32 v16, v203
	v_pk_mul_f32 v[16:17], v[4:5], v[16:17] op_sel:[1,0] op_sel_hi:[0,0]
	v_pk_fma_f32 v[18:19], v[4:5], v[202:203], v[16:17] neg_lo:[0,0,1] neg_hi:[0,0,1]
	v_pk_fma_f32 v[4:5], v[4:5], v[202:203], v[16:17] op_sel_hi:[1,0,1]
	s_nop 0
	v_mov_b32_e32 v19, v5
	s_waitcnt vmcnt(2) lgkmcnt(2)
	v_pk_mul_f32 v[4:5], v[6:7], v[204:205] op_sel:[1,1] op_sel_hi:[0,1]
	v_pk_fma_f32 v[16:17], v[6:7], v[204:205], v[4:5] neg_lo:[0,0,1] neg_hi:[0,0,1]
	v_pk_fma_f32 v[4:5], v[6:7], v[204:205], v[4:5] op_sel_hi:[1,0,1]
	v_pk_add_f32 v[2:3], v[2:3], v[18:19]
	v_mov_b32_e32 v4, v207
	v_mov_b32_e32 v17, v5
	v_pk_mul_f32 v[4:5], v[8:9], v[4:5] op_sel:[1,0] op_sel_hi:[0,0]
	v_pk_fma_f32 v[6:7], v[8:9], v[206:207], v[4:5] neg_lo:[0,0,1] neg_hi:[0,0,1]
	v_pk_fma_f32 v[4:5], v[8:9], v[206:207], v[4:5] op_sel_hi:[1,0,1]
	v_pk_add_f32 v[2:3], v[2:3], v[16:17]
	v_mov_b32_e32 v7, v5
	s_waitcnt vmcnt(1) lgkmcnt(1)
	v_pk_mul_f32 v[4:5], v[10:11], v[208:209] op_sel:[1,1] op_sel_hi:[0,1]
	v_pk_add_f32 v[2:3], v[2:3], v[6:7]
	v_pk_fma_f32 v[6:7], v[10:11], v[208:209], v[4:5] neg_lo:[0,0,1] neg_hi:[0,0,1]
	v_pk_fma_f32 v[4:5], v[10:11], v[208:209], v[4:5] op_sel_hi:[1,0,1]
	s_nop 0
	v_mov_b32_e32 v4, v211
	v_mov_b32_e32 v7, v5
	v_pk_mul_f32 v[4:5], v[12:13], v[4:5] op_sel:[1,0] op_sel_hi:[0,0]
	v_pk_add_f32 v[2:3], v[2:3], v[6:7]
	v_pk_fma_f32 v[6:7], v[12:13], v[210:211], v[4:5] neg_lo:[0,0,1] neg_hi:[0,0,1]
	v_pk_fma_f32 v[4:5], v[12:13], v[210:211], v[4:5] op_sel_hi:[1,0,1]
	s_nop 0
	v_mov_b32_e32 v7, v5
	s_waitcnt vmcnt(0) lgkmcnt(0)
	v_pk_mul_f32 v[4:5], v[14:15], v[216:217] op_sel:[1,1] op_sel_hi:[0,1]
	v_pk_add_f32 v[2:3], v[2:3], v[6:7]
	v_pk_fma_f32 v[6:7], v[14:15], v[216:217], v[4:5] neg_lo:[0,0,1] neg_hi:[0,0,1]
	v_pk_fma_f32 v[4:5], v[14:15], v[216:217], v[4:5] op_sel_hi:[1,0,1]
	s_nop 0
	v_mov_b32_e32 v7, v5
	scratch_load_dwordx2 v[4:5], off, off offset:80
	v_pk_add_f32 v[2:3], v[2:3], v[6:7]
	s_waitcnt vmcnt(0)
	v_pk_add_f32 v[2:3], v[4:5], v[2:3] neg_lo:[0,1] neg_hi:[0,1]
	scratch_store_dwordx2 off, v[2:3], off offset:80
	s_and_saveexec_b64 s[0:1], vcc
	s_cbranch_execz .LBB61_367
; %bb.366:
	scratch_load_dwordx2 v[2:3], off, off offset:72
	v_mov_b32_e32 v143, v142
	scratch_store_dwordx2 off, v[142:143], off offset:72
	s_waitcnt vmcnt(1)
	ds_write_b64 v1, v[2:3]
.LBB61_367:
	s_or_b64 exec, exec, s[0:1]
	s_waitcnt lgkmcnt(0)
	; wave barrier
	ds_read_b128 v[14:17], v142 offset:576
	ds_read_b128 v[10:13], v142 offset:592
	;; [unrolled: 1-line block ×4, first 2 shown]
	scratch_load_dwordx4 v[18:21], off, off offset:80
	scratch_load_dwordx4 v[38:41], off, off offset:144
	;; [unrolled: 1-line block ×16, first 2 shown]
	v_cmp_lt_u32_e32 vcc, 8, v0
	scratch_load_dwordx4 v[46:49], off, off offset:160
	scratch_load_dwordx4 v[54:57], off, off offset:176
	;; [unrolled: 1-line block ×3, first 2 shown]
	ds_read_b128 v[168:171], v142 offset:864
	ds_read_b128 v[176:179], v142 offset:880
	;; [unrolled: 1-line block ×4, first 2 shown]
	s_waitcnt vmcnt(18) lgkmcnt(7)
	v_mul_f32_e32 v22, v14, v19
	v_fmac_f32_e32 v22, v15, v18
	v_mul_f32_e32 v23, v16, v21
	v_add_f32_e32 v22, 0, v22
	v_fmac_f32_e32 v23, v17, v20
	v_add_f32_e32 v26, v22, v23
	scratch_load_dwordx4 v[22:25], off, off offset:96
	v_mul_f32_e32 v15, v15, v19
	v_fma_f32 v14, v14, v18, -v15
	v_mul_f32_e32 v15, v17, v21
	v_add_f32_e32 v14, 0, v14
	v_fma_f32 v15, v16, v20, -v15
	v_add_f32_e32 v14, v14, v15
	s_waitcnt vmcnt(4) lgkmcnt(0)
	v_mul_f32_e32 v217, v192, v197
	v_mul_f32_e32 v219, v194, v199
	v_fmac_f32_e32 v217, v193, v196
	v_fmac_f32_e32 v219, v195, v198
	s_waitcnt vmcnt(0)
	v_mul_f32_e32 v27, v10, v23
	v_fmac_f32_e32 v27, v11, v22
	v_add_f32_e32 v26, v26, v27
	v_mul_f32_e32 v27, v12, v25
	v_fmac_f32_e32 v27, v13, v24
	v_add_f32_e32 v30, v26, v27
	scratch_load_dwordx4 v[26:29], off, off offset:112
	v_mul_f32_e32 v11, v11, v23
	v_fma_f32 v10, v10, v22, -v11
	v_mul_f32_e32 v11, v13, v25
	v_add_f32_e32 v10, v14, v10
	v_fma_f32 v11, v12, v24, -v11
	v_add_f32_e32 v10, v10, v11
	s_waitcnt vmcnt(0)
	v_mul_f32_e32 v31, v6, v27
	v_fmac_f32_e32 v31, v7, v26
	v_add_f32_e32 v30, v30, v31
	v_mul_f32_e32 v31, v8, v29
	v_fmac_f32_e32 v31, v9, v28
	v_add_f32_e32 v34, v30, v31
	scratch_load_dwordx4 v[30:33], off, off offset:128
	v_mul_f32_e32 v7, v7, v27
	v_fma_f32 v6, v6, v26, -v7
	v_mul_f32_e32 v7, v9, v29
	v_add_f32_e32 v6, v10, v6
	v_fma_f32 v7, v8, v28, -v7
	v_add_f32_e32 v6, v6, v7
	s_waitcnt vmcnt(0)
	v_mul_f32_e32 v35, v2, v31
	v_fmac_f32_e32 v35, v3, v30
	v_add_f32_e32 v34, v34, v35
	v_mul_f32_e32 v35, v4, v33
	v_fmac_f32_e32 v35, v5, v32
	v_add_f32_e32 v42, v34, v35
	ds_read_b128 v[34:37], v142 offset:640
	v_mul_f32_e32 v3, v3, v31
	v_fma_f32 v2, v2, v30, -v3
	v_mul_f32_e32 v3, v5, v33
	v_add_f32_e32 v2, v6, v2
	s_waitcnt lgkmcnt(0)
	v_mul_f32_e32 v43, v34, v39
	v_fmac_f32_e32 v43, v35, v38
	v_add_f32_e32 v42, v42, v43
	v_mul_f32_e32 v43, v36, v41
	v_fmac_f32_e32 v43, v37, v40
	v_add_f32_e32 v50, v42, v43
	ds_read_b128 v[42:45], v142 offset:656
	v_fma_f32 v3, v4, v32, -v3
	v_add_f32_e32 v2, v2, v3
	v_mul_f32_e32 v3, v35, v39
	v_fma_f32 v3, v34, v38, -v3
	s_waitcnt lgkmcnt(0)
	v_mul_f32_e32 v51, v42, v47
	v_fmac_f32_e32 v51, v43, v46
	v_add_f32_e32 v50, v50, v51
	v_mul_f32_e32 v51, v44, v49
	v_fmac_f32_e32 v51, v45, v48
	v_add_f32_e32 v58, v50, v51
	ds_read_b128 v[50:53], v142 offset:672
	v_add_f32_e32 v2, v2, v3
	v_mul_f32_e32 v3, v37, v41
	v_fma_f32 v3, v36, v40, -v3
	v_add_f32_e32 v2, v2, v3
	s_waitcnt lgkmcnt(0)
	v_mul_f32_e32 v59, v50, v55
	v_fmac_f32_e32 v59, v51, v54
	v_add_f32_e32 v58, v58, v59
	v_mul_f32_e32 v59, v52, v57
	v_fmac_f32_e32 v59, v53, v56
	v_add_f32_e32 v66, v58, v59
	ds_read_b128 v[58:61], v142 offset:688
	v_mul_f32_e32 v3, v43, v47
	v_fma_f32 v3, v42, v46, -v3
	v_add_f32_e32 v2, v2, v3
	v_mul_f32_e32 v3, v45, v49
	s_waitcnt lgkmcnt(0)
	v_mul_f32_e32 v67, v58, v63
	v_fmac_f32_e32 v67, v59, v62
	v_add_f32_e32 v66, v66, v67
	v_mul_f32_e32 v67, v60, v65
	v_fmac_f32_e32 v67, v61, v64
	v_add_f32_e32 v74, v66, v67
	ds_read_b128 v[66:69], v142 offset:704
	v_fma_f32 v3, v44, v48, -v3
	v_add_f32_e32 v2, v2, v3
	v_mul_f32_e32 v3, v51, v55
	v_fma_f32 v3, v50, v54, -v3
	s_waitcnt lgkmcnt(0)
	v_mul_f32_e32 v75, v66, v71
	v_fmac_f32_e32 v75, v67, v70
	v_add_f32_e32 v74, v74, v75
	v_mul_f32_e32 v75, v68, v73
	v_fmac_f32_e32 v75, v69, v72
	v_add_f32_e32 v82, v74, v75
	ds_read_b128 v[74:77], v142 offset:720
	v_add_f32_e32 v2, v2, v3
	v_mul_f32_e32 v3, v53, v57
	v_fma_f32 v3, v52, v56, -v3
	v_add_f32_e32 v2, v2, v3
	s_waitcnt lgkmcnt(0)
	v_mul_f32_e32 v83, v74, v79
	v_fmac_f32_e32 v83, v75, v78
	v_add_f32_e32 v82, v82, v83
	v_mul_f32_e32 v83, v76, v81
	v_fmac_f32_e32 v83, v77, v80
	v_add_f32_e32 v90, v82, v83
	ds_read_b128 v[82:85], v142 offset:736
	v_mul_f32_e32 v3, v59, v63
	v_fma_f32 v3, v58, v62, -v3
	v_add_f32_e32 v2, v2, v3
	v_mul_f32_e32 v3, v61, v65
	;; [unrolled: 36-line block ×4, first 2 shown]
	s_waitcnt lgkmcnt(0)
	v_mul_f32_e32 v139, v130, v135
	v_fmac_f32_e32 v139, v131, v134
	v_add_f32_e32 v138, v138, v139
	v_mul_f32_e32 v139, v132, v137
	v_fmac_f32_e32 v139, v133, v136
	v_add_f32_e32 v143, v138, v139
	ds_read_b128 v[138:141], v142 offset:848
	scratch_load_dwordx4 v[200:203], off, off offset:432
	scratch_load_dwordx4 v[204:207], off, off offset:448
	;; [unrolled: 1-line block ×4, first 2 shown]
	v_fma_f32 v3, v92, v96, -v3
	v_add_f32_e32 v2, v2, v3
	v_mul_f32_e32 v3, v99, v103
	v_fma_f32 v3, v98, v102, -v3
	v_add_f32_e32 v2, v2, v3
	v_mul_f32_e32 v3, v101, v105
	;; [unrolled: 3-line block ×10, first 2 shown]
	v_fma_f32 v3, v132, v136, -v3
	s_waitcnt lgkmcnt(0)
	v_mul_f32_e32 v148, v138, v145
	v_add_f32_e32 v2, v2, v3
	v_mul_f32_e32 v3, v139, v145
	v_fmac_f32_e32 v148, v139, v144
	v_fma_f32 v3, v138, v144, -v3
	v_add_f32_e32 v143, v143, v148
	v_mul_f32_e32 v148, v140, v147
	v_add_f32_e32 v2, v2, v3
	v_mul_f32_e32 v3, v141, v147
	v_fmac_f32_e32 v148, v141, v146
	v_fma_f32 v3, v140, v146, -v3
	v_add_f32_e32 v143, v143, v148
	;; [unrolled: 6-line block ×8, first 2 shown]
	v_add_f32_e32 v148, v2, v3
	v_mul_f32_e32 v2, v193, v197
	v_fma_f32 v216, v192, v196, -v2
	v_mul_f32_e32 v2, v195, v199
	v_fma_f32 v218, v194, v198, -v2
	ds_read_b128 v[2:5], v142 offset:928
	ds_read_b128 v[6:9], v142 offset:944
	;; [unrolled: 1-line block ×4, first 2 shown]
	v_pk_add_f32 v[18:19], v[148:149], v[216:217]
	s_waitcnt vmcnt(3) lgkmcnt(3)
	v_pk_mul_f32 v[20:21], v[2:3], v[200:201] op_sel:[1,1] op_sel_hi:[0,1]
	v_pk_fma_f32 v[22:23], v[2:3], v[200:201], v[20:21] neg_lo:[0,0,1] neg_hi:[0,0,1]
	v_pk_fma_f32 v[2:3], v[2:3], v[200:201], v[20:21] op_sel_hi:[1,0,1]
	v_pk_add_f32 v[18:19], v[18:19], v[218:219]
	v_mov_b32_e32 v23, v3
	v_pk_add_f32 v[2:3], v[18:19], v[22:23]
	v_mov_b32_e32 v18, v203
	v_pk_mul_f32 v[18:19], v[4:5], v[18:19] op_sel:[1,0] op_sel_hi:[0,0]
	v_pk_fma_f32 v[20:21], v[4:5], v[202:203], v[18:19] neg_lo:[0,0,1] neg_hi:[0,0,1]
	v_pk_fma_f32 v[4:5], v[4:5], v[202:203], v[18:19] op_sel_hi:[1,0,1]
	s_nop 0
	v_mov_b32_e32 v21, v5
	s_waitcnt vmcnt(2) lgkmcnt(2)
	v_pk_mul_f32 v[4:5], v[6:7], v[204:205] op_sel:[1,1] op_sel_hi:[0,1]
	v_pk_fma_f32 v[18:19], v[6:7], v[204:205], v[4:5] neg_lo:[0,0,1] neg_hi:[0,0,1]
	v_pk_fma_f32 v[4:5], v[6:7], v[204:205], v[4:5] op_sel_hi:[1,0,1]
	v_pk_add_f32 v[2:3], v[2:3], v[20:21]
	v_mov_b32_e32 v4, v207
	v_mov_b32_e32 v19, v5
	v_pk_mul_f32 v[4:5], v[8:9], v[4:5] op_sel:[1,0] op_sel_hi:[0,0]
	v_pk_fma_f32 v[6:7], v[8:9], v[206:207], v[4:5] neg_lo:[0,0,1] neg_hi:[0,0,1]
	v_pk_fma_f32 v[4:5], v[8:9], v[206:207], v[4:5] op_sel_hi:[1,0,1]
	v_pk_add_f32 v[2:3], v[2:3], v[18:19]
	v_mov_b32_e32 v7, v5
	s_waitcnt vmcnt(1) lgkmcnt(1)
	v_pk_mul_f32 v[4:5], v[10:11], v[208:209] op_sel:[1,1] op_sel_hi:[0,1]
	v_pk_add_f32 v[2:3], v[2:3], v[6:7]
	v_pk_fma_f32 v[6:7], v[10:11], v[208:209], v[4:5] neg_lo:[0,0,1] neg_hi:[0,0,1]
	v_pk_fma_f32 v[4:5], v[10:11], v[208:209], v[4:5] op_sel_hi:[1,0,1]
	s_nop 0
	v_mov_b32_e32 v4, v211
	v_mov_b32_e32 v7, v5
	v_pk_mul_f32 v[4:5], v[12:13], v[4:5] op_sel:[1,0] op_sel_hi:[0,0]
	v_pk_add_f32 v[2:3], v[2:3], v[6:7]
	v_pk_fma_f32 v[6:7], v[12:13], v[210:211], v[4:5] neg_lo:[0,0,1] neg_hi:[0,0,1]
	v_pk_fma_f32 v[4:5], v[12:13], v[210:211], v[4:5] op_sel_hi:[1,0,1]
	s_nop 0
	v_mov_b32_e32 v7, v5
	s_waitcnt vmcnt(0) lgkmcnt(0)
	v_pk_mul_f32 v[4:5], v[14:15], v[212:213] op_sel:[1,1] op_sel_hi:[0,1]
	v_pk_add_f32 v[2:3], v[2:3], v[6:7]
	v_pk_fma_f32 v[6:7], v[14:15], v[212:213], v[4:5] neg_lo:[0,0,1] neg_hi:[0,0,1]
	v_pk_fma_f32 v[4:5], v[14:15], v[212:213], v[4:5] op_sel_hi:[1,0,1]
	s_nop 0
	v_mov_b32_e32 v4, v215
	v_mov_b32_e32 v7, v5
	v_pk_mul_f32 v[4:5], v[16:17], v[4:5] op_sel:[1,0] op_sel_hi:[0,0]
	v_pk_add_f32 v[2:3], v[2:3], v[6:7]
	v_pk_fma_f32 v[6:7], v[16:17], v[214:215], v[4:5] neg_lo:[0,0,1] neg_hi:[0,0,1]
	v_pk_fma_f32 v[4:5], v[16:17], v[214:215], v[4:5] op_sel_hi:[1,0,1]
	s_nop 0
	v_mov_b32_e32 v7, v5
	scratch_load_dwordx2 v[4:5], off, off offset:72
	v_pk_add_f32 v[2:3], v[2:3], v[6:7]
	s_waitcnt vmcnt(0)
	v_pk_add_f32 v[2:3], v[4:5], v[2:3] neg_lo:[0,1] neg_hi:[0,1]
	scratch_store_dwordx2 off, v[2:3], off offset:72
	s_and_saveexec_b64 s[0:1], vcc
	s_cbranch_execz .LBB61_369
; %bb.368:
	scratch_load_dwordx2 v[2:3], off, off offset:64
	v_mov_b32_e32 v4, 0
	v_mov_b32_e32 v5, v4
	scratch_store_dwordx2 off, v[4:5], off offset:64
	s_waitcnt vmcnt(1)
	ds_write_b64 v1, v[2:3]
.LBB61_369:
	s_or_b64 exec, exec, s[0:1]
	s_waitcnt lgkmcnt(0)
	; wave barrier
	scratch_load_dwordx4 v[6:9], off, off offset:72
	scratch_load_dwordx4 v[14:17], off, off offset:88
	;; [unrolled: 1-line block ×10, first 2 shown]
	v_mov_b32_e32 v168, 0
	ds_read2_b64 v[2:5], v168 offset0:71 offset1:72
	scratch_load_dwordx4 v[86:89], off, off offset:232
	scratch_load_dwordx4 v[94:97], off, off offset:248
	;; [unrolled: 1-line block ×13, first 2 shown]
	v_cmp_lt_u32_e32 vcc, 7, v0
	s_waitcnt vmcnt(22) lgkmcnt(0)
	v_mul_f32_e32 v10, v2, v7
	v_fmac_f32_e32 v10, v3, v6
	v_mul_f32_e32 v11, v4, v9
	v_add_f32_e32 v10, 0, v10
	v_fmac_f32_e32 v11, v5, v8
	v_add_f32_e32 v18, v10, v11
	ds_read2_b64 v[10:13], v168 offset0:73 offset1:74
	v_mul_f32_e32 v3, v3, v7
	v_fma_f32 v2, v2, v6, -v3
	v_mul_f32_e32 v3, v5, v9
	v_add_f32_e32 v2, 0, v2
	s_waitcnt vmcnt(21) lgkmcnt(0)
	v_mul_f32_e32 v19, v10, v15
	v_fmac_f32_e32 v19, v11, v14
	v_add_f32_e32 v18, v18, v19
	v_mul_f32_e32 v19, v12, v17
	v_fmac_f32_e32 v19, v13, v16
	v_add_f32_e32 v26, v18, v19
	ds_read2_b64 v[18:21], v168 offset0:75 offset1:76
	v_fma_f32 v3, v4, v8, -v3
	v_add_f32_e32 v2, v2, v3
	v_mul_f32_e32 v3, v11, v15
	v_fma_f32 v3, v10, v14, -v3
	s_waitcnt vmcnt(20) lgkmcnt(0)
	v_mul_f32_e32 v27, v18, v23
	v_fmac_f32_e32 v27, v19, v22
	v_add_f32_e32 v26, v26, v27
	v_mul_f32_e32 v27, v20, v25
	v_fmac_f32_e32 v27, v21, v24
	v_add_f32_e32 v34, v26, v27
	ds_read2_b64 v[26:29], v168 offset0:77 offset1:78
	v_add_f32_e32 v2, v2, v3
	v_mul_f32_e32 v3, v13, v17
	v_fma_f32 v3, v12, v16, -v3
	v_add_f32_e32 v2, v2, v3
	s_waitcnt vmcnt(19) lgkmcnt(0)
	v_mul_f32_e32 v35, v26, v31
	v_fmac_f32_e32 v35, v27, v30
	v_add_f32_e32 v34, v34, v35
	v_mul_f32_e32 v35, v28, v33
	v_fmac_f32_e32 v35, v29, v32
	v_add_f32_e32 v42, v34, v35
	ds_read2_b64 v[34:37], v168 offset0:79 offset1:80
	v_mul_f32_e32 v3, v19, v23
	v_fma_f32 v3, v18, v22, -v3
	v_add_f32_e32 v2, v2, v3
	v_mul_f32_e32 v3, v21, v25
	s_waitcnt vmcnt(18) lgkmcnt(0)
	v_mul_f32_e32 v43, v34, v39
	v_fmac_f32_e32 v43, v35, v38
	v_add_f32_e32 v42, v42, v43
	v_mul_f32_e32 v43, v36, v41
	v_fmac_f32_e32 v43, v37, v40
	v_add_f32_e32 v50, v42, v43
	ds_read2_b64 v[42:45], v168 offset0:81 offset1:82
	v_fma_f32 v3, v20, v24, -v3
	v_add_f32_e32 v2, v2, v3
	v_mul_f32_e32 v3, v27, v31
	v_fma_f32 v3, v26, v30, -v3
	s_waitcnt vmcnt(17) lgkmcnt(0)
	v_mul_f32_e32 v51, v42, v47
	v_fmac_f32_e32 v51, v43, v46
	v_add_f32_e32 v50, v50, v51
	v_mul_f32_e32 v51, v44, v49
	v_fmac_f32_e32 v51, v45, v48
	v_add_f32_e32 v58, v50, v51
	ds_read2_b64 v[50:53], v168 offset0:83 offset1:84
	v_add_f32_e32 v2, v2, v3
	v_mul_f32_e32 v3, v29, v33
	v_fma_f32 v3, v28, v32, -v3
	v_add_f32_e32 v2, v2, v3
	s_waitcnt vmcnt(16) lgkmcnt(0)
	v_mul_f32_e32 v59, v50, v55
	v_fmac_f32_e32 v59, v51, v54
	v_add_f32_e32 v58, v58, v59
	v_mul_f32_e32 v59, v52, v57
	v_fmac_f32_e32 v59, v53, v56
	v_add_f32_e32 v66, v58, v59
	ds_read2_b64 v[58:61], v168 offset0:85 offset1:86
	v_mul_f32_e32 v3, v35, v39
	v_fma_f32 v3, v34, v38, -v3
	v_add_f32_e32 v2, v2, v3
	v_mul_f32_e32 v3, v37, v41
	;; [unrolled: 36-line block ×6, first 2 shown]
	s_waitcnt vmcnt(3) lgkmcnt(0)
	v_mul_f32_e32 v182, v174, v179
	v_fmac_f32_e32 v182, v175, v178
	v_add_f32_e32 v169, v169, v182
	v_mul_f32_e32 v182, v176, v181
	v_fmac_f32_e32 v182, v177, v180
	v_add_f32_e32 v169, v169, v182
	ds_read2_b64 v[182:185], v168 offset0:111 offset1:112
	v_fma_f32 v3, v100, v104, -v3
	v_add_f32_e32 v2, v2, v3
	v_mul_f32_e32 v3, v107, v111
	v_fma_f32 v3, v106, v110, -v3
	s_waitcnt vmcnt(2) lgkmcnt(0)
	v_mul_f32_e32 v190, v182, v187
	v_fmac_f32_e32 v190, v183, v186
	v_add_f32_e32 v169, v169, v190
	v_mul_f32_e32 v190, v184, v189
	v_fmac_f32_e32 v190, v185, v188
	v_add_f32_e32 v169, v169, v190
	ds_read2_b64 v[190:193], v168 offset0:113 offset1:114
	v_add_f32_e32 v2, v2, v3
	v_mul_f32_e32 v3, v109, v113
	v_fma_f32 v3, v108, v112, -v3
	v_add_f32_e32 v2, v2, v3
	s_waitcnt vmcnt(1) lgkmcnt(0)
	v_mul_f32_e32 v198, v190, v195
	v_fmac_f32_e32 v198, v191, v194
	v_add_f32_e32 v219, v169, v198
	ds_read2_b64 v[198:201], v168 offset0:115 offset1:116
	scratch_load_dwordx4 v[206:209], off, off offset:440
	scratch_load_dwordx4 v[210:213], off, off offset:456
	scratch_load_dwordx4 v[214:217], off, off offset:472
	scratch_load_dwordx2 v[224:225], off, off offset:488
	v_mul_f32_e32 v3, v115, v119
	v_fma_f32 v3, v114, v118, -v3
	v_add_f32_e32 v2, v2, v3
	v_mul_f32_e32 v3, v117, v121
	v_fma_f32 v3, v116, v120, -v3
	v_add_f32_e32 v2, v2, v3
	;; [unrolled: 3-line block ×15, first 2 shown]
	v_mul_f32_e32 v2, v193, v197
	v_mul_f32_e32 v221, v192, v197
	v_fma_f32 v220, v192, v196, -v2
	s_waitcnt vmcnt(4) lgkmcnt(0)
	v_mul_f32_e32 v2, v199, v203
	v_mov_b32_e32 v18, v205
	v_fmac_f32_e32 v221, v193, v196
	v_mul_f32_e32 v223, v198, v203
	v_fma_f32 v222, v198, v202, -v2
	ds_read2_b64 v[2:5], v168 offset0:117 offset1:118
	ds_read2_b64 v[6:9], v168 offset0:119 offset1:120
	;; [unrolled: 1-line block ×3, first 2 shown]
	ds_read_b64 v[14:15], v168 offset:984
	v_pk_mul_f32 v[18:19], v[200:201], v[18:19] op_sel:[1,0] op_sel_hi:[0,0]
	v_fmac_f32_e32 v223, v199, v202
	v_pk_add_f32 v[16:17], v[218:219], v[220:221]
	v_pk_fma_f32 v[20:21], v[200:201], v[204:205], v[18:19] neg_lo:[0,0,1] neg_hi:[0,0,1]
	v_pk_fma_f32 v[18:19], v[200:201], v[204:205], v[18:19] op_sel_hi:[1,0,1]
	v_pk_add_f32 v[16:17], v[16:17], v[222:223]
	v_mov_b32_e32 v21, v19
	v_pk_add_f32 v[16:17], v[16:17], v[20:21]
	s_waitcnt vmcnt(3) lgkmcnt(3)
	v_pk_mul_f32 v[18:19], v[2:3], v[206:207] op_sel:[1,1] op_sel_hi:[0,1]
	v_pk_fma_f32 v[20:21], v[2:3], v[206:207], v[18:19] neg_lo:[0,0,1] neg_hi:[0,0,1]
	v_pk_fma_f32 v[2:3], v[2:3], v[206:207], v[18:19] op_sel_hi:[1,0,1]
	s_nop 0
	v_mov_b32_e32 v21, v3
	v_pk_add_f32 v[2:3], v[16:17], v[20:21]
	v_mov_b32_e32 v16, v209
	v_pk_mul_f32 v[16:17], v[4:5], v[16:17] op_sel:[1,0] op_sel_hi:[0,0]
	v_pk_fma_f32 v[18:19], v[4:5], v[208:209], v[16:17] neg_lo:[0,0,1] neg_hi:[0,0,1]
	v_pk_fma_f32 v[4:5], v[4:5], v[208:209], v[16:17] op_sel_hi:[1,0,1]
	s_nop 0
	v_mov_b32_e32 v19, v5
	s_waitcnt vmcnt(2) lgkmcnt(2)
	v_pk_mul_f32 v[4:5], v[6:7], v[210:211] op_sel:[1,1] op_sel_hi:[0,1]
	v_pk_fma_f32 v[16:17], v[6:7], v[210:211], v[4:5] neg_lo:[0,0,1] neg_hi:[0,0,1]
	v_pk_fma_f32 v[4:5], v[6:7], v[210:211], v[4:5] op_sel_hi:[1,0,1]
	v_pk_add_f32 v[2:3], v[2:3], v[18:19]
	v_mov_b32_e32 v4, v213
	v_mov_b32_e32 v17, v5
	v_pk_mul_f32 v[4:5], v[8:9], v[4:5] op_sel:[1,0] op_sel_hi:[0,0]
	v_pk_fma_f32 v[6:7], v[8:9], v[212:213], v[4:5] neg_lo:[0,0,1] neg_hi:[0,0,1]
	v_pk_fma_f32 v[4:5], v[8:9], v[212:213], v[4:5] op_sel_hi:[1,0,1]
	v_pk_add_f32 v[2:3], v[2:3], v[16:17]
	v_mov_b32_e32 v7, v5
	s_waitcnt vmcnt(1) lgkmcnt(1)
	v_pk_mul_f32 v[4:5], v[10:11], v[214:215] op_sel:[1,1] op_sel_hi:[0,1]
	v_pk_add_f32 v[2:3], v[2:3], v[6:7]
	v_pk_fma_f32 v[6:7], v[10:11], v[214:215], v[4:5] neg_lo:[0,0,1] neg_hi:[0,0,1]
	v_pk_fma_f32 v[4:5], v[10:11], v[214:215], v[4:5] op_sel_hi:[1,0,1]
	s_nop 0
	v_mov_b32_e32 v4, v217
	v_mov_b32_e32 v7, v5
	v_pk_mul_f32 v[4:5], v[12:13], v[4:5] op_sel:[1,0] op_sel_hi:[0,0]
	v_pk_add_f32 v[2:3], v[2:3], v[6:7]
	v_pk_fma_f32 v[6:7], v[12:13], v[216:217], v[4:5] neg_lo:[0,0,1] neg_hi:[0,0,1]
	v_pk_fma_f32 v[4:5], v[12:13], v[216:217], v[4:5] op_sel_hi:[1,0,1]
	s_nop 0
	v_mov_b32_e32 v7, v5
	s_waitcnt vmcnt(0) lgkmcnt(0)
	v_pk_mul_f32 v[4:5], v[14:15], v[224:225] op_sel:[1,1] op_sel_hi:[0,1]
	v_pk_add_f32 v[2:3], v[2:3], v[6:7]
	v_pk_fma_f32 v[6:7], v[14:15], v[224:225], v[4:5] neg_lo:[0,0,1] neg_hi:[0,0,1]
	v_pk_fma_f32 v[4:5], v[14:15], v[224:225], v[4:5] op_sel_hi:[1,0,1]
	s_nop 0
	v_mov_b32_e32 v7, v5
	scratch_load_dwordx2 v[4:5], off, off offset:64
	v_pk_add_f32 v[2:3], v[2:3], v[6:7]
	s_waitcnt vmcnt(0)
	v_pk_add_f32 v[2:3], v[4:5], v[2:3] neg_lo:[0,1] neg_hi:[0,1]
	scratch_store_dwordx2 off, v[2:3], off offset:64
	s_and_saveexec_b64 s[0:1], vcc
	s_cbranch_execz .LBB61_371
; %bb.370:
	scratch_load_dwordx2 v[2:3], off, off offset:56
	v_mov_b32_e32 v169, v168
	scratch_store_dwordx2 off, v[168:169], off offset:56
	s_waitcnt vmcnt(1)
	ds_write_b64 v1, v[2:3]
.LBB61_371:
	s_or_b64 exec, exec, s[0:1]
	s_waitcnt lgkmcnt(0)
	; wave barrier
	ds_read_b128 v[14:17], v168 offset:560
	ds_read_b128 v[10:13], v168 offset:576
	;; [unrolled: 1-line block ×4, first 2 shown]
	scratch_load_dwordx4 v[18:21], off, off offset:64
	scratch_load_dwordx4 v[38:41], off, off offset:128
	scratch_load_dwordx4 v[70:73], off, off offset:192
	scratch_load_dwordx4 v[78:81], off, off offset:208
	scratch_load_dwordx4 v[86:89], off, off offset:224
	scratch_load_dwordx4 v[94:97], off, off offset:240
	scratch_load_dwordx4 v[102:105], off, off offset:256
	scratch_load_dwordx4 v[110:113], off, off offset:272
	scratch_load_dwordx4 v[118:121], off, off offset:288
	scratch_load_dwordx4 v[126:129], off, off offset:304
	scratch_load_dwordx4 v[134:137], off, off offset:320
	scratch_load_dwordx4 v[142:145], off, off offset:336
	scratch_load_dwordx4 v[170:173], off, off offset:352
	scratch_load_dwordx4 v[178:181], off, off offset:368
	scratch_load_dwordx4 v[186:189], off, off offset:384
	scratch_load_dwordx4 v[194:197], off, off offset:400
	scratch_load_dwordx4 v[202:205], off, off offset:416
	v_cmp_lt_u32_e32 vcc, 6, v0
	scratch_load_dwordx4 v[46:49], off, off offset:144
	scratch_load_dwordx4 v[54:57], off, off offset:160
	;; [unrolled: 1-line block ×3, first 2 shown]
	s_waitcnt vmcnt(19) lgkmcnt(3)
	v_mul_f32_e32 v22, v14, v19
	v_fmac_f32_e32 v22, v15, v18
	v_mul_f32_e32 v23, v16, v21
	v_add_f32_e32 v22, 0, v22
	v_fmac_f32_e32 v23, v17, v20
	v_add_f32_e32 v26, v22, v23
	scratch_load_dwordx4 v[22:25], off, off offset:80
	v_mul_f32_e32 v15, v15, v19
	v_fma_f32 v14, v14, v18, -v15
	v_mul_f32_e32 v15, v17, v21
	v_add_f32_e32 v14, 0, v14
	v_fma_f32 v15, v16, v20, -v15
	v_add_f32_e32 v14, v14, v15
	s_waitcnt vmcnt(0) lgkmcnt(2)
	v_mul_f32_e32 v27, v10, v23
	v_fmac_f32_e32 v27, v11, v22
	v_add_f32_e32 v26, v26, v27
	v_mul_f32_e32 v27, v12, v25
	v_fmac_f32_e32 v27, v13, v24
	v_add_f32_e32 v30, v26, v27
	scratch_load_dwordx4 v[26:29], off, off offset:96
	v_mul_f32_e32 v11, v11, v23
	v_fma_f32 v10, v10, v22, -v11
	v_mul_f32_e32 v11, v13, v25
	v_add_f32_e32 v10, v14, v10
	v_fma_f32 v11, v12, v24, -v11
	v_add_f32_e32 v10, v10, v11
	s_waitcnt vmcnt(0) lgkmcnt(1)
	v_mul_f32_e32 v31, v6, v27
	v_fmac_f32_e32 v31, v7, v26
	v_add_f32_e32 v30, v30, v31
	v_mul_f32_e32 v31, v8, v29
	;; [unrolled: 14-line block ×3, first 2 shown]
	v_fmac_f32_e32 v35, v5, v32
	v_add_f32_e32 v42, v34, v35
	ds_read_b128 v[34:37], v168 offset:624
	v_mul_f32_e32 v3, v3, v31
	v_fma_f32 v2, v2, v30, -v3
	v_mul_f32_e32 v3, v5, v33
	v_add_f32_e32 v2, v6, v2
	s_waitcnt lgkmcnt(0)
	v_mul_f32_e32 v43, v34, v39
	v_fmac_f32_e32 v43, v35, v38
	v_add_f32_e32 v42, v42, v43
	v_mul_f32_e32 v43, v36, v41
	v_fmac_f32_e32 v43, v37, v40
	v_add_f32_e32 v50, v42, v43
	ds_read_b128 v[42:45], v168 offset:640
	v_fma_f32 v3, v4, v32, -v3
	v_add_f32_e32 v2, v2, v3
	v_mul_f32_e32 v3, v35, v39
	v_fma_f32 v3, v34, v38, -v3
	s_waitcnt lgkmcnt(0)
	v_mul_f32_e32 v51, v42, v47
	v_fmac_f32_e32 v51, v43, v46
	v_add_f32_e32 v50, v50, v51
	v_mul_f32_e32 v51, v44, v49
	v_fmac_f32_e32 v51, v45, v48
	v_add_f32_e32 v58, v50, v51
	ds_read_b128 v[50:53], v168 offset:656
	v_add_f32_e32 v2, v2, v3
	v_mul_f32_e32 v3, v37, v41
	v_fma_f32 v3, v36, v40, -v3
	v_add_f32_e32 v2, v2, v3
	s_waitcnt lgkmcnt(0)
	v_mul_f32_e32 v59, v50, v55
	v_fmac_f32_e32 v59, v51, v54
	v_add_f32_e32 v58, v58, v59
	v_mul_f32_e32 v59, v52, v57
	v_fmac_f32_e32 v59, v53, v56
	v_add_f32_e32 v66, v58, v59
	ds_read_b128 v[58:61], v168 offset:672
	v_mul_f32_e32 v3, v43, v47
	v_fma_f32 v3, v42, v46, -v3
	v_add_f32_e32 v2, v2, v3
	v_mul_f32_e32 v3, v45, v49
	s_waitcnt lgkmcnt(0)
	v_mul_f32_e32 v67, v58, v63
	v_fmac_f32_e32 v67, v59, v62
	v_add_f32_e32 v66, v66, v67
	v_mul_f32_e32 v67, v60, v65
	v_fmac_f32_e32 v67, v61, v64
	v_add_f32_e32 v74, v66, v67
	ds_read_b128 v[66:69], v168 offset:688
	v_fma_f32 v3, v44, v48, -v3
	v_add_f32_e32 v2, v2, v3
	v_mul_f32_e32 v3, v51, v55
	v_fma_f32 v3, v50, v54, -v3
	s_waitcnt lgkmcnt(0)
	v_mul_f32_e32 v75, v66, v71
	v_fmac_f32_e32 v75, v67, v70
	v_add_f32_e32 v74, v74, v75
	v_mul_f32_e32 v75, v68, v73
	v_fmac_f32_e32 v75, v69, v72
	v_add_f32_e32 v82, v74, v75
	ds_read_b128 v[74:77], v168 offset:704
	v_add_f32_e32 v2, v2, v3
	v_mul_f32_e32 v3, v53, v57
	v_fma_f32 v3, v52, v56, -v3
	v_add_f32_e32 v2, v2, v3
	s_waitcnt lgkmcnt(0)
	v_mul_f32_e32 v83, v74, v79
	v_fmac_f32_e32 v83, v75, v78
	v_add_f32_e32 v82, v82, v83
	v_mul_f32_e32 v83, v76, v81
	v_fmac_f32_e32 v83, v77, v80
	v_add_f32_e32 v90, v82, v83
	ds_read_b128 v[82:85], v168 offset:720
	v_mul_f32_e32 v3, v59, v63
	v_fma_f32 v3, v58, v62, -v3
	v_add_f32_e32 v2, v2, v3
	v_mul_f32_e32 v3, v61, v65
	;; [unrolled: 36-line block ×5, first 2 shown]
	s_waitcnt lgkmcnt(0)
	v_mul_f32_e32 v182, v174, v179
	v_fmac_f32_e32 v182, v175, v178
	v_add_f32_e32 v169, v169, v182
	v_mul_f32_e32 v182, v176, v181
	v_fmac_f32_e32 v182, v177, v180
	v_add_f32_e32 v169, v169, v182
	ds_read_b128 v[182:185], v168 offset:880
	v_fma_f32 v3, v108, v112, -v3
	v_add_f32_e32 v2, v2, v3
	v_mul_f32_e32 v3, v115, v119
	v_fma_f32 v3, v114, v118, -v3
	s_waitcnt lgkmcnt(0)
	v_mul_f32_e32 v190, v182, v187
	v_fmac_f32_e32 v190, v183, v186
	v_add_f32_e32 v169, v169, v190
	v_mul_f32_e32 v190, v184, v189
	v_fmac_f32_e32 v190, v185, v188
	v_add_f32_e32 v169, v169, v190
	ds_read_b128 v[190:193], v168 offset:896
	v_add_f32_e32 v2, v2, v3
	v_mul_f32_e32 v3, v117, v121
	v_fma_f32 v3, v116, v120, -v3
	v_add_f32_e32 v2, v2, v3
	s_waitcnt lgkmcnt(0)
	v_mul_f32_e32 v198, v190, v195
	v_fmac_f32_e32 v198, v191, v194
	v_add_f32_e32 v169, v169, v198
	v_mul_f32_e32 v198, v192, v197
	v_fmac_f32_e32 v198, v193, v196
	v_add_f32_e32 v223, v169, v198
	ds_read_b128 v[198:201], v168 offset:912
	scratch_load_dwordx4 v[206:209], off, off offset:432
	scratch_load_dwordx4 v[210:213], off, off offset:448
	;; [unrolled: 1-line block ×4, first 2 shown]
	v_mul_f32_e32 v3, v123, v127
	v_fma_f32 v3, v122, v126, -v3
	v_add_f32_e32 v2, v2, v3
	v_mul_f32_e32 v3, v125, v129
	v_fma_f32 v3, v124, v128, -v3
	v_add_f32_e32 v2, v2, v3
	;; [unrolled: 3-line block ×14, first 2 shown]
	s_waitcnt lgkmcnt(0)
	v_mul_f32_e32 v2, v199, v203
	v_fma_f32 v224, v198, v202, -v2
	v_mul_f32_e32 v2, v201, v205
	v_fma_f32 v226, v200, v204, -v2
	ds_read_b128 v[2:5], v168 offset:928
	ds_read_b128 v[6:9], v168 offset:944
	;; [unrolled: 1-line block ×4, first 2 shown]
	v_mul_f32_e32 v225, v198, v203
	v_fmac_f32_e32 v225, v199, v202
	v_mul_f32_e32 v227, v200, v205
	v_fmac_f32_e32 v227, v201, v204
	v_pk_add_f32 v[18:19], v[222:223], v[224:225]
	s_waitcnt vmcnt(3) lgkmcnt(3)
	v_pk_mul_f32 v[20:21], v[2:3], v[206:207] op_sel:[1,1] op_sel_hi:[0,1]
	v_pk_fma_f32 v[22:23], v[2:3], v[206:207], v[20:21] neg_lo:[0,0,1] neg_hi:[0,0,1]
	v_pk_fma_f32 v[2:3], v[2:3], v[206:207], v[20:21] op_sel_hi:[1,0,1]
	v_pk_add_f32 v[18:19], v[18:19], v[226:227]
	v_mov_b32_e32 v23, v3
	v_pk_add_f32 v[2:3], v[18:19], v[22:23]
	v_mov_b32_e32 v18, v209
	v_pk_mul_f32 v[18:19], v[4:5], v[18:19] op_sel:[1,0] op_sel_hi:[0,0]
	v_pk_fma_f32 v[20:21], v[4:5], v[208:209], v[18:19] neg_lo:[0,0,1] neg_hi:[0,0,1]
	v_pk_fma_f32 v[4:5], v[4:5], v[208:209], v[18:19] op_sel_hi:[1,0,1]
	s_nop 0
	v_mov_b32_e32 v21, v5
	s_waitcnt vmcnt(2) lgkmcnt(2)
	v_pk_mul_f32 v[4:5], v[6:7], v[210:211] op_sel:[1,1] op_sel_hi:[0,1]
	v_pk_fma_f32 v[18:19], v[6:7], v[210:211], v[4:5] neg_lo:[0,0,1] neg_hi:[0,0,1]
	v_pk_fma_f32 v[4:5], v[6:7], v[210:211], v[4:5] op_sel_hi:[1,0,1]
	v_pk_add_f32 v[2:3], v[2:3], v[20:21]
	v_mov_b32_e32 v4, v213
	v_mov_b32_e32 v19, v5
	v_pk_mul_f32 v[4:5], v[8:9], v[4:5] op_sel:[1,0] op_sel_hi:[0,0]
	v_pk_fma_f32 v[6:7], v[8:9], v[212:213], v[4:5] neg_lo:[0,0,1] neg_hi:[0,0,1]
	v_pk_fma_f32 v[4:5], v[8:9], v[212:213], v[4:5] op_sel_hi:[1,0,1]
	v_pk_add_f32 v[2:3], v[2:3], v[18:19]
	v_mov_b32_e32 v7, v5
	s_waitcnt vmcnt(1) lgkmcnt(1)
	v_pk_mul_f32 v[4:5], v[10:11], v[214:215] op_sel:[1,1] op_sel_hi:[0,1]
	v_pk_add_f32 v[2:3], v[2:3], v[6:7]
	v_pk_fma_f32 v[6:7], v[10:11], v[214:215], v[4:5] neg_lo:[0,0,1] neg_hi:[0,0,1]
	v_pk_fma_f32 v[4:5], v[10:11], v[214:215], v[4:5] op_sel_hi:[1,0,1]
	s_nop 0
	v_mov_b32_e32 v4, v217
	v_mov_b32_e32 v7, v5
	v_pk_mul_f32 v[4:5], v[12:13], v[4:5] op_sel:[1,0] op_sel_hi:[0,0]
	v_pk_add_f32 v[2:3], v[2:3], v[6:7]
	v_pk_fma_f32 v[6:7], v[12:13], v[216:217], v[4:5] neg_lo:[0,0,1] neg_hi:[0,0,1]
	v_pk_fma_f32 v[4:5], v[12:13], v[216:217], v[4:5] op_sel_hi:[1,0,1]
	s_nop 0
	v_mov_b32_e32 v7, v5
	s_waitcnt vmcnt(0) lgkmcnt(0)
	v_pk_mul_f32 v[4:5], v[14:15], v[218:219] op_sel:[1,1] op_sel_hi:[0,1]
	v_pk_add_f32 v[2:3], v[2:3], v[6:7]
	v_pk_fma_f32 v[6:7], v[14:15], v[218:219], v[4:5] neg_lo:[0,0,1] neg_hi:[0,0,1]
	v_pk_fma_f32 v[4:5], v[14:15], v[218:219], v[4:5] op_sel_hi:[1,0,1]
	s_nop 0
	v_mov_b32_e32 v4, v221
	v_mov_b32_e32 v7, v5
	v_pk_mul_f32 v[4:5], v[16:17], v[4:5] op_sel:[1,0] op_sel_hi:[0,0]
	v_pk_add_f32 v[2:3], v[2:3], v[6:7]
	v_pk_fma_f32 v[6:7], v[16:17], v[220:221], v[4:5] neg_lo:[0,0,1] neg_hi:[0,0,1]
	v_pk_fma_f32 v[4:5], v[16:17], v[220:221], v[4:5] op_sel_hi:[1,0,1]
	s_nop 0
	v_mov_b32_e32 v7, v5
	scratch_load_dwordx2 v[4:5], off, off offset:56
	v_pk_add_f32 v[2:3], v[2:3], v[6:7]
	s_waitcnt vmcnt(0)
	v_pk_add_f32 v[2:3], v[4:5], v[2:3] neg_lo:[0,1] neg_hi:[0,1]
	scratch_store_dwordx2 off, v[2:3], off offset:56
	s_and_saveexec_b64 s[0:1], vcc
	s_cbranch_execz .LBB61_373
; %bb.372:
	scratch_load_dwordx2 v[2:3], off, off offset:48
	v_mov_b32_e32 v4, 0
	v_mov_b32_e32 v5, v4
	scratch_store_dwordx2 off, v[4:5], off offset:48
	s_waitcnt vmcnt(1)
	ds_write_b64 v1, v[2:3]
.LBB61_373:
	s_or_b64 exec, exec, s[0:1]
	s_waitcnt lgkmcnt(0)
	; wave barrier
	scratch_load_dwordx4 v[6:9], off, off offset:56
	scratch_load_dwordx4 v[14:17], off, off offset:72
	scratch_load_dwordx4 v[22:25], off, off offset:88
	scratch_load_dwordx4 v[30:33], off, off offset:104
	scratch_load_dwordx4 v[38:41], off, off offset:120
	scratch_load_dwordx4 v[46:49], off, off offset:136
	scratch_load_dwordx4 v[54:57], off, off offset:152
	scratch_load_dwordx4 v[62:65], off, off offset:168
	scratch_load_dwordx4 v[70:73], off, off offset:184
	scratch_load_dwordx4 v[78:81], off, off offset:200
	v_mov_b32_e32 v168, 0
	ds_read2_b64 v[2:5], v168 offset0:69 offset1:70
	scratch_load_dwordx4 v[86:89], off, off offset:216
	scratch_load_dwordx4 v[94:97], off, off offset:232
	;; [unrolled: 1-line block ×14, first 2 shown]
	v_cmp_lt_u32_e32 vcc, 5, v0
	s_waitcnt vmcnt(23) lgkmcnt(0)
	v_mul_f32_e32 v10, v2, v7
	v_fmac_f32_e32 v10, v3, v6
	v_mul_f32_e32 v11, v4, v9
	v_add_f32_e32 v10, 0, v10
	v_fmac_f32_e32 v11, v5, v8
	v_add_f32_e32 v18, v10, v11
	ds_read2_b64 v[10:13], v168 offset0:71 offset1:72
	v_mul_f32_e32 v3, v3, v7
	v_fma_f32 v2, v2, v6, -v3
	v_mul_f32_e32 v3, v5, v9
	v_add_f32_e32 v2, 0, v2
	s_waitcnt vmcnt(22) lgkmcnt(0)
	v_mul_f32_e32 v19, v10, v15
	v_fmac_f32_e32 v19, v11, v14
	v_add_f32_e32 v18, v18, v19
	v_mul_f32_e32 v19, v12, v17
	v_fmac_f32_e32 v19, v13, v16
	v_add_f32_e32 v26, v18, v19
	ds_read2_b64 v[18:21], v168 offset0:73 offset1:74
	v_fma_f32 v3, v4, v8, -v3
	v_add_f32_e32 v2, v2, v3
	v_mul_f32_e32 v3, v11, v15
	v_fma_f32 v3, v10, v14, -v3
	s_waitcnt vmcnt(21) lgkmcnt(0)
	v_mul_f32_e32 v27, v18, v23
	v_fmac_f32_e32 v27, v19, v22
	v_add_f32_e32 v26, v26, v27
	v_mul_f32_e32 v27, v20, v25
	v_fmac_f32_e32 v27, v21, v24
	v_add_f32_e32 v34, v26, v27
	ds_read2_b64 v[26:29], v168 offset0:75 offset1:76
	v_add_f32_e32 v2, v2, v3
	v_mul_f32_e32 v3, v13, v17
	v_fma_f32 v3, v12, v16, -v3
	v_add_f32_e32 v2, v2, v3
	s_waitcnt vmcnt(20) lgkmcnt(0)
	v_mul_f32_e32 v35, v26, v31
	v_fmac_f32_e32 v35, v27, v30
	v_add_f32_e32 v34, v34, v35
	v_mul_f32_e32 v35, v28, v33
	v_fmac_f32_e32 v35, v29, v32
	v_add_f32_e32 v42, v34, v35
	ds_read2_b64 v[34:37], v168 offset0:77 offset1:78
	v_mul_f32_e32 v3, v19, v23
	v_fma_f32 v3, v18, v22, -v3
	v_add_f32_e32 v2, v2, v3
	v_mul_f32_e32 v3, v21, v25
	s_waitcnt vmcnt(19) lgkmcnt(0)
	v_mul_f32_e32 v43, v34, v39
	v_fmac_f32_e32 v43, v35, v38
	v_add_f32_e32 v42, v42, v43
	v_mul_f32_e32 v43, v36, v41
	v_fmac_f32_e32 v43, v37, v40
	v_add_f32_e32 v50, v42, v43
	ds_read2_b64 v[42:45], v168 offset0:79 offset1:80
	v_fma_f32 v3, v20, v24, -v3
	v_add_f32_e32 v2, v2, v3
	v_mul_f32_e32 v3, v27, v31
	v_fma_f32 v3, v26, v30, -v3
	s_waitcnt vmcnt(18) lgkmcnt(0)
	v_mul_f32_e32 v51, v42, v47
	v_fmac_f32_e32 v51, v43, v46
	v_add_f32_e32 v50, v50, v51
	v_mul_f32_e32 v51, v44, v49
	v_fmac_f32_e32 v51, v45, v48
	v_add_f32_e32 v58, v50, v51
	ds_read2_b64 v[50:53], v168 offset0:81 offset1:82
	v_add_f32_e32 v2, v2, v3
	v_mul_f32_e32 v3, v29, v33
	v_fma_f32 v3, v28, v32, -v3
	v_add_f32_e32 v2, v2, v3
	s_waitcnt vmcnt(17) lgkmcnt(0)
	v_mul_f32_e32 v59, v50, v55
	v_fmac_f32_e32 v59, v51, v54
	v_add_f32_e32 v58, v58, v59
	v_mul_f32_e32 v59, v52, v57
	v_fmac_f32_e32 v59, v53, v56
	v_add_f32_e32 v66, v58, v59
	ds_read2_b64 v[58:61], v168 offset0:83 offset1:84
	v_mul_f32_e32 v3, v35, v39
	v_fma_f32 v3, v34, v38, -v3
	v_add_f32_e32 v2, v2, v3
	v_mul_f32_e32 v3, v37, v41
	;; [unrolled: 36-line block ×7, first 2 shown]
	s_waitcnt vmcnt(1) lgkmcnt(0)
	v_mul_f32_e32 v206, v198, v203
	v_fmac_f32_e32 v206, v199, v202
	v_add_f32_e32 v227, v169, v206
	ds_read2_b64 v[206:209], v168 offset0:115 offset1:116
	scratch_load_dwordx4 v[214:217], off, off offset:440
	scratch_load_dwordx4 v[218:221], off, off offset:456
	;; [unrolled: 1-line block ×3, first 2 shown]
	scratch_load_dwordx2 v[232:233], off, off offset:488
	v_fma_f32 v3, v116, v120, -v3
	v_add_f32_e32 v2, v2, v3
	v_mul_f32_e32 v3, v123, v127
	v_fma_f32 v3, v122, v126, -v3
	v_add_f32_e32 v2, v2, v3
	v_mul_f32_e32 v3, v125, v129
	;; [unrolled: 3-line block ×16, first 2 shown]
	v_mul_f32_e32 v229, v200, v205
	v_fma_f32 v228, v200, v204, -v2
	s_waitcnt vmcnt(4) lgkmcnt(0)
	v_mul_f32_e32 v2, v207, v211
	v_mov_b32_e32 v18, v213
	v_fmac_f32_e32 v229, v201, v204
	v_mul_f32_e32 v231, v206, v211
	v_fma_f32 v230, v206, v210, -v2
	ds_read2_b64 v[2:5], v168 offset0:117 offset1:118
	ds_read2_b64 v[6:9], v168 offset0:119 offset1:120
	;; [unrolled: 1-line block ×3, first 2 shown]
	ds_read_b64 v[14:15], v168 offset:984
	v_pk_mul_f32 v[18:19], v[208:209], v[18:19] op_sel:[1,0] op_sel_hi:[0,0]
	v_fmac_f32_e32 v231, v207, v210
	v_pk_add_f32 v[16:17], v[226:227], v[228:229]
	v_pk_fma_f32 v[20:21], v[208:209], v[212:213], v[18:19] neg_lo:[0,0,1] neg_hi:[0,0,1]
	v_pk_fma_f32 v[18:19], v[208:209], v[212:213], v[18:19] op_sel_hi:[1,0,1]
	v_pk_add_f32 v[16:17], v[16:17], v[230:231]
	v_mov_b32_e32 v21, v19
	v_pk_add_f32 v[16:17], v[16:17], v[20:21]
	s_waitcnt vmcnt(3) lgkmcnt(3)
	v_pk_mul_f32 v[18:19], v[2:3], v[214:215] op_sel:[1,1] op_sel_hi:[0,1]
	v_pk_fma_f32 v[20:21], v[2:3], v[214:215], v[18:19] neg_lo:[0,0,1] neg_hi:[0,0,1]
	v_pk_fma_f32 v[2:3], v[2:3], v[214:215], v[18:19] op_sel_hi:[1,0,1]
	s_nop 0
	v_mov_b32_e32 v21, v3
	v_pk_add_f32 v[2:3], v[16:17], v[20:21]
	v_mov_b32_e32 v16, v217
	v_pk_mul_f32 v[16:17], v[4:5], v[16:17] op_sel:[1,0] op_sel_hi:[0,0]
	v_pk_fma_f32 v[18:19], v[4:5], v[216:217], v[16:17] neg_lo:[0,0,1] neg_hi:[0,0,1]
	v_pk_fma_f32 v[4:5], v[4:5], v[216:217], v[16:17] op_sel_hi:[1,0,1]
	s_nop 0
	v_mov_b32_e32 v19, v5
	s_waitcnt vmcnt(2) lgkmcnt(2)
	v_pk_mul_f32 v[4:5], v[6:7], v[218:219] op_sel:[1,1] op_sel_hi:[0,1]
	v_pk_fma_f32 v[16:17], v[6:7], v[218:219], v[4:5] neg_lo:[0,0,1] neg_hi:[0,0,1]
	v_pk_fma_f32 v[4:5], v[6:7], v[218:219], v[4:5] op_sel_hi:[1,0,1]
	v_pk_add_f32 v[2:3], v[2:3], v[18:19]
	v_mov_b32_e32 v4, v221
	v_mov_b32_e32 v17, v5
	v_pk_mul_f32 v[4:5], v[8:9], v[4:5] op_sel:[1,0] op_sel_hi:[0,0]
	v_pk_fma_f32 v[6:7], v[8:9], v[220:221], v[4:5] neg_lo:[0,0,1] neg_hi:[0,0,1]
	v_pk_fma_f32 v[4:5], v[8:9], v[220:221], v[4:5] op_sel_hi:[1,0,1]
	v_pk_add_f32 v[2:3], v[2:3], v[16:17]
	v_mov_b32_e32 v7, v5
	s_waitcnt vmcnt(1) lgkmcnt(1)
	v_pk_mul_f32 v[4:5], v[10:11], v[222:223] op_sel:[1,1] op_sel_hi:[0,1]
	v_pk_add_f32 v[2:3], v[2:3], v[6:7]
	v_pk_fma_f32 v[6:7], v[10:11], v[222:223], v[4:5] neg_lo:[0,0,1] neg_hi:[0,0,1]
	v_pk_fma_f32 v[4:5], v[10:11], v[222:223], v[4:5] op_sel_hi:[1,0,1]
	s_nop 0
	v_mov_b32_e32 v4, v225
	v_mov_b32_e32 v7, v5
	v_pk_mul_f32 v[4:5], v[12:13], v[4:5] op_sel:[1,0] op_sel_hi:[0,0]
	v_pk_add_f32 v[2:3], v[2:3], v[6:7]
	v_pk_fma_f32 v[6:7], v[12:13], v[224:225], v[4:5] neg_lo:[0,0,1] neg_hi:[0,0,1]
	v_pk_fma_f32 v[4:5], v[12:13], v[224:225], v[4:5] op_sel_hi:[1,0,1]
	s_nop 0
	v_mov_b32_e32 v7, v5
	s_waitcnt vmcnt(0) lgkmcnt(0)
	v_pk_mul_f32 v[4:5], v[14:15], v[232:233] op_sel:[1,1] op_sel_hi:[0,1]
	v_pk_add_f32 v[2:3], v[2:3], v[6:7]
	v_pk_fma_f32 v[6:7], v[14:15], v[232:233], v[4:5] neg_lo:[0,0,1] neg_hi:[0,0,1]
	v_pk_fma_f32 v[4:5], v[14:15], v[232:233], v[4:5] op_sel_hi:[1,0,1]
	s_nop 0
	v_mov_b32_e32 v7, v5
	scratch_load_dwordx2 v[4:5], off, off offset:48
	v_pk_add_f32 v[2:3], v[2:3], v[6:7]
	s_waitcnt vmcnt(0)
	v_pk_add_f32 v[2:3], v[4:5], v[2:3] neg_lo:[0,1] neg_hi:[0,1]
	scratch_store_dwordx2 off, v[2:3], off offset:48
	s_and_saveexec_b64 s[0:1], vcc
	s_cbranch_execz .LBB61_375
; %bb.374:
	scratch_load_dwordx2 v[2:3], off, off offset:40
	v_mov_b32_e32 v169, v168
	scratch_store_dwordx2 off, v[168:169], off offset:40
	s_waitcnt vmcnt(1)
	ds_write_b64 v1, v[2:3]
.LBB61_375:
	s_or_b64 exec, exec, s[0:1]
	s_waitcnt lgkmcnt(0)
	; wave barrier
	ds_read_b128 v[14:17], v168 offset:544
	ds_read_b128 v[10:13], v168 offset:560
	;; [unrolled: 1-line block ×4, first 2 shown]
	scratch_load_dwordx4 v[18:21], off, off offset:48
	scratch_load_dwordx4 v[38:41], off, off offset:112
	;; [unrolled: 1-line block ×18, first 2 shown]
	v_cmp_lt_u32_e32 vcc, 4, v0
	scratch_load_dwordx4 v[46:49], off, off offset:128
	scratch_load_dwordx4 v[54:57], off, off offset:144
	;; [unrolled: 1-line block ×3, first 2 shown]
	s_waitcnt vmcnt(20) lgkmcnt(3)
	v_mul_f32_e32 v22, v14, v19
	v_fmac_f32_e32 v22, v15, v18
	v_mul_f32_e32 v23, v16, v21
	v_add_f32_e32 v22, 0, v22
	v_fmac_f32_e32 v23, v17, v20
	v_add_f32_e32 v26, v22, v23
	scratch_load_dwordx4 v[22:25], off, off offset:64
	v_mul_f32_e32 v15, v15, v19
	v_fma_f32 v14, v14, v18, -v15
	v_mul_f32_e32 v15, v17, v21
	v_add_f32_e32 v14, 0, v14
	v_fma_f32 v15, v16, v20, -v15
	v_add_f32_e32 v14, v14, v15
	s_waitcnt vmcnt(0) lgkmcnt(2)
	v_mul_f32_e32 v27, v10, v23
	v_fmac_f32_e32 v27, v11, v22
	v_add_f32_e32 v26, v26, v27
	v_mul_f32_e32 v27, v12, v25
	v_fmac_f32_e32 v27, v13, v24
	v_add_f32_e32 v30, v26, v27
	scratch_load_dwordx4 v[26:29], off, off offset:80
	v_mul_f32_e32 v11, v11, v23
	v_fma_f32 v10, v10, v22, -v11
	v_mul_f32_e32 v11, v13, v25
	v_add_f32_e32 v10, v14, v10
	v_fma_f32 v11, v12, v24, -v11
	v_add_f32_e32 v10, v10, v11
	s_waitcnt vmcnt(0) lgkmcnt(1)
	v_mul_f32_e32 v31, v6, v27
	v_fmac_f32_e32 v31, v7, v26
	v_add_f32_e32 v30, v30, v31
	v_mul_f32_e32 v31, v8, v29
	;; [unrolled: 14-line block ×3, first 2 shown]
	v_fmac_f32_e32 v35, v5, v32
	v_add_f32_e32 v42, v34, v35
	ds_read_b128 v[34:37], v168 offset:608
	v_mul_f32_e32 v3, v3, v31
	v_fma_f32 v2, v2, v30, -v3
	v_mul_f32_e32 v3, v5, v33
	v_add_f32_e32 v2, v6, v2
	s_waitcnt lgkmcnt(0)
	v_mul_f32_e32 v43, v34, v39
	v_fmac_f32_e32 v43, v35, v38
	v_add_f32_e32 v42, v42, v43
	v_mul_f32_e32 v43, v36, v41
	v_fmac_f32_e32 v43, v37, v40
	v_add_f32_e32 v50, v42, v43
	ds_read_b128 v[42:45], v168 offset:624
	v_fma_f32 v3, v4, v32, -v3
	v_add_f32_e32 v2, v2, v3
	v_mul_f32_e32 v3, v35, v39
	v_fma_f32 v3, v34, v38, -v3
	s_waitcnt lgkmcnt(0)
	v_mul_f32_e32 v51, v42, v47
	v_fmac_f32_e32 v51, v43, v46
	v_add_f32_e32 v50, v50, v51
	v_mul_f32_e32 v51, v44, v49
	v_fmac_f32_e32 v51, v45, v48
	v_add_f32_e32 v58, v50, v51
	ds_read_b128 v[50:53], v168 offset:640
	v_add_f32_e32 v2, v2, v3
	v_mul_f32_e32 v3, v37, v41
	v_fma_f32 v3, v36, v40, -v3
	v_add_f32_e32 v2, v2, v3
	s_waitcnt lgkmcnt(0)
	v_mul_f32_e32 v59, v50, v55
	v_fmac_f32_e32 v59, v51, v54
	v_add_f32_e32 v58, v58, v59
	v_mul_f32_e32 v59, v52, v57
	v_fmac_f32_e32 v59, v53, v56
	v_add_f32_e32 v66, v58, v59
	ds_read_b128 v[58:61], v168 offset:656
	v_mul_f32_e32 v3, v43, v47
	v_fma_f32 v3, v42, v46, -v3
	v_add_f32_e32 v2, v2, v3
	v_mul_f32_e32 v3, v45, v49
	s_waitcnt lgkmcnt(0)
	v_mul_f32_e32 v67, v58, v63
	v_fmac_f32_e32 v67, v59, v62
	v_add_f32_e32 v66, v66, v67
	v_mul_f32_e32 v67, v60, v65
	v_fmac_f32_e32 v67, v61, v64
	v_add_f32_e32 v74, v66, v67
	ds_read_b128 v[66:69], v168 offset:672
	v_fma_f32 v3, v44, v48, -v3
	v_add_f32_e32 v2, v2, v3
	v_mul_f32_e32 v3, v51, v55
	v_fma_f32 v3, v50, v54, -v3
	s_waitcnt lgkmcnt(0)
	v_mul_f32_e32 v75, v66, v71
	v_fmac_f32_e32 v75, v67, v70
	v_add_f32_e32 v74, v74, v75
	v_mul_f32_e32 v75, v68, v73
	v_fmac_f32_e32 v75, v69, v72
	v_add_f32_e32 v82, v74, v75
	ds_read_b128 v[74:77], v168 offset:688
	v_add_f32_e32 v2, v2, v3
	v_mul_f32_e32 v3, v53, v57
	v_fma_f32 v3, v52, v56, -v3
	v_add_f32_e32 v2, v2, v3
	s_waitcnt lgkmcnt(0)
	v_mul_f32_e32 v83, v74, v79
	v_fmac_f32_e32 v83, v75, v78
	v_add_f32_e32 v82, v82, v83
	v_mul_f32_e32 v83, v76, v81
	v_fmac_f32_e32 v83, v77, v80
	v_add_f32_e32 v90, v82, v83
	ds_read_b128 v[82:85], v168 offset:704
	v_mul_f32_e32 v3, v59, v63
	v_fma_f32 v3, v58, v62, -v3
	v_add_f32_e32 v2, v2, v3
	v_mul_f32_e32 v3, v61, v65
	;; [unrolled: 36-line block ×6, first 2 shown]
	s_waitcnt lgkmcnt(0)
	v_mul_f32_e32 v206, v198, v203
	v_fmac_f32_e32 v206, v199, v202
	v_add_f32_e32 v169, v169, v206
	v_mul_f32_e32 v206, v200, v205
	v_fmac_f32_e32 v206, v201, v204
	v_add_f32_e32 v231, v169, v206
	ds_read_b128 v[206:209], v168 offset:912
	scratch_load_dwordx4 v[214:217], off, off offset:432
	scratch_load_dwordx4 v[218:221], off, off offset:448
	scratch_load_dwordx4 v[222:225], off, off offset:464
	scratch_load_dwordx4 v[226:229], off, off offset:480
	v_fma_f32 v3, v124, v128, -v3
	v_add_f32_e32 v2, v2, v3
	v_mul_f32_e32 v3, v131, v135
	v_fma_f32 v3, v130, v134, -v3
	v_add_f32_e32 v2, v2, v3
	v_mul_f32_e32 v3, v133, v137
	v_fma_f32 v3, v132, v136, -v3
	v_add_f32_e32 v2, v2, v3
	v_mul_f32_e32 v3, v139, v143
	v_fma_f32 v3, v138, v142, -v3
	v_add_f32_e32 v2, v2, v3
	v_mul_f32_e32 v3, v141, v145
	v_fma_f32 v3, v140, v144, -v3
	v_add_f32_e32 v2, v2, v3
	v_mul_f32_e32 v3, v147, v171
	v_fma_f32 v3, v146, v170, -v3
	v_add_f32_e32 v2, v2, v3
	v_mul_f32_e32 v3, v149, v173
	v_fma_f32 v3, v148, v172, -v3
	v_add_f32_e32 v2, v2, v3
	v_mul_f32_e32 v3, v175, v179
	v_fma_f32 v3, v174, v178, -v3
	v_add_f32_e32 v2, v2, v3
	v_mul_f32_e32 v3, v177, v181
	v_fma_f32 v3, v176, v180, -v3
	v_add_f32_e32 v2, v2, v3
	v_mul_f32_e32 v3, v183, v187
	v_fma_f32 v3, v182, v186, -v3
	v_add_f32_e32 v2, v2, v3
	v_mul_f32_e32 v3, v185, v189
	v_fma_f32 v3, v184, v188, -v3
	v_add_f32_e32 v2, v2, v3
	v_mul_f32_e32 v3, v191, v195
	v_fma_f32 v3, v190, v194, -v3
	v_add_f32_e32 v2, v2, v3
	v_mul_f32_e32 v3, v193, v197
	v_fma_f32 v3, v192, v196, -v3
	v_add_f32_e32 v2, v2, v3
	v_mul_f32_e32 v3, v199, v203
	v_fma_f32 v3, v198, v202, -v3
	v_add_f32_e32 v2, v2, v3
	v_mul_f32_e32 v3, v201, v205
	v_fma_f32 v3, v200, v204, -v3
	v_add_f32_e32 v230, v2, v3
	s_waitcnt lgkmcnt(0)
	v_mul_f32_e32 v2, v207, v211
	v_fma_f32 v232, v206, v210, -v2
	v_mul_f32_e32 v2, v209, v213
	v_fma_f32 v234, v208, v212, -v2
	ds_read_b128 v[2:5], v168 offset:928
	ds_read_b128 v[6:9], v168 offset:944
	;; [unrolled: 1-line block ×4, first 2 shown]
	v_mul_f32_e32 v233, v206, v211
	v_fmac_f32_e32 v233, v207, v210
	v_mul_f32_e32 v235, v208, v213
	v_fmac_f32_e32 v235, v209, v212
	v_pk_add_f32 v[18:19], v[230:231], v[232:233]
	s_waitcnt vmcnt(3) lgkmcnt(3)
	v_pk_mul_f32 v[20:21], v[2:3], v[214:215] op_sel:[1,1] op_sel_hi:[0,1]
	v_pk_fma_f32 v[22:23], v[2:3], v[214:215], v[20:21] neg_lo:[0,0,1] neg_hi:[0,0,1]
	v_pk_fma_f32 v[2:3], v[2:3], v[214:215], v[20:21] op_sel_hi:[1,0,1]
	v_pk_add_f32 v[18:19], v[18:19], v[234:235]
	v_mov_b32_e32 v23, v3
	v_pk_add_f32 v[2:3], v[18:19], v[22:23]
	v_mov_b32_e32 v18, v217
	v_pk_mul_f32 v[18:19], v[4:5], v[18:19] op_sel:[1,0] op_sel_hi:[0,0]
	v_pk_fma_f32 v[20:21], v[4:5], v[216:217], v[18:19] neg_lo:[0,0,1] neg_hi:[0,0,1]
	v_pk_fma_f32 v[4:5], v[4:5], v[216:217], v[18:19] op_sel_hi:[1,0,1]
	s_nop 0
	v_mov_b32_e32 v21, v5
	s_waitcnt vmcnt(2) lgkmcnt(2)
	v_pk_mul_f32 v[4:5], v[6:7], v[218:219] op_sel:[1,1] op_sel_hi:[0,1]
	v_pk_fma_f32 v[18:19], v[6:7], v[218:219], v[4:5] neg_lo:[0,0,1] neg_hi:[0,0,1]
	v_pk_fma_f32 v[4:5], v[6:7], v[218:219], v[4:5] op_sel_hi:[1,0,1]
	v_pk_add_f32 v[2:3], v[2:3], v[20:21]
	v_mov_b32_e32 v4, v221
	v_mov_b32_e32 v19, v5
	v_pk_mul_f32 v[4:5], v[8:9], v[4:5] op_sel:[1,0] op_sel_hi:[0,0]
	v_pk_fma_f32 v[6:7], v[8:9], v[220:221], v[4:5] neg_lo:[0,0,1] neg_hi:[0,0,1]
	v_pk_fma_f32 v[4:5], v[8:9], v[220:221], v[4:5] op_sel_hi:[1,0,1]
	v_pk_add_f32 v[2:3], v[2:3], v[18:19]
	v_mov_b32_e32 v7, v5
	s_waitcnt vmcnt(1) lgkmcnt(1)
	v_pk_mul_f32 v[4:5], v[10:11], v[222:223] op_sel:[1,1] op_sel_hi:[0,1]
	v_pk_add_f32 v[2:3], v[2:3], v[6:7]
	v_pk_fma_f32 v[6:7], v[10:11], v[222:223], v[4:5] neg_lo:[0,0,1] neg_hi:[0,0,1]
	v_pk_fma_f32 v[4:5], v[10:11], v[222:223], v[4:5] op_sel_hi:[1,0,1]
	s_nop 0
	v_mov_b32_e32 v4, v225
	v_mov_b32_e32 v7, v5
	v_pk_mul_f32 v[4:5], v[12:13], v[4:5] op_sel:[1,0] op_sel_hi:[0,0]
	v_pk_add_f32 v[2:3], v[2:3], v[6:7]
	v_pk_fma_f32 v[6:7], v[12:13], v[224:225], v[4:5] neg_lo:[0,0,1] neg_hi:[0,0,1]
	v_pk_fma_f32 v[4:5], v[12:13], v[224:225], v[4:5] op_sel_hi:[1,0,1]
	s_nop 0
	v_mov_b32_e32 v7, v5
	s_waitcnt vmcnt(0) lgkmcnt(0)
	v_pk_mul_f32 v[4:5], v[14:15], v[226:227] op_sel:[1,1] op_sel_hi:[0,1]
	v_pk_add_f32 v[2:3], v[2:3], v[6:7]
	v_pk_fma_f32 v[6:7], v[14:15], v[226:227], v[4:5] neg_lo:[0,0,1] neg_hi:[0,0,1]
	v_pk_fma_f32 v[4:5], v[14:15], v[226:227], v[4:5] op_sel_hi:[1,0,1]
	s_nop 0
	v_mov_b32_e32 v4, v229
	v_mov_b32_e32 v7, v5
	v_pk_mul_f32 v[4:5], v[16:17], v[4:5] op_sel:[1,0] op_sel_hi:[0,0]
	v_pk_add_f32 v[2:3], v[2:3], v[6:7]
	v_pk_fma_f32 v[6:7], v[16:17], v[228:229], v[4:5] neg_lo:[0,0,1] neg_hi:[0,0,1]
	v_pk_fma_f32 v[4:5], v[16:17], v[228:229], v[4:5] op_sel_hi:[1,0,1]
	s_nop 0
	v_mov_b32_e32 v7, v5
	scratch_load_dwordx2 v[4:5], off, off offset:40
	v_pk_add_f32 v[2:3], v[2:3], v[6:7]
	s_waitcnt vmcnt(0)
	v_pk_add_f32 v[2:3], v[4:5], v[2:3] neg_lo:[0,1] neg_hi:[0,1]
	scratch_store_dwordx2 off, v[2:3], off offset:40
	s_and_saveexec_b64 s[0:1], vcc
	s_cbranch_execz .LBB61_377
; %bb.376:
	scratch_load_dwordx2 v[2:3], off, off offset:32
	v_mov_b32_e32 v4, 0
	v_mov_b32_e32 v5, v4
	scratch_store_dwordx2 off, v[4:5], off offset:32
	s_waitcnt vmcnt(1)
	ds_write_b64 v1, v[2:3]
.LBB61_377:
	s_or_b64 exec, exec, s[0:1]
	s_waitcnt lgkmcnt(0)
	; wave barrier
	scratch_load_dwordx4 v[6:9], off, off offset:40
	scratch_load_dwordx4 v[14:17], off, off offset:56
	;; [unrolled: 1-line block ×10, first 2 shown]
	v_mov_b32_e32 v168, 0
	ds_read2_b64 v[2:5], v168 offset0:67 offset1:68
	scratch_load_dwordx4 v[86:89], off, off offset:200
	scratch_load_dwordx4 v[94:97], off, off offset:216
	;; [unrolled: 1-line block ×15, first 2 shown]
	v_cmp_lt_u32_e32 vcc, 3, v0
	s_waitcnt vmcnt(24) lgkmcnt(0)
	v_mul_f32_e32 v10, v2, v7
	v_fmac_f32_e32 v10, v3, v6
	v_mul_f32_e32 v11, v4, v9
	v_add_f32_e32 v10, 0, v10
	v_fmac_f32_e32 v11, v5, v8
	v_add_f32_e32 v18, v10, v11
	ds_read2_b64 v[10:13], v168 offset0:69 offset1:70
	v_mul_f32_e32 v3, v3, v7
	v_fma_f32 v2, v2, v6, -v3
	v_mul_f32_e32 v3, v5, v9
	v_add_f32_e32 v2, 0, v2
	s_waitcnt vmcnt(23) lgkmcnt(0)
	v_mul_f32_e32 v19, v10, v15
	v_fmac_f32_e32 v19, v11, v14
	v_add_f32_e32 v18, v18, v19
	v_mul_f32_e32 v19, v12, v17
	v_fmac_f32_e32 v19, v13, v16
	v_add_f32_e32 v26, v18, v19
	ds_read2_b64 v[18:21], v168 offset0:71 offset1:72
	v_fma_f32 v3, v4, v8, -v3
	v_add_f32_e32 v2, v2, v3
	v_mul_f32_e32 v3, v11, v15
	v_fma_f32 v3, v10, v14, -v3
	s_waitcnt vmcnt(22) lgkmcnt(0)
	v_mul_f32_e32 v27, v18, v23
	v_fmac_f32_e32 v27, v19, v22
	v_add_f32_e32 v26, v26, v27
	v_mul_f32_e32 v27, v20, v25
	v_fmac_f32_e32 v27, v21, v24
	v_add_f32_e32 v34, v26, v27
	ds_read2_b64 v[26:29], v168 offset0:73 offset1:74
	v_add_f32_e32 v2, v2, v3
	v_mul_f32_e32 v3, v13, v17
	v_fma_f32 v3, v12, v16, -v3
	v_add_f32_e32 v2, v2, v3
	s_waitcnt vmcnt(21) lgkmcnt(0)
	v_mul_f32_e32 v35, v26, v31
	v_fmac_f32_e32 v35, v27, v30
	v_add_f32_e32 v34, v34, v35
	v_mul_f32_e32 v35, v28, v33
	v_fmac_f32_e32 v35, v29, v32
	v_add_f32_e32 v42, v34, v35
	ds_read2_b64 v[34:37], v168 offset0:75 offset1:76
	v_mul_f32_e32 v3, v19, v23
	v_fma_f32 v3, v18, v22, -v3
	v_add_f32_e32 v2, v2, v3
	v_mul_f32_e32 v3, v21, v25
	s_waitcnt vmcnt(20) lgkmcnt(0)
	v_mul_f32_e32 v43, v34, v39
	v_fmac_f32_e32 v43, v35, v38
	v_add_f32_e32 v42, v42, v43
	v_mul_f32_e32 v43, v36, v41
	v_fmac_f32_e32 v43, v37, v40
	v_add_f32_e32 v50, v42, v43
	ds_read2_b64 v[42:45], v168 offset0:77 offset1:78
	v_fma_f32 v3, v20, v24, -v3
	v_add_f32_e32 v2, v2, v3
	v_mul_f32_e32 v3, v27, v31
	v_fma_f32 v3, v26, v30, -v3
	s_waitcnt vmcnt(19) lgkmcnt(0)
	v_mul_f32_e32 v51, v42, v47
	v_fmac_f32_e32 v51, v43, v46
	v_add_f32_e32 v50, v50, v51
	v_mul_f32_e32 v51, v44, v49
	v_fmac_f32_e32 v51, v45, v48
	v_add_f32_e32 v58, v50, v51
	ds_read2_b64 v[50:53], v168 offset0:79 offset1:80
	v_add_f32_e32 v2, v2, v3
	v_mul_f32_e32 v3, v29, v33
	v_fma_f32 v3, v28, v32, -v3
	v_add_f32_e32 v2, v2, v3
	s_waitcnt vmcnt(18) lgkmcnt(0)
	v_mul_f32_e32 v59, v50, v55
	v_fmac_f32_e32 v59, v51, v54
	v_add_f32_e32 v58, v58, v59
	v_mul_f32_e32 v59, v52, v57
	v_fmac_f32_e32 v59, v53, v56
	v_add_f32_e32 v66, v58, v59
	ds_read2_b64 v[58:61], v168 offset0:81 offset1:82
	v_mul_f32_e32 v3, v35, v39
	v_fma_f32 v3, v34, v38, -v3
	v_add_f32_e32 v2, v2, v3
	v_mul_f32_e32 v3, v37, v41
	;; [unrolled: 36-line block ×7, first 2 shown]
	s_waitcnt vmcnt(2) lgkmcnt(0)
	v_mul_f32_e32 v206, v198, v203
	v_fmac_f32_e32 v206, v199, v202
	v_add_f32_e32 v169, v169, v206
	v_mul_f32_e32 v206, v200, v205
	v_fmac_f32_e32 v206, v201, v204
	v_add_f32_e32 v169, v169, v206
	ds_read2_b64 v[206:209], v168 offset0:113 offset1:114
	v_fma_f32 v3, v116, v120, -v3
	v_add_f32_e32 v2, v2, v3
	v_mul_f32_e32 v3, v123, v127
	v_fma_f32 v3, v122, v126, -v3
	s_waitcnt vmcnt(1) lgkmcnt(0)
	v_mul_f32_e32 v214, v206, v211
	v_fmac_f32_e32 v214, v207, v210
	v_add_f32_e32 v235, v169, v214
	ds_read2_b64 v[214:217], v168 offset0:115 offset1:116
	scratch_load_dwordx4 v[222:225], off, off offset:440
	scratch_load_dwordx4 v[226:229], off, off offset:456
	;; [unrolled: 1-line block ×3, first 2 shown]
	scratch_load_dwordx2 v[240:241], off, off offset:488
	v_add_f32_e32 v2, v2, v3
	v_mul_f32_e32 v3, v125, v129
	v_fma_f32 v3, v124, v128, -v3
	v_add_f32_e32 v2, v2, v3
	v_mul_f32_e32 v3, v131, v135
	v_fma_f32 v3, v130, v134, -v3
	;; [unrolled: 3-line block ×16, first 2 shown]
	v_add_f32_e32 v234, v2, v3
	v_mul_f32_e32 v2, v209, v213
	v_mul_f32_e32 v237, v208, v213
	v_fma_f32 v236, v208, v212, -v2
	s_waitcnt vmcnt(4) lgkmcnt(0)
	v_mul_f32_e32 v2, v215, v219
	v_mov_b32_e32 v18, v221
	v_fmac_f32_e32 v237, v209, v212
	v_mul_f32_e32 v239, v214, v219
	v_fma_f32 v238, v214, v218, -v2
	ds_read2_b64 v[2:5], v168 offset0:117 offset1:118
	ds_read2_b64 v[6:9], v168 offset0:119 offset1:120
	;; [unrolled: 1-line block ×3, first 2 shown]
	ds_read_b64 v[14:15], v168 offset:984
	v_pk_mul_f32 v[18:19], v[216:217], v[18:19] op_sel:[1,0] op_sel_hi:[0,0]
	v_fmac_f32_e32 v239, v215, v218
	v_pk_add_f32 v[16:17], v[234:235], v[236:237]
	v_pk_fma_f32 v[20:21], v[216:217], v[220:221], v[18:19] neg_lo:[0,0,1] neg_hi:[0,0,1]
	v_pk_fma_f32 v[18:19], v[216:217], v[220:221], v[18:19] op_sel_hi:[1,0,1]
	v_pk_add_f32 v[16:17], v[16:17], v[238:239]
	v_mov_b32_e32 v21, v19
	v_pk_add_f32 v[16:17], v[16:17], v[20:21]
	s_waitcnt vmcnt(3) lgkmcnt(3)
	v_pk_mul_f32 v[18:19], v[2:3], v[222:223] op_sel:[1,1] op_sel_hi:[0,1]
	v_pk_fma_f32 v[20:21], v[2:3], v[222:223], v[18:19] neg_lo:[0,0,1] neg_hi:[0,0,1]
	v_pk_fma_f32 v[2:3], v[2:3], v[222:223], v[18:19] op_sel_hi:[1,0,1]
	s_nop 0
	v_mov_b32_e32 v21, v3
	v_pk_add_f32 v[2:3], v[16:17], v[20:21]
	v_mov_b32_e32 v16, v225
	v_pk_mul_f32 v[16:17], v[4:5], v[16:17] op_sel:[1,0] op_sel_hi:[0,0]
	v_pk_fma_f32 v[18:19], v[4:5], v[224:225], v[16:17] neg_lo:[0,0,1] neg_hi:[0,0,1]
	v_pk_fma_f32 v[4:5], v[4:5], v[224:225], v[16:17] op_sel_hi:[1,0,1]
	s_nop 0
	v_mov_b32_e32 v19, v5
	s_waitcnt vmcnt(2) lgkmcnt(2)
	v_pk_mul_f32 v[4:5], v[6:7], v[226:227] op_sel:[1,1] op_sel_hi:[0,1]
	v_pk_fma_f32 v[16:17], v[6:7], v[226:227], v[4:5] neg_lo:[0,0,1] neg_hi:[0,0,1]
	v_pk_fma_f32 v[4:5], v[6:7], v[226:227], v[4:5] op_sel_hi:[1,0,1]
	v_pk_add_f32 v[2:3], v[2:3], v[18:19]
	v_mov_b32_e32 v4, v229
	v_mov_b32_e32 v17, v5
	v_pk_mul_f32 v[4:5], v[8:9], v[4:5] op_sel:[1,0] op_sel_hi:[0,0]
	v_pk_fma_f32 v[6:7], v[8:9], v[228:229], v[4:5] neg_lo:[0,0,1] neg_hi:[0,0,1]
	v_pk_fma_f32 v[4:5], v[8:9], v[228:229], v[4:5] op_sel_hi:[1,0,1]
	v_pk_add_f32 v[2:3], v[2:3], v[16:17]
	v_mov_b32_e32 v7, v5
	s_waitcnt vmcnt(1) lgkmcnt(1)
	v_pk_mul_f32 v[4:5], v[10:11], v[230:231] op_sel:[1,1] op_sel_hi:[0,1]
	v_pk_add_f32 v[2:3], v[2:3], v[6:7]
	v_pk_fma_f32 v[6:7], v[10:11], v[230:231], v[4:5] neg_lo:[0,0,1] neg_hi:[0,0,1]
	v_pk_fma_f32 v[4:5], v[10:11], v[230:231], v[4:5] op_sel_hi:[1,0,1]
	s_nop 0
	v_mov_b32_e32 v4, v233
	v_mov_b32_e32 v7, v5
	v_pk_mul_f32 v[4:5], v[12:13], v[4:5] op_sel:[1,0] op_sel_hi:[0,0]
	v_pk_add_f32 v[2:3], v[2:3], v[6:7]
	v_pk_fma_f32 v[6:7], v[12:13], v[232:233], v[4:5] neg_lo:[0,0,1] neg_hi:[0,0,1]
	v_pk_fma_f32 v[4:5], v[12:13], v[232:233], v[4:5] op_sel_hi:[1,0,1]
	s_nop 0
	v_mov_b32_e32 v7, v5
	s_waitcnt vmcnt(0) lgkmcnt(0)
	v_pk_mul_f32 v[4:5], v[14:15], v[240:241] op_sel:[1,1] op_sel_hi:[0,1]
	v_pk_add_f32 v[2:3], v[2:3], v[6:7]
	v_pk_fma_f32 v[6:7], v[14:15], v[240:241], v[4:5] neg_lo:[0,0,1] neg_hi:[0,0,1]
	v_pk_fma_f32 v[4:5], v[14:15], v[240:241], v[4:5] op_sel_hi:[1,0,1]
	s_nop 0
	v_mov_b32_e32 v7, v5
	scratch_load_dwordx2 v[4:5], off, off offset:32
	v_pk_add_f32 v[2:3], v[2:3], v[6:7]
	s_waitcnt vmcnt(0)
	v_pk_add_f32 v[2:3], v[4:5], v[2:3] neg_lo:[0,1] neg_hi:[0,1]
	scratch_store_dwordx2 off, v[2:3], off offset:32
	s_and_saveexec_b64 s[0:1], vcc
	s_cbranch_execz .LBB61_379
; %bb.378:
	scratch_load_dwordx2 v[2:3], off, off offset:24
	v_mov_b32_e32 v169, v168
	scratch_store_dwordx2 off, v[168:169], off offset:24
	s_waitcnt vmcnt(1)
	ds_write_b64 v1, v[2:3]
.LBB61_379:
	s_or_b64 exec, exec, s[0:1]
	s_waitcnt lgkmcnt(0)
	; wave barrier
	ds_read_b128 v[14:17], v168 offset:528
	ds_read_b128 v[10:13], v168 offset:544
	;; [unrolled: 1-line block ×4, first 2 shown]
	scratch_load_dwordx4 v[18:21], off, off offset:32
	scratch_load_dwordx4 v[38:41], off, off offset:96
	scratch_load_dwordx4 v[70:73], off, off offset:160
	scratch_load_dwordx4 v[78:81], off, off offset:176
	scratch_load_dwordx4 v[86:89], off, off offset:192
	scratch_load_dwordx4 v[94:97], off, off offset:208
	scratch_load_dwordx4 v[102:105], off, off offset:224
	scratch_load_dwordx4 v[110:113], off, off offset:240
	scratch_load_dwordx4 v[118:121], off, off offset:256
	scratch_load_dwordx4 v[126:129], off, off offset:272
	scratch_load_dwordx4 v[134:137], off, off offset:288
	scratch_load_dwordx4 v[142:145], off, off offset:304
	scratch_load_dwordx4 v[170:173], off, off offset:320
	scratch_load_dwordx4 v[178:181], off, off offset:336
	scratch_load_dwordx4 v[186:189], off, off offset:352
	scratch_load_dwordx4 v[194:197], off, off offset:368
	scratch_load_dwordx4 v[202:205], off, off offset:384
	scratch_load_dwordx4 v[210:213], off, off offset:400
	scratch_load_dwordx4 v[218:221], off, off offset:416
	v_cmp_lt_u32_e32 vcc, 2, v0
	scratch_load_dwordx4 v[46:49], off, off offset:112
	scratch_load_dwordx4 v[54:57], off, off offset:128
	;; [unrolled: 1-line block ×3, first 2 shown]
	s_waitcnt vmcnt(21) lgkmcnt(3)
	v_mul_f32_e32 v22, v14, v19
	v_fmac_f32_e32 v22, v15, v18
	v_mul_f32_e32 v23, v16, v21
	v_add_f32_e32 v22, 0, v22
	v_fmac_f32_e32 v23, v17, v20
	v_add_f32_e32 v26, v22, v23
	scratch_load_dwordx4 v[22:25], off, off offset:48
	v_mul_f32_e32 v15, v15, v19
	v_fma_f32 v14, v14, v18, -v15
	v_mul_f32_e32 v15, v17, v21
	v_add_f32_e32 v14, 0, v14
	v_fma_f32 v15, v16, v20, -v15
	v_add_f32_e32 v14, v14, v15
	s_waitcnt vmcnt(0) lgkmcnt(2)
	v_mul_f32_e32 v27, v10, v23
	v_fmac_f32_e32 v27, v11, v22
	v_add_f32_e32 v26, v26, v27
	v_mul_f32_e32 v27, v12, v25
	v_fmac_f32_e32 v27, v13, v24
	v_add_f32_e32 v30, v26, v27
	scratch_load_dwordx4 v[26:29], off, off offset:64
	v_mul_f32_e32 v11, v11, v23
	v_fma_f32 v10, v10, v22, -v11
	v_mul_f32_e32 v11, v13, v25
	v_add_f32_e32 v10, v14, v10
	v_fma_f32 v11, v12, v24, -v11
	v_add_f32_e32 v10, v10, v11
	s_waitcnt vmcnt(0) lgkmcnt(1)
	v_mul_f32_e32 v31, v6, v27
	v_fmac_f32_e32 v31, v7, v26
	v_add_f32_e32 v30, v30, v31
	v_mul_f32_e32 v31, v8, v29
	v_fmac_f32_e32 v31, v9, v28
	v_add_f32_e32 v34, v30, v31
	scratch_load_dwordx4 v[30:33], off, off offset:80
	v_mul_f32_e32 v7, v7, v27
	v_fma_f32 v6, v6, v26, -v7
	v_mul_f32_e32 v7, v9, v29
	v_add_f32_e32 v6, v10, v6
	v_fma_f32 v7, v8, v28, -v7
	v_add_f32_e32 v6, v6, v7
	s_waitcnt vmcnt(0) lgkmcnt(0)
	v_mul_f32_e32 v35, v2, v31
	v_fmac_f32_e32 v35, v3, v30
	v_add_f32_e32 v34, v34, v35
	v_mul_f32_e32 v35, v4, v33
	v_fmac_f32_e32 v35, v5, v32
	v_add_f32_e32 v42, v34, v35
	ds_read_b128 v[34:37], v168 offset:592
	v_mul_f32_e32 v3, v3, v31
	v_fma_f32 v2, v2, v30, -v3
	v_mul_f32_e32 v3, v5, v33
	v_add_f32_e32 v2, v6, v2
	s_waitcnt lgkmcnt(0)
	v_mul_f32_e32 v43, v34, v39
	v_fmac_f32_e32 v43, v35, v38
	v_add_f32_e32 v42, v42, v43
	v_mul_f32_e32 v43, v36, v41
	v_fmac_f32_e32 v43, v37, v40
	v_add_f32_e32 v50, v42, v43
	ds_read_b128 v[42:45], v168 offset:608
	v_fma_f32 v3, v4, v32, -v3
	v_add_f32_e32 v2, v2, v3
	v_mul_f32_e32 v3, v35, v39
	v_fma_f32 v3, v34, v38, -v3
	s_waitcnt lgkmcnt(0)
	v_mul_f32_e32 v51, v42, v47
	v_fmac_f32_e32 v51, v43, v46
	v_add_f32_e32 v50, v50, v51
	v_mul_f32_e32 v51, v44, v49
	v_fmac_f32_e32 v51, v45, v48
	v_add_f32_e32 v58, v50, v51
	ds_read_b128 v[50:53], v168 offset:624
	v_add_f32_e32 v2, v2, v3
	v_mul_f32_e32 v3, v37, v41
	v_fma_f32 v3, v36, v40, -v3
	v_add_f32_e32 v2, v2, v3
	s_waitcnt lgkmcnt(0)
	v_mul_f32_e32 v59, v50, v55
	v_fmac_f32_e32 v59, v51, v54
	v_add_f32_e32 v58, v58, v59
	v_mul_f32_e32 v59, v52, v57
	v_fmac_f32_e32 v59, v53, v56
	v_add_f32_e32 v66, v58, v59
	ds_read_b128 v[58:61], v168 offset:640
	v_mul_f32_e32 v3, v43, v47
	v_fma_f32 v3, v42, v46, -v3
	v_add_f32_e32 v2, v2, v3
	v_mul_f32_e32 v3, v45, v49
	s_waitcnt lgkmcnt(0)
	v_mul_f32_e32 v67, v58, v63
	v_fmac_f32_e32 v67, v59, v62
	v_add_f32_e32 v66, v66, v67
	v_mul_f32_e32 v67, v60, v65
	v_fmac_f32_e32 v67, v61, v64
	v_add_f32_e32 v74, v66, v67
	ds_read_b128 v[66:69], v168 offset:656
	v_fma_f32 v3, v44, v48, -v3
	v_add_f32_e32 v2, v2, v3
	v_mul_f32_e32 v3, v51, v55
	v_fma_f32 v3, v50, v54, -v3
	s_waitcnt lgkmcnt(0)
	v_mul_f32_e32 v75, v66, v71
	v_fmac_f32_e32 v75, v67, v70
	v_add_f32_e32 v74, v74, v75
	v_mul_f32_e32 v75, v68, v73
	v_fmac_f32_e32 v75, v69, v72
	v_add_f32_e32 v82, v74, v75
	ds_read_b128 v[74:77], v168 offset:672
	v_add_f32_e32 v2, v2, v3
	v_mul_f32_e32 v3, v53, v57
	v_fma_f32 v3, v52, v56, -v3
	v_add_f32_e32 v2, v2, v3
	s_waitcnt lgkmcnt(0)
	v_mul_f32_e32 v83, v74, v79
	v_fmac_f32_e32 v83, v75, v78
	v_add_f32_e32 v82, v82, v83
	v_mul_f32_e32 v83, v76, v81
	v_fmac_f32_e32 v83, v77, v80
	v_add_f32_e32 v90, v82, v83
	ds_read_b128 v[82:85], v168 offset:688
	v_mul_f32_e32 v3, v59, v63
	v_fma_f32 v3, v58, v62, -v3
	v_add_f32_e32 v2, v2, v3
	v_mul_f32_e32 v3, v61, v65
	;; [unrolled: 36-line block ×6, first 2 shown]
	s_waitcnt lgkmcnt(0)
	v_mul_f32_e32 v206, v198, v203
	v_fmac_f32_e32 v206, v199, v202
	v_add_f32_e32 v169, v169, v206
	v_mul_f32_e32 v206, v200, v205
	v_fmac_f32_e32 v206, v201, v204
	v_add_f32_e32 v169, v169, v206
	ds_read_b128 v[206:209], v168 offset:896
	v_fma_f32 v3, v124, v128, -v3
	v_add_f32_e32 v2, v2, v3
	v_mul_f32_e32 v3, v131, v135
	v_fma_f32 v3, v130, v134, -v3
	s_waitcnt lgkmcnt(0)
	v_mul_f32_e32 v214, v206, v211
	v_fmac_f32_e32 v214, v207, v210
	v_add_f32_e32 v169, v169, v214
	v_mul_f32_e32 v214, v208, v213
	v_fmac_f32_e32 v214, v209, v212
	v_add_f32_e32 v239, v169, v214
	ds_read_b128 v[214:217], v168 offset:912
	scratch_load_dwordx4 v[222:225], off, off offset:432
	scratch_load_dwordx4 v[226:229], off, off offset:448
	;; [unrolled: 1-line block ×4, first 2 shown]
	v_add_f32_e32 v2, v2, v3
	v_mul_f32_e32 v3, v133, v137
	v_fma_f32 v3, v132, v136, -v3
	v_add_f32_e32 v2, v2, v3
	v_mul_f32_e32 v3, v139, v143
	v_fma_f32 v3, v138, v142, -v3
	;; [unrolled: 3-line block ×15, first 2 shown]
	v_add_f32_e32 v238, v2, v3
	s_waitcnt lgkmcnt(0)
	v_mul_f32_e32 v2, v215, v219
	v_fma_f32 v240, v214, v218, -v2
	v_mul_f32_e32 v2, v217, v221
	v_fma_f32 v242, v216, v220, -v2
	ds_read_b128 v[2:5], v168 offset:928
	ds_read_b128 v[6:9], v168 offset:944
	;; [unrolled: 1-line block ×4, first 2 shown]
	v_mul_f32_e32 v241, v214, v219
	v_fmac_f32_e32 v241, v215, v218
	v_mul_f32_e32 v243, v216, v221
	v_fmac_f32_e32 v243, v217, v220
	v_pk_add_f32 v[18:19], v[238:239], v[240:241]
	s_waitcnt vmcnt(3) lgkmcnt(3)
	v_pk_mul_f32 v[20:21], v[2:3], v[222:223] op_sel:[1,1] op_sel_hi:[0,1]
	v_pk_fma_f32 v[22:23], v[2:3], v[222:223], v[20:21] neg_lo:[0,0,1] neg_hi:[0,0,1]
	v_pk_fma_f32 v[2:3], v[2:3], v[222:223], v[20:21] op_sel_hi:[1,0,1]
	v_pk_add_f32 v[18:19], v[18:19], v[242:243]
	v_mov_b32_e32 v23, v3
	v_pk_add_f32 v[2:3], v[18:19], v[22:23]
	v_mov_b32_e32 v18, v225
	v_pk_mul_f32 v[18:19], v[4:5], v[18:19] op_sel:[1,0] op_sel_hi:[0,0]
	v_pk_fma_f32 v[20:21], v[4:5], v[224:225], v[18:19] neg_lo:[0,0,1] neg_hi:[0,0,1]
	v_pk_fma_f32 v[4:5], v[4:5], v[224:225], v[18:19] op_sel_hi:[1,0,1]
	s_nop 0
	v_mov_b32_e32 v21, v5
	s_waitcnt vmcnt(2) lgkmcnt(2)
	v_pk_mul_f32 v[4:5], v[6:7], v[226:227] op_sel:[1,1] op_sel_hi:[0,1]
	v_pk_fma_f32 v[18:19], v[6:7], v[226:227], v[4:5] neg_lo:[0,0,1] neg_hi:[0,0,1]
	v_pk_fma_f32 v[4:5], v[6:7], v[226:227], v[4:5] op_sel_hi:[1,0,1]
	v_pk_add_f32 v[2:3], v[2:3], v[20:21]
	v_mov_b32_e32 v4, v229
	v_mov_b32_e32 v19, v5
	v_pk_mul_f32 v[4:5], v[8:9], v[4:5] op_sel:[1,0] op_sel_hi:[0,0]
	v_pk_fma_f32 v[6:7], v[8:9], v[228:229], v[4:5] neg_lo:[0,0,1] neg_hi:[0,0,1]
	v_pk_fma_f32 v[4:5], v[8:9], v[228:229], v[4:5] op_sel_hi:[1,0,1]
	v_pk_add_f32 v[2:3], v[2:3], v[18:19]
	v_mov_b32_e32 v7, v5
	s_waitcnt vmcnt(1) lgkmcnt(1)
	v_pk_mul_f32 v[4:5], v[10:11], v[230:231] op_sel:[1,1] op_sel_hi:[0,1]
	v_pk_add_f32 v[2:3], v[2:3], v[6:7]
	v_pk_fma_f32 v[6:7], v[10:11], v[230:231], v[4:5] neg_lo:[0,0,1] neg_hi:[0,0,1]
	v_pk_fma_f32 v[4:5], v[10:11], v[230:231], v[4:5] op_sel_hi:[1,0,1]
	s_nop 0
	v_mov_b32_e32 v4, v233
	v_mov_b32_e32 v7, v5
	v_pk_mul_f32 v[4:5], v[12:13], v[4:5] op_sel:[1,0] op_sel_hi:[0,0]
	v_pk_add_f32 v[2:3], v[2:3], v[6:7]
	v_pk_fma_f32 v[6:7], v[12:13], v[232:233], v[4:5] neg_lo:[0,0,1] neg_hi:[0,0,1]
	v_pk_fma_f32 v[4:5], v[12:13], v[232:233], v[4:5] op_sel_hi:[1,0,1]
	s_nop 0
	v_mov_b32_e32 v7, v5
	s_waitcnt vmcnt(0) lgkmcnt(0)
	v_pk_mul_f32 v[4:5], v[14:15], v[234:235] op_sel:[1,1] op_sel_hi:[0,1]
	v_pk_add_f32 v[2:3], v[2:3], v[6:7]
	v_pk_fma_f32 v[6:7], v[14:15], v[234:235], v[4:5] neg_lo:[0,0,1] neg_hi:[0,0,1]
	v_pk_fma_f32 v[4:5], v[14:15], v[234:235], v[4:5] op_sel_hi:[1,0,1]
	s_nop 0
	v_mov_b32_e32 v4, v237
	v_mov_b32_e32 v7, v5
	v_pk_mul_f32 v[4:5], v[16:17], v[4:5] op_sel:[1,0] op_sel_hi:[0,0]
	v_pk_add_f32 v[2:3], v[2:3], v[6:7]
	v_pk_fma_f32 v[6:7], v[16:17], v[236:237], v[4:5] neg_lo:[0,0,1] neg_hi:[0,0,1]
	v_pk_fma_f32 v[4:5], v[16:17], v[236:237], v[4:5] op_sel_hi:[1,0,1]
	s_nop 0
	v_mov_b32_e32 v7, v5
	scratch_load_dwordx2 v[4:5], off, off offset:24
	v_pk_add_f32 v[2:3], v[2:3], v[6:7]
	s_waitcnt vmcnt(0)
	v_pk_add_f32 v[2:3], v[4:5], v[2:3] neg_lo:[0,1] neg_hi:[0,1]
	scratch_store_dwordx2 off, v[2:3], off offset:24
	s_and_saveexec_b64 s[0:1], vcc
	s_cbranch_execz .LBB61_381
; %bb.380:
	scratch_load_dwordx2 v[2:3], off, off offset:16
	v_mov_b32_e32 v4, 0
	v_mov_b32_e32 v5, v4
	scratch_store_dwordx2 off, v[4:5], off offset:16
	s_waitcnt vmcnt(1)
	ds_write_b64 v1, v[2:3]
.LBB61_381:
	s_or_b64 exec, exec, s[0:1]
	s_waitcnt lgkmcnt(0)
	; wave barrier
	scratch_load_dwordx4 v[6:9], off, off offset:24
	scratch_load_dwordx4 v[14:17], off, off offset:40
	scratch_load_dwordx4 v[22:25], off, off offset:56
	scratch_load_dwordx4 v[30:33], off, off offset:72
	scratch_load_dwordx4 v[38:41], off, off offset:88
	scratch_load_dwordx4 v[46:49], off, off offset:104
	scratch_load_dwordx4 v[54:57], off, off offset:120
	scratch_load_dwordx4 v[62:65], off, off offset:136
	scratch_load_dwordx4 v[70:73], off, off offset:152
	scratch_load_dwordx4 v[78:81], off, off offset:168
	v_mov_b32_e32 v168, 0
	ds_read2_b64 v[2:5], v168 offset0:65 offset1:66
	scratch_load_dwordx4 v[86:89], off, off offset:184
	scratch_load_dwordx4 v[94:97], off, off offset:200
	;; [unrolled: 1-line block ×16, first 2 shown]
	v_cmp_lt_u32_e32 vcc, 1, v0
	s_waitcnt vmcnt(25) lgkmcnt(0)
	v_mul_f32_e32 v10, v2, v7
	v_fmac_f32_e32 v10, v3, v6
	v_mul_f32_e32 v11, v4, v9
	v_add_f32_e32 v10, 0, v10
	v_fmac_f32_e32 v11, v5, v8
	v_add_f32_e32 v18, v10, v11
	ds_read2_b64 v[10:13], v168 offset0:67 offset1:68
	v_mul_f32_e32 v3, v3, v7
	v_fma_f32 v2, v2, v6, -v3
	v_mul_f32_e32 v3, v5, v9
	v_add_f32_e32 v2, 0, v2
	s_waitcnt vmcnt(24) lgkmcnt(0)
	v_mul_f32_e32 v19, v10, v15
	v_fmac_f32_e32 v19, v11, v14
	v_add_f32_e32 v18, v18, v19
	v_mul_f32_e32 v19, v12, v17
	v_fmac_f32_e32 v19, v13, v16
	v_add_f32_e32 v26, v18, v19
	ds_read2_b64 v[18:21], v168 offset0:69 offset1:70
	v_fma_f32 v3, v4, v8, -v3
	v_add_f32_e32 v2, v2, v3
	v_mul_f32_e32 v3, v11, v15
	v_fma_f32 v3, v10, v14, -v3
	s_waitcnt vmcnt(23) lgkmcnt(0)
	v_mul_f32_e32 v27, v18, v23
	v_fmac_f32_e32 v27, v19, v22
	v_add_f32_e32 v26, v26, v27
	v_mul_f32_e32 v27, v20, v25
	v_fmac_f32_e32 v27, v21, v24
	v_add_f32_e32 v34, v26, v27
	ds_read2_b64 v[26:29], v168 offset0:71 offset1:72
	v_add_f32_e32 v2, v2, v3
	v_mul_f32_e32 v3, v13, v17
	v_fma_f32 v3, v12, v16, -v3
	v_add_f32_e32 v2, v2, v3
	s_waitcnt vmcnt(22) lgkmcnt(0)
	v_mul_f32_e32 v35, v26, v31
	v_fmac_f32_e32 v35, v27, v30
	v_add_f32_e32 v34, v34, v35
	v_mul_f32_e32 v35, v28, v33
	v_fmac_f32_e32 v35, v29, v32
	v_add_f32_e32 v42, v34, v35
	ds_read2_b64 v[34:37], v168 offset0:73 offset1:74
	v_mul_f32_e32 v3, v19, v23
	v_fma_f32 v3, v18, v22, -v3
	v_add_f32_e32 v2, v2, v3
	v_mul_f32_e32 v3, v21, v25
	s_waitcnt vmcnt(21) lgkmcnt(0)
	v_mul_f32_e32 v43, v34, v39
	v_fmac_f32_e32 v43, v35, v38
	v_add_f32_e32 v42, v42, v43
	v_mul_f32_e32 v43, v36, v41
	v_fmac_f32_e32 v43, v37, v40
	v_add_f32_e32 v50, v42, v43
	ds_read2_b64 v[42:45], v168 offset0:75 offset1:76
	v_fma_f32 v3, v20, v24, -v3
	v_add_f32_e32 v2, v2, v3
	v_mul_f32_e32 v3, v27, v31
	v_fma_f32 v3, v26, v30, -v3
	s_waitcnt vmcnt(20) lgkmcnt(0)
	v_mul_f32_e32 v51, v42, v47
	v_fmac_f32_e32 v51, v43, v46
	v_add_f32_e32 v50, v50, v51
	v_mul_f32_e32 v51, v44, v49
	v_fmac_f32_e32 v51, v45, v48
	v_add_f32_e32 v58, v50, v51
	ds_read2_b64 v[50:53], v168 offset0:77 offset1:78
	v_add_f32_e32 v2, v2, v3
	v_mul_f32_e32 v3, v29, v33
	v_fma_f32 v3, v28, v32, -v3
	v_add_f32_e32 v2, v2, v3
	s_waitcnt vmcnt(19) lgkmcnt(0)
	v_mul_f32_e32 v59, v50, v55
	v_fmac_f32_e32 v59, v51, v54
	v_add_f32_e32 v58, v58, v59
	v_mul_f32_e32 v59, v52, v57
	v_fmac_f32_e32 v59, v53, v56
	v_add_f32_e32 v66, v58, v59
	ds_read2_b64 v[58:61], v168 offset0:79 offset1:80
	v_mul_f32_e32 v3, v35, v39
	v_fma_f32 v3, v34, v38, -v3
	v_add_f32_e32 v2, v2, v3
	v_mul_f32_e32 v3, v37, v41
	;; [unrolled: 36-line block ×7, first 2 shown]
	s_waitcnt vmcnt(3) lgkmcnt(0)
	v_mul_f32_e32 v206, v198, v203
	v_fmac_f32_e32 v206, v199, v202
	v_add_f32_e32 v169, v169, v206
	v_mul_f32_e32 v206, v200, v205
	v_fmac_f32_e32 v206, v201, v204
	v_add_f32_e32 v169, v169, v206
	ds_read2_b64 v[206:209], v168 offset0:111 offset1:112
	v_fma_f32 v3, v116, v120, -v3
	v_add_f32_e32 v2, v2, v3
	v_mul_f32_e32 v3, v123, v127
	v_fma_f32 v3, v122, v126, -v3
	s_waitcnt vmcnt(2) lgkmcnt(0)
	v_mul_f32_e32 v214, v206, v211
	v_fmac_f32_e32 v214, v207, v210
	v_add_f32_e32 v169, v169, v214
	v_mul_f32_e32 v214, v208, v213
	v_fmac_f32_e32 v214, v209, v212
	v_add_f32_e32 v169, v169, v214
	ds_read2_b64 v[214:217], v168 offset0:113 offset1:114
	v_add_f32_e32 v2, v2, v3
	v_mul_f32_e32 v3, v125, v129
	v_fma_f32 v3, v124, v128, -v3
	v_add_f32_e32 v2, v2, v3
	s_waitcnt vmcnt(1) lgkmcnt(0)
	v_mul_f32_e32 v222, v214, v219
	v_fmac_f32_e32 v222, v215, v218
	v_add_f32_e32 v243, v169, v222
	ds_read2_b64 v[222:225], v168 offset0:115 offset1:116
	scratch_load_dwordx4 v[230:233], off, off offset:440
	scratch_load_dwordx4 v[234:237], off, off offset:456
	;; [unrolled: 1-line block ×3, first 2 shown]
	scratch_load_dwordx2 v[248:249], off, off offset:488
	v_mul_f32_e32 v3, v131, v135
	v_fma_f32 v3, v130, v134, -v3
	v_add_f32_e32 v2, v2, v3
	v_mul_f32_e32 v3, v133, v137
	v_fma_f32 v3, v132, v136, -v3
	v_add_f32_e32 v2, v2, v3
	;; [unrolled: 3-line block ×17, first 2 shown]
	v_mul_f32_e32 v2, v217, v221
	v_mul_f32_e32 v245, v216, v221
	v_fma_f32 v244, v216, v220, -v2
	s_waitcnt vmcnt(4) lgkmcnt(0)
	v_mul_f32_e32 v2, v223, v227
	v_mov_b32_e32 v18, v229
	v_fmac_f32_e32 v245, v217, v220
	v_mul_f32_e32 v247, v222, v227
	v_fma_f32 v246, v222, v226, -v2
	ds_read2_b64 v[2:5], v168 offset0:117 offset1:118
	ds_read2_b64 v[6:9], v168 offset0:119 offset1:120
	;; [unrolled: 1-line block ×3, first 2 shown]
	ds_read_b64 v[14:15], v168 offset:984
	v_pk_mul_f32 v[18:19], v[224:225], v[18:19] op_sel:[1,0] op_sel_hi:[0,0]
	v_fmac_f32_e32 v247, v223, v226
	v_pk_add_f32 v[16:17], v[242:243], v[244:245]
	v_pk_fma_f32 v[20:21], v[224:225], v[228:229], v[18:19] neg_lo:[0,0,1] neg_hi:[0,0,1]
	v_pk_fma_f32 v[18:19], v[224:225], v[228:229], v[18:19] op_sel_hi:[1,0,1]
	v_pk_add_f32 v[16:17], v[16:17], v[246:247]
	v_mov_b32_e32 v21, v19
	v_pk_add_f32 v[16:17], v[16:17], v[20:21]
	s_waitcnt vmcnt(3) lgkmcnt(3)
	v_pk_mul_f32 v[18:19], v[2:3], v[230:231] op_sel:[1,1] op_sel_hi:[0,1]
	v_pk_fma_f32 v[20:21], v[2:3], v[230:231], v[18:19] neg_lo:[0,0,1] neg_hi:[0,0,1]
	v_pk_fma_f32 v[2:3], v[2:3], v[230:231], v[18:19] op_sel_hi:[1,0,1]
	s_nop 0
	v_mov_b32_e32 v21, v3
	v_pk_add_f32 v[2:3], v[16:17], v[20:21]
	v_mov_b32_e32 v16, v233
	v_pk_mul_f32 v[16:17], v[4:5], v[16:17] op_sel:[1,0] op_sel_hi:[0,0]
	v_pk_fma_f32 v[18:19], v[4:5], v[232:233], v[16:17] neg_lo:[0,0,1] neg_hi:[0,0,1]
	v_pk_fma_f32 v[4:5], v[4:5], v[232:233], v[16:17] op_sel_hi:[1,0,1]
	s_nop 0
	v_mov_b32_e32 v19, v5
	s_waitcnt vmcnt(2) lgkmcnt(2)
	v_pk_mul_f32 v[4:5], v[6:7], v[234:235] op_sel:[1,1] op_sel_hi:[0,1]
	v_pk_fma_f32 v[16:17], v[6:7], v[234:235], v[4:5] neg_lo:[0,0,1] neg_hi:[0,0,1]
	v_pk_fma_f32 v[4:5], v[6:7], v[234:235], v[4:5] op_sel_hi:[1,0,1]
	v_pk_add_f32 v[2:3], v[2:3], v[18:19]
	v_mov_b32_e32 v4, v237
	v_mov_b32_e32 v17, v5
	v_pk_mul_f32 v[4:5], v[8:9], v[4:5] op_sel:[1,0] op_sel_hi:[0,0]
	v_pk_fma_f32 v[6:7], v[8:9], v[236:237], v[4:5] neg_lo:[0,0,1] neg_hi:[0,0,1]
	v_pk_fma_f32 v[4:5], v[8:9], v[236:237], v[4:5] op_sel_hi:[1,0,1]
	v_pk_add_f32 v[2:3], v[2:3], v[16:17]
	v_mov_b32_e32 v7, v5
	s_waitcnt vmcnt(1) lgkmcnt(1)
	v_pk_mul_f32 v[4:5], v[10:11], v[238:239] op_sel:[1,1] op_sel_hi:[0,1]
	v_pk_add_f32 v[2:3], v[2:3], v[6:7]
	v_pk_fma_f32 v[6:7], v[10:11], v[238:239], v[4:5] neg_lo:[0,0,1] neg_hi:[0,0,1]
	v_pk_fma_f32 v[4:5], v[10:11], v[238:239], v[4:5] op_sel_hi:[1,0,1]
	s_nop 0
	v_mov_b32_e32 v4, v241
	v_mov_b32_e32 v7, v5
	v_pk_mul_f32 v[4:5], v[12:13], v[4:5] op_sel:[1,0] op_sel_hi:[0,0]
	v_pk_add_f32 v[2:3], v[2:3], v[6:7]
	v_pk_fma_f32 v[6:7], v[12:13], v[240:241], v[4:5] neg_lo:[0,0,1] neg_hi:[0,0,1]
	v_pk_fma_f32 v[4:5], v[12:13], v[240:241], v[4:5] op_sel_hi:[1,0,1]
	s_nop 0
	v_mov_b32_e32 v7, v5
	s_waitcnt vmcnt(0) lgkmcnt(0)
	v_pk_mul_f32 v[4:5], v[14:15], v[248:249] op_sel:[1,1] op_sel_hi:[0,1]
	v_pk_add_f32 v[2:3], v[2:3], v[6:7]
	v_pk_fma_f32 v[6:7], v[14:15], v[248:249], v[4:5] neg_lo:[0,0,1] neg_hi:[0,0,1]
	v_pk_fma_f32 v[4:5], v[14:15], v[248:249], v[4:5] op_sel_hi:[1,0,1]
	s_nop 0
	v_mov_b32_e32 v7, v5
	scratch_load_dwordx2 v[4:5], off, off offset:16
	v_pk_add_f32 v[2:3], v[2:3], v[6:7]
	s_waitcnt vmcnt(0)
	v_pk_add_f32 v[2:3], v[4:5], v[2:3] neg_lo:[0,1] neg_hi:[0,1]
	scratch_store_dwordx2 off, v[2:3], off offset:16
	s_and_saveexec_b64 s[0:1], vcc
	s_cbranch_execz .LBB61_383
; %bb.382:
	scratch_load_dwordx2 v[2:3], off, off offset:8
	v_mov_b32_e32 v169, v168
	scratch_store_dwordx2 off, v[168:169], off offset:8
	s_waitcnt vmcnt(1)
	ds_write_b64 v1, v[2:3]
.LBB61_383:
	s_or_b64 exec, exec, s[0:1]
	s_waitcnt lgkmcnt(0)
	; wave barrier
	ds_read_b128 v[14:17], v168 offset:512
	ds_read_b128 v[10:13], v168 offset:528
	;; [unrolled: 1-line block ×4, first 2 shown]
	scratch_load_dwordx4 v[18:21], off, off offset:16
	scratch_load_dwordx4 v[38:41], off, off offset:80
	scratch_load_dwordx4 v[70:73], off, off offset:144
	scratch_load_dwordx4 v[78:81], off, off offset:160
	scratch_load_dwordx4 v[86:89], off, off offset:176
	scratch_load_dwordx4 v[94:97], off, off offset:192
	scratch_load_dwordx4 v[102:105], off, off offset:208
	scratch_load_dwordx4 v[110:113], off, off offset:224
	scratch_load_dwordx4 v[118:121], off, off offset:240
	scratch_load_dwordx4 v[126:129], off, off offset:256
	scratch_load_dwordx4 v[134:137], off, off offset:272
	scratch_load_dwordx4 v[142:145], off, off offset:288
	scratch_load_dwordx4 v[170:173], off, off offset:304
	scratch_load_dwordx4 v[178:181], off, off offset:320
	scratch_load_dwordx4 v[186:189], off, off offset:336
	scratch_load_dwordx4 v[194:197], off, off offset:352
	scratch_load_dwordx4 v[202:205], off, off offset:368
	scratch_load_dwordx4 v[210:213], off, off offset:384
	scratch_load_dwordx4 v[218:221], off, off offset:400
	scratch_load_dwordx4 v[226:229], off, off offset:416
	v_cmp_ne_u32_e32 vcc, 0, v0
	scratch_load_dwordx4 v[46:49], off, off offset:96
	scratch_load_dwordx4 v[54:57], off, off offset:112
	;; [unrolled: 1-line block ×3, first 2 shown]
	s_waitcnt vmcnt(22) lgkmcnt(3)
	v_mul_f32_e32 v22, v14, v19
	v_fmac_f32_e32 v22, v15, v18
	v_mul_f32_e32 v23, v16, v21
	v_add_f32_e32 v22, 0, v22
	v_fmac_f32_e32 v23, v17, v20
	v_add_f32_e32 v26, v22, v23
	scratch_load_dwordx4 v[22:25], off, off offset:32
	v_mul_f32_e32 v15, v15, v19
	v_fma_f32 v14, v14, v18, -v15
	v_mul_f32_e32 v15, v17, v21
	v_add_f32_e32 v14, 0, v14
	v_fma_f32 v15, v16, v20, -v15
	v_add_f32_e32 v14, v14, v15
	s_waitcnt vmcnt(0) lgkmcnt(2)
	v_mul_f32_e32 v27, v10, v23
	v_fmac_f32_e32 v27, v11, v22
	v_add_f32_e32 v26, v26, v27
	v_mul_f32_e32 v27, v12, v25
	v_fmac_f32_e32 v27, v13, v24
	v_add_f32_e32 v30, v26, v27
	scratch_load_dwordx4 v[26:29], off, off offset:48
	v_mul_f32_e32 v11, v11, v23
	v_fma_f32 v10, v10, v22, -v11
	v_mul_f32_e32 v11, v13, v25
	v_add_f32_e32 v10, v14, v10
	v_fma_f32 v11, v12, v24, -v11
	v_add_f32_e32 v10, v10, v11
	s_waitcnt vmcnt(0) lgkmcnt(1)
	v_mul_f32_e32 v31, v6, v27
	v_fmac_f32_e32 v31, v7, v26
	v_add_f32_e32 v30, v30, v31
	v_mul_f32_e32 v31, v8, v29
	v_fmac_f32_e32 v31, v9, v28
	v_add_f32_e32 v34, v30, v31
	scratch_load_dwordx4 v[30:33], off, off offset:64
	v_mul_f32_e32 v7, v7, v27
	v_fma_f32 v6, v6, v26, -v7
	v_mul_f32_e32 v7, v9, v29
	v_add_f32_e32 v6, v10, v6
	v_fma_f32 v7, v8, v28, -v7
	v_add_f32_e32 v6, v6, v7
	s_waitcnt vmcnt(0) lgkmcnt(0)
	v_mul_f32_e32 v35, v2, v31
	v_fmac_f32_e32 v35, v3, v30
	v_add_f32_e32 v34, v34, v35
	v_mul_f32_e32 v35, v4, v33
	v_fmac_f32_e32 v35, v5, v32
	v_add_f32_e32 v42, v34, v35
	ds_read_b128 v[34:37], v168 offset:576
	v_mul_f32_e32 v3, v3, v31
	v_fma_f32 v2, v2, v30, -v3
	v_mul_f32_e32 v3, v5, v33
	v_add_f32_e32 v2, v6, v2
	s_waitcnt lgkmcnt(0)
	v_mul_f32_e32 v43, v34, v39
	v_fmac_f32_e32 v43, v35, v38
	v_add_f32_e32 v42, v42, v43
	v_mul_f32_e32 v43, v36, v41
	v_fmac_f32_e32 v43, v37, v40
	v_add_f32_e32 v50, v42, v43
	ds_read_b128 v[42:45], v168 offset:592
	v_fma_f32 v3, v4, v32, -v3
	v_add_f32_e32 v2, v2, v3
	v_mul_f32_e32 v3, v35, v39
	v_fma_f32 v3, v34, v38, -v3
	s_waitcnt lgkmcnt(0)
	v_mul_f32_e32 v51, v42, v47
	v_fmac_f32_e32 v51, v43, v46
	v_add_f32_e32 v50, v50, v51
	v_mul_f32_e32 v51, v44, v49
	v_fmac_f32_e32 v51, v45, v48
	v_add_f32_e32 v58, v50, v51
	ds_read_b128 v[50:53], v168 offset:608
	v_add_f32_e32 v2, v2, v3
	v_mul_f32_e32 v3, v37, v41
	v_fma_f32 v3, v36, v40, -v3
	v_add_f32_e32 v2, v2, v3
	s_waitcnt lgkmcnt(0)
	v_mul_f32_e32 v59, v50, v55
	v_fmac_f32_e32 v59, v51, v54
	v_add_f32_e32 v58, v58, v59
	v_mul_f32_e32 v59, v52, v57
	v_fmac_f32_e32 v59, v53, v56
	v_add_f32_e32 v66, v58, v59
	ds_read_b128 v[58:61], v168 offset:624
	v_mul_f32_e32 v3, v43, v47
	v_fma_f32 v3, v42, v46, -v3
	v_add_f32_e32 v2, v2, v3
	v_mul_f32_e32 v3, v45, v49
	s_waitcnt lgkmcnt(0)
	v_mul_f32_e32 v67, v58, v63
	v_fmac_f32_e32 v67, v59, v62
	v_add_f32_e32 v66, v66, v67
	v_mul_f32_e32 v67, v60, v65
	v_fmac_f32_e32 v67, v61, v64
	v_add_f32_e32 v74, v66, v67
	ds_read_b128 v[66:69], v168 offset:640
	v_fma_f32 v3, v44, v48, -v3
	v_add_f32_e32 v2, v2, v3
	v_mul_f32_e32 v3, v51, v55
	v_fma_f32 v3, v50, v54, -v3
	s_waitcnt lgkmcnt(0)
	v_mul_f32_e32 v75, v66, v71
	v_fmac_f32_e32 v75, v67, v70
	v_add_f32_e32 v74, v74, v75
	v_mul_f32_e32 v75, v68, v73
	v_fmac_f32_e32 v75, v69, v72
	v_add_f32_e32 v82, v74, v75
	ds_read_b128 v[74:77], v168 offset:656
	v_add_f32_e32 v2, v2, v3
	v_mul_f32_e32 v3, v53, v57
	v_fma_f32 v3, v52, v56, -v3
	v_add_f32_e32 v2, v2, v3
	s_waitcnt lgkmcnt(0)
	v_mul_f32_e32 v83, v74, v79
	v_fmac_f32_e32 v83, v75, v78
	v_add_f32_e32 v82, v82, v83
	v_mul_f32_e32 v83, v76, v81
	v_fmac_f32_e32 v83, v77, v80
	v_add_f32_e32 v90, v82, v83
	ds_read_b128 v[82:85], v168 offset:672
	v_mul_f32_e32 v3, v59, v63
	v_fma_f32 v3, v58, v62, -v3
	v_add_f32_e32 v2, v2, v3
	v_mul_f32_e32 v3, v61, v65
	;; [unrolled: 36-line block ×6, first 2 shown]
	s_waitcnt lgkmcnt(0)
	v_mul_f32_e32 v206, v198, v203
	v_fmac_f32_e32 v206, v199, v202
	v_add_f32_e32 v169, v169, v206
	v_mul_f32_e32 v206, v200, v205
	v_fmac_f32_e32 v206, v201, v204
	v_add_f32_e32 v169, v169, v206
	ds_read_b128 v[206:209], v168 offset:880
	v_fma_f32 v3, v124, v128, -v3
	v_add_f32_e32 v2, v2, v3
	v_mul_f32_e32 v3, v131, v135
	v_fma_f32 v3, v130, v134, -v3
	s_waitcnt lgkmcnt(0)
	v_mul_f32_e32 v214, v206, v211
	v_fmac_f32_e32 v214, v207, v210
	v_add_f32_e32 v169, v169, v214
	v_mul_f32_e32 v214, v208, v213
	v_fmac_f32_e32 v214, v209, v212
	v_add_f32_e32 v169, v169, v214
	ds_read_b128 v[214:217], v168 offset:896
	v_add_f32_e32 v2, v2, v3
	v_mul_f32_e32 v3, v133, v137
	v_fma_f32 v3, v132, v136, -v3
	v_add_f32_e32 v2, v2, v3
	s_waitcnt lgkmcnt(0)
	v_mul_f32_e32 v222, v214, v219
	v_fmac_f32_e32 v222, v215, v218
	v_add_f32_e32 v169, v169, v222
	v_mul_f32_e32 v222, v216, v221
	v_fmac_f32_e32 v222, v217, v220
	v_add_f32_e32 v247, v169, v222
	ds_read_b128 v[222:225], v168 offset:912
	scratch_load_dwordx4 v[230:233], off, off offset:432
	scratch_load_dwordx4 v[234:237], off, off offset:448
	;; [unrolled: 1-line block ×4, first 2 shown]
	v_mul_f32_e32 v3, v139, v143
	v_fma_f32 v3, v138, v142, -v3
	v_add_f32_e32 v2, v2, v3
	v_mul_f32_e32 v3, v141, v145
	v_fma_f32 v3, v140, v144, -v3
	v_add_f32_e32 v2, v2, v3
	;; [unrolled: 3-line block ×16, first 2 shown]
	s_waitcnt lgkmcnt(0)
	v_mul_f32_e32 v2, v223, v227
	v_fma_f32 v248, v222, v226, -v2
	v_mul_f32_e32 v2, v225, v229
	v_fma_f32 v250, v224, v228, -v2
	ds_read_b128 v[2:5], v168 offset:928
	ds_read_b128 v[6:9], v168 offset:944
	;; [unrolled: 1-line block ×4, first 2 shown]
	v_mul_f32_e32 v249, v222, v227
	v_fmac_f32_e32 v249, v223, v226
	v_mul_f32_e32 v251, v224, v229
	v_fmac_f32_e32 v251, v225, v228
	v_pk_add_f32 v[18:19], v[246:247], v[248:249]
	s_waitcnt vmcnt(3) lgkmcnt(3)
	v_pk_mul_f32 v[20:21], v[2:3], v[230:231] op_sel:[1,1] op_sel_hi:[0,1]
	v_pk_fma_f32 v[22:23], v[2:3], v[230:231], v[20:21] neg_lo:[0,0,1] neg_hi:[0,0,1]
	v_pk_fma_f32 v[2:3], v[2:3], v[230:231], v[20:21] op_sel_hi:[1,0,1]
	v_pk_add_f32 v[18:19], v[18:19], v[250:251]
	v_mov_b32_e32 v23, v3
	v_pk_add_f32 v[2:3], v[18:19], v[22:23]
	v_mov_b32_e32 v18, v233
	v_pk_mul_f32 v[18:19], v[4:5], v[18:19] op_sel:[1,0] op_sel_hi:[0,0]
	v_pk_fma_f32 v[20:21], v[4:5], v[232:233], v[18:19] neg_lo:[0,0,1] neg_hi:[0,0,1]
	v_pk_fma_f32 v[4:5], v[4:5], v[232:233], v[18:19] op_sel_hi:[1,0,1]
	s_nop 0
	v_mov_b32_e32 v21, v5
	s_waitcnt vmcnt(2) lgkmcnt(2)
	v_pk_mul_f32 v[4:5], v[6:7], v[234:235] op_sel:[1,1] op_sel_hi:[0,1]
	v_pk_fma_f32 v[18:19], v[6:7], v[234:235], v[4:5] neg_lo:[0,0,1] neg_hi:[0,0,1]
	v_pk_fma_f32 v[4:5], v[6:7], v[234:235], v[4:5] op_sel_hi:[1,0,1]
	v_pk_add_f32 v[2:3], v[2:3], v[20:21]
	v_mov_b32_e32 v4, v237
	v_mov_b32_e32 v19, v5
	v_pk_mul_f32 v[4:5], v[8:9], v[4:5] op_sel:[1,0] op_sel_hi:[0,0]
	v_pk_fma_f32 v[6:7], v[8:9], v[236:237], v[4:5] neg_lo:[0,0,1] neg_hi:[0,0,1]
	v_pk_fma_f32 v[4:5], v[8:9], v[236:237], v[4:5] op_sel_hi:[1,0,1]
	v_pk_add_f32 v[2:3], v[2:3], v[18:19]
	v_mov_b32_e32 v7, v5
	s_waitcnt vmcnt(1) lgkmcnt(1)
	v_pk_mul_f32 v[4:5], v[10:11], v[238:239] op_sel:[1,1] op_sel_hi:[0,1]
	v_pk_add_f32 v[2:3], v[2:3], v[6:7]
	v_pk_fma_f32 v[6:7], v[10:11], v[238:239], v[4:5] neg_lo:[0,0,1] neg_hi:[0,0,1]
	v_pk_fma_f32 v[4:5], v[10:11], v[238:239], v[4:5] op_sel_hi:[1,0,1]
	s_nop 0
	v_mov_b32_e32 v4, v241
	v_mov_b32_e32 v7, v5
	v_pk_mul_f32 v[4:5], v[12:13], v[4:5] op_sel:[1,0] op_sel_hi:[0,0]
	v_pk_add_f32 v[2:3], v[2:3], v[6:7]
	v_pk_fma_f32 v[6:7], v[12:13], v[240:241], v[4:5] neg_lo:[0,0,1] neg_hi:[0,0,1]
	v_pk_fma_f32 v[4:5], v[12:13], v[240:241], v[4:5] op_sel_hi:[1,0,1]
	s_nop 0
	v_mov_b32_e32 v7, v5
	s_waitcnt vmcnt(0) lgkmcnt(0)
	v_pk_mul_f32 v[4:5], v[14:15], v[242:243] op_sel:[1,1] op_sel_hi:[0,1]
	v_pk_add_f32 v[2:3], v[2:3], v[6:7]
	v_pk_fma_f32 v[6:7], v[14:15], v[242:243], v[4:5] neg_lo:[0,0,1] neg_hi:[0,0,1]
	v_pk_fma_f32 v[4:5], v[14:15], v[242:243], v[4:5] op_sel_hi:[1,0,1]
	s_nop 0
	v_mov_b32_e32 v4, v245
	v_mov_b32_e32 v7, v5
	v_pk_mul_f32 v[4:5], v[16:17], v[4:5] op_sel:[1,0] op_sel_hi:[0,0]
	v_pk_add_f32 v[2:3], v[2:3], v[6:7]
	v_pk_fma_f32 v[6:7], v[16:17], v[244:245], v[4:5] neg_lo:[0,0,1] neg_hi:[0,0,1]
	v_pk_fma_f32 v[4:5], v[16:17], v[244:245], v[4:5] op_sel_hi:[1,0,1]
	s_nop 0
	v_mov_b32_e32 v7, v5
	scratch_load_dwordx2 v[4:5], off, off offset:8
	v_pk_add_f32 v[2:3], v[2:3], v[6:7]
	s_waitcnt vmcnt(0)
	v_pk_add_f32 v[2:3], v[4:5], v[2:3] neg_lo:[0,1] neg_hi:[0,1]
	scratch_store_dwordx2 off, v[2:3], off offset:8
	s_and_saveexec_b64 s[0:1], vcc
	s_cbranch_execz .LBB61_385
; %bb.384:
	scratch_load_dwordx2 v[2:3], off, off
	v_mov_b32_e32 v4, 0
	v_mov_b32_e32 v5, v4
	scratch_store_dwordx2 off, v[4:5], off
	s_waitcnt vmcnt(1)
	ds_write_b64 v1, v[2:3]
.LBB61_385:
	s_or_b64 exec, exec, s[0:1]
	s_waitcnt lgkmcnt(0)
	; wave barrier
	scratch_load_dwordx4 v[4:7], off, off offset:8
	scratch_load_dwordx4 v[12:15], off, off offset:24
	;; [unrolled: 1-line block ×10, first 2 shown]
	v_mov_b32_e32 v148, 0
	ds_read2_b64 v[0:3], v148 offset0:63 offset1:64
	scratch_load_dwordx4 v[84:87], off, off offset:168
	scratch_load_dwordx4 v[92:95], off, off offset:184
	;; [unrolled: 1-line block ×17, first 2 shown]
	s_and_b64 vcc, exec, s[18:19]
	s_waitcnt vmcnt(26) lgkmcnt(0)
	v_mul_f32_e32 v8, v0, v5
	v_fmac_f32_e32 v8, v1, v4
	v_mul_f32_e32 v9, v2, v7
	v_add_f32_e32 v8, 0, v8
	v_fmac_f32_e32 v9, v3, v6
	v_add_f32_e32 v16, v8, v9
	ds_read2_b64 v[8:11], v148 offset0:65 offset1:66
	v_mul_f32_e32 v1, v1, v5
	v_fma_f32 v0, v0, v4, -v1
	v_mul_f32_e32 v1, v3, v7
	v_add_f32_e32 v0, 0, v0
	s_waitcnt vmcnt(25) lgkmcnt(0)
	v_mul_f32_e32 v17, v8, v13
	v_fmac_f32_e32 v17, v9, v12
	v_add_f32_e32 v16, v16, v17
	v_mul_f32_e32 v17, v10, v15
	v_fmac_f32_e32 v17, v11, v14
	v_add_f32_e32 v24, v16, v17
	ds_read2_b64 v[16:19], v148 offset0:67 offset1:68
	v_fma_f32 v1, v2, v6, -v1
	v_add_f32_e32 v0, v0, v1
	v_mul_f32_e32 v1, v9, v13
	v_fma_f32 v1, v8, v12, -v1
	s_waitcnt vmcnt(24) lgkmcnt(0)
	v_mul_f32_e32 v25, v16, v21
	v_fmac_f32_e32 v25, v17, v20
	v_add_f32_e32 v24, v24, v25
	v_mul_f32_e32 v25, v18, v23
	v_fmac_f32_e32 v25, v19, v22
	v_add_f32_e32 v32, v24, v25
	ds_read2_b64 v[24:27], v148 offset0:69 offset1:70
	v_add_f32_e32 v0, v0, v1
	v_mul_f32_e32 v1, v11, v15
	v_fma_f32 v1, v10, v14, -v1
	v_add_f32_e32 v0, v0, v1
	s_waitcnt vmcnt(23) lgkmcnt(0)
	v_mul_f32_e32 v33, v24, v29
	v_fmac_f32_e32 v33, v25, v28
	v_add_f32_e32 v32, v32, v33
	v_mul_f32_e32 v33, v26, v31
	v_fmac_f32_e32 v33, v27, v30
	v_add_f32_e32 v40, v32, v33
	ds_read2_b64 v[32:35], v148 offset0:71 offset1:72
	v_mul_f32_e32 v1, v17, v21
	v_fma_f32 v1, v16, v20, -v1
	v_add_f32_e32 v0, v0, v1
	v_mul_f32_e32 v1, v19, v23
	s_waitcnt vmcnt(22) lgkmcnt(0)
	v_mul_f32_e32 v41, v32, v37
	v_fmac_f32_e32 v41, v33, v36
	v_add_f32_e32 v40, v40, v41
	v_mul_f32_e32 v41, v34, v39
	v_fmac_f32_e32 v41, v35, v38
	v_add_f32_e32 v48, v40, v41
	ds_read2_b64 v[40:43], v148 offset0:73 offset1:74
	v_fma_f32 v1, v18, v22, -v1
	v_add_f32_e32 v0, v0, v1
	v_mul_f32_e32 v1, v25, v29
	v_fma_f32 v1, v24, v28, -v1
	s_waitcnt vmcnt(21) lgkmcnt(0)
	v_mul_f32_e32 v49, v40, v45
	v_fmac_f32_e32 v49, v41, v44
	v_add_f32_e32 v48, v48, v49
	v_mul_f32_e32 v49, v42, v47
	v_fmac_f32_e32 v49, v43, v46
	v_add_f32_e32 v56, v48, v49
	ds_read2_b64 v[48:51], v148 offset0:75 offset1:76
	v_add_f32_e32 v0, v0, v1
	v_mul_f32_e32 v1, v27, v31
	v_fma_f32 v1, v26, v30, -v1
	v_add_f32_e32 v0, v0, v1
	s_waitcnt vmcnt(20) lgkmcnt(0)
	v_mul_f32_e32 v57, v48, v53
	v_fmac_f32_e32 v57, v49, v52
	v_add_f32_e32 v56, v56, v57
	v_mul_f32_e32 v57, v50, v55
	v_fmac_f32_e32 v57, v51, v54
	v_add_f32_e32 v64, v56, v57
	ds_read2_b64 v[56:59], v148 offset0:77 offset1:78
	v_mul_f32_e32 v1, v33, v37
	v_fma_f32 v1, v32, v36, -v1
	v_add_f32_e32 v0, v0, v1
	v_mul_f32_e32 v1, v35, v39
	s_waitcnt vmcnt(19) lgkmcnt(0)
	v_mul_f32_e32 v65, v56, v61
	v_fmac_f32_e32 v65, v57, v60
	v_add_f32_e32 v64, v64, v65
	v_mul_f32_e32 v65, v58, v63
	v_fmac_f32_e32 v65, v59, v62
	v_add_f32_e32 v72, v64, v65
	ds_read2_b64 v[64:67], v148 offset0:79 offset1:80
	v_fma_f32 v1, v34, v38, -v1
	v_add_f32_e32 v0, v0, v1
	v_mul_f32_e32 v1, v41, v45
	v_fma_f32 v1, v40, v44, -v1
	s_waitcnt vmcnt(18) lgkmcnt(0)
	v_mul_f32_e32 v73, v64, v69
	v_fmac_f32_e32 v73, v65, v68
	v_add_f32_e32 v72, v72, v73
	v_mul_f32_e32 v73, v66, v71
	v_fmac_f32_e32 v73, v67, v70
	v_add_f32_e32 v80, v72, v73
	ds_read2_b64 v[72:75], v148 offset0:81 offset1:82
	v_add_f32_e32 v0, v0, v1
	v_mul_f32_e32 v1, v43, v47
	v_fma_f32 v1, v42, v46, -v1
	v_add_f32_e32 v0, v0, v1
	s_waitcnt vmcnt(17) lgkmcnt(0)
	v_mul_f32_e32 v81, v72, v77
	v_fmac_f32_e32 v81, v73, v76
	v_add_f32_e32 v80, v80, v81
	v_mul_f32_e32 v81, v74, v79
	v_fmac_f32_e32 v81, v75, v78
	v_add_f32_e32 v88, v80, v81
	ds_read2_b64 v[80:83], v148 offset0:83 offset1:84
	v_mul_f32_e32 v1, v49, v53
	v_fma_f32 v1, v48, v52, -v1
	v_add_f32_e32 v0, v0, v1
	v_mul_f32_e32 v1, v51, v55
	s_waitcnt vmcnt(16) lgkmcnt(0)
	v_mul_f32_e32 v89, v80, v85
	v_fmac_f32_e32 v89, v81, v84
	v_add_f32_e32 v88, v88, v89
	v_mul_f32_e32 v89, v82, v87
	v_fmac_f32_e32 v89, v83, v86
	v_add_f32_e32 v96, v88, v89
	ds_read2_b64 v[88:91], v148 offset0:85 offset1:86
	v_fma_f32 v1, v50, v54, -v1
	v_add_f32_e32 v0, v0, v1
	v_mul_f32_e32 v1, v57, v61
	v_fma_f32 v1, v56, v60, -v1
	s_waitcnt vmcnt(15) lgkmcnt(0)
	v_mul_f32_e32 v97, v88, v93
	v_fmac_f32_e32 v97, v89, v92
	v_add_f32_e32 v96, v96, v97
	v_mul_f32_e32 v97, v90, v95
	v_fmac_f32_e32 v97, v91, v94
	v_add_f32_e32 v104, v96, v97
	ds_read2_b64 v[96:99], v148 offset0:87 offset1:88
	v_add_f32_e32 v0, v0, v1
	v_mul_f32_e32 v1, v59, v63
	v_fma_f32 v1, v58, v62, -v1
	v_add_f32_e32 v0, v0, v1
	s_waitcnt vmcnt(14) lgkmcnt(0)
	v_mul_f32_e32 v105, v96, v101
	v_fmac_f32_e32 v105, v97, v100
	v_add_f32_e32 v104, v104, v105
	v_mul_f32_e32 v105, v98, v103
	v_fmac_f32_e32 v105, v99, v102
	v_add_f32_e32 v112, v104, v105
	ds_read2_b64 v[104:107], v148 offset0:89 offset1:90
	v_mul_f32_e32 v1, v65, v69
	v_fma_f32 v1, v64, v68, -v1
	v_add_f32_e32 v0, v0, v1
	v_mul_f32_e32 v1, v67, v71
	s_waitcnt vmcnt(13) lgkmcnt(0)
	v_mul_f32_e32 v113, v104, v109
	v_fmac_f32_e32 v113, v105, v108
	v_add_f32_e32 v112, v112, v113
	v_mul_f32_e32 v113, v106, v111
	v_fmac_f32_e32 v113, v107, v110
	v_add_f32_e32 v120, v112, v113
	ds_read2_b64 v[112:115], v148 offset0:91 offset1:92
	v_fma_f32 v1, v66, v70, -v1
	v_add_f32_e32 v0, v0, v1
	v_mul_f32_e32 v1, v73, v77
	v_fma_f32 v1, v72, v76, -v1
	s_waitcnt vmcnt(12) lgkmcnt(0)
	v_mul_f32_e32 v121, v112, v117
	v_fmac_f32_e32 v121, v113, v116
	v_add_f32_e32 v120, v120, v121
	v_mul_f32_e32 v121, v114, v119
	v_fmac_f32_e32 v121, v115, v118
	v_add_f32_e32 v128, v120, v121
	ds_read2_b64 v[120:123], v148 offset0:93 offset1:94
	v_add_f32_e32 v0, v0, v1
	v_mul_f32_e32 v1, v75, v79
	v_fma_f32 v1, v74, v78, -v1
	v_add_f32_e32 v0, v0, v1
	s_waitcnt vmcnt(11) lgkmcnt(0)
	v_mul_f32_e32 v129, v120, v125
	v_fmac_f32_e32 v129, v121, v124
	v_add_f32_e32 v128, v128, v129
	v_mul_f32_e32 v129, v122, v127
	v_fmac_f32_e32 v129, v123, v126
	v_add_f32_e32 v136, v128, v129
	ds_read2_b64 v[128:131], v148 offset0:95 offset1:96
	v_mul_f32_e32 v1, v81, v85
	v_fma_f32 v1, v80, v84, -v1
	v_add_f32_e32 v0, v0, v1
	v_mul_f32_e32 v1, v83, v87
	s_waitcnt vmcnt(10) lgkmcnt(0)
	v_mul_f32_e32 v137, v128, v133
	v_fmac_f32_e32 v137, v129, v132
	v_add_f32_e32 v136, v136, v137
	v_mul_f32_e32 v137, v130, v135
	v_fmac_f32_e32 v137, v131, v134
	v_add_f32_e32 v144, v136, v137
	ds_read2_b64 v[136:139], v148 offset0:97 offset1:98
	v_fma_f32 v1, v82, v86, -v1
	v_add_f32_e32 v0, v0, v1
	v_mul_f32_e32 v1, v89, v93
	v_fma_f32 v1, v88, v92, -v1
	s_waitcnt vmcnt(9) lgkmcnt(0)
	v_mul_f32_e32 v145, v136, v141
	v_fmac_f32_e32 v145, v137, v140
	v_add_f32_e32 v144, v144, v145
	v_mul_f32_e32 v145, v138, v143
	v_fmac_f32_e32 v145, v139, v142
	v_add_f32_e32 v149, v144, v145
	ds_read2_b64 v[144:147], v148 offset0:99 offset1:100
	v_add_f32_e32 v0, v0, v1
	v_mul_f32_e32 v1, v91, v95
	v_fma_f32 v1, v90, v94, -v1
	v_add_f32_e32 v0, v0, v1
	s_waitcnt vmcnt(8) lgkmcnt(0)
	v_mul_f32_e32 v172, v144, v169
	v_fmac_f32_e32 v172, v145, v168
	v_add_f32_e32 v149, v149, v172
	v_mul_f32_e32 v172, v146, v171
	v_fmac_f32_e32 v172, v147, v170
	v_add_f32_e32 v149, v149, v172
	ds_read2_b64 v[172:175], v148 offset0:101 offset1:102
	v_mul_f32_e32 v1, v97, v101
	v_fma_f32 v1, v96, v100, -v1
	v_add_f32_e32 v0, v0, v1
	v_mul_f32_e32 v1, v99, v103
	s_waitcnt vmcnt(7) lgkmcnt(0)
	v_mul_f32_e32 v180, v172, v177
	v_fmac_f32_e32 v180, v173, v176
	v_add_f32_e32 v149, v149, v180
	v_mul_f32_e32 v180, v174, v179
	v_fmac_f32_e32 v180, v175, v178
	v_add_f32_e32 v149, v149, v180
	ds_read2_b64 v[180:183], v148 offset0:103 offset1:104
	v_fma_f32 v1, v98, v102, -v1
	v_add_f32_e32 v0, v0, v1
	v_mul_f32_e32 v1, v105, v109
	v_fma_f32 v1, v104, v108, -v1
	s_waitcnt vmcnt(6) lgkmcnt(0)
	v_mul_f32_e32 v188, v180, v185
	v_fmac_f32_e32 v188, v181, v184
	v_add_f32_e32 v149, v149, v188
	v_mul_f32_e32 v188, v182, v187
	v_fmac_f32_e32 v188, v183, v186
	v_add_f32_e32 v149, v149, v188
	ds_read2_b64 v[188:191], v148 offset0:105 offset1:106
	v_add_f32_e32 v0, v0, v1
	v_mul_f32_e32 v1, v107, v111
	v_fma_f32 v1, v106, v110, -v1
	v_add_f32_e32 v0, v0, v1
	s_waitcnt vmcnt(5) lgkmcnt(0)
	v_mul_f32_e32 v196, v188, v193
	v_fmac_f32_e32 v196, v189, v192
	v_add_f32_e32 v149, v149, v196
	v_mul_f32_e32 v196, v190, v195
	v_fmac_f32_e32 v196, v191, v194
	v_add_f32_e32 v149, v149, v196
	ds_read2_b64 v[196:199], v148 offset0:107 offset1:108
	v_mul_f32_e32 v1, v113, v117
	v_fma_f32 v1, v112, v116, -v1
	v_add_f32_e32 v0, v0, v1
	v_mul_f32_e32 v1, v115, v119
	s_waitcnt vmcnt(4) lgkmcnt(0)
	v_mul_f32_e32 v204, v196, v201
	v_fmac_f32_e32 v204, v197, v200
	v_add_f32_e32 v149, v149, v204
	v_mul_f32_e32 v204, v198, v203
	v_fmac_f32_e32 v204, v199, v202
	v_add_f32_e32 v149, v149, v204
	ds_read2_b64 v[204:207], v148 offset0:109 offset1:110
	v_fma_f32 v1, v114, v118, -v1
	v_add_f32_e32 v0, v0, v1
	v_mul_f32_e32 v1, v121, v125
	v_fma_f32 v1, v120, v124, -v1
	s_waitcnt vmcnt(3) lgkmcnt(0)
	v_mul_f32_e32 v212, v204, v209
	v_fmac_f32_e32 v212, v205, v208
	v_add_f32_e32 v149, v149, v212
	v_mul_f32_e32 v212, v206, v211
	v_fmac_f32_e32 v212, v207, v210
	v_add_f32_e32 v149, v149, v212
	ds_read2_b64 v[212:215], v148 offset0:111 offset1:112
	v_add_f32_e32 v0, v0, v1
	v_mul_f32_e32 v1, v123, v127
	v_fma_f32 v1, v122, v126, -v1
	v_add_f32_e32 v0, v0, v1
	s_waitcnt vmcnt(2) lgkmcnt(0)
	v_mul_f32_e32 v220, v212, v217
	v_fmac_f32_e32 v220, v213, v216
	v_add_f32_e32 v149, v149, v220
	v_mul_f32_e32 v220, v214, v219
	v_fmac_f32_e32 v220, v215, v218
	v_add_f32_e32 v149, v149, v220
	ds_read2_b64 v[220:223], v148 offset0:113 offset1:114
	v_mul_f32_e32 v1, v129, v133
	v_fma_f32 v1, v128, v132, -v1
	v_add_f32_e32 v0, v0, v1
	v_mul_f32_e32 v1, v131, v135
	s_waitcnt vmcnt(1) lgkmcnt(0)
	v_mul_f32_e32 v228, v220, v225
	v_fmac_f32_e32 v228, v221, v224
	v_add_f32_e32 v249, v149, v228
	ds_read2_b64 v[228:231], v148 offset0:115 offset1:116
	scratch_load_dwordx4 v[236:239], off, off offset:440
	scratch_load_dwordx4 v[240:243], off, off offset:456
	scratch_load_dwordx4 v[244:247], off, off offset:472
	scratch_load_dwordx2 v[254:255], off, off offset:488
	v_fma_f32 v1, v130, v134, -v1
	v_add_f32_e32 v0, v0, v1
	v_mul_f32_e32 v1, v137, v141
	v_fma_f32 v1, v136, v140, -v1
	v_add_f32_e32 v0, v0, v1
	v_mul_f32_e32 v1, v139, v143
	;; [unrolled: 3-line block ×18, first 2 shown]
	v_mul_f32_e32 v251, v222, v227
	v_fma_f32 v250, v222, v226, -v0
	s_waitcnt vmcnt(4) lgkmcnt(0)
	v_mul_f32_e32 v0, v229, v233
	v_mov_b32_e32 v16, v235
	v_fmac_f32_e32 v251, v223, v226
	v_mul_f32_e32 v253, v228, v233
	v_fma_f32 v252, v228, v232, -v0
	ds_read2_b64 v[0:3], v148 offset0:117 offset1:118
	ds_read2_b64 v[4:7], v148 offset0:119 offset1:120
	;; [unrolled: 1-line block ×3, first 2 shown]
	ds_read_b64 v[12:13], v148 offset:984
	v_pk_mul_f32 v[16:17], v[230:231], v[16:17] op_sel:[1,0] op_sel_hi:[0,0]
	v_fmac_f32_e32 v253, v229, v232
	v_pk_add_f32 v[14:15], v[248:249], v[250:251]
	v_pk_fma_f32 v[18:19], v[230:231], v[234:235], v[16:17] neg_lo:[0,0,1] neg_hi:[0,0,1]
	v_pk_fma_f32 v[16:17], v[230:231], v[234:235], v[16:17] op_sel_hi:[1,0,1]
	v_pk_add_f32 v[14:15], v[14:15], v[252:253]
	v_mov_b32_e32 v19, v17
	v_pk_add_f32 v[14:15], v[14:15], v[18:19]
	s_waitcnt vmcnt(3) lgkmcnt(3)
	v_pk_mul_f32 v[16:17], v[0:1], v[236:237] op_sel:[1,1] op_sel_hi:[0,1]
	v_pk_fma_f32 v[18:19], v[0:1], v[236:237], v[16:17] neg_lo:[0,0,1] neg_hi:[0,0,1]
	v_pk_fma_f32 v[0:1], v[0:1], v[236:237], v[16:17] op_sel_hi:[1,0,1]
	s_nop 0
	v_mov_b32_e32 v19, v1
	v_pk_add_f32 v[0:1], v[14:15], v[18:19]
	v_mov_b32_e32 v14, v239
	v_pk_mul_f32 v[14:15], v[2:3], v[14:15] op_sel:[1,0] op_sel_hi:[0,0]
	v_pk_fma_f32 v[16:17], v[2:3], v[238:239], v[14:15] neg_lo:[0,0,1] neg_hi:[0,0,1]
	v_pk_fma_f32 v[2:3], v[2:3], v[238:239], v[14:15] op_sel_hi:[1,0,1]
	s_nop 0
	v_mov_b32_e32 v17, v3
	s_waitcnt vmcnt(2) lgkmcnt(2)
	v_pk_mul_f32 v[2:3], v[4:5], v[240:241] op_sel:[1,1] op_sel_hi:[0,1]
	v_pk_fma_f32 v[14:15], v[4:5], v[240:241], v[2:3] neg_lo:[0,0,1] neg_hi:[0,0,1]
	v_pk_fma_f32 v[2:3], v[4:5], v[240:241], v[2:3] op_sel_hi:[1,0,1]
	v_pk_add_f32 v[0:1], v[0:1], v[16:17]
	v_mov_b32_e32 v2, v243
	v_mov_b32_e32 v15, v3
	v_pk_mul_f32 v[2:3], v[6:7], v[2:3] op_sel:[1,0] op_sel_hi:[0,0]
	v_pk_fma_f32 v[4:5], v[6:7], v[242:243], v[2:3] neg_lo:[0,0,1] neg_hi:[0,0,1]
	v_pk_fma_f32 v[2:3], v[6:7], v[242:243], v[2:3] op_sel_hi:[1,0,1]
	v_pk_add_f32 v[0:1], v[0:1], v[14:15]
	v_mov_b32_e32 v5, v3
	s_waitcnt vmcnt(1) lgkmcnt(1)
	v_pk_mul_f32 v[2:3], v[8:9], v[244:245] op_sel:[1,1] op_sel_hi:[0,1]
	v_pk_add_f32 v[0:1], v[0:1], v[4:5]
	v_pk_fma_f32 v[4:5], v[8:9], v[244:245], v[2:3] neg_lo:[0,0,1] neg_hi:[0,0,1]
	v_pk_fma_f32 v[2:3], v[8:9], v[244:245], v[2:3] op_sel_hi:[1,0,1]
	s_nop 0
	v_mov_b32_e32 v2, v247
	v_mov_b32_e32 v5, v3
	v_pk_mul_f32 v[2:3], v[10:11], v[2:3] op_sel:[1,0] op_sel_hi:[0,0]
	v_pk_add_f32 v[0:1], v[0:1], v[4:5]
	v_pk_fma_f32 v[4:5], v[10:11], v[246:247], v[2:3] neg_lo:[0,0,1] neg_hi:[0,0,1]
	v_pk_fma_f32 v[2:3], v[10:11], v[246:247], v[2:3] op_sel_hi:[1,0,1]
	s_nop 0
	v_mov_b32_e32 v5, v3
	s_waitcnt vmcnt(0) lgkmcnt(0)
	v_pk_mul_f32 v[2:3], v[12:13], v[254:255] op_sel:[1,1] op_sel_hi:[0,1]
	v_pk_add_f32 v[0:1], v[0:1], v[4:5]
	v_pk_fma_f32 v[4:5], v[12:13], v[254:255], v[2:3] neg_lo:[0,0,1] neg_hi:[0,0,1]
	v_pk_fma_f32 v[2:3], v[12:13], v[254:255], v[2:3] op_sel_hi:[1,0,1]
	s_nop 0
	v_mov_b32_e32 v5, v3
	scratch_load_dwordx2 v[2:3], off, off
	v_pk_add_f32 v[0:1], v[0:1], v[4:5]
	s_waitcnt vmcnt(0)
	v_pk_add_f32 v[0:1], v[2:3], v[0:1] neg_lo:[0,1] neg_hi:[0,1]
	scratch_store_dwordx2 off, v[0:1], off
	s_cbranch_vccz .LBB61_508
; %bb.386:
	global_load_dword v0, v148, s[16:17] offset:240
	s_waitcnt vmcnt(0)
	v_readfirstlane_b32 s0, v0
	s_add_i32 s0, s0, -1
	s_cmp_lg_u32 s0, 60
	s_cbranch_scc0 .LBB61_388
; %bb.387:
	s_lshl_b32 s0, s0, 3
	s_nop 0
	scratch_load_dwordx2 v[0:1], off, s0
	scratch_load_dwordx2 v[2:3], off, off offset:480
	s_waitcnt vmcnt(1)
	scratch_store_dwordx2 off, v[0:1], off offset:480
	s_waitcnt vmcnt(1)
	scratch_store_dwordx2 off, v[2:3], s0
.LBB61_388:
	v_mov_b32_e32 v0, 0
	global_load_dword v1, v0, s[16:17] offset:236
	s_waitcnt vmcnt(0)
	v_readfirstlane_b32 s0, v1
	s_add_i32 s0, s0, -1
	s_cmp_eq_u32 s0, 59
	s_cbranch_scc1 .LBB61_390
; %bb.389:
	s_lshl_b32 s0, s0, 3
	s_nop 0
	scratch_load_dwordx2 v[2:3], off, s0
	scratch_load_dwordx2 v[4:5], off, off offset:472
	s_waitcnt vmcnt(1)
	scratch_store_dwordx2 off, v[2:3], off offset:472
	s_waitcnt vmcnt(1)
	scratch_store_dwordx2 off, v[4:5], s0
.LBB61_390:
	global_load_dword v0, v0, s[16:17] offset:232
	s_waitcnt vmcnt(0)
	v_readfirstlane_b32 s0, v0
	s_add_i32 s0, s0, -1
	s_cmp_eq_u32 s0, 58
	s_cbranch_scc1 .LBB61_392
; %bb.391:
	s_lshl_b32 s0, s0, 3
	s_nop 0
	scratch_load_dwordx2 v[0:1], off, s0
	scratch_load_dwordx2 v[2:3], off, off offset:464
	s_waitcnt vmcnt(1)
	scratch_store_dwordx2 off, v[0:1], off offset:464
	s_waitcnt vmcnt(1)
	scratch_store_dwordx2 off, v[2:3], s0
.LBB61_392:
	v_mov_b32_e32 v0, 0
	global_load_dword v1, v0, s[16:17] offset:228
	s_waitcnt vmcnt(0)
	v_readfirstlane_b32 s0, v1
	s_add_i32 s0, s0, -1
	s_cmp_eq_u32 s0, 57
	s_cbranch_scc1 .LBB61_394
; %bb.393:
	s_lshl_b32 s0, s0, 3
	s_nop 0
	scratch_load_dwordx2 v[2:3], off, s0
	scratch_load_dwordx2 v[4:5], off, off offset:456
	s_waitcnt vmcnt(1)
	scratch_store_dwordx2 off, v[2:3], off offset:456
	s_waitcnt vmcnt(1)
	scratch_store_dwordx2 off, v[4:5], s0
.LBB61_394:
	global_load_dword v0, v0, s[16:17] offset:224
	s_waitcnt vmcnt(0)
	v_readfirstlane_b32 s0, v0
	s_add_i32 s0, s0, -1
	s_cmp_eq_u32 s0, 56
	s_cbranch_scc1 .LBB61_396
; %bb.395:
	s_lshl_b32 s0, s0, 3
	s_nop 0
	scratch_load_dwordx2 v[0:1], off, s0
	scratch_load_dwordx2 v[2:3], off, off offset:448
	s_waitcnt vmcnt(1)
	scratch_store_dwordx2 off, v[0:1], off offset:448
	s_waitcnt vmcnt(1)
	scratch_store_dwordx2 off, v[2:3], s0
.LBB61_396:
	;; [unrolled: 33-line block ×29, first 2 shown]
	v_mov_b32_e32 v0, 0
	global_load_dword v1, v0, s[16:17] offset:4
	s_waitcnt vmcnt(0)
	v_readfirstlane_b32 s0, v1
	s_add_i32 s0, s0, -1
	s_cmp_eq_u32 s0, 1
	s_cbranch_scc1 .LBB61_506
; %bb.505:
	s_lshl_b32 s0, s0, 3
	s_nop 0
	scratch_load_dwordx2 v[2:3], off, s0
	scratch_load_dwordx2 v[4:5], off, off offset:8
	s_waitcnt vmcnt(1)
	scratch_store_dwordx2 off, v[2:3], off offset:8
	s_waitcnt vmcnt(1)
	scratch_store_dwordx2 off, v[4:5], s0
.LBB61_506:
	global_load_dword v2, v0, s[16:17]
	s_nop 0
	scratch_load_dwordx2 v[0:1], off, off
	s_waitcnt vmcnt(1)
	v_readfirstlane_b32 s0, v2
	s_add_i32 s0, s0, -1
	s_cmp_eq_u32 s0, 0
	s_cbranch_scc1 .LBB61_508
; %bb.507:
	s_lshl_b32 s0, s0, 3
	s_nop 0
	scratch_load_dwordx2 v[2:3], off, s0
	s_waitcnt vmcnt(0)
	scratch_store_dwordx2 off, v[2:3], off
	scratch_store_dwordx2 off, v[0:1], s0
	scratch_load_dwordx2 v[0:1], off, off
.LBB61_508:
	s_nop 0
	scratch_load_dwordx4 v[4:7], off, off offset:8
	scratch_load_dwordx4 v[8:11], off, off offset:24
	;; [unrolled: 1-line block ×30, first 2 shown]
	scratch_load_dwordx2 v[2:3], off, off offset:488
	v_accvgpr_read_b32 v125, a1
	v_accvgpr_read_b32 v124, a0
	s_waitcnt vmcnt(31)
	global_store_dwordx2 v[124:125], v[0:1], off
	v_accvgpr_read_b32 v0, a2
	v_accvgpr_read_b32 v1, a3
	s_waitcnt vmcnt(31)
	global_store_dwordx2 v[0:1], v[4:5], off
	v_accvgpr_read_b32 v0, a4
	v_accvgpr_read_b32 v1, a5
	global_store_dwordx2 v[0:1], v[6:7], off
	v_accvgpr_read_b32 v0, a6
	v_accvgpr_read_b32 v1, a7
	s_waitcnt vmcnt(32)
	global_store_dwordx2 v[0:1], v[8:9], off
	v_accvgpr_read_b32 v0, a8
	v_accvgpr_read_b32 v1, a9
	global_store_dwordx2 v[0:1], v[10:11], off
	v_accvgpr_read_b32 v0, a10
	v_accvgpr_read_b32 v1, a11
	s_waitcnt vmcnt(33)
	global_store_dwordx2 v[0:1], v[12:13], off
	v_accvgpr_read_b32 v0, a12
	v_accvgpr_read_b32 v1, a13
	global_store_dwordx2 v[0:1], v[14:15], off
	v_accvgpr_read_b32 v0, a14
	v_accvgpr_read_b32 v1, a15
	s_waitcnt vmcnt(34)
	global_store_dwordx2 v[0:1], v[16:17], off
	v_accvgpr_read_b32 v0, a16
	v_accvgpr_read_b32 v1, a17
	global_store_dwordx2 v[0:1], v[18:19], off
	v_accvgpr_read_b32 v0, a18
	v_accvgpr_read_b32 v1, a19
	s_waitcnt vmcnt(35)
	global_store_dwordx2 v[0:1], v[20:21], off
	v_accvgpr_read_b32 v0, a20
	v_accvgpr_read_b32 v1, a21
	global_store_dwordx2 v[0:1], v[22:23], off
	v_accvgpr_read_b32 v0, a22
	v_accvgpr_read_b32 v1, a23
	s_waitcnt vmcnt(36)
	global_store_dwordx2 v[0:1], v[24:25], off
	v_accvgpr_read_b32 v0, a24
	v_accvgpr_read_b32 v1, a25
	global_store_dwordx2 v[0:1], v[26:27], off
	v_accvgpr_read_b32 v0, a26
	v_accvgpr_read_b32 v1, a27
	s_waitcnt vmcnt(37)
	global_store_dwordx2 v[0:1], v[28:29], off
	v_accvgpr_read_b32 v0, a28
	v_accvgpr_read_b32 v1, a29
	global_store_dwordx2 v[0:1], v[30:31], off
	v_accvgpr_read_b32 v0, a30
	v_accvgpr_read_b32 v1, a31
	s_waitcnt vmcnt(38)
	global_store_dwordx2 v[0:1], v[32:33], off
	v_accvgpr_read_b32 v0, a32
	v_accvgpr_read_b32 v1, a33
	global_store_dwordx2 v[0:1], v[34:35], off
	v_accvgpr_read_b32 v0, a34
	v_accvgpr_read_b32 v1, a35
	s_waitcnt vmcnt(39)
	global_store_dwordx2 v[0:1], v[36:37], off
	v_accvgpr_read_b32 v0, a36
	v_accvgpr_read_b32 v1, a37
	global_store_dwordx2 v[0:1], v[38:39], off
	v_accvgpr_read_b32 v0, a38
	v_accvgpr_read_b32 v1, a39
	s_waitcnt vmcnt(40)
	global_store_dwordx2 v[0:1], v[40:41], off
	v_accvgpr_read_b32 v0, a40
	v_accvgpr_read_b32 v1, a41
	global_store_dwordx2 v[0:1], v[42:43], off
	v_accvgpr_read_b32 v0, a42
	v_accvgpr_read_b32 v1, a43
	s_waitcnt vmcnt(41)
	global_store_dwordx2 v[0:1], v[44:45], off
	v_accvgpr_read_b32 v0, a44
	v_accvgpr_read_b32 v1, a45
	global_store_dwordx2 v[0:1], v[46:47], off
	v_accvgpr_read_b32 v0, a46
	v_accvgpr_read_b32 v1, a47
	s_waitcnt vmcnt(42)
	global_store_dwordx2 v[0:1], v[48:49], off
	v_accvgpr_read_b32 v0, a48
	v_accvgpr_read_b32 v1, a49
	global_store_dwordx2 v[0:1], v[50:51], off
	v_accvgpr_read_b32 v0, a50
	v_accvgpr_read_b32 v1, a51
	s_waitcnt vmcnt(43)
	global_store_dwordx2 v[0:1], v[52:53], off
	v_accvgpr_read_b32 v0, a52
	v_accvgpr_read_b32 v1, a53
	global_store_dwordx2 v[0:1], v[54:55], off
	v_accvgpr_read_b32 v0, a54
	v_accvgpr_read_b32 v1, a55
	s_waitcnt vmcnt(44)
	global_store_dwordx2 v[0:1], v[56:57], off
	v_accvgpr_read_b32 v0, a56
	v_accvgpr_read_b32 v1, a57
	global_store_dwordx2 v[0:1], v[58:59], off
	v_accvgpr_read_b32 v0, a58
	v_accvgpr_read_b32 v1, a59
	s_waitcnt vmcnt(45)
	global_store_dwordx2 v[0:1], v[60:61], off
	v_accvgpr_read_b32 v0, a60
	v_accvgpr_read_b32 v1, a61
	global_store_dwordx2 v[0:1], v[62:63], off
	v_accvgpr_read_b32 v0, a62
	v_accvgpr_read_b32 v1, a63
	s_waitcnt vmcnt(46)
	global_store_dwordx2 v[0:1], v[64:65], off
	v_accvgpr_read_b32 v0, a64
	v_accvgpr_read_b32 v1, a65
	global_store_dwordx2 v[0:1], v[66:67], off
	v_accvgpr_read_b32 v0, a66
	v_accvgpr_read_b32 v1, a67
	s_waitcnt vmcnt(47)
	global_store_dwordx2 v[0:1], v[68:69], off
	v_accvgpr_read_b32 v0, a68
	v_accvgpr_read_b32 v1, a69
	global_store_dwordx2 v[0:1], v[70:71], off
	v_accvgpr_read_b32 v0, a70
	v_accvgpr_read_b32 v1, a71
	s_waitcnt vmcnt(48)
	global_store_dwordx2 v[0:1], v[72:73], off
	v_accvgpr_read_b32 v0, a72
	v_accvgpr_read_b32 v1, a73
	global_store_dwordx2 v[0:1], v[74:75], off
	v_accvgpr_read_b32 v0, a74
	v_accvgpr_read_b32 v1, a75
	s_waitcnt vmcnt(49)
	global_store_dwordx2 v[0:1], v[76:77], off
	v_accvgpr_read_b32 v0, a76
	v_accvgpr_read_b32 v1, a77
	global_store_dwordx2 v[0:1], v[78:79], off
	v_accvgpr_read_b32 v0, a78
	v_accvgpr_read_b32 v1, a79
	s_waitcnt vmcnt(50)
	global_store_dwordx2 v[0:1], v[80:81], off
	v_accvgpr_read_b32 v0, a80
	v_accvgpr_read_b32 v1, a81
	global_store_dwordx2 v[0:1], v[82:83], off
	v_accvgpr_read_b32 v0, a82
	v_accvgpr_read_b32 v1, a83
	s_waitcnt vmcnt(51)
	global_store_dwordx2 v[0:1], v[84:85], off
	v_accvgpr_read_b32 v0, a84
	v_accvgpr_read_b32 v1, a85
	global_store_dwordx2 v[0:1], v[86:87], off
	v_accvgpr_read_b32 v0, a86
	v_accvgpr_read_b32 v1, a87
	s_waitcnt vmcnt(52)
	global_store_dwordx2 v[0:1], v[88:89], off
	v_accvgpr_read_b32 v0, a88
	v_accvgpr_read_b32 v1, a89
	global_store_dwordx2 v[0:1], v[90:91], off
	v_accvgpr_read_b32 v0, a90
	v_accvgpr_read_b32 v1, a91
	s_waitcnt vmcnt(53)
	global_store_dwordx2 v[0:1], v[92:93], off
	v_accvgpr_read_b32 v0, a92
	v_accvgpr_read_b32 v1, a93
	global_store_dwordx2 v[0:1], v[94:95], off
	v_accvgpr_read_b32 v0, a94
	v_accvgpr_read_b32 v1, a95
	s_waitcnt vmcnt(54)
	global_store_dwordx2 v[0:1], v[96:97], off
	v_accvgpr_read_b32 v0, a96
	v_accvgpr_read_b32 v1, a97
	global_store_dwordx2 v[0:1], v[98:99], off
	v_accvgpr_read_b32 v0, a98
	v_accvgpr_read_b32 v1, a99
	s_waitcnt vmcnt(55)
	global_store_dwordx2 v[0:1], v[100:101], off
	v_accvgpr_read_b32 v0, a100
	v_accvgpr_read_b32 v1, a101
	global_store_dwordx2 v[0:1], v[102:103], off
	v_accvgpr_read_b32 v0, a102
	v_accvgpr_read_b32 v1, a103
	s_waitcnt vmcnt(56)
	global_store_dwordx2 v[0:1], v[104:105], off
	v_accvgpr_read_b32 v0, a104
	v_accvgpr_read_b32 v1, a105
	global_store_dwordx2 v[0:1], v[106:107], off
	s_waitcnt vmcnt(57)
	global_store_dwordx2 v[150:151], v[108:109], off
	global_store_dwordx2 v[152:153], v[110:111], off
	s_waitcnt vmcnt(58)
	global_store_dwordx2 v[154:155], v[112:113], off
	;; [unrolled: 3-line block ×5, first 2 shown]
	s_endpgm
	.section	.rodata,"a",@progbits
	.p2align	6, 0x0
	.amdhsa_kernel _ZN9rocsolver6v33100L18getri_kernel_smallILi62E19rocblas_complex_numIfEPS3_EEvT1_iilPiilS6_bb
		.amdhsa_group_segment_fixed_size 996
		.amdhsa_private_segment_fixed_size 512
		.amdhsa_kernarg_size 60
		.amdhsa_user_sgpr_count 2
		.amdhsa_user_sgpr_dispatch_ptr 0
		.amdhsa_user_sgpr_queue_ptr 0
		.amdhsa_user_sgpr_kernarg_segment_ptr 1
		.amdhsa_user_sgpr_dispatch_id 0
		.amdhsa_user_sgpr_kernarg_preload_length 0
		.amdhsa_user_sgpr_kernarg_preload_offset 0
		.amdhsa_user_sgpr_private_segment_size 0
		.amdhsa_uses_dynamic_stack 0
		.amdhsa_enable_private_segment 1
		.amdhsa_system_sgpr_workgroup_id_x 1
		.amdhsa_system_sgpr_workgroup_id_y 0
		.amdhsa_system_sgpr_workgroup_id_z 0
		.amdhsa_system_sgpr_workgroup_info 0
		.amdhsa_system_vgpr_workitem_id 0
		.amdhsa_next_free_vgpr 362
		.amdhsa_next_free_sgpr 20
		.amdhsa_accum_offset 256
		.amdhsa_reserve_vcc 1
		.amdhsa_float_round_mode_32 0
		.amdhsa_float_round_mode_16_64 0
		.amdhsa_float_denorm_mode_32 3
		.amdhsa_float_denorm_mode_16_64 3
		.amdhsa_dx10_clamp 1
		.amdhsa_ieee_mode 1
		.amdhsa_fp16_overflow 0
		.amdhsa_tg_split 0
		.amdhsa_exception_fp_ieee_invalid_op 0
		.amdhsa_exception_fp_denorm_src 0
		.amdhsa_exception_fp_ieee_div_zero 0
		.amdhsa_exception_fp_ieee_overflow 0
		.amdhsa_exception_fp_ieee_underflow 0
		.amdhsa_exception_fp_ieee_inexact 0
		.amdhsa_exception_int_div_zero 0
	.end_amdhsa_kernel
	.section	.text._ZN9rocsolver6v33100L18getri_kernel_smallILi62E19rocblas_complex_numIfEPS3_EEvT1_iilPiilS6_bb,"axG",@progbits,_ZN9rocsolver6v33100L18getri_kernel_smallILi62E19rocblas_complex_numIfEPS3_EEvT1_iilPiilS6_bb,comdat
.Lfunc_end61:
	.size	_ZN9rocsolver6v33100L18getri_kernel_smallILi62E19rocblas_complex_numIfEPS3_EEvT1_iilPiilS6_bb, .Lfunc_end61-_ZN9rocsolver6v33100L18getri_kernel_smallILi62E19rocblas_complex_numIfEPS3_EEvT1_iilPiilS6_bb
                                        ; -- End function
	.set _ZN9rocsolver6v33100L18getri_kernel_smallILi62E19rocblas_complex_numIfEPS3_EEvT1_iilPiilS6_bb.num_vgpr, 256
	.set _ZN9rocsolver6v33100L18getri_kernel_smallILi62E19rocblas_complex_numIfEPS3_EEvT1_iilPiilS6_bb.num_agpr, 106
	.set _ZN9rocsolver6v33100L18getri_kernel_smallILi62E19rocblas_complex_numIfEPS3_EEvT1_iilPiilS6_bb.numbered_sgpr, 20
	.set _ZN9rocsolver6v33100L18getri_kernel_smallILi62E19rocblas_complex_numIfEPS3_EEvT1_iilPiilS6_bb.num_named_barrier, 0
	.set _ZN9rocsolver6v33100L18getri_kernel_smallILi62E19rocblas_complex_numIfEPS3_EEvT1_iilPiilS6_bb.private_seg_size, 512
	.set _ZN9rocsolver6v33100L18getri_kernel_smallILi62E19rocblas_complex_numIfEPS3_EEvT1_iilPiilS6_bb.uses_vcc, 1
	.set _ZN9rocsolver6v33100L18getri_kernel_smallILi62E19rocblas_complex_numIfEPS3_EEvT1_iilPiilS6_bb.uses_flat_scratch, 0
	.set _ZN9rocsolver6v33100L18getri_kernel_smallILi62E19rocblas_complex_numIfEPS3_EEvT1_iilPiilS6_bb.has_dyn_sized_stack, 0
	.set _ZN9rocsolver6v33100L18getri_kernel_smallILi62E19rocblas_complex_numIfEPS3_EEvT1_iilPiilS6_bb.has_recursion, 0
	.set _ZN9rocsolver6v33100L18getri_kernel_smallILi62E19rocblas_complex_numIfEPS3_EEvT1_iilPiilS6_bb.has_indirect_call, 0
	.section	.AMDGPU.csdata,"",@progbits
; Kernel info:
; codeLenInByte = 106024
; TotalNumSgprs: 26
; NumVgprs: 256
; NumAgprs: 106
; TotalNumVgprs: 362
; ScratchSize: 512
; MemoryBound: 0
; FloatMode: 240
; IeeeMode: 1
; LDSByteSize: 996 bytes/workgroup (compile time only)
; SGPRBlocks: 3
; VGPRBlocks: 45
; NumSGPRsForWavesPerEU: 26
; NumVGPRsForWavesPerEU: 362
; AccumOffset: 256
; Occupancy: 1
; WaveLimiterHint : 1
; COMPUTE_PGM_RSRC2:SCRATCH_EN: 1
; COMPUTE_PGM_RSRC2:USER_SGPR: 2
; COMPUTE_PGM_RSRC2:TRAP_HANDLER: 0
; COMPUTE_PGM_RSRC2:TGID_X_EN: 1
; COMPUTE_PGM_RSRC2:TGID_Y_EN: 0
; COMPUTE_PGM_RSRC2:TGID_Z_EN: 0
; COMPUTE_PGM_RSRC2:TIDIG_COMP_CNT: 0
; COMPUTE_PGM_RSRC3_GFX90A:ACCUM_OFFSET: 63
; COMPUTE_PGM_RSRC3_GFX90A:TG_SPLIT: 0
	.section	.text._ZN9rocsolver6v33100L18getri_kernel_smallILi63E19rocblas_complex_numIfEPS3_EEvT1_iilPiilS6_bb,"axG",@progbits,_ZN9rocsolver6v33100L18getri_kernel_smallILi63E19rocblas_complex_numIfEPS3_EEvT1_iilPiilS6_bb,comdat
	.globl	_ZN9rocsolver6v33100L18getri_kernel_smallILi63E19rocblas_complex_numIfEPS3_EEvT1_iilPiilS6_bb ; -- Begin function _ZN9rocsolver6v33100L18getri_kernel_smallILi63E19rocblas_complex_numIfEPS3_EEvT1_iilPiilS6_bb
	.p2align	8
	.type	_ZN9rocsolver6v33100L18getri_kernel_smallILi63E19rocblas_complex_numIfEPS3_EEvT1_iilPiilS6_bb,@function
_ZN9rocsolver6v33100L18getri_kernel_smallILi63E19rocblas_complex_numIfEPS3_EEvT1_iilPiilS6_bb: ; @_ZN9rocsolver6v33100L18getri_kernel_smallILi63E19rocblas_complex_numIfEPS3_EEvT1_iilPiilS6_bb
; %bb.0:
	v_cmp_gt_u32_e32 vcc, 63, v0
	s_and_saveexec_b64 s[4:5], vcc
	s_cbranch_execz .LBB62_266
; %bb.1:
	s_load_dword s8, s[0:1], 0x38
	s_load_dwordx4 s[12:15], s[0:1], 0x10
	s_load_dwordx4 s[4:7], s[0:1], 0x28
                                        ; implicit-def: $sgpr16_sgpr17
	s_waitcnt lgkmcnt(0)
	s_bitcmp1_b32 s8, 8
	s_cselect_b64 s[18:19], -1, 0
	s_ashr_i32 s3, s2, 31
	s_bfe_u32 s8, s8, 0x10008
	s_cmp_eq_u32 s8, 0
	s_cbranch_scc1 .LBB62_3
; %bb.2:
	s_load_dword s8, s[0:1], 0x20
	s_mul_i32 s9, s4, s3
	s_mul_hi_u32 s10, s4, s2
	s_mul_i32 s5, s5, s2
	s_add_i32 s10, s10, s9
	s_add_i32 s5, s10, s5
	s_mul_i32 s4, s4, s2
	s_waitcnt lgkmcnt(0)
	s_ashr_i32 s9, s8, 31
	s_lshl_b64 s[4:5], s[4:5], 2
	s_add_u32 s10, s14, s4
	s_addc_u32 s11, s15, s5
	s_lshl_b64 s[4:5], s[8:9], 2
	s_add_u32 s16, s10, s4
	s_addc_u32 s17, s11, s5
.LBB62_3:
	s_load_dwordx4 s[8:11], s[0:1], 0x0
	s_load_dword s4, s[0:1], 0x38
	s_mul_i32 s5, s12, s3
	s_mul_hi_u32 s14, s12, s2
	s_add_i32 s5, s14, s5
	s_waitcnt lgkmcnt(0)
	s_ashr_i32 s1, s10, 31
	s_mov_b32 s0, s10
	s_mul_i32 s10, s13, s2
	s_add_i32 s13, s5, s10
	s_mul_i32 s12, s12, s2
	s_lshl_b64 s[12:13], s[12:13], 3
	s_add_u32 s5, s8, s12
	s_addc_u32 s8, s9, s13
	s_lshl_b64 s[0:1], s[0:1], 3
	s_add_u32 s0, s5, s0
	s_addc_u32 s1, s8, s1
	v_lshlrev_b32_e32 v2, 3, v0
	v_mov_b32_e32 v3, 0
	v_lshl_add_u64 v[6:7], s[0:1], 0, v[2:3]
	s_ashr_i32 s9, s11, 31
	s_mov_b32 s8, s11
	v_accvgpr_write_b32 a0, v6
	s_add_i32 s5, s11, s11
	v_accvgpr_write_b32 a1, v7
	v_lshl_add_u64 v[8:9], s[8:9], 3, v[6:7]
	v_add_u32_e32 v6, s5, v0
	v_ashrrev_i32_e32 v7, 31, v6
	v_lshl_add_u64 v[10:11], v[6:7], 3, s[0:1]
	v_add_u32_e32 v6, s11, v6
	v_add_u32_e32 v14, s11, v6
	v_ashrrev_i32_e32 v7, 31, v6
	v_ashrrev_i32_e32 v15, 31, v14
	v_lshl_add_u64 v[12:13], v[6:7], 3, s[0:1]
	v_lshl_add_u64 v[16:17], v[14:15], 3, s[0:1]
	v_add_u32_e32 v14, s11, v14
	v_accvgpr_write_b32 a2, v8
	v_accvgpr_write_b32 a4, v10
	;; [unrolled: 1-line block ×4, first 2 shown]
	v_ashrrev_i32_e32 v15, 31, v14
	global_load_dwordx2 v[4:5], v2, s[0:1]
	global_load_dwordx2 v[6:7], v[8:9], off
	v_accvgpr_write_b32 a3, v9
	v_accvgpr_write_b32 a5, v11
	global_load_dwordx2 v[8:9], v[10:11], off
	v_accvgpr_write_b32 a7, v13
	global_load_dwordx2 v[10:11], v[12:13], off
	v_accvgpr_write_b32 a9, v17
	global_load_dwordx2 v[12:13], v[16:17], off
	v_lshl_add_u64 v[16:17], v[14:15], 3, s[0:1]
	v_add_u32_e32 v14, s11, v14
	v_ashrrev_i32_e32 v15, 31, v14
	v_lshl_add_u64 v[18:19], v[14:15], 3, s[0:1]
	v_add_u32_e32 v14, s11, v14
	v_add_u32_e32 v22, s11, v14
	v_ashrrev_i32_e32 v15, 31, v14
	v_ashrrev_i32_e32 v23, 31, v22
	v_lshl_add_u64 v[20:21], v[14:15], 3, s[0:1]
	v_lshl_add_u64 v[24:25], v[22:23], 3, s[0:1]
	v_add_u32_e32 v22, s11, v22
	v_accvgpr_write_b32 a10, v16
	v_accvgpr_write_b32 a12, v18
	v_accvgpr_write_b32 a14, v20
	v_accvgpr_write_b32 a16, v24
	v_ashrrev_i32_e32 v23, 31, v22
	v_accvgpr_write_b32 a11, v17
	global_load_dwordx2 v[14:15], v[16:17], off
	v_accvgpr_write_b32 a13, v19
	global_load_dwordx2 v[16:17], v[18:19], off
	v_accvgpr_write_b32 a15, v21
	global_load_dwordx2 v[18:19], v[20:21], off
	v_accvgpr_write_b32 a17, v25
	global_load_dwordx2 v[20:21], v[24:25], off
	v_lshl_add_u64 v[24:25], v[22:23], 3, s[0:1]
	v_add_u32_e32 v22, s11, v22
	v_ashrrev_i32_e32 v23, 31, v22
	v_lshl_add_u64 v[26:27], v[22:23], 3, s[0:1]
	v_add_u32_e32 v22, s11, v22
	v_add_u32_e32 v30, s11, v22
	v_ashrrev_i32_e32 v23, 31, v22
	v_ashrrev_i32_e32 v31, 31, v30
	v_lshl_add_u64 v[28:29], v[22:23], 3, s[0:1]
	v_lshl_add_u64 v[32:33], v[30:31], 3, s[0:1]
	v_add_u32_e32 v30, s11, v30
	v_accvgpr_write_b32 a18, v24
	v_accvgpr_write_b32 a20, v26
	v_accvgpr_write_b32 a22, v28
	v_accvgpr_write_b32 a24, v32
	v_ashrrev_i32_e32 v31, 31, v30
	v_accvgpr_write_b32 a19, v25
	global_load_dwordx2 v[22:23], v[24:25], off
	;; [unrolled: 24-line block ×3, first 2 shown]
	v_accvgpr_write_b32 a29, v35
	global_load_dwordx2 v[32:33], v[34:35], off
	v_accvgpr_write_b32 a31, v37
	global_load_dwordx2 v[34:35], v[36:37], off
	;; [unrolled: 2-line block ×3, first 2 shown]
	v_lshl_add_u64 v[40:41], v[38:39], 3, s[0:1]
	v_add_u32_e32 v38, s11, v38
	v_ashrrev_i32_e32 v39, 31, v38
	v_lshl_add_u64 v[42:43], v[38:39], 3, s[0:1]
	v_add_u32_e32 v38, s11, v38
	v_add_u32_e32 v46, s11, v38
	v_ashrrev_i32_e32 v47, 31, v46
	v_lshl_add_u64 v[48:49], v[46:47], 3, s[0:1]
	v_add_u32_e32 v46, s11, v46
	v_ashrrev_i32_e32 v47, 31, v46
	v_ashrrev_i32_e32 v39, 31, v38
	v_lshl_add_u64 v[50:51], v[46:47], 3, s[0:1]
	v_add_u32_e32 v46, s11, v46
	v_lshl_add_u64 v[44:45], v[38:39], 3, s[0:1]
	v_ashrrev_i32_e32 v47, 31, v46
	v_accvgpr_write_b32 a34, v40
	v_accvgpr_write_b32 a36, v42
	;; [unrolled: 1-line block ×4, first 2 shown]
	v_lshl_add_u64 v[52:53], v[46:47], 3, s[0:1]
	v_add_u32_e32 v46, s11, v46
	v_accvgpr_write_b32 a35, v41
	global_load_dwordx2 v[38:39], v[40:41], off
	v_accvgpr_write_b32 a37, v43
	global_load_dwordx2 v[40:41], v[42:43], off
	;; [unrolled: 2-line block ×4, first 2 shown]
	v_add_u32_e32 v48, s11, v46
	v_ashrrev_i32_e32 v47, 31, v46
	v_ashrrev_i32_e32 v49, 31, v48
	v_lshl_add_u64 v[54:55], v[46:47], 3, s[0:1]
	v_lshl_add_u64 v[56:57], v[48:49], 3, s[0:1]
	v_add_u32_e32 v48, s11, v48
	v_accvgpr_write_b32 a42, v50
	v_accvgpr_write_b32 a44, v52
	;; [unrolled: 1-line block ×4, first 2 shown]
	v_ashrrev_i32_e32 v49, 31, v48
	v_accvgpr_write_b32 a43, v51
	global_load_dwordx2 v[46:47], v[50:51], off
	v_accvgpr_write_b32 a45, v53
	global_load_dwordx2 v[50:51], v[52:53], off
	;; [unrolled: 2-line block ×4, first 2 shown]
	v_lshl_add_u64 v[56:57], v[48:49], 3, s[0:1]
	v_add_u32_e32 v48, s11, v48
	v_ashrrev_i32_e32 v49, 31, v48
	v_lshl_add_u64 v[58:59], v[48:49], 3, s[0:1]
	v_add_u32_e32 v48, s11, v48
	v_ashrrev_i32_e32 v49, 31, v48
	;; [unrolled: 3-line block ×36, first 2 shown]
	v_lshl_add_u64 v[166:167], v[48:49], 3, s[0:1]
	v_add_u32_e32 v48, s11, v48
	v_accvgpr_write_b32 a50, v56
	v_accvgpr_write_b32 a52, v58
	;; [unrolled: 1-line block ×30, first 2 shown]
	v_ashrrev_i32_e32 v49, 31, v48
	v_accvgpr_write_b32 a51, v57
	global_load_dwordx2 v[56:57], v[56:57], off
	v_accvgpr_write_b32 a53, v59
	global_load_dwordx2 v[58:59], v[58:59], off
	;; [unrolled: 2-line block ×30, first 2 shown]
	s_nop 0
	global_load_dwordx2 v[116:117], v[154:155], off
	global_load_dwordx2 v[118:119], v[156:157], off
	;; [unrolled: 1-line block ×6, first 2 shown]
	v_lshl_add_u64 v[168:169], v[48:49], 3, s[0:1]
	global_load_dwordx2 v[128:129], v[166:167], off
	global_load_dwordx2 v[48:49], v[168:169], off
	s_bitcmp0_b32 s4, 0
	s_mov_b64 s[4:5], -1
	s_waitcnt vmcnt(61)
	scratch_store_dwordx4 off, v[4:7], off
	s_waitcnt vmcnt(60)
	scratch_store_dwordx4 off, v[8:11], off offset:16
	s_waitcnt vmcnt(59)
	scratch_store_dwordx4 off, v[12:15], off offset:32
	;; [unrolled: 2-line block ×30, first 2 shown]
	s_waitcnt vmcnt(31)
	scratch_store_dwordx2 off, v[48:49], off offset:496
	s_cbranch_scc1 .LBB62_264
; %bb.4:
	v_cmp_eq_u32_e64 s[0:1], 0, v0
	s_and_saveexec_b64 s[4:5], s[0:1]
; %bb.5:
	v_mov_b32_e32 v1, 0
	ds_write_b32 v1, v1 offset:504
; %bb.6:
	s_or_b64 exec, exec, s[4:5]
	s_waitcnt lgkmcnt(0)
	; wave barrier
	scratch_load_dwordx2 v[4:5], v2, off
	s_waitcnt vmcnt(0)
	v_cmp_eq_f32_e32 vcc, 0, v4
	v_cmp_eq_f32_e64 s[4:5], 0, v5
	s_and_b64 s[4:5], vcc, s[4:5]
	s_and_saveexec_b64 s[8:9], s[4:5]
	s_cbranch_execz .LBB62_10
; %bb.7:
	v_mov_b32_e32 v1, 0
	ds_read_b32 v4, v1 offset:504
	v_add_u32_e32 v3, 1, v0
	s_waitcnt lgkmcnt(0)
	v_readfirstlane_b32 s4, v4
	s_cmp_eq_u32 s4, 0
	s_cselect_b64 s[10:11], -1, 0
	v_cmp_gt_i32_e32 vcc, s4, v3
	s_or_b64 s[10:11], s[10:11], vcc
	s_and_b64 exec, exec, s[10:11]
	s_cbranch_execz .LBB62_10
; %bb.8:
	s_mov_b64 s[10:11], 0
	v_mov_b32_e32 v4, s4
.LBB62_9:                               ; =>This Inner Loop Header: Depth=1
	ds_cmpst_rtn_b32 v4, v1, v4, v3 offset:504
	s_waitcnt lgkmcnt(0)
	v_cmp_ne_u32_e32 vcc, 0, v4
	v_cmp_le_i32_e64 s[4:5], v4, v3
	s_and_b64 s[4:5], vcc, s[4:5]
	s_and_b64 s[4:5], exec, s[4:5]
	s_or_b64 s[10:11], s[4:5], s[10:11]
	s_andn2_b64 exec, exec, s[10:11]
	s_cbranch_execnz .LBB62_9
.LBB62_10:
	s_or_b64 exec, exec, s[8:9]
	v_mov_b32_e32 v3, 0
	; wave barrier
	ds_read_b32 v1, v3 offset:504
	s_and_saveexec_b64 s[4:5], s[0:1]
	s_cbranch_execz .LBB62_12
; %bb.11:
	s_lshl_b64 s[8:9], s[2:3], 2
	s_add_u32 s8, s6, s8
	s_addc_u32 s9, s7, s9
	s_waitcnt lgkmcnt(0)
	global_store_dword v3, v1, s[8:9]
.LBB62_12:
	s_or_b64 exec, exec, s[4:5]
	s_waitcnt lgkmcnt(0)
	v_cmp_ne_u32_e32 vcc, 0, v1
	s_mov_b64 s[4:5], 0
	s_cbranch_vccnz .LBB62_264
; %bb.13:
	v_mov_b32_e32 v3, v2
	scratch_load_dwordx2 v[4:5], v3, off
                                        ; implicit-def: $vgpr7
                                        ; implicit-def: $vgpr8
	s_waitcnt vmcnt(0)
	v_cmp_ngt_f32_e64 s[4:5], |v4|, |v5|
	s_and_saveexec_b64 s[8:9], s[4:5]
	s_xor_b64 s[4:5], exec, s[8:9]
	s_cbranch_execz .LBB62_15
; %bb.14:
	v_div_scale_f32 v1, s[8:9], v5, v5, v4
	v_rcp_f32_e32 v6, v1
	v_div_scale_f32 v7, vcc, v4, v5, v4
	v_fma_f32 v8, -v1, v6, 1.0
	v_fmac_f32_e32 v6, v8, v6
	v_mul_f32_e32 v8, v7, v6
	v_fma_f32 v9, -v1, v8, v7
	v_fmac_f32_e32 v8, v9, v6
	v_fma_f32 v1, -v1, v8, v7
	v_div_fmas_f32 v1, v1, v6, v8
	v_div_fixup_f32 v1, v1, v5, v4
	v_fmac_f32_e32 v5, v4, v1
	v_div_scale_f32 v4, s[8:9], v5, v5, -1.0
	v_rcp_f32_e32 v6, v4
	s_nop 0
	v_fma_f32 v7, -v4, v6, 1.0
	v_fmac_f32_e32 v6, v7, v6
	v_div_scale_f32 v7, vcc, -1.0, v5, -1.0
	v_mul_f32_e32 v8, v7, v6
	v_fma_f32 v9, -v4, v8, v7
	v_fmac_f32_e32 v8, v9, v6
	v_fma_f32 v4, -v4, v8, v7
	v_div_fmas_f32 v4, v4, v6, v8
	v_div_fixup_f32 v7, v4, v5, -1.0
	v_mul_f32_e32 v8, v1, v7
	v_xor_b32_e32 v6, 0x80000000, v8
                                        ; implicit-def: $vgpr4_vgpr5
.LBB62_15:
	s_andn2_saveexec_b64 s[4:5], s[4:5]
	s_cbranch_execz .LBB62_17
; %bb.16:
	v_div_scale_f32 v1, s[8:9], v4, v4, v5
	v_rcp_f32_e32 v6, v1
	v_div_scale_f32 v7, vcc, v5, v4, v5
	v_fma_f32 v8, -v1, v6, 1.0
	v_fmac_f32_e32 v6, v8, v6
	v_mul_f32_e32 v8, v7, v6
	v_fma_f32 v9, -v1, v8, v7
	v_fmac_f32_e32 v8, v9, v6
	v_fma_f32 v1, -v1, v8, v7
	v_div_fmas_f32 v1, v1, v6, v8
	v_div_fixup_f32 v1, v1, v4, v5
	v_fmac_f32_e32 v4, v5, v1
	v_div_scale_f32 v5, s[8:9], v4, v4, 1.0
	v_rcp_f32_e32 v6, v5
	s_nop 0
	v_fma_f32 v7, -v5, v6, 1.0
	v_fmac_f32_e32 v6, v7, v6
	v_div_scale_f32 v7, vcc, 1.0, v4, 1.0
	v_mul_f32_e32 v8, v7, v6
	v_fma_f32 v9, -v5, v8, v7
	v_fmac_f32_e32 v8, v9, v6
	v_fma_f32 v5, -v5, v8, v7
	v_div_fmas_f32 v5, v5, v6, v8
	v_div_fixup_f32 v6, v5, v4, 1.0
	v_xor_b32_e32 v8, 0x80000000, v6
	v_mul_f32_e64 v7, v1, -v6
.LBB62_17:
	s_or_b64 exec, exec, s[4:5]
	scratch_store_dwordx2 v3, v[6:7], off
	scratch_load_dwordx2 v[4:5], off, off offset:8
	v_xor_b32_e32 v9, 0x80000000, v7
	v_or_b32_e32 v1, 0x200, v2
	s_waitcnt vmcnt(0)
	ds_write2st64_b64 v2, v[8:9], v[4:5] offset1:1
	s_waitcnt lgkmcnt(0)
	; wave barrier
	s_and_saveexec_b64 s[4:5], s[0:1]
	s_cbranch_execz .LBB62_19
; %bb.18:
	scratch_load_dwordx2 v[4:5], v3, off
	ds_read_b64 v[6:7], v1
	v_mov_b32_e32 v8, 0
	ds_read_b64 v[8:9], v8 offset:8
	s_waitcnt vmcnt(0) lgkmcnt(1)
	v_pk_mul_f32 v[10:11], v[6:7], v[4:5] op_sel:[1,1] op_sel_hi:[0,1]
	v_pk_fma_f32 v[12:13], v[6:7], v[4:5], v[10:11] neg_lo:[0,0,1] neg_hi:[0,0,1]
	v_pk_fma_f32 v[4:5], v[6:7], v[4:5], v[10:11] op_sel_hi:[1,0,1]
	s_nop 0
	v_mov_b32_e32 v13, v5
	v_pk_add_f32 v[4:5], v[12:13], 0 op_sel_hi:[1,0]
	s_waitcnt lgkmcnt(0)
	v_pk_mul_f32 v[6:7], v[4:5], v[8:9] op_sel:[1,1] op_sel_hi:[0,1]
	v_pk_fma_f32 v[10:11], v[4:5], v[8:9], v[6:7] neg_lo:[0,0,1] neg_hi:[0,0,1]
	v_pk_fma_f32 v[4:5], v[4:5], v[8:9], v[6:7] op_sel_hi:[1,0,1]
	s_nop 0
	v_mov_b32_e32 v11, v5
	scratch_store_dwordx2 off, v[10:11], off offset:8
.LBB62_19:
	s_or_b64 exec, exec, s[4:5]
	; wave barrier
	scratch_load_dwordx2 v[4:5], off, off offset:16
	v_cmp_gt_u32_e32 vcc, 2, v0
	s_waitcnt vmcnt(0)
	ds_write_b64 v1, v[4:5]
	s_waitcnt lgkmcnt(0)
	; wave barrier
	s_and_saveexec_b64 s[4:5], vcc
	s_cbranch_execz .LBB62_23
; %bb.20:
	scratch_load_dwordx2 v[4:5], v3, off
	ds_read_b64 v[6:7], v1
	s_waitcnt vmcnt(0) lgkmcnt(0)
	v_pk_mul_f32 v[8:9], v[6:7], v[4:5] op_sel:[1,1] op_sel_hi:[0,1]
	v_pk_fma_f32 v[10:11], v[6:7], v[4:5], v[8:9] neg_lo:[0,0,1] neg_hi:[0,0,1]
	v_pk_fma_f32 v[4:5], v[6:7], v[4:5], v[8:9] op_sel_hi:[1,0,1]
	s_nop 0
	v_mov_b32_e32 v11, v5
	v_pk_add_f32 v[4:5], v[10:11], 0 op_sel_hi:[1,0]
	s_and_saveexec_b64 s[8:9], s[0:1]
	s_cbranch_execz .LBB62_22
; %bb.21:
	scratch_load_dwordx2 v[6:7], off, off offset:8
	v_mov_b32_e32 v3, 0
	ds_read_b64 v[8:9], v3 offset:520
	s_waitcnt vmcnt(0) lgkmcnt(0)
	v_pk_mul_f32 v[10:11], v[8:9], v[6:7] op_sel:[1,1] op_sel_hi:[0,1]
	v_pk_fma_f32 v[12:13], v[8:9], v[6:7], v[10:11] neg_lo:[0,0,1] neg_hi:[0,0,1]
	v_pk_fma_f32 v[6:7], v[8:9], v[6:7], v[10:11] op_sel_hi:[1,0,1]
	s_nop 0
	v_mov_b32_e32 v13, v7
	v_pk_add_f32 v[4:5], v[4:5], v[12:13]
.LBB62_22:
	s_or_b64 exec, exec, s[8:9]
	v_mov_b32_e32 v3, 0
	ds_read_b64 v[6:7], v3 offset:16
	s_waitcnt lgkmcnt(0)
	v_pk_mul_f32 v[8:9], v[4:5], v[6:7] op_sel:[1,1] op_sel_hi:[0,1]
	v_pk_fma_f32 v[10:11], v[4:5], v[6:7], v[8:9] neg_lo:[0,0,1] neg_hi:[0,0,1]
	v_pk_fma_f32 v[4:5], v[4:5], v[6:7], v[8:9] op_sel_hi:[1,0,1]
	s_nop 0
	v_mov_b32_e32 v11, v5
	scratch_store_dwordx2 off, v[10:11], off offset:16
.LBB62_23:
	s_or_b64 exec, exec, s[4:5]
	; wave barrier
	scratch_load_dwordx2 v[4:5], off, off offset:24
	v_cmp_gt_u32_e32 vcc, 3, v0
	v_add_u32_e32 v6, -1, v0
	s_waitcnt vmcnt(0)
	ds_write_b64 v1, v[4:5]
	s_waitcnt lgkmcnt(0)
	; wave barrier
	s_and_saveexec_b64 s[0:1], vcc
	s_cbranch_execz .LBB62_27
; %bb.24:
	v_mov_b32_e32 v4, 0
	v_add_u32_e32 v3, -1, v0
	v_or_b32_e32 v7, 0x200, v2
	v_mov_b32_e32 v8, v2
	s_mov_b64 s[4:5], 0
	v_mov_b32_e32 v5, v4
.LBB62_25:                              ; =>This Inner Loop Header: Depth=1
	scratch_load_dwordx2 v[10:11], v8, off
	ds_read_b64 v[12:13], v7
	v_add_u32_e32 v3, 1, v3
	v_cmp_lt_u32_e32 vcc, 1, v3
	v_add_u32_e32 v7, 8, v7
	v_add_u32_e32 v8, 8, v8
	s_or_b64 s[4:5], vcc, s[4:5]
	s_waitcnt vmcnt(0) lgkmcnt(0)
	v_pk_mul_f32 v[14:15], v[12:13], v[10:11] op_sel:[1,1] op_sel_hi:[0,1]
	v_pk_fma_f32 v[16:17], v[12:13], v[10:11], v[14:15] neg_lo:[0,0,1] neg_hi:[0,0,1]
	v_pk_fma_f32 v[10:11], v[12:13], v[10:11], v[14:15] op_sel_hi:[1,0,1]
	s_nop 0
	v_mov_b32_e32 v17, v11
	v_pk_add_f32 v[4:5], v[4:5], v[16:17]
	s_andn2_b64 exec, exec, s[4:5]
	s_cbranch_execnz .LBB62_25
; %bb.26:
	s_or_b64 exec, exec, s[4:5]
	v_mov_b32_e32 v3, 0
	ds_read_b64 v[8:9], v3 offset:24
	s_waitcnt lgkmcnt(0)
	v_pk_mul_f32 v[10:11], v[4:5], v[8:9] op_sel:[1,1] op_sel_hi:[0,1]
	v_pk_fma_f32 v[12:13], v[4:5], v[8:9], v[10:11] neg_lo:[0,0,1] neg_hi:[0,0,1]
	v_pk_fma_f32 v[4:5], v[4:5], v[8:9], v[10:11] op_sel_hi:[1,0,1]
	s_nop 0
	v_mov_b32_e32 v13, v5
	scratch_store_dwordx2 off, v[12:13], off offset:24
.LBB62_27:
	s_or_b64 exec, exec, s[0:1]
	; wave barrier
	scratch_load_dwordx2 v[4:5], off, off offset:32
	v_cmp_gt_u32_e32 vcc, 4, v0
	s_waitcnt vmcnt(0)
	ds_write_b64 v1, v[4:5]
	s_waitcnt lgkmcnt(0)
	; wave barrier
	s_and_saveexec_b64 s[0:1], vcc
	s_cbranch_execz .LBB62_31
; %bb.28:
	v_mov_b32_e32 v4, 0
	v_add_u32_e32 v3, -1, v0
	v_or_b32_e32 v7, 0x200, v2
	v_mov_b32_e32 v8, v2
	s_mov_b64 s[4:5], 0
	v_mov_b32_e32 v5, v4
.LBB62_29:                              ; =>This Inner Loop Header: Depth=1
	scratch_load_dwordx2 v[10:11], v8, off
	ds_read_b64 v[12:13], v7
	v_add_u32_e32 v3, 1, v3
	v_cmp_lt_u32_e32 vcc, 2, v3
	v_add_u32_e32 v7, 8, v7
	v_add_u32_e32 v8, 8, v8
	s_or_b64 s[4:5], vcc, s[4:5]
	s_waitcnt vmcnt(0) lgkmcnt(0)
	v_pk_mul_f32 v[14:15], v[12:13], v[10:11] op_sel:[1,1] op_sel_hi:[0,1]
	v_pk_fma_f32 v[16:17], v[12:13], v[10:11], v[14:15] neg_lo:[0,0,1] neg_hi:[0,0,1]
	v_pk_fma_f32 v[10:11], v[12:13], v[10:11], v[14:15] op_sel_hi:[1,0,1]
	s_nop 0
	v_mov_b32_e32 v17, v11
	v_pk_add_f32 v[4:5], v[4:5], v[16:17]
	s_andn2_b64 exec, exec, s[4:5]
	s_cbranch_execnz .LBB62_29
; %bb.30:
	s_or_b64 exec, exec, s[4:5]
	v_mov_b32_e32 v3, 0
	ds_read_b64 v[8:9], v3 offset:32
	s_waitcnt lgkmcnt(0)
	v_pk_mul_f32 v[10:11], v[4:5], v[8:9] op_sel:[1,1] op_sel_hi:[0,1]
	v_pk_fma_f32 v[12:13], v[4:5], v[8:9], v[10:11] neg_lo:[0,0,1] neg_hi:[0,0,1]
	v_pk_fma_f32 v[4:5], v[4:5], v[8:9], v[10:11] op_sel_hi:[1,0,1]
	s_nop 0
	v_mov_b32_e32 v13, v5
	scratch_store_dwordx2 off, v[12:13], off offset:32
.LBB62_31:
	s_or_b64 exec, exec, s[0:1]
	; wave barrier
	scratch_load_dwordx2 v[4:5], off, off offset:40
	v_cmp_gt_u32_e32 vcc, 5, v0
	;; [unrolled: 46-line block ×19, first 2 shown]
	s_waitcnt vmcnt(0)
	ds_write_b64 v1, v[4:5]
	s_waitcnt lgkmcnt(0)
	; wave barrier
	s_and_saveexec_b64 s[0:1], vcc
	s_cbranch_execz .LBB62_103
; %bb.100:
	v_mov_b32_e32 v4, 0
	v_add_u32_e32 v3, -1, v0
	v_or_b32_e32 v7, 0x200, v2
	v_mov_b32_e32 v8, v2
	s_mov_b64 s[4:5], 0
	v_mov_b32_e32 v5, v4
.LBB62_101:                             ; =>This Inner Loop Header: Depth=1
	scratch_load_dwordx2 v[10:11], v8, off
	ds_read_b64 v[12:13], v7
	v_add_u32_e32 v3, 1, v3
	v_cmp_lt_u32_e32 vcc, 20, v3
	v_add_u32_e32 v7, 8, v7
	v_add_u32_e32 v8, 8, v8
	s_or_b64 s[4:5], vcc, s[4:5]
	s_waitcnt vmcnt(0) lgkmcnt(0)
	v_pk_mul_f32 v[14:15], v[12:13], v[10:11] op_sel:[1,1] op_sel_hi:[0,1]
	v_pk_fma_f32 v[16:17], v[12:13], v[10:11], v[14:15] neg_lo:[0,0,1] neg_hi:[0,0,1]
	v_pk_fma_f32 v[10:11], v[12:13], v[10:11], v[14:15] op_sel_hi:[1,0,1]
	s_nop 0
	v_mov_b32_e32 v17, v11
	v_pk_add_f32 v[4:5], v[4:5], v[16:17]
	s_andn2_b64 exec, exec, s[4:5]
	s_cbranch_execnz .LBB62_101
; %bb.102:
	s_or_b64 exec, exec, s[4:5]
	v_mov_b32_e32 v3, 0
	ds_read_b64 v[8:9], v3 offset:176
	s_waitcnt lgkmcnt(0)
	v_pk_mul_f32 v[10:11], v[4:5], v[8:9] op_sel:[1,1] op_sel_hi:[0,1]
	v_pk_fma_f32 v[12:13], v[4:5], v[8:9], v[10:11] neg_lo:[0,0,1] neg_hi:[0,0,1]
	v_pk_fma_f32 v[4:5], v[4:5], v[8:9], v[10:11] op_sel_hi:[1,0,1]
	s_nop 0
	v_mov_b32_e32 v13, v5
	scratch_store_dwordx2 off, v[12:13], off offset:176
.LBB62_103:
	s_or_b64 exec, exec, s[0:1]
	; wave barrier
	scratch_load_dwordx2 v[4:5], off, off offset:184
	v_cmp_gt_u32_e32 vcc, 23, v0
	s_waitcnt vmcnt(0)
	ds_write_b64 v1, v[4:5]
	s_waitcnt lgkmcnt(0)
	; wave barrier
	s_and_saveexec_b64 s[0:1], vcc
	s_cbranch_execz .LBB62_107
; %bb.104:
	v_mov_b32_e32 v4, 0
	v_add_u32_e32 v3, -1, v0
	v_or_b32_e32 v7, 0x200, v2
	v_mov_b32_e32 v8, v2
	s_mov_b64 s[4:5], 0
	v_mov_b32_e32 v5, v4
.LBB62_105:                             ; =>This Inner Loop Header: Depth=1
	scratch_load_dwordx2 v[10:11], v8, off
	ds_read_b64 v[12:13], v7
	v_add_u32_e32 v3, 1, v3
	v_cmp_lt_u32_e32 vcc, 21, v3
	v_add_u32_e32 v7, 8, v7
	v_add_u32_e32 v8, 8, v8
	s_or_b64 s[4:5], vcc, s[4:5]
	s_waitcnt vmcnt(0) lgkmcnt(0)
	v_pk_mul_f32 v[14:15], v[12:13], v[10:11] op_sel:[1,1] op_sel_hi:[0,1]
	v_pk_fma_f32 v[16:17], v[12:13], v[10:11], v[14:15] neg_lo:[0,0,1] neg_hi:[0,0,1]
	v_pk_fma_f32 v[10:11], v[12:13], v[10:11], v[14:15] op_sel_hi:[1,0,1]
	s_nop 0
	v_mov_b32_e32 v17, v11
	v_pk_add_f32 v[4:5], v[4:5], v[16:17]
	s_andn2_b64 exec, exec, s[4:5]
	s_cbranch_execnz .LBB62_105
; %bb.106:
	s_or_b64 exec, exec, s[4:5]
	v_mov_b32_e32 v3, 0
	ds_read_b64 v[8:9], v3 offset:184
	s_waitcnt lgkmcnt(0)
	v_pk_mul_f32 v[10:11], v[4:5], v[8:9] op_sel:[1,1] op_sel_hi:[0,1]
	v_pk_fma_f32 v[12:13], v[4:5], v[8:9], v[10:11] neg_lo:[0,0,1] neg_hi:[0,0,1]
	v_pk_fma_f32 v[4:5], v[4:5], v[8:9], v[10:11] op_sel_hi:[1,0,1]
	s_nop 0
	v_mov_b32_e32 v13, v5
	scratch_store_dwordx2 off, v[12:13], off offset:184
.LBB62_107:
	s_or_b64 exec, exec, s[0:1]
	; wave barrier
	scratch_load_dwordx2 v[4:5], off, off offset:192
	v_cmp_gt_u32_e32 vcc, 24, v0
	;; [unrolled: 46-line block ×39, first 2 shown]
	s_waitcnt vmcnt(0)
	ds_write_b64 v1, v[4:5]
	s_waitcnt lgkmcnt(0)
	; wave barrier
	s_and_saveexec_b64 s[0:1], vcc
	s_cbranch_execz .LBB62_259
; %bb.256:
	v_mov_b32_e32 v4, 0
	v_add_u32_e32 v3, -1, v0
	v_or_b32_e32 v7, 0x200, v2
	v_mov_b32_e32 v8, v2
	s_mov_b64 s[4:5], 0
	v_mov_b32_e32 v5, v4
.LBB62_257:                             ; =>This Inner Loop Header: Depth=1
	scratch_load_dwordx2 v[10:11], v8, off
	ds_read_b64 v[12:13], v7
	v_add_u32_e32 v3, 1, v3
	v_cmp_lt_u32_e32 vcc, 59, v3
	v_add_u32_e32 v7, 8, v7
	v_add_u32_e32 v8, 8, v8
	s_or_b64 s[4:5], vcc, s[4:5]
	s_waitcnt vmcnt(0) lgkmcnt(0)
	v_pk_mul_f32 v[14:15], v[12:13], v[10:11] op_sel:[1,1] op_sel_hi:[0,1]
	v_pk_fma_f32 v[16:17], v[12:13], v[10:11], v[14:15] neg_lo:[0,0,1] neg_hi:[0,0,1]
	v_pk_fma_f32 v[10:11], v[12:13], v[10:11], v[14:15] op_sel_hi:[1,0,1]
	s_nop 0
	v_mov_b32_e32 v17, v11
	v_pk_add_f32 v[4:5], v[4:5], v[16:17]
	s_andn2_b64 exec, exec, s[4:5]
	s_cbranch_execnz .LBB62_257
; %bb.258:
	s_or_b64 exec, exec, s[4:5]
	v_mov_b32_e32 v3, 0
	ds_read_b64 v[8:9], v3 offset:488
	s_waitcnt lgkmcnt(0)
	v_pk_mul_f32 v[10:11], v[4:5], v[8:9] op_sel:[1,1] op_sel_hi:[0,1]
	v_pk_fma_f32 v[12:13], v[4:5], v[8:9], v[10:11] neg_lo:[0,0,1] neg_hi:[0,0,1]
	v_pk_fma_f32 v[4:5], v[4:5], v[8:9], v[10:11] op_sel_hi:[1,0,1]
	s_nop 0
	v_mov_b32_e32 v13, v5
	scratch_store_dwordx2 off, v[12:13], off offset:488
.LBB62_259:
	s_or_b64 exec, exec, s[0:1]
	; wave barrier
	scratch_load_dwordx2 v[4:5], off, off offset:496
	v_cmp_ne_u32_e32 vcc, 62, v0
	s_waitcnt vmcnt(0)
	ds_write_b64 v1, v[4:5]
	s_waitcnt lgkmcnt(0)
	; wave barrier
	s_and_saveexec_b64 s[0:1], vcc
	s_cbranch_execz .LBB62_263
; %bb.260:
	v_or_b32_e32 v1, 0x200, v2
	v_mov_b32_e32 v4, v2
	v_mov_b32_e32 v2, 0
	s_mov_b64 s[4:5], 0
	v_mov_b32_e32 v3, v2
.LBB62_261:                             ; =>This Inner Loop Header: Depth=1
	scratch_load_dwordx2 v[8:9], v4, off
	ds_read_b64 v[10:11], v1
	v_add_u32_e32 v6, 1, v6
	v_cmp_lt_u32_e32 vcc, 60, v6
	v_add_u32_e32 v1, 8, v1
	v_add_u32_e32 v4, 8, v4
	s_or_b64 s[4:5], vcc, s[4:5]
	s_waitcnt vmcnt(0) lgkmcnt(0)
	v_pk_mul_f32 v[12:13], v[10:11], v[8:9] op_sel:[1,1] op_sel_hi:[0,1]
	v_pk_fma_f32 v[14:15], v[10:11], v[8:9], v[12:13] neg_lo:[0,0,1] neg_hi:[0,0,1]
	v_pk_fma_f32 v[8:9], v[10:11], v[8:9], v[12:13] op_sel_hi:[1,0,1]
	s_nop 0
	v_mov_b32_e32 v15, v9
	v_pk_add_f32 v[2:3], v[2:3], v[14:15]
	s_andn2_b64 exec, exec, s[4:5]
	s_cbranch_execnz .LBB62_261
; %bb.262:
	s_or_b64 exec, exec, s[4:5]
	v_mov_b32_e32 v1, 0
	ds_read_b64 v[4:5], v1 offset:496
	s_waitcnt lgkmcnt(0)
	v_pk_mul_f32 v[6:7], v[2:3], v[4:5] op_sel:[1,1] op_sel_hi:[0,1]
	v_pk_fma_f32 v[8:9], v[2:3], v[4:5], v[6:7] neg_lo:[0,0,1] neg_hi:[0,0,1]
	v_pk_fma_f32 v[2:3], v[2:3], v[4:5], v[6:7] op_sel_hi:[1,0,1]
	s_nop 0
	v_mov_b32_e32 v9, v3
	scratch_store_dwordx2 off, v[8:9], off offset:496
.LBB62_263:
	s_or_b64 exec, exec, s[0:1]
	s_mov_b64 s[4:5], -1
	; wave barrier
.LBB62_264:
	s_and_b64 vcc, exec, s[4:5]
	s_cbranch_vccz .LBB62_266
; %bb.265:
	s_lshl_b64 s[0:1], s[2:3], 2
	s_add_u32 s0, s6, s0
	s_addc_u32 s1, s7, s1
	v_mov_b32_e32 v1, 0
	global_load_dword v1, v1, s[0:1]
	s_waitcnt vmcnt(0)
	v_cmp_ne_u32_e32 vcc, 0, v1
	s_cbranch_vccz .LBB62_267
.LBB62_266:
	s_endpgm
.LBB62_267:
	v_mov_b32_e32 v1, 0x200
	v_lshl_or_b32 v1, v0, 3, v1
	v_cmp_eq_u32_e32 vcc, 62, v0
	s_and_saveexec_b64 s[0:1], vcc
	s_cbranch_execz .LBB62_269
; %bb.268:
	scratch_load_dwordx2 v[2:3], off, off offset:488
	v_mov_b32_e32 v4, 0
	v_mov_b32_e32 v5, v4
	scratch_store_dwordx2 off, v[4:5], off offset:488
	s_waitcnt vmcnt(1)
	ds_write_b64 v1, v[2:3]
.LBB62_269:
	s_or_b64 exec, exec, s[0:1]
	s_waitcnt lgkmcnt(0)
	; wave barrier
	scratch_load_dwordx2 v[4:5], off, off offset:496
	scratch_load_dwordx2 v[6:7], off, off offset:488
	v_mov_b32_e32 v2, 0
	ds_read_b64 v[8:9], v2 offset:1008
	v_cmp_lt_u32_e32 vcc, 60, v0
	s_waitcnt vmcnt(1) lgkmcnt(0)
	v_pk_mul_f32 v[10:11], v[8:9], v[4:5] op_sel:[1,1] op_sel_hi:[0,1]
	v_pk_fma_f32 v[12:13], v[8:9], v[4:5], v[10:11] neg_lo:[0,0,1] neg_hi:[0,0,1]
	v_pk_fma_f32 v[4:5], v[8:9], v[4:5], v[10:11] op_sel_hi:[1,0,1]
	s_nop 0
	v_mov_b32_e32 v13, v5
	v_pk_add_f32 v[4:5], v[12:13], 0 op_sel_hi:[1,0]
	s_waitcnt vmcnt(0)
	v_pk_add_f32 v[4:5], v[6:7], v[4:5] neg_lo:[0,1] neg_hi:[0,1]
	scratch_store_dwordx2 off, v[4:5], off offset:488
	s_and_saveexec_b64 s[0:1], vcc
	s_cbranch_execz .LBB62_271
; %bb.270:
	scratch_load_dwordx2 v[4:5], off, off offset:480
	v_mov_b32_e32 v3, v2
	scratch_store_dwordx2 off, v[2:3], off offset:480
	s_waitcnt vmcnt(1)
	ds_write_b64 v1, v[4:5]
.LBB62_271:
	s_or_b64 exec, exec, s[0:1]
	s_waitcnt lgkmcnt(0)
	; wave barrier
	scratch_load_dwordx4 v[4:7], off, off offset:488
	scratch_load_dwordx2 v[12:13], off, off offset:480
	ds_read2_b64 v[8:11], v2 offset0:125 offset1:126
	v_cmp_lt_u32_e32 vcc, 59, v0
	s_waitcnt vmcnt(1) lgkmcnt(0)
	v_pk_mul_f32 v[2:3], v[8:9], v[4:5] op_sel:[1,1] op_sel_hi:[0,1]
	v_mov_b32_e32 v14, v7
	v_pk_fma_f32 v[16:17], v[8:9], v[4:5], v[2:3] neg_lo:[0,0,1] neg_hi:[0,0,1]
	v_pk_fma_f32 v[2:3], v[8:9], v[4:5], v[2:3] op_sel_hi:[1,0,1]
	v_pk_mul_f32 v[4:5], v[10:11], v[14:15] op_sel:[1,0] op_sel_hi:[0,0]
	v_mov_b32_e32 v17, v3
	v_pk_fma_f32 v[2:3], v[10:11], v[6:7], v[4:5] neg_lo:[0,0,1] neg_hi:[0,0,1]
	v_pk_fma_f32 v[4:5], v[10:11], v[6:7], v[4:5] op_sel_hi:[1,0,1]
	v_pk_add_f32 v[6:7], v[16:17], 0 op_sel_hi:[1,0]
	v_mov_b32_e32 v3, v5
	v_pk_add_f32 v[2:3], v[6:7], v[2:3]
	s_waitcnt vmcnt(0)
	v_pk_add_f32 v[2:3], v[12:13], v[2:3] neg_lo:[0,1] neg_hi:[0,1]
	scratch_store_dwordx2 off, v[2:3], off offset:480
	s_and_saveexec_b64 s[0:1], vcc
	s_cbranch_execz .LBB62_273
; %bb.272:
	scratch_load_dwordx2 v[2:3], off, off offset:472
	v_mov_b32_e32 v4, 0
	v_mov_b32_e32 v5, v4
	scratch_store_dwordx2 off, v[4:5], off offset:472
	s_waitcnt vmcnt(1)
	ds_write_b64 v1, v[2:3]
.LBB62_273:
	s_or_b64 exec, exec, s[0:1]
	s_waitcnt lgkmcnt(0)
	; wave barrier
	scratch_load_dwordx4 v[4:7], off, off offset:480
	scratch_load_dwordx2 v[12:13], off, off offset:496
	scratch_load_dwordx2 v[14:15], off, off offset:472
	v_mov_b32_e32 v2, 0
	ds_read_b128 v[8:11], v2 offset:992
	ds_read_b64 v[16:17], v2 offset:1008
	v_cmp_lt_u32_e32 vcc, 58, v0
	s_waitcnt vmcnt(2) lgkmcnt(1)
	v_pk_mul_f32 v[18:19], v[8:9], v[4:5] op_sel:[1,1] op_sel_hi:[0,1]
	v_mov_b32_e32 v20, v7
	v_pk_fma_f32 v[24:25], v[8:9], v[4:5], v[18:19] neg_lo:[0,0,1] neg_hi:[0,0,1]
	v_pk_fma_f32 v[4:5], v[8:9], v[4:5], v[18:19] op_sel_hi:[1,0,1]
	v_pk_mul_f32 v[8:9], v[10:11], v[20:21] op_sel:[1,0] op_sel_hi:[0,0]
	s_waitcnt vmcnt(1) lgkmcnt(0)
	v_pk_mul_f32 v[22:23], v[16:17], v[12:13] op_sel:[1,1] op_sel_hi:[0,1]
	v_mov_b32_e32 v25, v5
	v_pk_fma_f32 v[4:5], v[10:11], v[6:7], v[8:9] neg_lo:[0,0,1] neg_hi:[0,0,1]
	v_pk_fma_f32 v[6:7], v[10:11], v[6:7], v[8:9] op_sel_hi:[1,0,1]
	v_pk_fma_f32 v[18:19], v[16:17], v[12:13], v[22:23] neg_lo:[0,0,1] neg_hi:[0,0,1]
	v_pk_fma_f32 v[12:13], v[16:17], v[12:13], v[22:23] op_sel_hi:[1,0,1]
	v_pk_add_f32 v[8:9], v[24:25], 0 op_sel_hi:[1,0]
	v_mov_b32_e32 v5, v7
	v_mov_b32_e32 v19, v13
	v_pk_add_f32 v[4:5], v[8:9], v[4:5]
	s_nop 0
	v_pk_add_f32 v[4:5], v[4:5], v[18:19]
	s_waitcnt vmcnt(0)
	v_pk_add_f32 v[4:5], v[14:15], v[4:5] neg_lo:[0,1] neg_hi:[0,1]
	scratch_store_dwordx2 off, v[4:5], off offset:472
	s_and_saveexec_b64 s[0:1], vcc
	s_cbranch_execz .LBB62_275
; %bb.274:
	scratch_load_dwordx2 v[4:5], off, off offset:464
	v_mov_b32_e32 v3, v2
	scratch_store_dwordx2 off, v[2:3], off offset:464
	s_waitcnt vmcnt(1)
	ds_write_b64 v1, v[4:5]
.LBB62_275:
	s_or_b64 exec, exec, s[0:1]
	s_waitcnt lgkmcnt(0)
	; wave barrier
	scratch_load_dwordx4 v[4:7], off, off offset:472
	scratch_load_dwordx4 v[8:11], off, off offset:488
	scratch_load_dwordx2 v[20:21], off, off offset:464
	ds_read2_b64 v[12:15], v2 offset0:123 offset1:124
	ds_read2_b64 v[16:19], v2 offset0:125 offset1:126
	v_cmp_lt_u32_e32 vcc, 57, v0
	s_waitcnt vmcnt(2) lgkmcnt(1)
	v_pk_mul_f32 v[2:3], v[12:13], v[4:5] op_sel:[1,1] op_sel_hi:[0,1]
	v_mov_b32_e32 v22, v7
	s_waitcnt vmcnt(1) lgkmcnt(0)
	v_pk_mul_f32 v[24:25], v[16:17], v[8:9] op_sel:[1,1] op_sel_hi:[0,1]
	v_mov_b32_e32 v26, v11
	v_pk_fma_f32 v[28:29], v[12:13], v[4:5], v[2:3] neg_lo:[0,0,1] neg_hi:[0,0,1]
	v_pk_fma_f32 v[2:3], v[12:13], v[4:5], v[2:3] op_sel_hi:[1,0,1]
	v_pk_mul_f32 v[4:5], v[14:15], v[22:23] op_sel:[1,0] op_sel_hi:[0,0]
	v_pk_fma_f32 v[12:13], v[16:17], v[8:9], v[24:25] neg_lo:[0,0,1] neg_hi:[0,0,1]
	v_pk_fma_f32 v[8:9], v[16:17], v[8:9], v[24:25] op_sel_hi:[1,0,1]
	v_pk_mul_f32 v[16:17], v[18:19], v[26:27] op_sel:[1,0] op_sel_hi:[0,0]
	v_mov_b32_e32 v29, v3
	v_pk_fma_f32 v[2:3], v[14:15], v[6:7], v[4:5] neg_lo:[0,0,1] neg_hi:[0,0,1]
	v_pk_fma_f32 v[4:5], v[14:15], v[6:7], v[4:5] op_sel_hi:[1,0,1]
	v_mov_b32_e32 v13, v9
	v_pk_fma_f32 v[6:7], v[18:19], v[10:11], v[16:17] neg_lo:[0,0,1] neg_hi:[0,0,1]
	v_pk_fma_f32 v[8:9], v[18:19], v[10:11], v[16:17] op_sel_hi:[1,0,1]
	v_pk_add_f32 v[10:11], v[28:29], 0 op_sel_hi:[1,0]
	v_mov_b32_e32 v3, v5
	v_pk_add_f32 v[2:3], v[10:11], v[2:3]
	v_mov_b32_e32 v7, v9
	v_pk_add_f32 v[2:3], v[2:3], v[12:13]
	s_nop 0
	v_pk_add_f32 v[2:3], v[2:3], v[6:7]
	s_waitcnt vmcnt(0)
	v_pk_add_f32 v[2:3], v[20:21], v[2:3] neg_lo:[0,1] neg_hi:[0,1]
	scratch_store_dwordx2 off, v[2:3], off offset:464
	s_and_saveexec_b64 s[0:1], vcc
	s_cbranch_execz .LBB62_277
; %bb.276:
	scratch_load_dwordx2 v[2:3], off, off offset:456
	v_mov_b32_e32 v4, 0
	v_mov_b32_e32 v5, v4
	scratch_store_dwordx2 off, v[4:5], off offset:456
	s_waitcnt vmcnt(1)
	ds_write_b64 v1, v[2:3]
.LBB62_277:
	s_or_b64 exec, exec, s[0:1]
	s_waitcnt lgkmcnt(0)
	; wave barrier
	scratch_load_dwordx4 v[4:7], off, off offset:464
	scratch_load_dwordx4 v[8:11], off, off offset:480
	scratch_load_dwordx2 v[20:21], off, off offset:496
	scratch_load_dwordx2 v[22:23], off, off offset:456
	v_mov_b32_e32 v2, 0
	ds_read_b128 v[12:15], v2 offset:976
	ds_read_b128 v[16:19], v2 offset:992
	ds_read_b64 v[24:25], v2 offset:1008
	v_cmp_lt_u32_e32 vcc, 56, v0
	s_waitcnt vmcnt(3) lgkmcnt(2)
	v_pk_mul_f32 v[26:27], v[12:13], v[4:5] op_sel:[1,1] op_sel_hi:[0,1]
	v_mov_b32_e32 v28, v7
	v_pk_fma_f32 v[36:37], v[12:13], v[4:5], v[26:27] neg_lo:[0,0,1] neg_hi:[0,0,1]
	v_pk_fma_f32 v[4:5], v[12:13], v[4:5], v[26:27] op_sel_hi:[1,0,1]
	v_pk_mul_f32 v[12:13], v[14:15], v[28:29] op_sel:[1,0] op_sel_hi:[0,0]
	s_waitcnt vmcnt(2) lgkmcnt(1)
	v_pk_mul_f32 v[30:31], v[16:17], v[8:9] op_sel:[1,1] op_sel_hi:[0,1]
	v_mov_b32_e32 v32, v11
	v_mov_b32_e32 v37, v5
	v_pk_fma_f32 v[4:5], v[14:15], v[6:7], v[12:13] neg_lo:[0,0,1] neg_hi:[0,0,1]
	v_pk_fma_f32 v[6:7], v[14:15], v[6:7], v[12:13] op_sel_hi:[1,0,1]
	v_pk_fma_f32 v[26:27], v[16:17], v[8:9], v[30:31] neg_lo:[0,0,1] neg_hi:[0,0,1]
	v_pk_fma_f32 v[8:9], v[16:17], v[8:9], v[30:31] op_sel_hi:[1,0,1]
	v_pk_mul_f32 v[16:17], v[18:19], v[32:33] op_sel:[1,0] op_sel_hi:[0,0]
	v_pk_add_f32 v[12:13], v[36:37], 0 op_sel_hi:[1,0]
	v_mov_b32_e32 v5, v7
	s_waitcnt vmcnt(1) lgkmcnt(0)
	v_pk_mul_f32 v[34:35], v[24:25], v[20:21] op_sel:[1,1] op_sel_hi:[0,1]
	v_mov_b32_e32 v27, v9
	v_pk_fma_f32 v[8:9], v[18:19], v[10:11], v[16:17] neg_lo:[0,0,1] neg_hi:[0,0,1]
	v_pk_fma_f32 v[10:11], v[18:19], v[10:11], v[16:17] op_sel_hi:[1,0,1]
	v_pk_add_f32 v[4:5], v[12:13], v[4:5]
	v_pk_fma_f32 v[28:29], v[24:25], v[20:21], v[34:35] neg_lo:[0,0,1] neg_hi:[0,0,1]
	v_pk_fma_f32 v[20:21], v[24:25], v[20:21], v[34:35] op_sel_hi:[1,0,1]
	v_mov_b32_e32 v9, v11
	v_pk_add_f32 v[4:5], v[4:5], v[26:27]
	v_mov_b32_e32 v29, v21
	v_pk_add_f32 v[4:5], v[4:5], v[8:9]
	s_nop 0
	v_pk_add_f32 v[4:5], v[4:5], v[28:29]
	s_waitcnt vmcnt(0)
	v_pk_add_f32 v[4:5], v[22:23], v[4:5] neg_lo:[0,1] neg_hi:[0,1]
	scratch_store_dwordx2 off, v[4:5], off offset:456
	s_and_saveexec_b64 s[0:1], vcc
	s_cbranch_execz .LBB62_279
; %bb.278:
	scratch_load_dwordx2 v[4:5], off, off offset:448
	v_mov_b32_e32 v3, v2
	scratch_store_dwordx2 off, v[2:3], off offset:448
	s_waitcnt vmcnt(1)
	ds_write_b64 v1, v[4:5]
.LBB62_279:
	s_or_b64 exec, exec, s[0:1]
	s_waitcnt lgkmcnt(0)
	; wave barrier
	scratch_load_dwordx4 v[4:7], off, off offset:456
	scratch_load_dwordx4 v[8:11], off, off offset:472
	;; [unrolled: 1-line block ×3, first 2 shown]
	scratch_load_dwordx2 v[28:29], off, off offset:448
	ds_read2_b64 v[16:19], v2 offset0:121 offset1:122
	ds_read2_b64 v[20:23], v2 offset0:123 offset1:124
	;; [unrolled: 1-line block ×3, first 2 shown]
	v_cmp_lt_u32_e32 vcc, 55, v0
	s_waitcnt vmcnt(3) lgkmcnt(2)
	v_pk_mul_f32 v[2:3], v[16:17], v[4:5] op_sel:[1,1] op_sel_hi:[0,1]
	v_mov_b32_e32 v30, v7
	s_waitcnt vmcnt(2) lgkmcnt(1)
	v_pk_mul_f32 v[32:33], v[20:21], v[8:9] op_sel:[1,1] op_sel_hi:[0,1]
	v_mov_b32_e32 v34, v11
	;; [unrolled: 3-line block ×3, first 2 shown]
	v_pk_fma_f32 v[40:41], v[16:17], v[4:5], v[2:3] neg_lo:[0,0,1] neg_hi:[0,0,1]
	v_pk_fma_f32 v[2:3], v[16:17], v[4:5], v[2:3] op_sel_hi:[1,0,1]
	v_pk_mul_f32 v[4:5], v[18:19], v[30:31] op_sel:[1,0] op_sel_hi:[0,0]
	v_pk_fma_f32 v[16:17], v[20:21], v[8:9], v[32:33] neg_lo:[0,0,1] neg_hi:[0,0,1]
	v_pk_fma_f32 v[8:9], v[20:21], v[8:9], v[32:33] op_sel_hi:[1,0,1]
	v_pk_mul_f32 v[20:21], v[22:23], v[34:35] op_sel:[1,0] op_sel_hi:[0,0]
	;; [unrolled: 3-line block ×3, first 2 shown]
	v_mov_b32_e32 v41, v3
	v_pk_fma_f32 v[2:3], v[18:19], v[6:7], v[4:5] neg_lo:[0,0,1] neg_hi:[0,0,1]
	v_pk_fma_f32 v[4:5], v[18:19], v[6:7], v[4:5] op_sel_hi:[1,0,1]
	v_mov_b32_e32 v17, v9
	v_pk_fma_f32 v[6:7], v[22:23], v[10:11], v[20:21] neg_lo:[0,0,1] neg_hi:[0,0,1]
	v_pk_fma_f32 v[8:9], v[22:23], v[10:11], v[20:21] op_sel_hi:[1,0,1]
	v_mov_b32_e32 v31, v13
	v_pk_fma_f32 v[10:11], v[26:27], v[14:15], v[24:25] neg_lo:[0,0,1] neg_hi:[0,0,1]
	v_pk_fma_f32 v[12:13], v[26:27], v[14:15], v[24:25] op_sel_hi:[1,0,1]
	v_pk_add_f32 v[14:15], v[40:41], 0 op_sel_hi:[1,0]
	v_mov_b32_e32 v3, v5
	v_pk_add_f32 v[2:3], v[14:15], v[2:3]
	v_mov_b32_e32 v7, v9
	v_pk_add_f32 v[2:3], v[2:3], v[16:17]
	;; [unrolled: 2-line block ×3, first 2 shown]
	s_nop 0
	v_pk_add_f32 v[2:3], v[2:3], v[30:31]
	s_nop 0
	v_pk_add_f32 v[2:3], v[2:3], v[10:11]
	s_waitcnt vmcnt(0)
	v_pk_add_f32 v[2:3], v[28:29], v[2:3] neg_lo:[0,1] neg_hi:[0,1]
	scratch_store_dwordx2 off, v[2:3], off offset:448
	s_and_saveexec_b64 s[0:1], vcc
	s_cbranch_execz .LBB62_281
; %bb.280:
	scratch_load_dwordx2 v[2:3], off, off offset:440
	v_mov_b32_e32 v4, 0
	v_mov_b32_e32 v5, v4
	scratch_store_dwordx2 off, v[4:5], off offset:440
	s_waitcnt vmcnt(1)
	ds_write_b64 v1, v[2:3]
.LBB62_281:
	s_or_b64 exec, exec, s[0:1]
	s_waitcnt lgkmcnt(0)
	; wave barrier
	scratch_load_dwordx4 v[4:7], off, off offset:448
	scratch_load_dwordx4 v[8:11], off, off offset:464
	;; [unrolled: 1-line block ×3, first 2 shown]
	scratch_load_dwordx2 v[28:29], off, off offset:496
	v_mov_b32_e32 v2, 0
	ds_read_b128 v[16:19], v2 offset:960
	ds_read_b128 v[20:23], v2 offset:976
	ds_read_b128 v[24:27], v2 offset:992
	ds_read_b64 v[30:31], v2 offset:1008
	v_cmp_lt_u32_e32 vcc, 54, v0
	s_waitcnt vmcnt(3) lgkmcnt(3)
	v_pk_mul_f32 v[32:33], v[16:17], v[4:5] op_sel:[1,1] op_sel_hi:[0,1]
	v_pk_fma_f32 v[34:35], v[16:17], v[4:5], v[32:33] neg_lo:[0,0,1] neg_hi:[0,0,1]
	v_pk_fma_f32 v[4:5], v[16:17], v[4:5], v[32:33] op_sel_hi:[1,0,1]
	v_mov_b32_e32 v16, v7
	v_pk_mul_f32 v[16:17], v[18:19], v[16:17] op_sel:[1,0] op_sel_hi:[0,0]
	v_pk_fma_f32 v[32:33], v[18:19], v[6:7], v[16:17] neg_lo:[0,0,1] neg_hi:[0,0,1]
	v_pk_fma_f32 v[6:7], v[18:19], v[6:7], v[16:17] op_sel_hi:[1,0,1]
	v_mov_b32_e32 v35, v5
	v_mov_b32_e32 v33, v7
	s_waitcnt vmcnt(2) lgkmcnt(2)
	v_pk_mul_f32 v[6:7], v[20:21], v[8:9] op_sel:[1,1] op_sel_hi:[0,1]
	v_pk_fma_f32 v[16:17], v[20:21], v[8:9], v[6:7] neg_lo:[0,0,1] neg_hi:[0,0,1]
	v_pk_fma_f32 v[6:7], v[20:21], v[8:9], v[6:7] op_sel_hi:[1,0,1]
	v_pk_add_f32 v[4:5], v[34:35], 0 op_sel_hi:[1,0]
	v_mov_b32_e32 v6, v11
	v_mov_b32_e32 v17, v7
	v_pk_mul_f32 v[6:7], v[22:23], v[6:7] op_sel:[1,0] op_sel_hi:[0,0]
	v_pk_add_f32 v[4:5], v[4:5], v[32:33]
	v_pk_fma_f32 v[8:9], v[22:23], v[10:11], v[6:7] neg_lo:[0,0,1] neg_hi:[0,0,1]
	v_pk_fma_f32 v[6:7], v[22:23], v[10:11], v[6:7] op_sel_hi:[1,0,1]
	v_pk_add_f32 v[4:5], v[4:5], v[16:17]
	v_mov_b32_e32 v9, v7
	s_waitcnt vmcnt(1) lgkmcnt(1)
	v_pk_mul_f32 v[6:7], v[24:25], v[12:13] op_sel:[1,1] op_sel_hi:[0,1]
	v_pk_add_f32 v[4:5], v[4:5], v[8:9]
	v_pk_fma_f32 v[8:9], v[24:25], v[12:13], v[6:7] neg_lo:[0,0,1] neg_hi:[0,0,1]
	v_pk_fma_f32 v[6:7], v[24:25], v[12:13], v[6:7] op_sel_hi:[1,0,1]
	s_nop 0
	v_mov_b32_e32 v6, v15
	v_mov_b32_e32 v9, v7
	v_pk_mul_f32 v[6:7], v[26:27], v[6:7] op_sel:[1,0] op_sel_hi:[0,0]
	v_pk_add_f32 v[4:5], v[4:5], v[8:9]
	v_pk_fma_f32 v[8:9], v[26:27], v[14:15], v[6:7] neg_lo:[0,0,1] neg_hi:[0,0,1]
	v_pk_fma_f32 v[6:7], v[26:27], v[14:15], v[6:7] op_sel_hi:[1,0,1]
	s_nop 0
	v_mov_b32_e32 v9, v7
	s_waitcnt vmcnt(0) lgkmcnt(0)
	v_pk_mul_f32 v[6:7], v[30:31], v[28:29] op_sel:[1,1] op_sel_hi:[0,1]
	v_pk_add_f32 v[4:5], v[4:5], v[8:9]
	v_pk_fma_f32 v[8:9], v[30:31], v[28:29], v[6:7] neg_lo:[0,0,1] neg_hi:[0,0,1]
	v_pk_fma_f32 v[6:7], v[30:31], v[28:29], v[6:7] op_sel_hi:[1,0,1]
	s_nop 0
	v_mov_b32_e32 v9, v7
	scratch_load_dwordx2 v[6:7], off, off offset:440
	v_pk_add_f32 v[4:5], v[4:5], v[8:9]
	s_waitcnt vmcnt(0)
	v_pk_add_f32 v[4:5], v[6:7], v[4:5] neg_lo:[0,1] neg_hi:[0,1]
	scratch_store_dwordx2 off, v[4:5], off offset:440
	s_and_saveexec_b64 s[0:1], vcc
	s_cbranch_execz .LBB62_283
; %bb.282:
	scratch_load_dwordx2 v[4:5], off, off offset:432
	v_mov_b32_e32 v3, v2
	scratch_store_dwordx2 off, v[2:3], off offset:432
	s_waitcnt vmcnt(1)
	ds_write_b64 v1, v[4:5]
.LBB62_283:
	s_or_b64 exec, exec, s[0:1]
	s_waitcnt lgkmcnt(0)
	; wave barrier
	scratch_load_dwordx4 v[4:7], off, off offset:440
	scratch_load_dwordx4 v[8:11], off, off offset:456
	;; [unrolled: 1-line block ×4, first 2 shown]
	ds_read2_b64 v[20:23], v2 offset0:119 offset1:120
	ds_read2_b64 v[24:27], v2 offset0:121 offset1:122
	;; [unrolled: 1-line block ×4, first 2 shown]
	v_cmp_lt_u32_e32 vcc, 53, v0
	s_waitcnt vmcnt(3) lgkmcnt(3)
	v_pk_mul_f32 v[2:3], v[20:21], v[4:5] op_sel:[1,1] op_sel_hi:[0,1]
	v_pk_fma_f32 v[36:37], v[20:21], v[4:5], v[2:3] neg_lo:[0,0,1] neg_hi:[0,0,1]
	v_pk_fma_f32 v[2:3], v[20:21], v[4:5], v[2:3] op_sel_hi:[1,0,1]
	v_mov_b32_e32 v4, v7
	v_pk_mul_f32 v[4:5], v[22:23], v[4:5] op_sel:[1,0] op_sel_hi:[0,0]
	v_pk_fma_f32 v[20:21], v[22:23], v[6:7], v[4:5] neg_lo:[0,0,1] neg_hi:[0,0,1]
	v_pk_fma_f32 v[4:5], v[22:23], v[6:7], v[4:5] op_sel_hi:[1,0,1]
	v_mov_b32_e32 v37, v3
	v_mov_b32_e32 v21, v5
	s_waitcnt vmcnt(2) lgkmcnt(2)
	v_pk_mul_f32 v[4:5], v[24:25], v[8:9] op_sel:[1,1] op_sel_hi:[0,1]
	v_pk_fma_f32 v[6:7], v[24:25], v[8:9], v[4:5] neg_lo:[0,0,1] neg_hi:[0,0,1]
	v_pk_fma_f32 v[4:5], v[24:25], v[8:9], v[4:5] op_sel_hi:[1,0,1]
	v_pk_add_f32 v[2:3], v[36:37], 0 op_sel_hi:[1,0]
	v_mov_b32_e32 v4, v11
	v_pk_add_f32 v[2:3], v[2:3], v[20:21]
	v_mov_b32_e32 v7, v5
	v_pk_mul_f32 v[4:5], v[26:27], v[4:5] op_sel:[1,0] op_sel_hi:[0,0]
	v_pk_add_f32 v[2:3], v[2:3], v[6:7]
	v_pk_fma_f32 v[6:7], v[26:27], v[10:11], v[4:5] neg_lo:[0,0,1] neg_hi:[0,0,1]
	v_pk_fma_f32 v[4:5], v[26:27], v[10:11], v[4:5] op_sel_hi:[1,0,1]
	s_nop 0
	v_mov_b32_e32 v7, v5
	s_waitcnt vmcnt(1) lgkmcnt(1)
	v_pk_mul_f32 v[4:5], v[28:29], v[12:13] op_sel:[1,1] op_sel_hi:[0,1]
	v_pk_add_f32 v[2:3], v[2:3], v[6:7]
	v_pk_fma_f32 v[6:7], v[28:29], v[12:13], v[4:5] neg_lo:[0,0,1] neg_hi:[0,0,1]
	v_pk_fma_f32 v[4:5], v[28:29], v[12:13], v[4:5] op_sel_hi:[1,0,1]
	s_nop 0
	v_mov_b32_e32 v4, v15
	v_mov_b32_e32 v7, v5
	v_pk_mul_f32 v[4:5], v[30:31], v[4:5] op_sel:[1,0] op_sel_hi:[0,0]
	v_pk_add_f32 v[2:3], v[2:3], v[6:7]
	v_pk_fma_f32 v[6:7], v[30:31], v[14:15], v[4:5] neg_lo:[0,0,1] neg_hi:[0,0,1]
	v_pk_fma_f32 v[4:5], v[30:31], v[14:15], v[4:5] op_sel_hi:[1,0,1]
	s_nop 0
	v_mov_b32_e32 v7, v5
	s_waitcnt vmcnt(0) lgkmcnt(0)
	v_pk_mul_f32 v[4:5], v[32:33], v[16:17] op_sel:[1,1] op_sel_hi:[0,1]
	v_pk_add_f32 v[2:3], v[2:3], v[6:7]
	v_pk_fma_f32 v[6:7], v[32:33], v[16:17], v[4:5] neg_lo:[0,0,1] neg_hi:[0,0,1]
	v_pk_fma_f32 v[4:5], v[32:33], v[16:17], v[4:5] op_sel_hi:[1,0,1]
	s_nop 0
	v_mov_b32_e32 v4, v19
	v_mov_b32_e32 v7, v5
	v_pk_mul_f32 v[4:5], v[34:35], v[4:5] op_sel:[1,0] op_sel_hi:[0,0]
	v_pk_add_f32 v[2:3], v[2:3], v[6:7]
	v_pk_fma_f32 v[6:7], v[34:35], v[18:19], v[4:5] neg_lo:[0,0,1] neg_hi:[0,0,1]
	v_pk_fma_f32 v[4:5], v[34:35], v[18:19], v[4:5] op_sel_hi:[1,0,1]
	s_nop 0
	v_mov_b32_e32 v7, v5
	scratch_load_dwordx2 v[4:5], off, off offset:432
	v_pk_add_f32 v[2:3], v[2:3], v[6:7]
	s_waitcnt vmcnt(0)
	v_pk_add_f32 v[2:3], v[4:5], v[2:3] neg_lo:[0,1] neg_hi:[0,1]
	scratch_store_dwordx2 off, v[2:3], off offset:432
	s_and_saveexec_b64 s[0:1], vcc
	s_cbranch_execz .LBB62_285
; %bb.284:
	scratch_load_dwordx2 v[2:3], off, off offset:424
	v_mov_b32_e32 v4, 0
	v_mov_b32_e32 v5, v4
	scratch_store_dwordx2 off, v[4:5], off offset:424
	s_waitcnt vmcnt(1)
	ds_write_b64 v1, v[2:3]
.LBB62_285:
	s_or_b64 exec, exec, s[0:1]
	v_mov_b32_e32 v2, 0
	s_waitcnt lgkmcnt(0)
	; wave barrier
	ds_read_b128 v[4:7], v2 offset:944
	ds_read_b128 v[8:11], v2 offset:960
	;; [unrolled: 1-line block ×4, first 2 shown]
	scratch_load_dwordx4 v[20:23], off, off offset:432
	scratch_load_dwordx4 v[24:27], off, off offset:448
	;; [unrolled: 1-line block ×4, first 2 shown]
	scratch_load_dwordx2 v[38:39], off, off offset:496
	v_cmp_lt_u32_e32 vcc, 52, v0
	s_waitcnt vmcnt(4) lgkmcnt(3)
	v_mul_f32_e32 v37, v4, v21
	v_mul_f32_e32 v3, v5, v21
	v_fmac_f32_e32 v37, v5, v20
	v_fma_f32 v36, v4, v20, -v3
	v_pk_add_f32 v[20:21], v[36:37], 0 op_sel_hi:[1,0]
	v_mov_b32_e32 v36, v23
	v_pk_mul_f32 v[36:37], v[6:7], v[36:37] op_sel:[1,0] op_sel_hi:[0,0]
	v_pk_fma_f32 v[40:41], v[6:7], v[22:23], v[36:37] neg_lo:[0,0,1] neg_hi:[0,0,1]
	v_pk_fma_f32 v[6:7], v[6:7], v[22:23], v[36:37] op_sel_hi:[1,0,1]
	ds_read_b64 v[4:5], v2 offset:1008
	v_mov_b32_e32 v41, v7
	v_pk_add_f32 v[6:7], v[20:21], v[40:41]
	s_waitcnt vmcnt(3) lgkmcnt(3)
	v_pk_mul_f32 v[20:21], v[8:9], v[24:25] op_sel:[1,1] op_sel_hi:[0,1]
	v_pk_fma_f32 v[22:23], v[8:9], v[24:25], v[20:21] neg_lo:[0,0,1] neg_hi:[0,0,1]
	v_pk_fma_f32 v[8:9], v[8:9], v[24:25], v[20:21] op_sel_hi:[1,0,1]
	s_nop 0
	v_mov_b32_e32 v8, v27
	v_mov_b32_e32 v23, v9
	v_pk_mul_f32 v[8:9], v[10:11], v[8:9] op_sel:[1,0] op_sel_hi:[0,0]
	v_pk_fma_f32 v[20:21], v[10:11], v[26:27], v[8:9] neg_lo:[0,0,1] neg_hi:[0,0,1]
	v_pk_fma_f32 v[8:9], v[10:11], v[26:27], v[8:9] op_sel_hi:[1,0,1]
	v_pk_add_f32 v[6:7], v[6:7], v[22:23]
	v_mov_b32_e32 v21, v9
	s_waitcnt vmcnt(2) lgkmcnt(2)
	v_pk_mul_f32 v[8:9], v[12:13], v[28:29] op_sel:[1,1] op_sel_hi:[0,1]
	v_pk_fma_f32 v[10:11], v[12:13], v[28:29], v[8:9] neg_lo:[0,0,1] neg_hi:[0,0,1]
	v_pk_fma_f32 v[8:9], v[12:13], v[28:29], v[8:9] op_sel_hi:[1,0,1]
	v_pk_add_f32 v[6:7], v[6:7], v[20:21]
	v_mov_b32_e32 v8, v31
	v_mov_b32_e32 v11, v9
	v_pk_mul_f32 v[8:9], v[14:15], v[8:9] op_sel:[1,0] op_sel_hi:[0,0]
	v_pk_add_f32 v[6:7], v[6:7], v[10:11]
	v_pk_fma_f32 v[10:11], v[14:15], v[30:31], v[8:9] neg_lo:[0,0,1] neg_hi:[0,0,1]
	v_pk_fma_f32 v[8:9], v[14:15], v[30:31], v[8:9] op_sel_hi:[1,0,1]
	s_nop 0
	v_mov_b32_e32 v11, v9
	s_waitcnt vmcnt(1) lgkmcnt(1)
	v_pk_mul_f32 v[8:9], v[16:17], v[32:33] op_sel:[1,1] op_sel_hi:[0,1]
	v_pk_add_f32 v[6:7], v[6:7], v[10:11]
	v_pk_fma_f32 v[10:11], v[16:17], v[32:33], v[8:9] neg_lo:[0,0,1] neg_hi:[0,0,1]
	v_pk_fma_f32 v[8:9], v[16:17], v[32:33], v[8:9] op_sel_hi:[1,0,1]
	s_nop 0
	v_mov_b32_e32 v8, v35
	v_mov_b32_e32 v11, v9
	v_pk_mul_f32 v[8:9], v[18:19], v[8:9] op_sel:[1,0] op_sel_hi:[0,0]
	v_pk_add_f32 v[6:7], v[6:7], v[10:11]
	v_pk_fma_f32 v[10:11], v[18:19], v[34:35], v[8:9] neg_lo:[0,0,1] neg_hi:[0,0,1]
	v_pk_fma_f32 v[8:9], v[18:19], v[34:35], v[8:9] op_sel_hi:[1,0,1]
	s_nop 0
	v_mov_b32_e32 v11, v9
	s_waitcnt vmcnt(0) lgkmcnt(0)
	v_pk_mul_f32 v[8:9], v[4:5], v[38:39] op_sel:[1,1] op_sel_hi:[0,1]
	v_pk_add_f32 v[6:7], v[6:7], v[10:11]
	v_pk_fma_f32 v[10:11], v[4:5], v[38:39], v[8:9] neg_lo:[0,0,1] neg_hi:[0,0,1]
	v_pk_fma_f32 v[4:5], v[4:5], v[38:39], v[8:9] op_sel_hi:[1,0,1]
	s_nop 0
	v_mov_b32_e32 v11, v5
	v_pk_add_f32 v[4:5], v[6:7], v[10:11]
	scratch_load_dwordx2 v[6:7], off, off offset:424
	s_waitcnt vmcnt(0)
	v_pk_add_f32 v[4:5], v[6:7], v[4:5] neg_lo:[0,1] neg_hi:[0,1]
	scratch_store_dwordx2 off, v[4:5], off offset:424
	s_and_saveexec_b64 s[0:1], vcc
	s_cbranch_execz .LBB62_287
; %bb.286:
	scratch_load_dwordx2 v[4:5], off, off offset:416
	v_mov_b32_e32 v3, v2
	scratch_store_dwordx2 off, v[2:3], off offset:416
	s_waitcnt vmcnt(1)
	ds_write_b64 v1, v[4:5]
.LBB62_287:
	s_or_b64 exec, exec, s[0:1]
	s_waitcnt lgkmcnt(0)
	; wave barrier
	scratch_load_dwordx4 v[8:11], off, off offset:424
	ds_read2_b64 v[4:7], v2 offset0:117 offset1:118
	scratch_load_dwordx4 v[12:15], off, off offset:440
	scratch_load_dwordx4 v[16:19], off, off offset:456
	;; [unrolled: 1-line block ×4, first 2 shown]
	v_cmp_lt_u32_e32 vcc, 51, v0
	s_waitcnt vmcnt(4) lgkmcnt(0)
	v_mul_f32_e32 v3, v5, v9
	v_mul_f32_e32 v37, v4, v9
	;; [unrolled: 1-line block ×3, first 2 shown]
	v_fma_f32 v36, v4, v8, -v3
	v_mul_f32_e32 v3, v7, v11
	v_fmac_f32_e32 v37, v5, v8
	v_fmac_f32_e32 v39, v7, v10
	v_fma_f32 v38, v6, v10, -v3
	ds_read2_b64 v[4:7], v2 offset0:119 offset1:120
	ds_read2_b64 v[8:11], v2 offset0:121 offset1:122
	;; [unrolled: 1-line block ×4, first 2 shown]
	v_pk_add_f32 v[2:3], v[36:37], 0 op_sel_hi:[1,0]
	s_waitcnt vmcnt(3) lgkmcnt(3)
	v_pk_mul_f32 v[36:37], v[4:5], v[12:13] op_sel:[1,1] op_sel_hi:[0,1]
	v_pk_add_f32 v[2:3], v[2:3], v[38:39]
	v_pk_fma_f32 v[38:39], v[4:5], v[12:13], v[36:37] neg_lo:[0,0,1] neg_hi:[0,0,1]
	v_pk_fma_f32 v[4:5], v[4:5], v[12:13], v[36:37] op_sel_hi:[1,0,1]
	s_nop 0
	v_mov_b32_e32 v4, v15
	v_mov_b32_e32 v39, v5
	v_pk_mul_f32 v[4:5], v[6:7], v[4:5] op_sel:[1,0] op_sel_hi:[0,0]
	v_pk_fma_f32 v[12:13], v[6:7], v[14:15], v[4:5] neg_lo:[0,0,1] neg_hi:[0,0,1]
	v_pk_fma_f32 v[4:5], v[6:7], v[14:15], v[4:5] op_sel_hi:[1,0,1]
	v_pk_add_f32 v[2:3], v[2:3], v[38:39]
	v_mov_b32_e32 v13, v5
	s_waitcnt vmcnt(2) lgkmcnt(2)
	v_pk_mul_f32 v[4:5], v[8:9], v[16:17] op_sel:[1,1] op_sel_hi:[0,1]
	v_pk_fma_f32 v[6:7], v[8:9], v[16:17], v[4:5] neg_lo:[0,0,1] neg_hi:[0,0,1]
	v_pk_fma_f32 v[4:5], v[8:9], v[16:17], v[4:5] op_sel_hi:[1,0,1]
	v_pk_add_f32 v[2:3], v[2:3], v[12:13]
	v_mov_b32_e32 v4, v19
	v_mov_b32_e32 v7, v5
	v_pk_mul_f32 v[4:5], v[10:11], v[4:5] op_sel:[1,0] op_sel_hi:[0,0]
	v_pk_add_f32 v[2:3], v[2:3], v[6:7]
	v_pk_fma_f32 v[6:7], v[10:11], v[18:19], v[4:5] neg_lo:[0,0,1] neg_hi:[0,0,1]
	v_pk_fma_f32 v[4:5], v[10:11], v[18:19], v[4:5] op_sel_hi:[1,0,1]
	s_nop 0
	v_mov_b32_e32 v7, v5
	s_waitcnt vmcnt(1) lgkmcnt(1)
	v_pk_mul_f32 v[4:5], v[28:29], v[20:21] op_sel:[1,1] op_sel_hi:[0,1]
	v_pk_add_f32 v[2:3], v[2:3], v[6:7]
	v_pk_fma_f32 v[6:7], v[28:29], v[20:21], v[4:5] neg_lo:[0,0,1] neg_hi:[0,0,1]
	v_pk_fma_f32 v[4:5], v[28:29], v[20:21], v[4:5] op_sel_hi:[1,0,1]
	s_nop 0
	v_mov_b32_e32 v4, v23
	v_mov_b32_e32 v7, v5
	v_pk_mul_f32 v[4:5], v[30:31], v[4:5] op_sel:[1,0] op_sel_hi:[0,0]
	v_pk_add_f32 v[2:3], v[2:3], v[6:7]
	v_pk_fma_f32 v[6:7], v[30:31], v[22:23], v[4:5] neg_lo:[0,0,1] neg_hi:[0,0,1]
	v_pk_fma_f32 v[4:5], v[30:31], v[22:23], v[4:5] op_sel_hi:[1,0,1]
	s_nop 0
	v_mov_b32_e32 v7, v5
	s_waitcnt vmcnt(0) lgkmcnt(0)
	v_pk_mul_f32 v[4:5], v[32:33], v[24:25] op_sel:[1,1] op_sel_hi:[0,1]
	v_pk_add_f32 v[2:3], v[2:3], v[6:7]
	v_pk_fma_f32 v[6:7], v[32:33], v[24:25], v[4:5] neg_lo:[0,0,1] neg_hi:[0,0,1]
	v_pk_fma_f32 v[4:5], v[32:33], v[24:25], v[4:5] op_sel_hi:[1,0,1]
	s_nop 0
	v_mov_b32_e32 v4, v27
	v_mov_b32_e32 v7, v5
	v_pk_mul_f32 v[4:5], v[34:35], v[4:5] op_sel:[1,0] op_sel_hi:[0,0]
	v_pk_add_f32 v[2:3], v[2:3], v[6:7]
	v_pk_fma_f32 v[6:7], v[34:35], v[26:27], v[4:5] neg_lo:[0,0,1] neg_hi:[0,0,1]
	v_pk_fma_f32 v[4:5], v[34:35], v[26:27], v[4:5] op_sel_hi:[1,0,1]
	s_nop 0
	v_mov_b32_e32 v7, v5
	scratch_load_dwordx2 v[4:5], off, off offset:416
	v_pk_add_f32 v[2:3], v[2:3], v[6:7]
	s_waitcnt vmcnt(0)
	v_pk_add_f32 v[2:3], v[4:5], v[2:3] neg_lo:[0,1] neg_hi:[0,1]
	scratch_store_dwordx2 off, v[2:3], off offset:416
	s_and_saveexec_b64 s[0:1], vcc
	s_cbranch_execz .LBB62_289
; %bb.288:
	scratch_load_dwordx2 v[2:3], off, off offset:408
	v_mov_b32_e32 v4, 0
	v_mov_b32_e32 v5, v4
	scratch_store_dwordx2 off, v[4:5], off offset:408
	s_waitcnt vmcnt(1)
	ds_write_b64 v1, v[2:3]
.LBB62_289:
	s_or_b64 exec, exec, s[0:1]
	s_waitcnt lgkmcnt(0)
	; wave barrier
	scratch_load_dwordx4 v[4:7], off, off offset:416
	scratch_load_dwordx4 v[8:11], off, off offset:432
	;; [unrolled: 1-line block ×5, first 2 shown]
	scratch_load_dwordx2 v[44:45], off, off offset:496
	scratch_load_dwordx2 v[46:47], off, off offset:408
	v_mov_b32_e32 v2, 0
	ds_read_b128 v[24:27], v2 offset:928
	ds_read_b128 v[28:31], v2 offset:944
	;; [unrolled: 1-line block ×5, first 2 shown]
	ds_read_b64 v[48:49], v2 offset:1008
	v_cmp_lt_u32_e32 vcc, 50, v0
	s_waitcnt vmcnt(6) lgkmcnt(5)
	v_mul_f32_e32 v3, v24, v5
	v_mul_f32_e32 v5, v25, v5
	;; [unrolled: 1-line block ×3, first 2 shown]
	s_waitcnt vmcnt(5) lgkmcnt(4)
	v_mul_f32_e32 v53, v28, v9
	v_mul_f32_e32 v7, v27, v7
	;; [unrolled: 1-line block ×3, first 2 shown]
	v_mov_b32_e32 v54, v11
	s_waitcnt vmcnt(3) lgkmcnt(2)
	v_pk_mul_f32 v[60:61], v[36:37], v[16:17] op_sel:[1,1] op_sel_hi:[0,1]
	s_waitcnt vmcnt(2) lgkmcnt(1)
	v_pk_mul_f32 v[64:65], v[40:41], v[20:21] op_sel:[1,1] op_sel_hi:[0,1]
	;; [unrolled: 2-line block ×3, first 2 shown]
	v_fmac_f32_e32 v3, v25, v4
	v_fma_f32 v55, v24, v4, -v5
	v_fmac_f32_e32 v51, v27, v6
	v_fmac_f32_e32 v53, v29, v8
	v_fma_f32 v50, v26, v6, -v7
	v_fma_f32 v52, v28, v8, -v9
	v_pk_mul_f32 v[4:5], v[30:31], v[54:55] op_sel:[1,0] op_sel_hi:[0,0]
	v_pk_fma_f32 v[24:25], v[36:37], v[16:17], v[60:61] neg_lo:[0,0,1] neg_hi:[0,0,1]
	v_pk_fma_f32 v[16:17], v[36:37], v[16:17], v[60:61] op_sel_hi:[1,0,1]
	v_pk_fma_f32 v[28:29], v[40:41], v[20:21], v[64:65] neg_lo:[0,0,1] neg_hi:[0,0,1]
	v_pk_fma_f32 v[20:21], v[40:41], v[20:21], v[64:65] op_sel_hi:[1,0,1]
	;; [unrolled: 2-line block ×3, first 2 shown]
	v_add_f32_e32 v45, 0, v3
	v_add_f32_e32 v44, 0, v55
	v_pk_mul_f32 v[56:57], v[32:33], v[12:13] op_sel:[1,1] op_sel_hi:[0,1]
	v_mov_b32_e32 v58, v15
	v_pk_fma_f32 v[48:49], v[30:31], v[10:11], v[4:5] neg_lo:[0,0,1] neg_hi:[0,0,1]
	v_pk_fma_f32 v[4:5], v[30:31], v[10:11], v[4:5] op_sel_hi:[1,0,1]
	v_mov_b32_e32 v29, v21
	v_pk_add_f32 v[20:21], v[44:45], v[50:51]
	v_pk_fma_f32 v[6:7], v[32:33], v[12:13], v[56:57] neg_lo:[0,0,1] neg_hi:[0,0,1]
	v_pk_fma_f32 v[8:9], v[32:33], v[12:13], v[56:57] op_sel_hi:[1,0,1]
	v_pk_mul_f32 v[12:13], v[34:35], v[58:59] op_sel:[1,0] op_sel_hi:[0,0]
	v_mov_b32_e32 v49, v5
	v_pk_add_f32 v[4:5], v[20:21], v[52:53]
	v_mov_b32_e32 v62, v19
	v_mov_b32_e32 v7, v9
	v_pk_fma_f32 v[8:9], v[34:35], v[14:15], v[12:13] neg_lo:[0,0,1] neg_hi:[0,0,1]
	v_pk_fma_f32 v[10:11], v[34:35], v[14:15], v[12:13] op_sel_hi:[1,0,1]
	v_pk_add_f32 v[4:5], v[4:5], v[48:49]
	v_pk_mul_f32 v[26:27], v[38:39], v[62:63] op_sel:[1,0] op_sel_hi:[0,0]
	v_mov_b32_e32 v9, v11
	v_pk_add_f32 v[4:5], v[4:5], v[6:7]
	v_mov_b32_e32 v66, v23
	v_mov_b32_e32 v25, v17
	v_pk_fma_f32 v[12:13], v[38:39], v[18:19], v[26:27] neg_lo:[0,0,1] neg_hi:[0,0,1]
	v_pk_fma_f32 v[14:15], v[38:39], v[18:19], v[26:27] op_sel_hi:[1,0,1]
	v_pk_add_f32 v[4:5], v[4:5], v[8:9]
	v_pk_mul_f32 v[32:33], v[42:43], v[66:67] op_sel:[1,0] op_sel_hi:[0,0]
	v_mov_b32_e32 v13, v15
	v_pk_add_f32 v[4:5], v[4:5], v[24:25]
	v_pk_fma_f32 v[16:17], v[42:43], v[22:23], v[32:33] neg_lo:[0,0,1] neg_hi:[0,0,1]
	v_pk_fma_f32 v[18:19], v[42:43], v[22:23], v[32:33] op_sel_hi:[1,0,1]
	v_pk_add_f32 v[4:5], v[4:5], v[12:13]
	v_mov_b32_e32 v17, v19
	v_pk_add_f32 v[4:5], v[4:5], v[28:29]
	v_mov_b32_e32 v37, v41
	v_pk_add_f32 v[4:5], v[4:5], v[16:17]
	s_nop 0
	v_pk_add_f32 v[4:5], v[4:5], v[36:37]
	s_waitcnt vmcnt(0)
	v_pk_add_f32 v[4:5], v[46:47], v[4:5] neg_lo:[0,1] neg_hi:[0,1]
	scratch_store_dwordx2 off, v[4:5], off offset:408
	s_and_saveexec_b64 s[0:1], vcc
	s_cbranch_execz .LBB62_291
; %bb.290:
	scratch_load_dwordx2 v[4:5], off, off offset:400
	v_mov_b32_e32 v3, v2
	scratch_store_dwordx2 off, v[2:3], off offset:400
	s_waitcnt vmcnt(1)
	ds_write_b64 v1, v[4:5]
.LBB62_291:
	s_or_b64 exec, exec, s[0:1]
	s_waitcnt lgkmcnt(0)
	; wave barrier
	scratch_load_dwordx4 v[4:7], off, off offset:408
	scratch_load_dwordx4 v[8:11], off, off offset:424
	;; [unrolled: 1-line block ×6, first 2 shown]
	scratch_load_dwordx2 v[52:53], off, off offset:400
	ds_read2_b64 v[28:31], v2 offset0:115 offset1:116
	ds_read2_b64 v[32:35], v2 offset0:117 offset1:118
	;; [unrolled: 1-line block ×6, first 2 shown]
	v_cmp_lt_u32_e32 vcc, 49, v0
	s_waitcnt vmcnt(6) lgkmcnt(5)
	v_mul_f32_e32 v59, v28, v5
	v_mul_f32_e32 v63, v30, v7
	s_waitcnt vmcnt(5) lgkmcnt(4)
	v_mul_f32_e32 v3, v32, v9
	v_mul_f32_e32 v2, v29, v5
	;; [unrolled: 1-line block ×4, first 2 shown]
	s_waitcnt vmcnt(1) lgkmcnt(0)
	v_pk_mul_f32 v[68:69], v[48:49], v[24:25] op_sel:[1,1] op_sel_hi:[0,1]
	v_pk_mul_f32 v[56:57], v[36:37], v[12:13] op_sel:[1,1] op_sel_hi:[0,1]
	v_fmac_f32_e32 v59, v29, v4
	v_fmac_f32_e32 v3, v33, v8
	v_fma_f32 v67, v28, v4, -v2
	v_fma_f32 v2, v32, v8, -v7
	v_pk_fma_f32 v[32:33], v[48:49], v[24:25], v[68:69] neg_lo:[0,0,1] neg_hi:[0,0,1]
	v_pk_fma_f32 v[24:25], v[48:49], v[24:25], v[68:69] op_sel_hi:[1,0,1]
	v_fmac_f32_e32 v63, v31, v6
	v_fma_f32 v71, v30, v6, -v5
	v_pk_fma_f32 v[4:5], v[36:37], v[12:13], v[56:57] neg_lo:[0,0,1] neg_hi:[0,0,1]
	v_pk_fma_f32 v[6:7], v[36:37], v[12:13], v[56:57] op_sel_hi:[1,0,1]
	v_add_f32_e32 v24, 0, v59
	v_add_f32_e32 v36, 0, v67
	v_mul_f32_e32 v55, v34, v11
	v_mul_f32_e32 v9, v35, v11
	v_mov_b32_e32 v58, v15
	v_mov_b32_e32 v33, v25
	v_add_f32_e32 v25, v24, v63
	v_add_f32_e32 v24, v36, v71
	v_fmac_f32_e32 v55, v35, v10
	v_fma_f32 v54, v34, v10, -v9
	v_pk_mul_f32 v[8:9], v[38:39], v[58:59] op_sel:[1,0] op_sel_hi:[0,0]
	v_pk_add_f32 v[2:3], v[24:25], v[2:3]
	v_pk_mul_f32 v[60:61], v[40:41], v[16:17] op_sel:[1,1] op_sel_hi:[0,1]
	v_mov_b32_e32 v62, v19
	v_mov_b32_e32 v5, v7
	v_pk_fma_f32 v[6:7], v[38:39], v[14:15], v[8:9] neg_lo:[0,0,1] neg_hi:[0,0,1]
	v_pk_fma_f32 v[8:9], v[38:39], v[14:15], v[8:9] op_sel_hi:[1,0,1]
	v_pk_add_f32 v[2:3], v[2:3], v[54:55]
	v_pk_fma_f32 v[10:11], v[40:41], v[16:17], v[60:61] neg_lo:[0,0,1] neg_hi:[0,0,1]
	v_pk_fma_f32 v[12:13], v[40:41], v[16:17], v[60:61] op_sel_hi:[1,0,1]
	v_pk_mul_f32 v[16:17], v[42:43], v[62:63] op_sel:[1,0] op_sel_hi:[0,0]
	v_mov_b32_e32 v7, v9
	v_pk_add_f32 v[2:3], v[2:3], v[4:5]
	v_pk_mul_f32 v[64:65], v[44:45], v[20:21] op_sel:[1,1] op_sel_hi:[0,1]
	v_mov_b32_e32 v66, v23
	v_mov_b32_e32 v11, v13
	v_pk_fma_f32 v[12:13], v[42:43], v[18:19], v[16:17] neg_lo:[0,0,1] neg_hi:[0,0,1]
	v_pk_fma_f32 v[14:15], v[42:43], v[18:19], v[16:17] op_sel_hi:[1,0,1]
	v_pk_add_f32 v[2:3], v[2:3], v[6:7]
	v_pk_fma_f32 v[28:29], v[44:45], v[20:21], v[64:65] neg_lo:[0,0,1] neg_hi:[0,0,1]
	v_pk_fma_f32 v[20:21], v[44:45], v[20:21], v[64:65] op_sel_hi:[1,0,1]
	v_pk_mul_f32 v[30:31], v[46:47], v[66:67] op_sel:[1,0] op_sel_hi:[0,0]
	v_mov_b32_e32 v13, v15
	v_pk_add_f32 v[2:3], v[2:3], v[10:11]
	v_mov_b32_e32 v70, v27
	v_mov_b32_e32 v29, v21
	v_pk_fma_f32 v[16:17], v[46:47], v[22:23], v[30:31] neg_lo:[0,0,1] neg_hi:[0,0,1]
	v_pk_fma_f32 v[18:19], v[46:47], v[22:23], v[30:31] op_sel_hi:[1,0,1]
	v_pk_add_f32 v[2:3], v[2:3], v[12:13]
	v_pk_mul_f32 v[34:35], v[50:51], v[70:71] op_sel:[1,0] op_sel_hi:[0,0]
	v_mov_b32_e32 v17, v19
	v_pk_add_f32 v[2:3], v[2:3], v[28:29]
	v_pk_fma_f32 v[20:21], v[50:51], v[26:27], v[34:35] neg_lo:[0,0,1] neg_hi:[0,0,1]
	v_pk_fma_f32 v[22:23], v[50:51], v[26:27], v[34:35] op_sel_hi:[1,0,1]
	v_pk_add_f32 v[2:3], v[2:3], v[16:17]
	v_mov_b32_e32 v21, v23
	v_pk_add_f32 v[2:3], v[2:3], v[32:33]
	s_nop 0
	v_pk_add_f32 v[2:3], v[2:3], v[20:21]
	s_waitcnt vmcnt(0)
	v_pk_add_f32 v[2:3], v[52:53], v[2:3] neg_lo:[0,1] neg_hi:[0,1]
	scratch_store_dwordx2 off, v[2:3], off offset:400
	s_and_saveexec_b64 s[0:1], vcc
	s_cbranch_execz .LBB62_293
; %bb.292:
	scratch_load_dwordx2 v[2:3], off, off offset:392
	v_mov_b32_e32 v4, 0
	v_mov_b32_e32 v5, v4
	scratch_store_dwordx2 off, v[4:5], off offset:392
	s_waitcnt vmcnt(1)
	ds_write_b64 v1, v[2:3]
.LBB62_293:
	s_or_b64 exec, exec, s[0:1]
	s_waitcnt lgkmcnt(0)
	; wave barrier
	scratch_load_dwordx4 v[4:7], off, off offset:400
	scratch_load_dwordx4 v[8:11], off, off offset:416
	;; [unrolled: 1-line block ×6, first 2 shown]
	scratch_load_dwordx2 v[52:53], off, off offset:496
	scratch_load_dwordx2 v[54:55], off, off offset:392
	v_mov_b32_e32 v2, 0
	ds_read_b128 v[28:31], v2 offset:912
	ds_read_b128 v[32:35], v2 offset:928
	;; [unrolled: 1-line block ×6, first 2 shown]
	ds_read_b64 v[56:57], v2 offset:1008
	v_cmp_lt_u32_e32 vcc, 48, v0
	s_waitcnt vmcnt(7) lgkmcnt(6)
	v_mul_f32_e32 v63, v30, v7
	v_mul_f32_e32 v3, v28, v5
	s_waitcnt vmcnt(5) lgkmcnt(4)
	v_mul_f32_e32 v61, v36, v13
	v_mul_f32_e32 v5, v29, v5
	v_mov_b32_e32 v62, v15
	s_waitcnt vmcnt(2) lgkmcnt(1)
	v_pk_mul_f32 v[72:73], v[48:49], v[24:25] op_sel:[1,1] op_sel_hi:[0,1]
	v_fmac_f32_e32 v63, v31, v6
	v_mul_f32_e32 v7, v31, v7
	v_mul_f32_e32 v13, v37, v13
	v_fmac_f32_e32 v3, v29, v4
	v_fmac_f32_e32 v61, v37, v12
	v_fma_f32 v37, v28, v4, -v5
	v_pk_mul_f32 v[4:5], v[38:39], v[62:63] op_sel:[1,0] op_sel_hi:[0,0]
	v_pk_fma_f32 v[28:29], v[48:49], v[24:25], v[72:73] neg_lo:[0,0,1] neg_hi:[0,0,1]
	v_pk_fma_f32 v[24:25], v[48:49], v[24:25], v[72:73] op_sel_hi:[1,0,1]
	v_mul_f32_e32 v67, v32, v9
	v_mul_f32_e32 v9, v33, v9
	v_fma_f32 v71, v30, v6, -v7
	v_fma_f32 v60, v36, v12, -v13
	v_add_f32_e32 v3, 0, v3
	v_add_f32_e32 v24, 0, v37
	v_pk_fma_f32 v[36:37], v[38:39], v[14:15], v[4:5] neg_lo:[0,0,1] neg_hi:[0,0,1]
	v_pk_fma_f32 v[4:5], v[38:39], v[14:15], v[4:5] op_sel_hi:[1,0,1]
	v_mul_f32_e32 v59, v34, v11
	v_mul_f32_e32 v11, v35, v11
	v_fmac_f32_e32 v67, v33, v8
	v_fma_f32 v75, v32, v8, -v9
	v_add_f32_e32 v3, v3, v63
	v_add_f32_e32 v4, v24, v71
	v_fmac_f32_e32 v59, v35, v10
	v_fma_f32 v58, v34, v10, -v11
	v_mov_b32_e32 v37, v5
	v_add_f32_e32 v5, v3, v67
	v_add_f32_e32 v4, v4, v75
	v_pk_mul_f32 v[64:65], v[40:41], v[16:17] op_sel:[1,1] op_sel_hi:[0,1]
	v_mov_b32_e32 v66, v19
	v_pk_add_f32 v[4:5], v[4:5], v[58:59]
	v_pk_fma_f32 v[6:7], v[40:41], v[16:17], v[64:65] neg_lo:[0,0,1] neg_hi:[0,0,1]
	v_pk_fma_f32 v[8:9], v[40:41], v[16:17], v[64:65] op_sel_hi:[1,0,1]
	v_pk_mul_f32 v[10:11], v[42:43], v[66:67] op_sel:[1,0] op_sel_hi:[0,0]
	v_pk_add_f32 v[4:5], v[4:5], v[60:61]
	v_pk_mul_f32 v[68:69], v[44:45], v[20:21] op_sel:[1,1] op_sel_hi:[0,1]
	v_mov_b32_e32 v70, v23
	v_mov_b32_e32 v7, v9
	v_pk_fma_f32 v[8:9], v[42:43], v[18:19], v[10:11] neg_lo:[0,0,1] neg_hi:[0,0,1]
	v_pk_fma_f32 v[10:11], v[42:43], v[18:19], v[10:11] op_sel_hi:[1,0,1]
	v_pk_add_f32 v[4:5], v[4:5], v[36:37]
	v_pk_fma_f32 v[12:13], v[44:45], v[20:21], v[68:69] neg_lo:[0,0,1] neg_hi:[0,0,1]
	v_pk_fma_f32 v[16:17], v[44:45], v[20:21], v[68:69] op_sel_hi:[1,0,1]
	v_pk_mul_f32 v[20:21], v[46:47], v[70:71] op_sel:[1,0] op_sel_hi:[0,0]
	v_mov_b32_e32 v9, v11
	v_pk_add_f32 v[4:5], v[4:5], v[6:7]
	v_mov_b32_e32 v74, v27
	v_mov_b32_e32 v13, v17
	v_pk_fma_f32 v[14:15], v[46:47], v[22:23], v[20:21] neg_lo:[0,0,1] neg_hi:[0,0,1]
	v_pk_fma_f32 v[16:17], v[46:47], v[22:23], v[20:21] op_sel_hi:[1,0,1]
	v_pk_add_f32 v[4:5], v[4:5], v[8:9]
	v_pk_mul_f32 v[30:31], v[50:51], v[74:75] op_sel:[1,0] op_sel_hi:[0,0]
	v_mov_b32_e32 v15, v17
	v_pk_add_f32 v[4:5], v[4:5], v[12:13]
	s_waitcnt vmcnt(1) lgkmcnt(0)
	v_pk_mul_f32 v[76:77], v[56:57], v[52:53] op_sel:[1,1] op_sel_hi:[0,1]
	v_mov_b32_e32 v29, v25
	v_pk_fma_f32 v[18:19], v[50:51], v[26:27], v[30:31] neg_lo:[0,0,1] neg_hi:[0,0,1]
	v_pk_fma_f32 v[20:21], v[50:51], v[26:27], v[30:31] op_sel_hi:[1,0,1]
	v_pk_add_f32 v[4:5], v[4:5], v[14:15]
	v_pk_fma_f32 v[32:33], v[56:57], v[52:53], v[76:77] neg_lo:[0,0,1] neg_hi:[0,0,1]
	v_pk_fma_f32 v[34:35], v[56:57], v[52:53], v[76:77] op_sel_hi:[1,0,1]
	v_mov_b32_e32 v19, v21
	v_pk_add_f32 v[4:5], v[4:5], v[28:29]
	v_mov_b32_e32 v33, v35
	v_pk_add_f32 v[4:5], v[4:5], v[18:19]
	s_nop 0
	v_pk_add_f32 v[4:5], v[4:5], v[32:33]
	s_waitcnt vmcnt(0)
	v_pk_add_f32 v[4:5], v[54:55], v[4:5] neg_lo:[0,1] neg_hi:[0,1]
	scratch_store_dwordx2 off, v[4:5], off offset:392
	s_and_saveexec_b64 s[0:1], vcc
	s_cbranch_execz .LBB62_295
; %bb.294:
	scratch_load_dwordx2 v[4:5], off, off offset:384
	v_mov_b32_e32 v3, v2
	scratch_store_dwordx2 off, v[2:3], off offset:384
	s_waitcnt vmcnt(1)
	ds_write_b64 v1, v[4:5]
.LBB62_295:
	s_or_b64 exec, exec, s[0:1]
	s_waitcnt lgkmcnt(0)
	; wave barrier
	scratch_load_dwordx4 v[4:7], off, off offset:392
	scratch_load_dwordx4 v[8:11], off, off offset:408
	;; [unrolled: 1-line block ×7, first 2 shown]
	ds_read2_b64 v[32:35], v2 offset0:113 offset1:114
	ds_read2_b64 v[36:39], v2 offset0:115 offset1:116
	;; [unrolled: 1-line block ×6, first 2 shown]
	scratch_load_dwordx2 v[60:61], off, off offset:384
	ds_read2_b64 v[56:59], v2 offset0:125 offset1:126
	v_cmp_lt_u32_e32 vcc, 47, v0
	s_waitcnt vmcnt(7) lgkmcnt(6)
	v_mul_f32_e32 v67, v32, v5
	v_mul_f32_e32 v71, v34, v7
	s_waitcnt vmcnt(6) lgkmcnt(5)
	v_mul_f32_e32 v75, v36, v9
	v_mul_f32_e32 v79, v38, v11
	;; [unrolled: 3-line block ×3, first 2 shown]
	v_mul_f32_e32 v2, v33, v5
	v_mul_f32_e32 v5, v35, v7
	;; [unrolled: 1-line block ×6, first 2 shown]
	s_waitcnt vmcnt(4) lgkmcnt(3)
	v_pk_mul_f32 v[64:65], v[44:45], v[16:17] op_sel:[1,1] op_sel_hi:[0,1]
	v_mov_b32_e32 v66, v19
	s_waitcnt vmcnt(3) lgkmcnt(2)
	v_pk_mul_f32 v[68:69], v[48:49], v[20:21] op_sel:[1,1] op_sel_hi:[0,1]
	v_mov_b32_e32 v70, v23
	s_waitcnt vmcnt(1) lgkmcnt(0)
	v_pk_mul_f32 v[76:77], v[56:57], v[28:29] op_sel:[1,1] op_sel_hi:[0,1]
	v_fmac_f32_e32 v67, v33, v4
	v_fmac_f32_e32 v71, v35, v6
	;; [unrolled: 1-line block ×6, first 2 shown]
	v_fma_f32 v37, v32, v4, -v2
	v_fma_f32 v39, v34, v6, -v5
	;; [unrolled: 1-line block ×6, first 2 shown]
	v_pk_fma_f32 v[4:5], v[44:45], v[16:17], v[64:65] neg_lo:[0,0,1] neg_hi:[0,0,1]
	v_pk_fma_f32 v[6:7], v[44:45], v[16:17], v[64:65] op_sel_hi:[1,0,1]
	v_pk_mul_f32 v[8:9], v[46:47], v[66:67] op_sel:[1,0] op_sel_hi:[0,0]
	v_pk_fma_f32 v[10:11], v[48:49], v[20:21], v[68:69] neg_lo:[0,0,1] neg_hi:[0,0,1]
	v_pk_fma_f32 v[12:13], v[48:49], v[20:21], v[68:69] op_sel_hi:[1,0,1]
	v_pk_mul_f32 v[14:15], v[50:51], v[70:71] op_sel:[1,0] op_sel_hi:[0,0]
	v_pk_fma_f32 v[32:33], v[56:57], v[28:29], v[76:77] neg_lo:[0,0,1] neg_hi:[0,0,1]
	v_pk_fma_f32 v[28:29], v[56:57], v[28:29], v[76:77] op_sel_hi:[1,0,1]
	v_add_f32_e32 v37, 0, v37
	v_add_f32_e32 v28, 0, v67
	v_mov_b32_e32 v5, v7
	v_pk_fma_f32 v[6:7], v[46:47], v[18:19], v[8:9] neg_lo:[0,0,1] neg_hi:[0,0,1]
	v_pk_fma_f32 v[8:9], v[46:47], v[18:19], v[8:9] op_sel_hi:[1,0,1]
	v_mov_b32_e32 v11, v13
	v_pk_fma_f32 v[12:13], v[50:51], v[22:23], v[14:15] neg_lo:[0,0,1] neg_hi:[0,0,1]
	v_pk_fma_f32 v[14:15], v[50:51], v[22:23], v[14:15] op_sel_hi:[1,0,1]
	v_add_f32_e32 v8, v28, v71
	v_add_f32_e32 v14, v37, v39
	;; [unrolled: 1-line block ×4, first 2 shown]
	v_mov_b32_e32 v7, v9
	v_add_f32_e32 v9, v8, v79
	v_add_f32_e32 v8, v14, v38
	v_pk_add_f32 v[2:3], v[8:9], v[2:3]
	v_pk_mul_f32 v[72:73], v[52:53], v[24:25] op_sel:[1,1] op_sel_hi:[0,1]
	v_pk_add_f32 v[2:3], v[2:3], v[62:63]
	v_mov_b32_e32 v74, v27
	v_pk_add_f32 v[2:3], v[2:3], v[4:5]
	v_pk_fma_f32 v[16:17], v[52:53], v[24:25], v[72:73] neg_lo:[0,0,1] neg_hi:[0,0,1]
	v_pk_add_f32 v[2:3], v[2:3], v[6:7]
	v_pk_fma_f32 v[20:21], v[52:53], v[24:25], v[72:73] op_sel_hi:[1,0,1]
	v_pk_mul_f32 v[24:25], v[54:55], v[74:75] op_sel:[1,0] op_sel_hi:[0,0]
	v_mov_b32_e32 v13, v15
	v_pk_add_f32 v[2:3], v[2:3], v[10:11]
	v_mov_b32_e32 v78, v31
	v_mov_b32_e32 v17, v21
	v_pk_fma_f32 v[18:19], v[54:55], v[26:27], v[24:25] neg_lo:[0,0,1] neg_hi:[0,0,1]
	v_pk_fma_f32 v[20:21], v[54:55], v[26:27], v[24:25] op_sel_hi:[1,0,1]
	v_pk_add_f32 v[2:3], v[2:3], v[12:13]
	v_pk_mul_f32 v[34:35], v[58:59], v[78:79] op_sel:[1,0] op_sel_hi:[0,0]
	v_mov_b32_e32 v19, v21
	v_pk_add_f32 v[2:3], v[2:3], v[16:17]
	v_mov_b32_e32 v33, v29
	v_pk_fma_f32 v[22:23], v[58:59], v[30:31], v[34:35] neg_lo:[0,0,1] neg_hi:[0,0,1]
	v_pk_fma_f32 v[24:25], v[58:59], v[30:31], v[34:35] op_sel_hi:[1,0,1]
	v_pk_add_f32 v[2:3], v[2:3], v[18:19]
	v_mov_b32_e32 v23, v25
	v_pk_add_f32 v[2:3], v[2:3], v[32:33]
	s_nop 0
	v_pk_add_f32 v[2:3], v[2:3], v[22:23]
	s_waitcnt vmcnt(0)
	v_pk_add_f32 v[2:3], v[60:61], v[2:3] neg_lo:[0,1] neg_hi:[0,1]
	scratch_store_dwordx2 off, v[2:3], off offset:384
	s_and_saveexec_b64 s[0:1], vcc
	s_cbranch_execz .LBB62_297
; %bb.296:
	scratch_load_dwordx2 v[2:3], off, off offset:376
	v_mov_b32_e32 v4, 0
	v_mov_b32_e32 v5, v4
	scratch_store_dwordx2 off, v[4:5], off offset:376
	s_waitcnt vmcnt(1)
	ds_write_b64 v1, v[2:3]
.LBB62_297:
	s_or_b64 exec, exec, s[0:1]
	s_waitcnt lgkmcnt(0)
	; wave barrier
	scratch_load_dwordx4 v[4:7], off, off offset:384
	scratch_load_dwordx4 v[8:11], off, off offset:400
	;; [unrolled: 1-line block ×7, first 2 shown]
	scratch_load_dwordx2 v[60:61], off, off offset:496
	scratch_load_dwordx2 v[62:63], off, off offset:376
	v_mov_b32_e32 v2, 0
	ds_read_b128 v[32:35], v2 offset:896
	ds_read_b128 v[36:39], v2 offset:912
	ds_read_b128 v[40:43], v2 offset:928
	ds_read_b128 v[44:47], v2 offset:944
	ds_read_b128 v[48:51], v2 offset:960
	ds_read_b128 v[52:55], v2 offset:976
	ds_read_b128 v[56:59], v2 offset:992
	ds_read_b64 v[64:65], v2 offset:1008
	v_cmp_lt_u32_e32 vcc, 46, v0
	s_waitcnt vmcnt(8) lgkmcnt(7)
	v_mul_f32_e32 v71, v34, v7
	v_mul_f32_e32 v3, v32, v5
	s_waitcnt vmcnt(7) lgkmcnt(6)
	v_mul_f32_e32 v75, v36, v9
	s_waitcnt vmcnt(6) lgkmcnt(5)
	v_mul_f32_e32 v83, v40, v13
	v_mul_f32_e32 v67, v42, v15
	v_mul_f32_e32 v5, v33, v5
	v_mul_f32_e32 v13, v41, v13
	v_mul_f32_e32 v15, v43, v15
	s_waitcnt vmcnt(5)
	v_mov_b32_e32 v70, v19
	s_waitcnt vmcnt(3) lgkmcnt(2)
	v_pk_mul_f32 v[76:77], v[52:53], v[24:25] op_sel:[1,1] op_sel_hi:[0,1]
	s_waitcnt vmcnt(2) lgkmcnt(1)
	v_pk_mul_f32 v[80:81], v[56:57], v[28:29] op_sel:[1,1] op_sel_hi:[0,1]
	v_fmac_f32_e32 v71, v35, v6
	v_mul_f32_e32 v7, v35, v7
	v_mul_f32_e32 v9, v37, v9
	v_fmac_f32_e32 v3, v33, v4
	v_fmac_f32_e32 v75, v37, v8
	;; [unrolled: 1-line block ×4, first 2 shown]
	v_fma_f32 v32, v32, v4, -v5
	v_fma_f32 v37, v40, v12, -v13
	;; [unrolled: 1-line block ×3, first 2 shown]
	v_pk_mul_f32 v[4:5], v[46:47], v[70:71] op_sel:[1,0] op_sel_hi:[0,0]
	v_pk_fma_f32 v[12:13], v[52:53], v[24:25], v[76:77] neg_lo:[0,0,1] neg_hi:[0,0,1]
	v_pk_fma_f32 v[14:15], v[52:53], v[24:25], v[76:77] op_sel_hi:[1,0,1]
	v_pk_fma_f32 v[24:25], v[56:57], v[28:29], v[80:81] op_sel_hi:[1,0,1]
	v_fma_f32 v34, v34, v6, -v7
	v_add_f32_e32 v3, 0, v3
	v_add_f32_e32 v24, 0, v32
	v_pk_fma_f32 v[32:33], v[46:47], v[18:19], v[4:5] neg_lo:[0,0,1] neg_hi:[0,0,1]
	v_pk_fma_f32 v[4:5], v[46:47], v[18:19], v[4:5] op_sel_hi:[1,0,1]
	v_mul_f32_e32 v79, v38, v11
	v_mul_f32_e32 v11, v39, v11
	v_fma_f32 v35, v36, v8, -v9
	v_add_f32_e32 v3, v3, v71
	v_add_f32_e32 v4, v24, v34
	v_fmac_f32_e32 v79, v39, v10
	v_fma_f32 v36, v38, v10, -v11
	v_add_f32_e32 v3, v3, v75
	v_add_f32_e32 v4, v4, v35
	v_add_f32_e32 v3, v3, v79
	v_add_f32_e32 v4, v4, v36
	v_mul_f32_e32 v69, v44, v17
	v_mul_f32_e32 v17, v45, v17
	v_mov_b32_e32 v33, v5
	v_add_f32_e32 v5, v3, v83
	v_add_f32_e32 v4, v4, v37
	v_pk_mul_f32 v[72:73], v[48:49], v[20:21] op_sel:[1,1] op_sel_hi:[0,1]
	v_mov_b32_e32 v74, v23
	v_fmac_f32_e32 v69, v45, v16
	v_fma_f32 v68, v44, v16, -v17
	v_pk_add_f32 v[4:5], v[4:5], v[66:67]
	v_pk_fma_f32 v[6:7], v[48:49], v[20:21], v[72:73] neg_lo:[0,0,1] neg_hi:[0,0,1]
	v_pk_fma_f32 v[8:9], v[48:49], v[20:21], v[72:73] op_sel_hi:[1,0,1]
	v_pk_mul_f32 v[10:11], v[50:51], v[74:75] op_sel:[1,0] op_sel_hi:[0,0]
	v_pk_add_f32 v[4:5], v[4:5], v[68:69]
	v_mov_b32_e32 v78, v27
	v_mov_b32_e32 v7, v9
	v_pk_fma_f32 v[8:9], v[50:51], v[22:23], v[10:11] neg_lo:[0,0,1] neg_hi:[0,0,1]
	v_pk_fma_f32 v[10:11], v[50:51], v[22:23], v[10:11] op_sel_hi:[1,0,1]
	v_pk_add_f32 v[4:5], v[4:5], v[32:33]
	v_pk_mul_f32 v[16:17], v[54:55], v[78:79] op_sel:[1,0] op_sel_hi:[0,0]
	v_mov_b32_e32 v9, v11
	v_pk_add_f32 v[4:5], v[4:5], v[6:7]
	v_mov_b32_e32 v82, v31
	v_mov_b32_e32 v13, v15
	v_pk_fma_f32 v[14:15], v[54:55], v[26:27], v[16:17] neg_lo:[0,0,1] neg_hi:[0,0,1]
	v_pk_fma_f32 v[16:17], v[54:55], v[26:27], v[16:17] op_sel_hi:[1,0,1]
	v_pk_add_f32 v[4:5], v[4:5], v[8:9]
	v_pk_fma_f32 v[20:21], v[56:57], v[28:29], v[80:81] neg_lo:[0,0,1] neg_hi:[0,0,1]
	v_pk_mul_f32 v[28:29], v[58:59], v[82:83] op_sel:[1,0] op_sel_hi:[0,0]
	v_mov_b32_e32 v15, v17
	v_pk_add_f32 v[4:5], v[4:5], v[12:13]
	v_mov_b32_e32 v21, v25
	v_pk_add_f32 v[4:5], v[4:5], v[14:15]
	v_pk_fma_f32 v[6:7], v[58:59], v[30:31], v[28:29] neg_lo:[0,0,1] neg_hi:[0,0,1]
	v_pk_fma_f32 v[8:9], v[58:59], v[30:31], v[28:29] op_sel_hi:[1,0,1]
	v_pk_add_f32 v[4:5], v[4:5], v[20:21]
	v_mov_b32_e32 v7, v9
	v_pk_add_f32 v[4:5], v[4:5], v[6:7]
	s_waitcnt vmcnt(1) lgkmcnt(0)
	v_pk_mul_f32 v[6:7], v[64:65], v[60:61] op_sel:[1,1] op_sel_hi:[0,1]
	v_pk_fma_f32 v[8:9], v[64:65], v[60:61], v[6:7] neg_lo:[0,0,1] neg_hi:[0,0,1]
	v_pk_fma_f32 v[6:7], v[64:65], v[60:61], v[6:7] op_sel_hi:[1,0,1]
	s_nop 0
	v_mov_b32_e32 v9, v7
	v_pk_add_f32 v[4:5], v[4:5], v[8:9]
	s_waitcnt vmcnt(0)
	v_pk_add_f32 v[4:5], v[62:63], v[4:5] neg_lo:[0,1] neg_hi:[0,1]
	scratch_store_dwordx2 off, v[4:5], off offset:376
	s_and_saveexec_b64 s[0:1], vcc
	s_cbranch_execz .LBB62_299
; %bb.298:
	scratch_load_dwordx2 v[4:5], off, off offset:368
	v_mov_b32_e32 v3, v2
	scratch_store_dwordx2 off, v[2:3], off offset:368
	s_waitcnt vmcnt(1)
	ds_write_b64 v1, v[4:5]
.LBB62_299:
	s_or_b64 exec, exec, s[0:1]
	s_waitcnt lgkmcnt(0)
	; wave barrier
	scratch_load_dwordx4 v[4:7], off, off offset:376
	scratch_load_dwordx4 v[8:11], off, off offset:392
	;; [unrolled: 1-line block ×7, first 2 shown]
	ds_read2_b64 v[32:35], v2 offset0:111 offset1:112
	ds_read2_b64 v[36:39], v2 offset0:113 offset1:114
	;; [unrolled: 1-line block ×4, first 2 shown]
	scratch_load_dwordx4 v[48:51], off, off offset:488
	ds_read2_b64 v[52:55], v2 offset0:119 offset1:120
	ds_read2_b64 v[56:59], v2 offset0:121 offset1:122
	;; [unrolled: 1-line block ×4, first 2 shown]
	scratch_load_dwordx2 v[2:3], off, off offset:368
	v_cmp_lt_u32_e32 vcc, 45, v0
	s_waitcnt vmcnt(8) lgkmcnt(7)
	v_mul_f32_e32 v75, v32, v5
	v_mul_f32_e32 v79, v34, v7
	s_waitcnt vmcnt(7) lgkmcnt(6)
	v_mul_f32_e32 v83, v36, v9
	v_mul_f32_e32 v84, v38, v11
	;; [unrolled: 3-line block ×3, first 2 shown]
	v_mul_f32_e32 v5, v33, v5
	v_mul_f32_e32 v7, v35, v7
	;; [unrolled: 1-line block ×6, first 2 shown]
	s_waitcnt vmcnt(4) lgkmcnt(3)
	v_pk_mul_f32 v[72:73], v[52:53], v[20:21] op_sel:[1,1] op_sel_hi:[0,1]
	v_mov_b32_e32 v74, v23
	s_waitcnt vmcnt(3) lgkmcnt(2)
	v_pk_mul_f32 v[76:77], v[56:57], v[24:25] op_sel:[1,1] op_sel_hi:[0,1]
	v_mov_b32_e32 v78, v27
	v_fmac_f32_e32 v75, v33, v4
	v_fmac_f32_e32 v79, v35, v6
	;; [unrolled: 1-line block ×6, first 2 shown]
	v_fma_f32 v32, v32, v4, -v5
	v_fma_f32 v33, v34, v6, -v7
	;; [unrolled: 1-line block ×6, first 2 shown]
	v_pk_fma_f32 v[4:5], v[52:53], v[20:21], v[72:73] neg_lo:[0,0,1] neg_hi:[0,0,1]
	v_pk_fma_f32 v[6:7], v[52:53], v[20:21], v[72:73] op_sel_hi:[1,0,1]
	v_pk_mul_f32 v[8:9], v[54:55], v[74:75] op_sel:[1,0] op_sel_hi:[0,0]
	v_pk_fma_f32 v[10:11], v[56:57], v[24:25], v[76:77] neg_lo:[0,0,1] neg_hi:[0,0,1]
	v_pk_fma_f32 v[12:13], v[56:57], v[24:25], v[76:77] op_sel_hi:[1,0,1]
	v_pk_mul_f32 v[14:15], v[58:59], v[78:79] op_sel:[1,0] op_sel_hi:[0,0]
	v_add_f32_e32 v24, 0, v75
	v_add_f32_e32 v25, 0, v32
	v_mov_b32_e32 v5, v7
	v_pk_fma_f32 v[6:7], v[54:55], v[22:23], v[8:9] neg_lo:[0,0,1] neg_hi:[0,0,1]
	v_pk_fma_f32 v[8:9], v[54:55], v[22:23], v[8:9] op_sel_hi:[1,0,1]
	v_mov_b32_e32 v11, v13
	v_pk_fma_f32 v[12:13], v[58:59], v[26:27], v[14:15] neg_lo:[0,0,1] neg_hi:[0,0,1]
	v_pk_fma_f32 v[14:15], v[58:59], v[26:27], v[14:15] op_sel_hi:[1,0,1]
	v_add_f32_e32 v8, v24, v79
	v_add_f32_e32 v14, v25, v33
	v_mov_b32_e32 v7, v9
	v_add_f32_e32 v8, v8, v83
	v_add_f32_e32 v9, v14, v34
	;; [unrolled: 1-line block ×4, first 2 shown]
	v_mul_f32_e32 v69, v44, v17
	v_mul_f32_e32 v17, v45, v17
	v_add_f32_e32 v8, v8, v85
	v_add_f32_e32 v14, v9, v36
	v_mul_f32_e32 v71, v46, v19
	v_mul_f32_e32 v19, v47, v19
	v_fmac_f32_e32 v69, v45, v16
	v_fma_f32 v68, v44, v16, -v17
	v_add_f32_e32 v9, v8, v86
	v_add_f32_e32 v8, v14, v37
	v_fmac_f32_e32 v71, v47, v18
	v_fma_f32 v70, v46, v18, -v19
	v_pk_add_f32 v[8:9], v[8:9], v[68:69]
	s_waitcnt vmcnt(2) lgkmcnt(1)
	v_pk_mul_f32 v[80:81], v[60:61], v[28:29] op_sel:[1,1] op_sel_hi:[0,1]
	v_mov_b32_e32 v82, v31
	v_pk_add_f32 v[8:9], v[8:9], v[70:71]
	v_pk_fma_f32 v[16:17], v[60:61], v[28:29], v[80:81] neg_lo:[0,0,1] neg_hi:[0,0,1]
	v_pk_fma_f32 v[18:19], v[60:61], v[28:29], v[80:81] op_sel_hi:[1,0,1]
	v_pk_mul_f32 v[20:21], v[62:63], v[82:83] op_sel:[1,0] op_sel_hi:[0,0]
	v_pk_add_f32 v[4:5], v[8:9], v[4:5]
	v_mov_b32_e32 v17, v19
	v_pk_fma_f32 v[18:19], v[62:63], v[30:31], v[20:21] neg_lo:[0,0,1] neg_hi:[0,0,1]
	v_pk_add_f32 v[4:5], v[4:5], v[6:7]
	v_pk_fma_f32 v[6:7], v[62:63], v[30:31], v[20:21] op_sel_hi:[1,0,1]
	v_mov_b32_e32 v13, v15
	v_pk_add_f32 v[4:5], v[4:5], v[10:11]
	v_mov_b32_e32 v19, v7
	s_waitcnt vmcnt(1) lgkmcnt(0)
	v_pk_mul_f32 v[6:7], v[64:65], v[48:49] op_sel:[1,1] op_sel_hi:[0,1]
	v_pk_add_f32 v[4:5], v[4:5], v[12:13]
	v_pk_fma_f32 v[8:9], v[64:65], v[48:49], v[6:7] neg_lo:[0,0,1] neg_hi:[0,0,1]
	v_pk_fma_f32 v[6:7], v[64:65], v[48:49], v[6:7] op_sel_hi:[1,0,1]
	v_pk_add_f32 v[4:5], v[4:5], v[16:17]
	v_mov_b32_e32 v6, v51
	v_pk_add_f32 v[4:5], v[4:5], v[18:19]
	v_mov_b32_e32 v9, v7
	v_pk_mul_f32 v[6:7], v[66:67], v[6:7] op_sel:[1,0] op_sel_hi:[0,0]
	v_pk_add_f32 v[4:5], v[4:5], v[8:9]
	v_pk_fma_f32 v[8:9], v[66:67], v[50:51], v[6:7] neg_lo:[0,0,1] neg_hi:[0,0,1]
	v_pk_fma_f32 v[6:7], v[66:67], v[50:51], v[6:7] op_sel_hi:[1,0,1]
	s_nop 0
	v_mov_b32_e32 v9, v7
	v_pk_add_f32 v[4:5], v[4:5], v[8:9]
	s_waitcnt vmcnt(0)
	v_pk_add_f32 v[2:3], v[2:3], v[4:5] neg_lo:[0,1] neg_hi:[0,1]
	scratch_store_dwordx2 off, v[2:3], off offset:368
	s_and_saveexec_b64 s[0:1], vcc
	s_cbranch_execz .LBB62_301
; %bb.300:
	scratch_load_dwordx2 v[2:3], off, off offset:360
	v_mov_b32_e32 v4, 0
	v_mov_b32_e32 v5, v4
	scratch_store_dwordx2 off, v[4:5], off offset:360
	s_waitcnt vmcnt(1)
	ds_write_b64 v1, v[2:3]
.LBB62_301:
	s_or_b64 exec, exec, s[0:1]
	s_waitcnt lgkmcnt(0)
	; wave barrier
	scratch_load_dwordx4 v[4:7], off, off offset:368
	scratch_load_dwordx4 v[8:11], off, off offset:384
	scratch_load_dwordx4 v[12:15], off, off offset:400
	scratch_load_dwordx4 v[16:19], off, off offset:416
	scratch_load_dwordx4 v[20:23], off, off offset:432
	scratch_load_dwordx4 v[24:27], off, off offset:448
	scratch_load_dwordx4 v[28:31], off, off offset:464
	scratch_load_dwordx4 v[32:35], off, off offset:480
	scratch_load_dwordx2 v[68:69], off, off offset:496
	scratch_load_dwordx2 v[70:71], off, off offset:360
	v_mov_b32_e32 v2, 0
	ds_read_b128 v[36:39], v2 offset:880
	ds_read_b128 v[40:43], v2 offset:896
	;; [unrolled: 1-line block ×8, first 2 shown]
	ds_read_b64 v[72:73], v2 offset:1008
	v_cmp_lt_u32_e32 vcc, 44, v0
	s_waitcnt vmcnt(9) lgkmcnt(8)
	v_mul_f32_e32 v79, v38, v7
	v_mul_f32_e32 v3, v36, v5
	s_waitcnt vmcnt(8) lgkmcnt(7)
	v_mul_f32_e32 v83, v40, v9
	s_waitcnt vmcnt(7) lgkmcnt(6)
	v_mul_f32_e32 v87, v44, v13
	v_mul_f32_e32 v5, v37, v5
	;; [unrolled: 1-line block ×5, first 2 shown]
	s_waitcnt vmcnt(5)
	v_mov_b32_e32 v78, v23
	s_waitcnt vmcnt(3) lgkmcnt(2)
	v_pk_mul_f32 v[84:85], v[60:61], v[28:29] op_sel:[1,1] op_sel_hi:[0,1]
	v_fmac_f32_e32 v79, v39, v6
	v_mul_f32_e32 v86, v42, v11
	v_mul_f32_e32 v89, v48, v17
	;; [unrolled: 1-line block ×4, first 2 shown]
	v_fmac_f32_e32 v3, v37, v4
	v_fmac_f32_e32 v87, v45, v12
	v_fma_f32 v36, v36, v4, -v5
	v_fma_f32 v37, v38, v6, -v7
	;; [unrolled: 1-line block ×4, first 2 shown]
	v_pk_mul_f32 v[4:5], v[54:55], v[78:79] op_sel:[1,0] op_sel_hi:[0,0]
	v_pk_fma_f32 v[12:13], v[60:61], v[28:29], v[84:85] neg_lo:[0,0,1] neg_hi:[0,0,1]
	v_fmac_f32_e32 v89, v49, v16
	v_fma_f32 v39, v42, v10, -v11
	v_fma_f32 v42, v48, v16, -v17
	v_add_f32_e32 v3, 0, v3
	v_add_f32_e32 v13, 0, v36
	v_pk_fma_f32 v[16:17], v[54:55], v[22:23], v[4:5] neg_lo:[0,0,1] neg_hi:[0,0,1]
	v_pk_fma_f32 v[4:5], v[54:55], v[22:23], v[4:5] op_sel_hi:[1,0,1]
	v_fmac_f32_e32 v83, v41, v8
	v_add_f32_e32 v3, v3, v79
	v_add_f32_e32 v4, v13, v37
	v_fmac_f32_e32 v86, v43, v10
	v_add_f32_e32 v3, v3, v83
	v_add_f32_e32 v4, v4, v38
	v_mul_f32_e32 v88, v46, v15
	v_mul_f32_e32 v15, v47, v15
	v_add_f32_e32 v3, v3, v86
	v_add_f32_e32 v4, v4, v39
	v_fmac_f32_e32 v88, v47, v14
	v_fma_f32 v41, v46, v14, -v15
	v_add_f32_e32 v3, v3, v87
	v_add_f32_e32 v4, v4, v40
	v_mul_f32_e32 v75, v50, v19
	v_mul_f32_e32 v19, v51, v19
	v_add_f32_e32 v3, v3, v88
	v_add_f32_e32 v4, v4, v41
	v_mul_f32_e32 v77, v52, v21
	v_mul_f32_e32 v21, v53, v21
	v_fmac_f32_e32 v75, v51, v18
	v_fma_f32 v74, v50, v18, -v19
	v_mov_b32_e32 v17, v5
	v_add_f32_e32 v5, v3, v89
	v_add_f32_e32 v4, v4, v42
	v_pk_mul_f32 v[80:81], v[56:57], v[24:25] op_sel:[1,1] op_sel_hi:[0,1]
	v_fmac_f32_e32 v77, v53, v20
	v_fma_f32 v76, v52, v20, -v21
	v_pk_add_f32 v[4:5], v[4:5], v[74:75]
	v_mov_b32_e32 v82, v27
	v_pk_fma_f32 v[6:7], v[56:57], v[24:25], v[80:81] neg_lo:[0,0,1] neg_hi:[0,0,1]
	v_pk_fma_f32 v[8:9], v[56:57], v[24:25], v[80:81] op_sel_hi:[1,0,1]
	v_pk_add_f32 v[4:5], v[4:5], v[76:77]
	v_pk_mul_f32 v[10:11], v[58:59], v[82:83] op_sel:[1,0] op_sel_hi:[0,0]
	v_mov_b32_e32 v7, v9
	v_pk_add_f32 v[4:5], v[4:5], v[16:17]
	v_pk_fma_f32 v[8:9], v[58:59], v[26:27], v[10:11] neg_lo:[0,0,1] neg_hi:[0,0,1]
	v_pk_fma_f32 v[10:11], v[58:59], v[26:27], v[10:11] op_sel_hi:[1,0,1]
	v_pk_add_f32 v[4:5], v[4:5], v[6:7]
	v_mov_b32_e32 v6, v31
	v_pk_fma_f32 v[14:15], v[60:61], v[28:29], v[84:85] op_sel_hi:[1,0,1]
	v_mov_b32_e32 v9, v11
	v_pk_mul_f32 v[6:7], v[62:63], v[6:7] op_sel:[1,0] op_sel_hi:[0,0]
	v_pk_add_f32 v[4:5], v[4:5], v[8:9]
	v_mov_b32_e32 v13, v15
	v_pk_fma_f32 v[8:9], v[62:63], v[30:31], v[6:7] neg_lo:[0,0,1] neg_hi:[0,0,1]
	v_pk_fma_f32 v[6:7], v[62:63], v[30:31], v[6:7] op_sel_hi:[1,0,1]
	v_pk_add_f32 v[4:5], v[4:5], v[12:13]
	v_mov_b32_e32 v9, v7
	s_waitcnt vmcnt(2) lgkmcnt(1)
	v_pk_mul_f32 v[6:7], v[64:65], v[32:33] op_sel:[1,1] op_sel_hi:[0,1]
	v_pk_add_f32 v[4:5], v[4:5], v[8:9]
	v_pk_fma_f32 v[8:9], v[64:65], v[32:33], v[6:7] neg_lo:[0,0,1] neg_hi:[0,0,1]
	v_pk_fma_f32 v[6:7], v[64:65], v[32:33], v[6:7] op_sel_hi:[1,0,1]
	s_nop 0
	v_mov_b32_e32 v6, v35
	v_mov_b32_e32 v9, v7
	v_pk_mul_f32 v[6:7], v[66:67], v[6:7] op_sel:[1,0] op_sel_hi:[0,0]
	v_pk_add_f32 v[4:5], v[4:5], v[8:9]
	v_pk_fma_f32 v[8:9], v[66:67], v[34:35], v[6:7] neg_lo:[0,0,1] neg_hi:[0,0,1]
	v_pk_fma_f32 v[6:7], v[66:67], v[34:35], v[6:7] op_sel_hi:[1,0,1]
	s_nop 0
	v_mov_b32_e32 v9, v7
	s_waitcnt vmcnt(1) lgkmcnt(0)
	v_pk_mul_f32 v[6:7], v[72:73], v[68:69] op_sel:[1,1] op_sel_hi:[0,1]
	v_pk_add_f32 v[4:5], v[4:5], v[8:9]
	v_pk_fma_f32 v[8:9], v[72:73], v[68:69], v[6:7] neg_lo:[0,0,1] neg_hi:[0,0,1]
	v_pk_fma_f32 v[6:7], v[72:73], v[68:69], v[6:7] op_sel_hi:[1,0,1]
	s_nop 0
	v_mov_b32_e32 v9, v7
	v_pk_add_f32 v[4:5], v[4:5], v[8:9]
	s_waitcnt vmcnt(0)
	v_pk_add_f32 v[4:5], v[70:71], v[4:5] neg_lo:[0,1] neg_hi:[0,1]
	scratch_store_dwordx2 off, v[4:5], off offset:360
	s_and_saveexec_b64 s[0:1], vcc
	s_cbranch_execz .LBB62_303
; %bb.302:
	scratch_load_dwordx2 v[4:5], off, off offset:352
	v_mov_b32_e32 v3, v2
	scratch_store_dwordx2 off, v[2:3], off offset:352
	s_waitcnt vmcnt(1)
	ds_write_b64 v1, v[4:5]
.LBB62_303:
	s_or_b64 exec, exec, s[0:1]
	s_waitcnt lgkmcnt(0)
	; wave barrier
	scratch_load_dwordx4 v[4:7], off, off offset:360
	scratch_load_dwordx4 v[8:11], off, off offset:376
	;; [unrolled: 1-line block ×7, first 2 shown]
	ds_read2_b64 v[32:35], v2 offset0:109 offset1:110
	ds_read2_b64 v[36:39], v2 offset0:111 offset1:112
	ds_read2_b64 v[40:43], v2 offset0:113 offset1:114
	ds_read2_b64 v[44:47], v2 offset0:115 offset1:116
	scratch_load_dwordx4 v[48:51], off, off offset:472
	scratch_load_dwordx4 v[52:55], off, off offset:488
	ds_read2_b64 v[56:59], v2 offset0:117 offset1:118
	ds_read2_b64 v[60:63], v2 offset0:119 offset1:120
	;; [unrolled: 1-line block ×5, first 2 shown]
	scratch_load_dwordx2 v[2:3], off, off offset:352
	v_cmp_lt_u32_e32 vcc, 43, v0
	s_waitcnt vmcnt(9) lgkmcnt(8)
	v_mul_f32_e32 v83, v32, v5
	v_mul_f32_e32 v86, v34, v7
	s_waitcnt vmcnt(8) lgkmcnt(7)
	v_mul_f32_e32 v87, v36, v9
	s_waitcnt vmcnt(7) lgkmcnt(6)
	v_mul_f32_e32 v89, v40, v13
	v_mul_f32_e32 v5, v33, v5
	;; [unrolled: 1-line block ×5, first 2 shown]
	s_waitcnt vmcnt(4) lgkmcnt(3)
	v_pk_mul_f32 v[80:81], v[60:61], v[24:25] op_sel:[1,1] op_sel_hi:[0,1]
	v_mov_b32_e32 v82, v27
	s_waitcnt vmcnt(3) lgkmcnt(2)
	v_pk_mul_f32 v[84:85], v[64:65], v[28:29] op_sel:[1,1] op_sel_hi:[0,1]
	v_fmac_f32_e32 v83, v33, v4
	v_mul_f32_e32 v90, v42, v15
	v_mul_f32_e32 v91, v44, v17
	v_mul_f32_e32 v15, v43, v15
	v_mul_f32_e32 v17, v45, v17
	v_fmac_f32_e32 v86, v35, v6
	v_fmac_f32_e32 v87, v37, v8
	;; [unrolled: 1-line block ×3, first 2 shown]
	v_fma_f32 v32, v32, v4, -v5
	v_fma_f32 v33, v34, v6, -v7
	;; [unrolled: 1-line block ×4, first 2 shown]
	v_pk_fma_f32 v[4:5], v[60:61], v[24:25], v[80:81] neg_lo:[0,0,1] neg_hi:[0,0,1]
	v_pk_fma_f32 v[6:7], v[60:61], v[24:25], v[80:81] op_sel_hi:[1,0,1]
	v_pk_mul_f32 v[8:9], v[62:63], v[82:83] op_sel:[1,0] op_sel_hi:[0,0]
	v_pk_fma_f32 v[12:13], v[64:65], v[28:29], v[84:85] op_sel_hi:[1,0,1]
	v_fmac_f32_e32 v90, v43, v14
	v_fma_f32 v14, v42, v14, -v15
	v_fma_f32 v15, v44, v16, -v17
	v_add_f32_e32 v12, 0, v83
	v_add_f32_e32 v17, 0, v32
	v_mov_b32_e32 v5, v7
	v_pk_fma_f32 v[6:7], v[62:63], v[26:27], v[8:9] neg_lo:[0,0,1] neg_hi:[0,0,1]
	v_pk_fma_f32 v[8:9], v[62:63], v[26:27], v[8:9] op_sel_hi:[1,0,1]
	v_mul_f32_e32 v88, v38, v11
	v_mul_f32_e32 v11, v39, v11
	v_add_f32_e32 v8, v12, v86
	v_add_f32_e32 v12, v17, v33
	v_fmac_f32_e32 v88, v39, v10
	v_fma_f32 v35, v38, v10, -v11
	v_mov_b32_e32 v7, v9
	v_add_f32_e32 v8, v8, v87
	v_add_f32_e32 v9, v12, v34
	;; [unrolled: 1-line block ×6, first 2 shown]
	v_mul_f32_e32 v92, v46, v19
	v_mul_f32_e32 v19, v47, v19
	v_fmac_f32_e32 v91, v45, v16
	v_add_f32_e32 v8, v8, v90
	v_add_f32_e32 v9, v9, v14
	v_mul_f32_e32 v77, v56, v21
	v_mul_f32_e32 v21, v57, v21
	v_fmac_f32_e32 v92, v47, v18
	v_fma_f32 v16, v46, v18, -v19
	v_add_f32_e32 v8, v8, v91
	v_add_f32_e32 v12, v9, v15
	v_mul_f32_e32 v79, v58, v23
	v_mul_f32_e32 v23, v59, v23
	v_fmac_f32_e32 v77, v57, v20
	v_fma_f32 v76, v56, v20, -v21
	v_add_f32_e32 v9, v8, v92
	v_add_f32_e32 v8, v12, v16
	v_fmac_f32_e32 v79, v59, v22
	v_fma_f32 v78, v58, v22, -v23
	v_pk_add_f32 v[8:9], v[8:9], v[76:77]
	v_pk_fma_f32 v[10:11], v[64:65], v[28:29], v[84:85] neg_lo:[0,0,1] neg_hi:[0,0,1]
	v_pk_add_f32 v[8:9], v[8:9], v[78:79]
	v_mov_b32_e32 v11, v13
	v_pk_add_f32 v[4:5], v[8:9], v[4:5]
	s_nop 0
	v_pk_add_f32 v[4:5], v[4:5], v[6:7]
	v_mov_b32_e32 v6, v31
	v_pk_mul_f32 v[6:7], v[66:67], v[6:7] op_sel:[1,0] op_sel_hi:[0,0]
	v_pk_fma_f32 v[8:9], v[66:67], v[30:31], v[6:7] neg_lo:[0,0,1] neg_hi:[0,0,1]
	v_pk_fma_f32 v[6:7], v[66:67], v[30:31], v[6:7] op_sel_hi:[1,0,1]
	v_pk_add_f32 v[4:5], v[4:5], v[10:11]
	v_mov_b32_e32 v9, v7
	s_waitcnt vmcnt(2) lgkmcnt(1)
	v_pk_mul_f32 v[6:7], v[68:69], v[48:49] op_sel:[1,1] op_sel_hi:[0,1]
	v_pk_add_f32 v[4:5], v[4:5], v[8:9]
	v_pk_fma_f32 v[8:9], v[68:69], v[48:49], v[6:7] neg_lo:[0,0,1] neg_hi:[0,0,1]
	v_pk_fma_f32 v[6:7], v[68:69], v[48:49], v[6:7] op_sel_hi:[1,0,1]
	s_nop 0
	v_mov_b32_e32 v6, v51
	v_mov_b32_e32 v9, v7
	v_pk_mul_f32 v[6:7], v[70:71], v[6:7] op_sel:[1,0] op_sel_hi:[0,0]
	v_pk_add_f32 v[4:5], v[4:5], v[8:9]
	v_pk_fma_f32 v[8:9], v[70:71], v[50:51], v[6:7] neg_lo:[0,0,1] neg_hi:[0,0,1]
	v_pk_fma_f32 v[6:7], v[70:71], v[50:51], v[6:7] op_sel_hi:[1,0,1]
	s_nop 0
	v_mov_b32_e32 v9, v7
	s_waitcnt vmcnt(1) lgkmcnt(0)
	v_pk_mul_f32 v[6:7], v[72:73], v[52:53] op_sel:[1,1] op_sel_hi:[0,1]
	v_pk_add_f32 v[4:5], v[4:5], v[8:9]
	v_pk_fma_f32 v[8:9], v[72:73], v[52:53], v[6:7] neg_lo:[0,0,1] neg_hi:[0,0,1]
	v_pk_fma_f32 v[6:7], v[72:73], v[52:53], v[6:7] op_sel_hi:[1,0,1]
	s_nop 0
	v_mov_b32_e32 v6, v55
	v_mov_b32_e32 v9, v7
	v_pk_mul_f32 v[6:7], v[74:75], v[6:7] op_sel:[1,0] op_sel_hi:[0,0]
	v_pk_add_f32 v[4:5], v[4:5], v[8:9]
	v_pk_fma_f32 v[8:9], v[74:75], v[54:55], v[6:7] neg_lo:[0,0,1] neg_hi:[0,0,1]
	v_pk_fma_f32 v[6:7], v[74:75], v[54:55], v[6:7] op_sel_hi:[1,0,1]
	s_nop 0
	v_mov_b32_e32 v9, v7
	v_pk_add_f32 v[4:5], v[4:5], v[8:9]
	s_waitcnt vmcnt(0)
	v_pk_add_f32 v[2:3], v[2:3], v[4:5] neg_lo:[0,1] neg_hi:[0,1]
	scratch_store_dwordx2 off, v[2:3], off offset:352
	s_and_saveexec_b64 s[0:1], vcc
	s_cbranch_execz .LBB62_305
; %bb.304:
	scratch_load_dwordx2 v[2:3], off, off offset:344
	v_mov_b32_e32 v4, 0
	v_mov_b32_e32 v5, v4
	scratch_store_dwordx2 off, v[4:5], off offset:344
	s_waitcnt vmcnt(1)
	ds_write_b64 v1, v[2:3]
.LBB62_305:
	s_or_b64 exec, exec, s[0:1]
	s_waitcnt lgkmcnt(0)
	; wave barrier
	scratch_load_dwordx4 v[4:7], off, off offset:352
	scratch_load_dwordx4 v[8:11], off, off offset:368
	;; [unrolled: 1-line block ×9, first 2 shown]
	scratch_load_dwordx2 v[76:77], off, off offset:496
	scratch_load_dwordx2 v[78:79], off, off offset:344
	v_mov_b32_e32 v2, 0
	ds_read_b128 v[40:43], v2 offset:864
	ds_read_b128 v[44:47], v2 offset:880
	;; [unrolled: 1-line block ×9, first 2 shown]
	ds_read_b64 v[80:81], v2 offset:1008
	v_cmp_lt_u32_e32 vcc, 42, v0
	s_waitcnt vmcnt(10) lgkmcnt(9)
	v_mul_f32_e32 v87, v42, v7
	v_mul_f32_e32 v3, v40, v5
	;; [unrolled: 1-line block ×3, first 2 shown]
	v_fmac_f32_e32 v87, v43, v6
	s_waitcnt vmcnt(9) lgkmcnt(8)
	v_mul_f32_e32 v88, v44, v9
	s_waitcnt vmcnt(5)
	v_mov_b32_e32 v86, v27
	v_mul_f32_e32 v89, v46, v11
	s_waitcnt lgkmcnt(7)
	v_mul_f32_e32 v91, v50, v15
	v_mul_f32_e32 v7, v43, v7
	;; [unrolled: 1-line block ×5, first 2 shown]
	v_fmac_f32_e32 v3, v41, v4
	v_fma_f32 v40, v40, v4, -v5
	s_waitcnt lgkmcnt(4)
	v_pk_mul_f32 v[4:5], v[62:63], v[86:87] op_sel:[1,0] op_sel_hi:[0,0]
	v_fmac_f32_e32 v88, v45, v8
	v_fma_f32 v41, v42, v6, -v7
	v_fma_f32 v8, v44, v8, -v9
	v_fma_f32 v9, v46, v10, -v11
	v_fma_f32 v11, v50, v14, -v15
	v_add_f32_e32 v3, 0, v3
	v_add_f32_e32 v15, 0, v40
	v_pk_fma_f32 v[6:7], v[62:63], v[26:27], v[4:5] neg_lo:[0,0,1] neg_hi:[0,0,1]
	v_pk_fma_f32 v[4:5], v[62:63], v[26:27], v[4:5] op_sel_hi:[1,0,1]
	v_add_f32_e32 v3, v3, v87
	v_add_f32_e32 v4, v15, v41
	v_mul_f32_e32 v90, v48, v13
	v_mul_f32_e32 v13, v49, v13
	v_fmac_f32_e32 v89, v47, v10
	v_add_f32_e32 v3, v3, v88
	v_add_f32_e32 v4, v4, v8
	v_fmac_f32_e32 v90, v49, v12
	v_fma_f32 v10, v48, v12, -v13
	v_add_f32_e32 v3, v3, v89
	v_add_f32_e32 v4, v4, v9
	v_mul_f32_e32 v92, v52, v17
	v_mul_f32_e32 v17, v53, v17
	v_fmac_f32_e32 v91, v51, v14
	v_add_f32_e32 v3, v3, v90
	v_add_f32_e32 v4, v4, v10
	v_mul_f32_e32 v93, v54, v19
	v_mul_f32_e32 v19, v55, v19
	v_fmac_f32_e32 v92, v53, v16
	v_fma_f32 v12, v52, v16, -v17
	v_add_f32_e32 v3, v3, v91
	v_add_f32_e32 v4, v4, v11
	v_mul_f32_e32 v94, v56, v21
	v_mul_f32_e32 v21, v57, v21
	v_fmac_f32_e32 v93, v55, v18
	v_fma_f32 v13, v54, v18, -v19
	;; [unrolled: 6-line block ×4, first 2 shown]
	v_mov_b32_e32 v7, v5
	v_add_f32_e32 v5, v3, v94
	v_add_f32_e32 v4, v4, v14
	v_fmac_f32_e32 v85, v61, v24
	v_fma_f32 v84, v60, v24, -v25
	v_pk_add_f32 v[4:5], v[4:5], v[82:83]
	s_nop 0
	v_pk_add_f32 v[4:5], v[4:5], v[84:85]
	s_nop 0
	v_pk_add_f32 v[4:5], v[4:5], v[6:7]
	s_waitcnt vmcnt(4) lgkmcnt(3)
	v_pk_mul_f32 v[6:7], v[64:65], v[28:29] op_sel:[1,1] op_sel_hi:[0,1]
	v_pk_fma_f32 v[8:9], v[64:65], v[28:29], v[6:7] neg_lo:[0,0,1] neg_hi:[0,0,1]
	v_pk_fma_f32 v[6:7], v[64:65], v[28:29], v[6:7] op_sel_hi:[1,0,1]
	s_nop 0
	v_mov_b32_e32 v6, v31
	v_mov_b32_e32 v9, v7
	v_pk_mul_f32 v[6:7], v[66:67], v[6:7] op_sel:[1,0] op_sel_hi:[0,0]
	v_pk_add_f32 v[4:5], v[4:5], v[8:9]
	v_pk_fma_f32 v[8:9], v[66:67], v[30:31], v[6:7] neg_lo:[0,0,1] neg_hi:[0,0,1]
	v_pk_fma_f32 v[6:7], v[66:67], v[30:31], v[6:7] op_sel_hi:[1,0,1]
	s_nop 0
	v_mov_b32_e32 v9, v7
	s_waitcnt vmcnt(3) lgkmcnt(2)
	v_pk_mul_f32 v[6:7], v[68:69], v[32:33] op_sel:[1,1] op_sel_hi:[0,1]
	v_pk_add_f32 v[4:5], v[4:5], v[8:9]
	v_pk_fma_f32 v[8:9], v[68:69], v[32:33], v[6:7] neg_lo:[0,0,1] neg_hi:[0,0,1]
	v_pk_fma_f32 v[6:7], v[68:69], v[32:33], v[6:7] op_sel_hi:[1,0,1]
	s_nop 0
	v_mov_b32_e32 v6, v35
	v_mov_b32_e32 v9, v7
	v_pk_mul_f32 v[6:7], v[70:71], v[6:7] op_sel:[1,0] op_sel_hi:[0,0]
	v_pk_add_f32 v[4:5], v[4:5], v[8:9]
	v_pk_fma_f32 v[8:9], v[70:71], v[34:35], v[6:7] neg_lo:[0,0,1] neg_hi:[0,0,1]
	v_pk_fma_f32 v[6:7], v[70:71], v[34:35], v[6:7] op_sel_hi:[1,0,1]
	s_nop 0
	v_mov_b32_e32 v9, v7
	s_waitcnt vmcnt(2) lgkmcnt(1)
	v_pk_mul_f32 v[6:7], v[72:73], v[36:37] op_sel:[1,1] op_sel_hi:[0,1]
	v_pk_add_f32 v[4:5], v[4:5], v[8:9]
	;; [unrolled: 14-line block ×3, first 2 shown]
	v_pk_fma_f32 v[8:9], v[80:81], v[76:77], v[6:7] neg_lo:[0,0,1] neg_hi:[0,0,1]
	v_pk_fma_f32 v[6:7], v[80:81], v[76:77], v[6:7] op_sel_hi:[1,0,1]
	s_nop 0
	v_mov_b32_e32 v9, v7
	v_pk_add_f32 v[4:5], v[4:5], v[8:9]
	s_waitcnt vmcnt(0)
	v_pk_add_f32 v[4:5], v[78:79], v[4:5] neg_lo:[0,1] neg_hi:[0,1]
	scratch_store_dwordx2 off, v[4:5], off offset:344
	s_and_saveexec_b64 s[0:1], vcc
	s_cbranch_execz .LBB62_307
; %bb.306:
	scratch_load_dwordx2 v[4:5], off, off offset:336
	v_mov_b32_e32 v3, v2
	scratch_store_dwordx2 off, v[2:3], off offset:336
	s_waitcnt vmcnt(1)
	ds_write_b64 v1, v[4:5]
.LBB62_307:
	s_or_b64 exec, exec, s[0:1]
	s_waitcnt lgkmcnt(0)
	; wave barrier
	scratch_load_dwordx4 v[4:7], off, off offset:344
	scratch_load_dwordx4 v[8:11], off, off offset:360
	;; [unrolled: 1-line block ×7, first 2 shown]
	ds_read2_b64 v[32:35], v2 offset0:107 offset1:108
	ds_read2_b64 v[36:39], v2 offset0:109 offset1:110
	;; [unrolled: 1-line block ×6, first 2 shown]
	scratch_load_dwordx4 v[56:59], off, off offset:456
	scratch_load_dwordx4 v[60:63], off, off offset:472
	;; [unrolled: 1-line block ×3, first 2 shown]
	ds_read2_b64 v[68:71], v2 offset0:119 offset1:120
	ds_read2_b64 v[72:75], v2 offset0:121 offset1:122
	;; [unrolled: 1-line block ×4, first 2 shown]
	scratch_load_dwordx2 v[2:3], off, off offset:336
	v_cmp_lt_u32_e32 vcc, 41, v0
	s_waitcnt vmcnt(10) lgkmcnt(9)
	v_mul_f32_e32 v90, v32, v5
	v_mul_f32_e32 v5, v33, v5
	;; [unrolled: 1-line block ×3, first 2 shown]
	s_waitcnt vmcnt(9) lgkmcnt(8)
	v_mul_f32_e32 v92, v36, v9
	s_waitcnt vmcnt(8) lgkmcnt(7)
	v_mul_f32_e32 v95, v42, v15
	v_mul_f32_e32 v7, v35, v7
	;; [unrolled: 1-line block ×4, first 2 shown]
	v_fmac_f32_e32 v90, v33, v4
	v_fma_f32 v4, v32, v4, -v5
	v_fmac_f32_e32 v91, v35, v6
	v_fmac_f32_e32 v95, v43, v14
	v_fma_f32 v5, v34, v6, -v7
	v_fma_f32 v6, v36, v8, -v9
	;; [unrolled: 1-line block ×3, first 2 shown]
	v_add_f32_e32 v14, 0, v90
	v_add_f32_e32 v4, 0, v4
	v_mul_f32_e32 v93, v38, v11
	v_mul_f32_e32 v11, v39, v11
	v_fmac_f32_e32 v92, v37, v8
	v_add_f32_e32 v14, v14, v91
	v_add_f32_e32 v4, v4, v5
	v_mul_f32_e32 v94, v40, v13
	v_mul_f32_e32 v13, v41, v13
	v_fmac_f32_e32 v93, v39, v10
	v_fma_f32 v7, v38, v10, -v11
	v_add_f32_e32 v5, v14, v92
	v_add_f32_e32 v4, v4, v6
	v_fmac_f32_e32 v94, v41, v12
	v_fma_f32 v8, v40, v12, -v13
	v_add_f32_e32 v5, v5, v93
	v_add_f32_e32 v4, v4, v7
	s_waitcnt vmcnt(7) lgkmcnt(6)
	v_mul_f32_e32 v96, v44, v17
	v_mul_f32_e32 v17, v45, v17
	v_add_f32_e32 v5, v5, v94
	v_add_f32_e32 v4, v4, v8
	v_mul_f32_e32 v97, v46, v19
	v_mul_f32_e32 v19, v47, v19
	v_fmac_f32_e32 v96, v45, v16
	v_fma_f32 v10, v44, v16, -v17
	v_add_f32_e32 v5, v5, v95
	v_add_f32_e32 v4, v4, v9
	s_waitcnt vmcnt(6) lgkmcnt(5)
	v_mul_f32_e32 v98, v48, v21
	v_mul_f32_e32 v21, v49, v21
	v_fmac_f32_e32 v97, v47, v18
	v_fma_f32 v11, v46, v18, -v19
	v_add_f32_e32 v5, v5, v96
	v_add_f32_e32 v4, v4, v10
	v_mul_f32_e32 v99, v50, v23
	v_mul_f32_e32 v23, v51, v23
	v_fmac_f32_e32 v98, v49, v20
	v_fma_f32 v12, v48, v20, -v21
	v_add_f32_e32 v5, v5, v97
	v_add_f32_e32 v4, v4, v11
	s_waitcnt vmcnt(5) lgkmcnt(4)
	v_mul_f32_e32 v85, v52, v25
	v_mul_f32_e32 v25, v53, v25
	v_fmac_f32_e32 v99, v51, v22
	v_fma_f32 v13, v50, v22, -v23
	v_add_f32_e32 v5, v5, v98
	v_add_f32_e32 v4, v4, v12
	v_mul_f32_e32 v87, v54, v27
	v_mul_f32_e32 v27, v55, v27
	s_waitcnt vmcnt(4) lgkmcnt(3)
	v_pk_mul_f32 v[88:89], v[68:69], v[28:29] op_sel:[1,1] op_sel_hi:[0,1]
	v_fmac_f32_e32 v85, v53, v24
	v_fma_f32 v84, v52, v24, -v25
	v_add_f32_e32 v5, v5, v99
	v_add_f32_e32 v4, v4, v13
	v_fmac_f32_e32 v87, v55, v26
	v_fma_f32 v86, v54, v26, -v27
	v_pk_add_f32 v[4:5], v[4:5], v[84:85]
	v_pk_fma_f32 v[6:7], v[68:69], v[28:29], v[88:89] neg_lo:[0,0,1] neg_hi:[0,0,1]
	v_pk_fma_f32 v[8:9], v[68:69], v[28:29], v[88:89] op_sel_hi:[1,0,1]
	v_pk_add_f32 v[4:5], v[4:5], v[86:87]
	v_mov_b32_e32 v7, v9
	v_pk_add_f32 v[4:5], v[4:5], v[6:7]
	v_mov_b32_e32 v6, v31
	v_pk_mul_f32 v[6:7], v[70:71], v[6:7] op_sel:[1,0] op_sel_hi:[0,0]
	v_pk_fma_f32 v[8:9], v[70:71], v[30:31], v[6:7] neg_lo:[0,0,1] neg_hi:[0,0,1]
	v_pk_fma_f32 v[6:7], v[70:71], v[30:31], v[6:7] op_sel_hi:[1,0,1]
	s_nop 0
	v_mov_b32_e32 v9, v7
	s_waitcnt vmcnt(3) lgkmcnt(2)
	v_pk_mul_f32 v[6:7], v[72:73], v[56:57] op_sel:[1,1] op_sel_hi:[0,1]
	v_pk_add_f32 v[4:5], v[4:5], v[8:9]
	v_pk_fma_f32 v[8:9], v[72:73], v[56:57], v[6:7] neg_lo:[0,0,1] neg_hi:[0,0,1]
	v_pk_fma_f32 v[6:7], v[72:73], v[56:57], v[6:7] op_sel_hi:[1,0,1]
	s_nop 0
	v_mov_b32_e32 v6, v59
	v_mov_b32_e32 v9, v7
	v_pk_mul_f32 v[6:7], v[74:75], v[6:7] op_sel:[1,0] op_sel_hi:[0,0]
	v_pk_add_f32 v[4:5], v[4:5], v[8:9]
	v_pk_fma_f32 v[8:9], v[74:75], v[58:59], v[6:7] neg_lo:[0,0,1] neg_hi:[0,0,1]
	v_pk_fma_f32 v[6:7], v[74:75], v[58:59], v[6:7] op_sel_hi:[1,0,1]
	s_nop 0
	v_mov_b32_e32 v9, v7
	s_waitcnt vmcnt(2) lgkmcnt(1)
	v_pk_mul_f32 v[6:7], v[76:77], v[60:61] op_sel:[1,1] op_sel_hi:[0,1]
	v_pk_add_f32 v[4:5], v[4:5], v[8:9]
	v_pk_fma_f32 v[8:9], v[76:77], v[60:61], v[6:7] neg_lo:[0,0,1] neg_hi:[0,0,1]
	v_pk_fma_f32 v[6:7], v[76:77], v[60:61], v[6:7] op_sel_hi:[1,0,1]
	s_nop 0
	v_mov_b32_e32 v6, v63
	v_mov_b32_e32 v9, v7
	v_pk_mul_f32 v[6:7], v[78:79], v[6:7] op_sel:[1,0] op_sel_hi:[0,0]
	v_pk_add_f32 v[4:5], v[4:5], v[8:9]
	;; [unrolled: 14-line block ×3, first 2 shown]
	v_pk_fma_f32 v[8:9], v[82:83], v[66:67], v[6:7] neg_lo:[0,0,1] neg_hi:[0,0,1]
	v_pk_fma_f32 v[6:7], v[82:83], v[66:67], v[6:7] op_sel_hi:[1,0,1]
	s_nop 0
	v_mov_b32_e32 v9, v7
	v_pk_add_f32 v[4:5], v[4:5], v[8:9]
	s_waitcnt vmcnt(0)
	v_pk_add_f32 v[2:3], v[2:3], v[4:5] neg_lo:[0,1] neg_hi:[0,1]
	scratch_store_dwordx2 off, v[2:3], off offset:336
	s_and_saveexec_b64 s[0:1], vcc
	s_cbranch_execz .LBB62_309
; %bb.308:
	scratch_load_dwordx2 v[2:3], off, off offset:328
	v_mov_b32_e32 v4, 0
	v_mov_b32_e32 v5, v4
	scratch_store_dwordx2 off, v[4:5], off offset:328
	s_waitcnt vmcnt(1)
	ds_write_b64 v1, v[2:3]
.LBB62_309:
	s_or_b64 exec, exec, s[0:1]
	s_waitcnt lgkmcnt(0)
	; wave barrier
	scratch_load_dwordx4 v[2:5], off, off offset:336
	scratch_load_dwordx4 v[6:9], off, off offset:352
	;; [unrolled: 1-line block ×10, first 2 shown]
	scratch_load_dwordx2 v[76:77], off, off offset:496
	scratch_load_dwordx2 v[78:79], off, off offset:328
	v_mov_b32_e32 v10, 0
	ds_read_b128 v[44:47], v10 offset:848
	ds_read_b128 v[48:51], v10 offset:864
	;; [unrolled: 1-line block ×8, first 2 shown]
	v_cmp_lt_u32_e32 vcc, 40, v0
	s_waitcnt vmcnt(11) lgkmcnt(7)
	v_mul_f32_e32 v11, v44, v3
	v_mul_f32_e32 v3, v45, v3
	;; [unrolled: 1-line block ×4, first 2 shown]
	v_fmac_f32_e32 v11, v45, v2
	v_fma_f32 v2, v44, v2, -v3
	s_waitcnt vmcnt(10) lgkmcnt(6)
	v_mul_f32_e32 v82, v48, v7
	v_mul_f32_e32 v7, v49, v7
	v_fma_f32 v3, v46, v4, -v5
	v_add_f32_e32 v2, 0, v2
	v_mul_f32_e32 v84, v50, v9
	v_mul_f32_e32 v9, v51, v9
	v_fmac_f32_e32 v80, v47, v4
	v_fma_f32 v4, v48, v6, -v7
	v_add_f32_e32 v11, 0, v11
	v_add_f32_e32 v2, v2, v3
	s_waitcnt vmcnt(9) lgkmcnt(5)
	v_mul_f32_e32 v85, v52, v13
	v_mul_f32_e32 v13, v53, v13
	v_fmac_f32_e32 v82, v49, v6
	v_fma_f32 v5, v50, v8, -v9
	v_add_f32_e32 v11, v11, v80
	v_add_f32_e32 v2, v2, v4
	v_mul_f32_e32 v86, v54, v15
	v_mul_f32_e32 v15, v55, v15
	v_fmac_f32_e32 v84, v51, v8
	v_fma_f32 v6, v52, v12, -v13
	v_add_f32_e32 v3, v11, v82
	v_add_f32_e32 v2, v2, v5
	s_waitcnt vmcnt(8) lgkmcnt(4)
	v_mul_f32_e32 v87, v56, v17
	v_mul_f32_e32 v17, v57, v17
	v_fmac_f32_e32 v85, v53, v12
	v_fma_f32 v7, v54, v14, -v15
	v_add_f32_e32 v3, v3, v84
	;; [unrolled: 13-line block ×4, first 2 shown]
	v_add_f32_e32 v2, v2, v12
	v_fmac_f32_e32 v90, v63, v22
	v_fma_f32 v14, v64, v24, -v25
	v_add_f32_e32 v3, v3, v89
	v_add_f32_e32 v2, v2, v13
	v_mul_f32_e32 v81, v66, v27
	v_fmac_f32_e32 v91, v65, v24
	v_add_f32_e32 v3, v3, v90
	v_add_f32_e32 v12, v2, v14
	v_mul_f32_e32 v2, v67, v27
	s_waitcnt vmcnt(5)
	v_mov_b32_e32 v16, v31
	s_waitcnt lgkmcnt(1)
	v_mul_f32_e32 v83, v68, v29
	v_fmac_f32_e32 v81, v67, v26
	v_add_f32_e32 v13, v3, v91
	v_fma_f32 v80, v66, v26, -v2
	v_mul_f32_e32 v2, v69, v29
	v_pk_mul_f32 v[16:17], v[70:71], v[16:17] op_sel:[1,0] op_sel_hi:[0,0]
	v_fmac_f32_e32 v83, v69, v28
	v_fma_f32 v82, v68, v28, -v2
	v_pk_add_f32 v[12:13], v[12:13], v[80:81]
	v_pk_fma_f32 v[18:19], v[70:71], v[30:31], v[16:17] neg_lo:[0,0,1] neg_hi:[0,0,1]
	v_pk_fma_f32 v[16:17], v[70:71], v[30:31], v[16:17] op_sel_hi:[1,0,1]
	v_pk_add_f32 v[12:13], v[12:13], v[82:83]
	v_mov_b32_e32 v19, v17
	s_waitcnt vmcnt(4) lgkmcnt(0)
	v_pk_mul_f32 v[16:17], v[72:73], v[32:33] op_sel:[1,1] op_sel_hi:[0,1]
	v_pk_add_f32 v[12:13], v[12:13], v[18:19]
	v_pk_fma_f32 v[18:19], v[72:73], v[32:33], v[16:17] neg_lo:[0,0,1] neg_hi:[0,0,1]
	v_pk_fma_f32 v[16:17], v[72:73], v[32:33], v[16:17] op_sel_hi:[1,0,1]
	ds_read_b128 v[2:5], v10 offset:976
	ds_read_b128 v[6:9], v10 offset:992
	ds_read_b64 v[14:15], v10 offset:1008
	v_mov_b32_e32 v16, v35
	v_mov_b32_e32 v19, v17
	v_pk_mul_f32 v[16:17], v[74:75], v[16:17] op_sel:[1,0] op_sel_hi:[0,0]
	v_pk_add_f32 v[12:13], v[12:13], v[18:19]
	v_pk_fma_f32 v[18:19], v[74:75], v[34:35], v[16:17] neg_lo:[0,0,1] neg_hi:[0,0,1]
	v_pk_fma_f32 v[16:17], v[74:75], v[34:35], v[16:17] op_sel_hi:[1,0,1]
	s_nop 0
	v_mov_b32_e32 v19, v17
	s_waitcnt vmcnt(3) lgkmcnt(2)
	v_pk_mul_f32 v[16:17], v[2:3], v[36:37] op_sel:[1,1] op_sel_hi:[0,1]
	v_pk_add_f32 v[12:13], v[12:13], v[18:19]
	v_pk_fma_f32 v[18:19], v[2:3], v[36:37], v[16:17] neg_lo:[0,0,1] neg_hi:[0,0,1]
	v_pk_fma_f32 v[2:3], v[2:3], v[36:37], v[16:17] op_sel_hi:[1,0,1]
	s_nop 0
	v_mov_b32_e32 v19, v3
	v_pk_add_f32 v[2:3], v[12:13], v[18:19]
	v_mov_b32_e32 v12, v39
	v_pk_mul_f32 v[12:13], v[4:5], v[12:13] op_sel:[1,0] op_sel_hi:[0,0]
	v_pk_fma_f32 v[16:17], v[4:5], v[38:39], v[12:13] neg_lo:[0,0,1] neg_hi:[0,0,1]
	v_pk_fma_f32 v[4:5], v[4:5], v[38:39], v[12:13] op_sel_hi:[1,0,1]
	s_nop 0
	v_mov_b32_e32 v17, v5
	s_waitcnt vmcnt(2) lgkmcnt(1)
	v_pk_mul_f32 v[4:5], v[6:7], v[40:41] op_sel:[1,1] op_sel_hi:[0,1]
	v_pk_fma_f32 v[12:13], v[6:7], v[40:41], v[4:5] neg_lo:[0,0,1] neg_hi:[0,0,1]
	v_pk_fma_f32 v[4:5], v[6:7], v[40:41], v[4:5] op_sel_hi:[1,0,1]
	v_pk_add_f32 v[2:3], v[2:3], v[16:17]
	v_mov_b32_e32 v4, v43
	v_mov_b32_e32 v13, v5
	v_pk_mul_f32 v[4:5], v[8:9], v[4:5] op_sel:[1,0] op_sel_hi:[0,0]
	v_pk_fma_f32 v[6:7], v[8:9], v[42:43], v[4:5] neg_lo:[0,0,1] neg_hi:[0,0,1]
	v_pk_fma_f32 v[4:5], v[8:9], v[42:43], v[4:5] op_sel_hi:[1,0,1]
	v_pk_add_f32 v[2:3], v[2:3], v[12:13]
	v_mov_b32_e32 v7, v5
	s_waitcnt vmcnt(1) lgkmcnt(0)
	v_pk_mul_f32 v[4:5], v[14:15], v[76:77] op_sel:[1,1] op_sel_hi:[0,1]
	v_pk_add_f32 v[2:3], v[2:3], v[6:7]
	v_pk_fma_f32 v[6:7], v[14:15], v[76:77], v[4:5] neg_lo:[0,0,1] neg_hi:[0,0,1]
	v_pk_fma_f32 v[4:5], v[14:15], v[76:77], v[4:5] op_sel_hi:[1,0,1]
	s_nop 0
	v_mov_b32_e32 v7, v5
	v_pk_add_f32 v[2:3], v[2:3], v[6:7]
	s_waitcnt vmcnt(0)
	v_pk_add_f32 v[2:3], v[78:79], v[2:3] neg_lo:[0,1] neg_hi:[0,1]
	scratch_store_dwordx2 off, v[2:3], off offset:328
	s_and_saveexec_b64 s[0:1], vcc
	s_cbranch_execz .LBB62_311
; %bb.310:
	scratch_load_dwordx2 v[2:3], off, off offset:320
	v_mov_b32_e32 v11, v10
	scratch_store_dwordx2 off, v[10:11], off offset:320
	s_waitcnt vmcnt(1)
	ds_write_b64 v1, v[2:3]
.LBB62_311:
	s_or_b64 exec, exec, s[0:1]
	s_waitcnt lgkmcnt(0)
	; wave barrier
	scratch_load_dwordx4 v[6:9], off, off offset:328
	scratch_load_dwordx4 v[12:15], off, off offset:344
	;; [unrolled: 1-line block ×7, first 2 shown]
	ds_read2_b64 v[36:39], v10 offset0:105 offset1:106
	ds_read2_b64 v[40:43], v10 offset0:107 offset1:108
	;; [unrolled: 1-line block ×6, first 2 shown]
	scratch_load_dwordx4 v[60:63], off, off offset:440
	scratch_load_dwordx4 v[64:67], off, off offset:456
	;; [unrolled: 1-line block ×4, first 2 shown]
	ds_read2_b64 v[72:75], v10 offset0:117 offset1:118
	ds_read2_b64 v[76:79], v10 offset0:119 offset1:120
	scratch_load_dwordx2 v[80:81], off, off offset:320
	v_cmp_lt_u32_e32 vcc, 39, v0
	s_waitcnt vmcnt(11) lgkmcnt(7)
	v_mul_f32_e32 v11, v36, v7
	v_mul_f32_e32 v82, v38, v9
	;; [unrolled: 1-line block ×3, first 2 shown]
	v_fmac_f32_e32 v11, v37, v6
	s_waitcnt vmcnt(10) lgkmcnt(6)
	v_mul_f32_e32 v84, v40, v13
	v_mul_f32_e32 v9, v39, v9
	v_fmac_f32_e32 v82, v39, v8
	v_fma_f32 v6, v36, v6, -v7
	v_add_f32_e32 v11, 0, v11
	v_mul_f32_e32 v86, v42, v15
	v_fmac_f32_e32 v84, v41, v12
	v_fma_f32 v7, v38, v8, -v9
	v_add_f32_e32 v6, 0, v6
	v_add_f32_e32 v11, v11, v82
	s_waitcnt vmcnt(9) lgkmcnt(5)
	v_mul_f32_e32 v87, v44, v17
	v_mul_f32_e32 v13, v41, v13
	v_fmac_f32_e32 v86, v43, v14
	v_add_f32_e32 v6, v6, v7
	v_add_f32_e32 v7, v11, v84
	v_mul_f32_e32 v88, v46, v19
	v_mul_f32_e32 v15, v43, v15
	v_fmac_f32_e32 v87, v45, v16
	v_fma_f32 v8, v40, v12, -v13
	v_add_f32_e32 v7, v7, v86
	s_waitcnt vmcnt(8) lgkmcnt(4)
	v_mul_f32_e32 v89, v48, v21
	v_mul_f32_e32 v17, v45, v17
	v_fmac_f32_e32 v88, v47, v18
	v_fma_f32 v9, v42, v14, -v15
	v_add_f32_e32 v6, v6, v8
	v_add_f32_e32 v7, v7, v87
	v_mul_f32_e32 v90, v50, v23
	v_mul_f32_e32 v19, v47, v19
	v_fmac_f32_e32 v89, v49, v20
	v_fma_f32 v12, v44, v16, -v17
	v_add_f32_e32 v6, v6, v9
	v_add_f32_e32 v7, v7, v88
	s_waitcnt vmcnt(7) lgkmcnt(3)
	v_mul_f32_e32 v91, v52, v25
	v_mul_f32_e32 v21, v49, v21
	v_fmac_f32_e32 v90, v51, v22
	v_fma_f32 v13, v46, v18, -v19
	v_add_f32_e32 v6, v6, v12
	v_add_f32_e32 v7, v7, v89
	v_mul_f32_e32 v92, v54, v27
	v_mul_f32_e32 v23, v51, v23
	v_fmac_f32_e32 v91, v53, v24
	v_fma_f32 v14, v48, v20, -v21
	v_add_f32_e32 v6, v6, v13
	;; [unrolled: 13-line block ×3, first 2 shown]
	v_add_f32_e32 v7, v7, v92
	v_mul_f32_e32 v29, v57, v29
	v_fmac_f32_e32 v94, v59, v30
	v_fma_f32 v17, v54, v26, -v27
	v_add_f32_e32 v6, v6, v16
	v_add_f32_e32 v7, v7, v93
	v_fma_f32 v18, v56, v28, -v29
	v_add_f32_e32 v6, v6, v17
	v_add_f32_e32 v21, v7, v94
	v_mul_f32_e32 v7, v59, v31
	v_add_f32_e32 v6, v6, v18
	v_fma_f32 v7, v58, v30, -v7
	s_waitcnt vmcnt(5) lgkmcnt(1)
	v_mul_f32_e32 v83, v72, v33
	v_add_f32_e32 v20, v6, v7
	v_mul_f32_e32 v6, v73, v33
	v_fmac_f32_e32 v83, v73, v32
	v_fma_f32 v82, v72, v32, -v6
	v_mul_f32_e32 v6, v75, v35
	v_fma_f32 v84, v74, v34, -v6
	ds_read2_b64 v[6:9], v10 offset0:121 offset1:122
	ds_read2_b64 v[12:15], v10 offset0:123 offset1:124
	;; [unrolled: 1-line block ×3, first 2 shown]
	v_pk_add_f32 v[10:11], v[20:21], v[82:83]
	s_waitcnt vmcnt(4) lgkmcnt(3)
	v_pk_mul_f32 v[20:21], v[76:77], v[60:61] op_sel:[1,1] op_sel_hi:[0,1]
	v_mul_f32_e32 v85, v74, v35
	v_pk_fma_f32 v[22:23], v[76:77], v[60:61], v[20:21] neg_lo:[0,0,1] neg_hi:[0,0,1]
	v_pk_fma_f32 v[20:21], v[76:77], v[60:61], v[20:21] op_sel_hi:[1,0,1]
	v_fmac_f32_e32 v85, v75, v34
	v_mov_b32_e32 v20, v63
	v_pk_add_f32 v[10:11], v[10:11], v[84:85]
	v_mov_b32_e32 v23, v21
	v_pk_mul_f32 v[20:21], v[78:79], v[20:21] op_sel:[1,0] op_sel_hi:[0,0]
	v_pk_add_f32 v[10:11], v[10:11], v[22:23]
	v_pk_fma_f32 v[22:23], v[78:79], v[62:63], v[20:21] neg_lo:[0,0,1] neg_hi:[0,0,1]
	v_pk_fma_f32 v[20:21], v[78:79], v[62:63], v[20:21] op_sel_hi:[1,0,1]
	s_nop 0
	v_mov_b32_e32 v23, v21
	s_waitcnt vmcnt(3) lgkmcnt(2)
	v_pk_mul_f32 v[20:21], v[6:7], v[64:65] op_sel:[1,1] op_sel_hi:[0,1]
	v_pk_add_f32 v[10:11], v[10:11], v[22:23]
	v_pk_fma_f32 v[22:23], v[6:7], v[64:65], v[20:21] neg_lo:[0,0,1] neg_hi:[0,0,1]
	v_pk_fma_f32 v[6:7], v[6:7], v[64:65], v[20:21] op_sel_hi:[1,0,1]
	s_nop 0
	v_mov_b32_e32 v23, v7
	v_pk_add_f32 v[6:7], v[10:11], v[22:23]
	v_mov_b32_e32 v10, v67
	v_pk_mul_f32 v[10:11], v[8:9], v[10:11] op_sel:[1,0] op_sel_hi:[0,0]
	v_pk_fma_f32 v[20:21], v[8:9], v[66:67], v[10:11] neg_lo:[0,0,1] neg_hi:[0,0,1]
	v_pk_fma_f32 v[8:9], v[8:9], v[66:67], v[10:11] op_sel_hi:[1,0,1]
	s_nop 0
	v_mov_b32_e32 v21, v9
	s_waitcnt vmcnt(2) lgkmcnt(1)
	v_pk_mul_f32 v[8:9], v[12:13], v[68:69] op_sel:[1,1] op_sel_hi:[0,1]
	v_pk_fma_f32 v[10:11], v[12:13], v[68:69], v[8:9] neg_lo:[0,0,1] neg_hi:[0,0,1]
	v_pk_fma_f32 v[8:9], v[12:13], v[68:69], v[8:9] op_sel_hi:[1,0,1]
	v_pk_add_f32 v[6:7], v[6:7], v[20:21]
	v_mov_b32_e32 v8, v71
	v_mov_b32_e32 v11, v9
	v_pk_mul_f32 v[8:9], v[14:15], v[8:9] op_sel:[1,0] op_sel_hi:[0,0]
	v_pk_add_f32 v[6:7], v[6:7], v[10:11]
	v_pk_fma_f32 v[10:11], v[14:15], v[70:71], v[8:9] neg_lo:[0,0,1] neg_hi:[0,0,1]
	v_pk_fma_f32 v[8:9], v[14:15], v[70:71], v[8:9] op_sel_hi:[1,0,1]
	s_nop 0
	v_mov_b32_e32 v11, v9
	s_waitcnt vmcnt(1) lgkmcnt(0)
	v_pk_mul_f32 v[8:9], v[16:17], v[2:3] op_sel:[1,1] op_sel_hi:[0,1]
	v_pk_add_f32 v[6:7], v[6:7], v[10:11]
	v_pk_fma_f32 v[10:11], v[16:17], v[2:3], v[8:9] neg_lo:[0,0,1] neg_hi:[0,0,1]
	v_pk_fma_f32 v[2:3], v[16:17], v[2:3], v[8:9] op_sel_hi:[1,0,1]
	s_nop 0
	v_mov_b32_e32 v11, v3
	v_pk_add_f32 v[2:3], v[6:7], v[10:11]
	v_mov_b32_e32 v6, v5
	v_pk_mul_f32 v[6:7], v[18:19], v[6:7] op_sel:[1,0] op_sel_hi:[0,0]
	v_pk_fma_f32 v[8:9], v[18:19], v[4:5], v[6:7] neg_lo:[0,0,1] neg_hi:[0,0,1]
	v_pk_fma_f32 v[4:5], v[18:19], v[4:5], v[6:7] op_sel_hi:[1,0,1]
	s_nop 0
	v_mov_b32_e32 v9, v5
	v_pk_add_f32 v[2:3], v[2:3], v[8:9]
	s_waitcnt vmcnt(0)
	v_pk_add_f32 v[2:3], v[80:81], v[2:3] neg_lo:[0,1] neg_hi:[0,1]
	scratch_store_dwordx2 off, v[2:3], off offset:320
	s_and_saveexec_b64 s[0:1], vcc
	s_cbranch_execz .LBB62_313
; %bb.312:
	scratch_load_dwordx2 v[2:3], off, off offset:312
	v_mov_b32_e32 v4, 0
	v_mov_b32_e32 v5, v4
	scratch_store_dwordx2 off, v[4:5], off offset:312
	s_waitcnt vmcnt(1)
	ds_write_b64 v1, v[2:3]
.LBB62_313:
	s_or_b64 exec, exec, s[0:1]
	s_waitcnt lgkmcnt(0)
	; wave barrier
	scratch_load_dwordx4 v[6:9], off, off offset:320
	scratch_load_dwordx4 v[14:17], off, off offset:336
	;; [unrolled: 1-line block ×11, first 2 shown]
	scratch_load_dwordx2 v[22:23], off, off offset:496
	scratch_load_dwordx2 v[36:37], off, off offset:312
	v_mov_b32_e32 v38, 0
	ds_read_b128 v[52:55], v38 offset:832
	ds_read_b128 v[56:59], v38 offset:848
	;; [unrolled: 1-line block ×8, first 2 shown]
	v_cmp_lt_u32_e32 vcc, 38, v0
	s_waitcnt vmcnt(12) lgkmcnt(7)
	v_mul_f32_e32 v39, v52, v7
	v_mul_f32_e32 v84, v54, v9
	;; [unrolled: 1-line block ×3, first 2 shown]
	v_fmac_f32_e32 v39, v53, v6
	s_waitcnt vmcnt(8) lgkmcnt(3)
	v_mul_f32_e32 v93, v68, v19
	v_mul_f32_e32 v19, v69, v19
	;; [unrolled: 1-line block ×4, first 2 shown]
	v_fmac_f32_e32 v84, v55, v8
	v_fmac_f32_e32 v93, v69, v18
	v_fma_f32 v6, v52, v6, -v7
	v_fma_f32 v18, v68, v18, -v19
	v_add_f32_e32 v19, 0, v39
	v_mul_f32_e32 v88, v58, v17
	v_fmac_f32_e32 v86, v57, v14
	v_fma_f32 v7, v54, v8, -v9
	v_add_f32_e32 v6, 0, v6
	v_add_f32_e32 v19, v19, v84
	v_mul_f32_e32 v89, v60, v25
	v_fmac_f32_e32 v88, v59, v16
	v_add_f32_e32 v6, v6, v7
	v_add_f32_e32 v7, v19, v86
	v_mul_f32_e32 v90, v62, v27
	v_fmac_f32_e32 v89, v61, v24
	v_add_f32_e32 v7, v7, v88
	v_mul_f32_e32 v91, v64, v29
	v_mul_f32_e32 v15, v57, v15
	v_fmac_f32_e32 v90, v63, v26
	v_add_f32_e32 v7, v7, v89
	v_mul_f32_e32 v92, v66, v31
	v_mul_f32_e32 v17, v59, v17
	v_fmac_f32_e32 v91, v65, v28
	v_fma_f32 v8, v56, v14, -v15
	v_add_f32_e32 v7, v7, v90
	v_mul_f32_e32 v25, v61, v25
	v_fmac_f32_e32 v92, v67, v30
	v_fma_f32 v9, v58, v16, -v17
	v_add_f32_e32 v6, v6, v8
	v_add_f32_e32 v7, v7, v91
	v_mul_f32_e32 v94, v70, v21
	v_mul_f32_e32 v27, v63, v27
	v_fma_f32 v14, v60, v24, -v25
	v_add_f32_e32 v6, v6, v9
	v_add_f32_e32 v7, v7, v92
	s_waitcnt vmcnt(7) lgkmcnt(2)
	v_mul_f32_e32 v95, v72, v33
	v_mul_f32_e32 v29, v65, v29
	v_fmac_f32_e32 v94, v71, v20
	v_fma_f32 v15, v62, v26, -v27
	v_add_f32_e32 v6, v6, v14
	v_add_f32_e32 v7, v7, v93
	v_mul_f32_e32 v96, v74, v35
	v_mul_f32_e32 v31, v67, v31
	v_fmac_f32_e32 v95, v73, v32
	v_fma_f32 v16, v64, v28, -v29
	v_add_f32_e32 v6, v6, v15
	v_add_f32_e32 v7, v7, v94
	s_waitcnt vmcnt(6) lgkmcnt(1)
	v_mul_f32_e32 v97, v76, v41
	v_fmac_f32_e32 v96, v75, v34
	v_fma_f32 v17, v66, v30, -v31
	v_add_f32_e32 v6, v6, v16
	v_add_f32_e32 v7, v7, v95
	v_mul_f32_e32 v21, v71, v21
	v_fmac_f32_e32 v97, v77, v40
	v_add_f32_e32 v6, v6, v17
	v_add_f32_e32 v7, v7, v96
	;; [unrolled: 1-line block ×4, first 2 shown]
	v_fma_f32 v7, v70, v20, -v21
	v_add_f32_e32 v6, v6, v7
	v_mul_f32_e32 v7, v73, v33
	v_fma_f32 v7, v72, v32, -v7
	v_add_f32_e32 v6, v6, v7
	v_mul_f32_e32 v7, v75, v35
	;; [unrolled: 3-line block ×4, first 2 shown]
	v_mul_f32_e32 v85, v78, v43
	v_fma_f32 v84, v78, v42, -v6
	s_waitcnt vmcnt(5) lgkmcnt(0)
	v_mul_f32_e32 v6, v81, v45
	v_mov_b32_e32 v28, v47
	v_mul_f32_e32 v87, v80, v45
	v_fmac_f32_e32 v85, v79, v42
	v_fma_f32 v86, v80, v44, -v6
	ds_read_b128 v[6:9], v38 offset:960
	ds_read_b128 v[14:17], v38 offset:976
	;; [unrolled: 1-line block ×3, first 2 shown]
	ds_read_b64 v[26:27], v38 offset:1008
	v_pk_mul_f32 v[28:29], v[82:83], v[28:29] op_sel:[1,0] op_sel_hi:[0,0]
	v_fmac_f32_e32 v87, v81, v44
	v_pk_add_f32 v[24:25], v[24:25], v[84:85]
	v_pk_fma_f32 v[30:31], v[82:83], v[46:47], v[28:29] neg_lo:[0,0,1] neg_hi:[0,0,1]
	v_pk_fma_f32 v[28:29], v[82:83], v[46:47], v[28:29] op_sel_hi:[1,0,1]
	v_pk_add_f32 v[24:25], v[24:25], v[86:87]
	v_mov_b32_e32 v31, v29
	s_waitcnt vmcnt(4) lgkmcnt(3)
	v_pk_mul_f32 v[28:29], v[6:7], v[48:49] op_sel:[1,1] op_sel_hi:[0,1]
	v_pk_add_f32 v[24:25], v[24:25], v[30:31]
	v_pk_fma_f32 v[30:31], v[6:7], v[48:49], v[28:29] neg_lo:[0,0,1] neg_hi:[0,0,1]
	v_pk_fma_f32 v[6:7], v[6:7], v[48:49], v[28:29] op_sel_hi:[1,0,1]
	s_nop 0
	v_mov_b32_e32 v31, v7
	v_pk_add_f32 v[6:7], v[24:25], v[30:31]
	v_mov_b32_e32 v24, v51
	v_pk_mul_f32 v[24:25], v[8:9], v[24:25] op_sel:[1,0] op_sel_hi:[0,0]
	v_pk_fma_f32 v[28:29], v[8:9], v[50:51], v[24:25] neg_lo:[0,0,1] neg_hi:[0,0,1]
	v_pk_fma_f32 v[8:9], v[8:9], v[50:51], v[24:25] op_sel_hi:[1,0,1]
	s_nop 0
	v_mov_b32_e32 v29, v9
	s_waitcnt vmcnt(3) lgkmcnt(2)
	v_pk_mul_f32 v[8:9], v[14:15], v[10:11] op_sel:[1,1] op_sel_hi:[0,1]
	v_pk_fma_f32 v[24:25], v[14:15], v[10:11], v[8:9] neg_lo:[0,0,1] neg_hi:[0,0,1]
	v_pk_fma_f32 v[8:9], v[14:15], v[10:11], v[8:9] op_sel_hi:[1,0,1]
	v_pk_add_f32 v[6:7], v[6:7], v[28:29]
	v_mov_b32_e32 v8, v13
	v_mov_b32_e32 v25, v9
	v_pk_mul_f32 v[8:9], v[16:17], v[8:9] op_sel:[1,0] op_sel_hi:[0,0]
	v_pk_fma_f32 v[10:11], v[16:17], v[12:13], v[8:9] neg_lo:[0,0,1] neg_hi:[0,0,1]
	v_pk_fma_f32 v[8:9], v[16:17], v[12:13], v[8:9] op_sel_hi:[1,0,1]
	v_pk_add_f32 v[6:7], v[6:7], v[24:25]
	v_mov_b32_e32 v11, v9
	s_waitcnt vmcnt(2) lgkmcnt(1)
	v_pk_mul_f32 v[8:9], v[18:19], v[2:3] op_sel:[1,1] op_sel_hi:[0,1]
	v_pk_add_f32 v[6:7], v[6:7], v[10:11]
	v_pk_fma_f32 v[10:11], v[18:19], v[2:3], v[8:9] neg_lo:[0,0,1] neg_hi:[0,0,1]
	v_pk_fma_f32 v[2:3], v[18:19], v[2:3], v[8:9] op_sel_hi:[1,0,1]
	s_nop 0
	v_mov_b32_e32 v11, v3
	v_pk_add_f32 v[2:3], v[6:7], v[10:11]
	v_mov_b32_e32 v6, v5
	v_pk_mul_f32 v[6:7], v[20:21], v[6:7] op_sel:[1,0] op_sel_hi:[0,0]
	v_pk_fma_f32 v[8:9], v[20:21], v[4:5], v[6:7] neg_lo:[0,0,1] neg_hi:[0,0,1]
	v_pk_fma_f32 v[4:5], v[20:21], v[4:5], v[6:7] op_sel_hi:[1,0,1]
	s_nop 0
	v_mov_b32_e32 v9, v5
	s_waitcnt vmcnt(1) lgkmcnt(0)
	v_pk_mul_f32 v[4:5], v[26:27], v[22:23] op_sel:[1,1] op_sel_hi:[0,1]
	v_pk_fma_f32 v[6:7], v[26:27], v[22:23], v[4:5] neg_lo:[0,0,1] neg_hi:[0,0,1]
	v_pk_fma_f32 v[4:5], v[26:27], v[22:23], v[4:5] op_sel_hi:[1,0,1]
	v_pk_add_f32 v[2:3], v[2:3], v[8:9]
	v_mov_b32_e32 v7, v5
	v_pk_add_f32 v[2:3], v[2:3], v[6:7]
	s_waitcnt vmcnt(0)
	v_pk_add_f32 v[2:3], v[36:37], v[2:3] neg_lo:[0,1] neg_hi:[0,1]
	scratch_store_dwordx2 off, v[2:3], off offset:312
	s_and_saveexec_b64 s[0:1], vcc
	s_cbranch_execz .LBB62_315
; %bb.314:
	scratch_load_dwordx2 v[2:3], off, off offset:304
	v_mov_b32_e32 v39, v38
	scratch_store_dwordx2 off, v[38:39], off offset:304
	s_waitcnt vmcnt(1)
	ds_write_b64 v1, v[2:3]
.LBB62_315:
	s_or_b64 exec, exec, s[0:1]
	s_waitcnt lgkmcnt(0)
	; wave barrier
	scratch_load_dwordx4 v[2:5], off, off offset:312
	scratch_load_dwordx4 v[14:17], off, off offset:328
	scratch_load_dwordx4 v[30:33], off, off offset:344
	scratch_load_dwordx4 v[40:43], off, off offset:360
	scratch_load_dwordx4 v[18:21], off, off offset:376
	scratch_load_dwordx4 v[22:25], off, off offset:392
	scratch_load_dwordx4 v[34:37], off, off offset:408
	scratch_load_dwordx4 v[44:47], off, off offset:424
	ds_read2_b64 v[48:51], v38 offset0:103 offset1:104
	ds_read2_b64 v[52:55], v38 offset0:105 offset1:106
	;; [unrolled: 1-line block ×8, first 2 shown]
	scratch_load_dwordx4 v[80:83], off, off offset:440
	scratch_load_dwordx4 v[26:29], off, off offset:456
	;; [unrolled: 1-line block ×4, first 2 shown]
	scratch_load_dwordx2 v[84:85], off, off offset:304
	v_cmp_lt_u32_e32 vcc, 37, v0
	s_waitcnt vmcnt(12) lgkmcnt(7)
	v_mul_f32_e32 v39, v48, v3
	v_mul_f32_e32 v86, v50, v5
	;; [unrolled: 1-line block ×3, first 2 shown]
	v_fmac_f32_e32 v39, v49, v2
	s_waitcnt vmcnt(8) lgkmcnt(3)
	v_mul_f32_e32 v95, v64, v19
	v_mul_f32_e32 v19, v65, v19
	;; [unrolled: 1-line block ×4, first 2 shown]
	v_fmac_f32_e32 v86, v51, v4
	v_fmac_f32_e32 v95, v65, v18
	v_fma_f32 v2, v48, v2, -v3
	v_fma_f32 v18, v64, v18, -v19
	v_add_f32_e32 v19, 0, v39
	v_mul_f32_e32 v90, v54, v17
	v_fmac_f32_e32 v88, v53, v14
	v_fma_f32 v3, v50, v4, -v5
	v_add_f32_e32 v2, 0, v2
	v_add_f32_e32 v19, v19, v86
	v_mul_f32_e32 v91, v56, v31
	v_fmac_f32_e32 v90, v55, v16
	v_add_f32_e32 v2, v2, v3
	v_add_f32_e32 v3, v19, v88
	v_mul_f32_e32 v92, v58, v33
	v_fmac_f32_e32 v91, v57, v30
	v_add_f32_e32 v3, v3, v90
	v_mul_f32_e32 v93, v60, v41
	v_fmac_f32_e32 v92, v59, v32
	;; [unrolled: 3-line block ×4, first 2 shown]
	v_add_f32_e32 v3, v3, v93
	v_mul_f32_e32 v96, v66, v21
	v_mul_f32_e32 v17, v55, v17
	v_fma_f32 v4, v52, v14, -v15
	v_add_f32_e32 v3, v3, v94
	s_waitcnt vmcnt(7) lgkmcnt(2)
	v_mul_f32_e32 v97, v68, v23
	v_mul_f32_e32 v31, v57, v31
	v_fmac_f32_e32 v96, v67, v20
	v_fma_f32 v5, v54, v16, -v17
	v_add_f32_e32 v2, v2, v4
	v_add_f32_e32 v3, v3, v95
	v_mul_f32_e32 v98, v70, v25
	v_mul_f32_e32 v33, v59, v33
	v_fmac_f32_e32 v97, v69, v22
	v_fma_f32 v14, v56, v30, -v31
	v_add_f32_e32 v2, v2, v5
	v_add_f32_e32 v3, v3, v96
	s_waitcnt vmcnt(6) lgkmcnt(1)
	v_mul_f32_e32 v99, v72, v35
	v_mul_f32_e32 v41, v61, v41
	v_fmac_f32_e32 v98, v71, v24
	v_fma_f32 v15, v58, v32, -v33
	v_add_f32_e32 v2, v2, v14
	v_add_f32_e32 v3, v3, v97
	v_mul_f32_e32 v100, v74, v37
	v_mul_f32_e32 v43, v63, v43
	v_fmac_f32_e32 v99, v73, v34
	v_fma_f32 v16, v60, v40, -v41
	v_add_f32_e32 v2, v2, v15
	v_add_f32_e32 v3, v3, v98
	v_fmac_f32_e32 v100, v75, v36
	v_fma_f32 v17, v62, v42, -v43
	v_add_f32_e32 v2, v2, v16
	v_add_f32_e32 v3, v3, v99
	;; [unrolled: 1-line block ×4, first 2 shown]
	v_mul_f32_e32 v3, v67, v21
	v_add_f32_e32 v2, v2, v18
	v_fma_f32 v3, v66, v20, -v3
	v_add_f32_e32 v2, v2, v3
	v_mul_f32_e32 v3, v69, v23
	v_fma_f32 v3, v68, v22, -v3
	v_add_f32_e32 v2, v2, v3
	v_mul_f32_e32 v3, v71, v25
	;; [unrolled: 3-line block ×4, first 2 shown]
	v_fma_f32 v3, v74, v36, -v3
	v_add_f32_e32 v30, v2, v3
	s_waitcnt vmcnt(5) lgkmcnt(0)
	v_mul_f32_e32 v2, v77, v45
	v_fma_f32 v86, v76, v44, -v2
	v_mul_f32_e32 v2, v79, v47
	v_fma_f32 v88, v78, v46, -v2
	ds_read2_b64 v[2:5], v38 offset0:119 offset1:120
	ds_read2_b64 v[14:17], v38 offset0:121 offset1:122
	;; [unrolled: 1-line block ×4, first 2 shown]
	v_mul_f32_e32 v87, v76, v45
	v_mul_f32_e32 v89, v78, v47
	v_fmac_f32_e32 v87, v77, v44
	s_waitcnt vmcnt(4) lgkmcnt(3)
	v_pk_mul_f32 v[32:33], v[2:3], v[80:81] op_sel:[1,1] op_sel_hi:[0,1]
	v_fmac_f32_e32 v89, v79, v46
	v_pk_add_f32 v[30:31], v[30:31], v[86:87]
	v_pk_fma_f32 v[34:35], v[2:3], v[80:81], v[32:33] neg_lo:[0,0,1] neg_hi:[0,0,1]
	v_pk_fma_f32 v[2:3], v[2:3], v[80:81], v[32:33] op_sel_hi:[1,0,1]
	v_pk_add_f32 v[30:31], v[30:31], v[88:89]
	v_mov_b32_e32 v35, v3
	v_pk_add_f32 v[2:3], v[30:31], v[34:35]
	v_mov_b32_e32 v30, v83
	v_pk_mul_f32 v[30:31], v[4:5], v[30:31] op_sel:[1,0] op_sel_hi:[0,0]
	v_pk_fma_f32 v[32:33], v[4:5], v[82:83], v[30:31] neg_lo:[0,0,1] neg_hi:[0,0,1]
	v_pk_fma_f32 v[4:5], v[4:5], v[82:83], v[30:31] op_sel_hi:[1,0,1]
	s_nop 0
	v_mov_b32_e32 v33, v5
	s_waitcnt vmcnt(3) lgkmcnt(2)
	v_pk_mul_f32 v[4:5], v[14:15], v[26:27] op_sel:[1,1] op_sel_hi:[0,1]
	v_pk_fma_f32 v[30:31], v[14:15], v[26:27], v[4:5] neg_lo:[0,0,1] neg_hi:[0,0,1]
	v_pk_fma_f32 v[4:5], v[14:15], v[26:27], v[4:5] op_sel_hi:[1,0,1]
	v_pk_add_f32 v[2:3], v[2:3], v[32:33]
	v_mov_b32_e32 v4, v29
	v_mov_b32_e32 v31, v5
	v_pk_mul_f32 v[4:5], v[16:17], v[4:5] op_sel:[1,0] op_sel_hi:[0,0]
	v_pk_fma_f32 v[14:15], v[16:17], v[28:29], v[4:5] neg_lo:[0,0,1] neg_hi:[0,0,1]
	v_pk_fma_f32 v[4:5], v[16:17], v[28:29], v[4:5] op_sel_hi:[1,0,1]
	v_pk_add_f32 v[2:3], v[2:3], v[30:31]
	v_mov_b32_e32 v15, v5
	s_waitcnt vmcnt(2) lgkmcnt(1)
	v_pk_mul_f32 v[4:5], v[18:19], v[10:11] op_sel:[1,1] op_sel_hi:[0,1]
	v_pk_add_f32 v[2:3], v[2:3], v[14:15]
	v_pk_fma_f32 v[14:15], v[18:19], v[10:11], v[4:5] neg_lo:[0,0,1] neg_hi:[0,0,1]
	v_pk_fma_f32 v[4:5], v[18:19], v[10:11], v[4:5] op_sel_hi:[1,0,1]
	s_nop 0
	v_mov_b32_e32 v4, v13
	v_mov_b32_e32 v15, v5
	v_pk_mul_f32 v[4:5], v[20:21], v[4:5] op_sel:[1,0] op_sel_hi:[0,0]
	v_pk_fma_f32 v[10:11], v[20:21], v[12:13], v[4:5] neg_lo:[0,0,1] neg_hi:[0,0,1]
	v_pk_fma_f32 v[4:5], v[20:21], v[12:13], v[4:5] op_sel_hi:[1,0,1]
	v_pk_add_f32 v[2:3], v[2:3], v[14:15]
	v_mov_b32_e32 v11, v5
	s_waitcnt vmcnt(1) lgkmcnt(0)
	v_pk_mul_f32 v[4:5], v[22:23], v[6:7] op_sel:[1,1] op_sel_hi:[0,1]
	v_pk_add_f32 v[2:3], v[2:3], v[10:11]
	v_pk_fma_f32 v[10:11], v[22:23], v[6:7], v[4:5] neg_lo:[0,0,1] neg_hi:[0,0,1]
	v_pk_fma_f32 v[4:5], v[22:23], v[6:7], v[4:5] op_sel_hi:[1,0,1]
	s_nop 0
	v_mov_b32_e32 v4, v9
	v_mov_b32_e32 v11, v5
	v_pk_mul_f32 v[4:5], v[24:25], v[4:5] op_sel:[1,0] op_sel_hi:[0,0]
	v_pk_fma_f32 v[6:7], v[24:25], v[8:9], v[4:5] neg_lo:[0,0,1] neg_hi:[0,0,1]
	v_pk_fma_f32 v[4:5], v[24:25], v[8:9], v[4:5] op_sel_hi:[1,0,1]
	v_pk_add_f32 v[2:3], v[2:3], v[10:11]
	v_mov_b32_e32 v7, v5
	v_pk_add_f32 v[2:3], v[2:3], v[6:7]
	s_waitcnt vmcnt(0)
	v_pk_add_f32 v[2:3], v[84:85], v[2:3] neg_lo:[0,1] neg_hi:[0,1]
	scratch_store_dwordx2 off, v[2:3], off offset:304
	s_and_saveexec_b64 s[0:1], vcc
	s_cbranch_execz .LBB62_317
; %bb.316:
	scratch_load_dwordx2 v[2:3], off, off offset:296
	v_mov_b32_e32 v4, 0
	v_mov_b32_e32 v5, v4
	scratch_store_dwordx2 off, v[4:5], off offset:296
	s_waitcnt vmcnt(1)
	ds_write_b64 v1, v[2:3]
.LBB62_317:
	s_or_b64 exec, exec, s[0:1]
	s_waitcnt lgkmcnt(0)
	; wave barrier
	scratch_load_dwordx4 v[10:13], off, off offset:304
	scratch_load_dwordx4 v[26:29], off, off offset:320
	;; [unrolled: 1-line block ×12, first 2 shown]
	scratch_load_dwordx2 v[50:51], off, off offset:496
	scratch_load_dwordx2 v[56:57], off, off offset:296
	v_mov_b32_e32 v58, 0
	ds_read_b128 v[52:55], v58 offset:816
	ds_read_b128 v[60:63], v58 offset:832
	ds_read_b128 v[64:67], v58 offset:848
	ds_read_b128 v[68:71], v58 offset:864
	ds_read_b128 v[72:75], v58 offset:880
	ds_read_b128 v[76:79], v58 offset:896
	ds_read_b128 v[80:83], v58 offset:912
	ds_read_b128 v[84:87], v58 offset:928
	ds_read_b128 v[88:91], v58 offset:944
	ds_read_b128 v[92:95], v58 offset:960
	v_cmp_lt_u32_e32 vcc, 36, v0
	s_waitcnt vmcnt(13) lgkmcnt(9)
	v_mul_f32_e32 v59, v52, v11
	v_mul_f32_e32 v96, v54, v13
	v_fmac_f32_e32 v59, v53, v10
	s_waitcnt vmcnt(10) lgkmcnt(6)
	v_mul_f32_e32 v103, v68, v7
	v_mul_f32_e32 v7, v69, v7
	;; [unrolled: 1-line block ×3, first 2 shown]
	v_fmac_f32_e32 v96, v55, v12
	v_fmac_f32_e32 v103, v69, v6
	v_fma_f32 v6, v68, v6, -v7
	v_add_f32_e32 v7, 0, v59
	v_mul_f32_e32 v100, v62, v29
	v_fmac_f32_e32 v98, v61, v26
	v_add_f32_e32 v7, v7, v96
	v_mul_f32_e32 v101, v64, v39
	v_fmac_f32_e32 v100, v63, v28
	;; [unrolled: 3-line block ×3, first 2 shown]
	v_add_f32_e32 v7, v7, v100
	v_fmac_f32_e32 v102, v67, v40
	v_add_f32_e32 v7, v7, v101
	v_mul_f32_e32 v104, v70, v9
	v_add_f32_e32 v7, v7, v102
	s_waitcnt vmcnt(9) lgkmcnt(5)
	v_mul_f32_e32 v105, v72, v15
	v_fmac_f32_e32 v104, v71, v8
	v_add_f32_e32 v7, v7, v103
	v_mul_f32_e32 v106, v74, v17
	v_mul_f32_e32 v11, v53, v11
	v_fmac_f32_e32 v105, v73, v14
	v_add_f32_e32 v7, v7, v104
	s_waitcnt vmcnt(8) lgkmcnt(4)
	v_mul_f32_e32 v107, v76, v23
	v_mul_f32_e32 v13, v55, v13
	v_fmac_f32_e32 v106, v75, v16
	v_fma_f32 v10, v52, v10, -v11
	v_add_f32_e32 v7, v7, v105
	v_mul_f32_e32 v108, v78, v25
	v_mul_f32_e32 v27, v61, v27
	v_fmac_f32_e32 v107, v77, v22
	v_fma_f32 v11, v54, v12, -v13
	v_add_f32_e32 v10, 0, v10
	v_add_f32_e32 v7, v7, v106
	s_waitcnt vmcnt(7) lgkmcnt(3)
	v_mul_f32_e32 v109, v80, v31
	v_mul_f32_e32 v29, v63, v29
	v_fmac_f32_e32 v108, v79, v24
	v_fma_f32 v12, v60, v26, -v27
	v_add_f32_e32 v10, v10, v11
	v_add_f32_e32 v7, v7, v107
	v_mul_f32_e32 v110, v82, v33
	v_mul_f32_e32 v39, v65, v39
	v_fmac_f32_e32 v109, v81, v30
	v_fma_f32 v13, v62, v28, -v29
	v_add_f32_e32 v10, v10, v12
	v_add_f32_e32 v7, v7, v108
	s_waitcnt vmcnt(6) lgkmcnt(2)
	v_mul_f32_e32 v111, v84, v43
	v_mul_f32_e32 v41, v67, v41
	v_fmac_f32_e32 v110, v83, v32
	v_fma_f32 v26, v64, v38, -v39
	v_add_f32_e32 v10, v10, v13
	v_add_f32_e32 v7, v7, v109
	v_fmac_f32_e32 v111, v85, v42
	v_fma_f32 v27, v66, v40, -v41
	v_add_f32_e32 v10, v10, v26
	v_add_f32_e32 v7, v7, v110
	;; [unrolled: 1-line block ×4, first 2 shown]
	v_mul_f32_e32 v7, v71, v9
	v_add_f32_e32 v6, v10, v6
	v_fma_f32 v7, v70, v8, -v7
	v_add_f32_e32 v6, v6, v7
	v_mul_f32_e32 v7, v73, v15
	v_fma_f32 v7, v72, v14, -v7
	v_add_f32_e32 v6, v6, v7
	v_mul_f32_e32 v7, v75, v17
	;; [unrolled: 3-line block ×7, first 2 shown]
	v_fma_f32 v7, v84, v42, -v7
	v_mul_f32_e32 v97, v86, v45
	v_add_f32_e32 v26, v6, v7
	v_mul_f32_e32 v6, v87, v45
	s_waitcnt vmcnt(5)
	v_mov_b32_e32 v22, v49
	s_waitcnt lgkmcnt(1)
	v_mul_f32_e32 v99, v88, v47
	v_fmac_f32_e32 v97, v87, v44
	v_fma_f32 v96, v86, v44, -v6
	v_mul_f32_e32 v6, v89, v47
	v_pk_mul_f32 v[22:23], v[90:91], v[22:23] op_sel:[1,0] op_sel_hi:[0,0]
	v_fmac_f32_e32 v99, v89, v46
	v_fma_f32 v98, v88, v46, -v6
	v_pk_add_f32 v[16:17], v[26:27], v[96:97]
	v_pk_fma_f32 v[24:25], v[90:91], v[48:49], v[22:23] neg_lo:[0,0,1] neg_hi:[0,0,1]
	v_pk_fma_f32 v[22:23], v[90:91], v[48:49], v[22:23] op_sel_hi:[1,0,1]
	v_pk_add_f32 v[16:17], v[16:17], v[98:99]
	v_mov_b32_e32 v25, v23
	s_waitcnt vmcnt(4) lgkmcnt(0)
	v_pk_mul_f32 v[22:23], v[92:93], v[34:35] op_sel:[1,1] op_sel_hi:[0,1]
	v_pk_add_f32 v[16:17], v[16:17], v[24:25]
	v_pk_fma_f32 v[24:25], v[92:93], v[34:35], v[22:23] neg_lo:[0,0,1] neg_hi:[0,0,1]
	v_pk_fma_f32 v[22:23], v[92:93], v[34:35], v[22:23] op_sel_hi:[1,0,1]
	ds_read_b128 v[6:9], v58 offset:976
	ds_read_b128 v[10:13], v58 offset:992
	ds_read_b64 v[14:15], v58 offset:1008
	v_mov_b32_e32 v22, v37
	v_mov_b32_e32 v25, v23
	v_pk_mul_f32 v[22:23], v[94:95], v[22:23] op_sel:[1,0] op_sel_hi:[0,0]
	v_pk_add_f32 v[16:17], v[16:17], v[24:25]
	v_pk_fma_f32 v[24:25], v[94:95], v[36:37], v[22:23] neg_lo:[0,0,1] neg_hi:[0,0,1]
	v_pk_fma_f32 v[22:23], v[94:95], v[36:37], v[22:23] op_sel_hi:[1,0,1]
	s_nop 0
	v_mov_b32_e32 v25, v23
	s_waitcnt vmcnt(3) lgkmcnt(2)
	v_pk_mul_f32 v[22:23], v[6:7], v[18:19] op_sel:[1,1] op_sel_hi:[0,1]
	v_pk_add_f32 v[16:17], v[16:17], v[24:25]
	v_pk_fma_f32 v[24:25], v[6:7], v[18:19], v[22:23] neg_lo:[0,0,1] neg_hi:[0,0,1]
	v_pk_fma_f32 v[6:7], v[6:7], v[18:19], v[22:23] op_sel_hi:[1,0,1]
	s_nop 0
	v_mov_b32_e32 v25, v7
	v_pk_add_f32 v[6:7], v[16:17], v[24:25]
	v_mov_b32_e32 v16, v21
	v_pk_mul_f32 v[16:17], v[8:9], v[16:17] op_sel:[1,0] op_sel_hi:[0,0]
	v_pk_fma_f32 v[18:19], v[8:9], v[20:21], v[16:17] neg_lo:[0,0,1] neg_hi:[0,0,1]
	v_pk_fma_f32 v[8:9], v[8:9], v[20:21], v[16:17] op_sel_hi:[1,0,1]
	s_nop 0
	v_mov_b32_e32 v19, v9
	s_waitcnt vmcnt(2) lgkmcnt(1)
	v_pk_mul_f32 v[8:9], v[10:11], v[2:3] op_sel:[1,1] op_sel_hi:[0,1]
	v_pk_fma_f32 v[16:17], v[10:11], v[2:3], v[8:9] neg_lo:[0,0,1] neg_hi:[0,0,1]
	v_pk_fma_f32 v[2:3], v[10:11], v[2:3], v[8:9] op_sel_hi:[1,0,1]
	v_pk_add_f32 v[6:7], v[6:7], v[18:19]
	v_mov_b32_e32 v17, v3
	v_pk_add_f32 v[2:3], v[6:7], v[16:17]
	v_mov_b32_e32 v6, v5
	v_pk_mul_f32 v[6:7], v[12:13], v[6:7] op_sel:[1,0] op_sel_hi:[0,0]
	v_pk_fma_f32 v[8:9], v[12:13], v[4:5], v[6:7] neg_lo:[0,0,1] neg_hi:[0,0,1]
	v_pk_fma_f32 v[4:5], v[12:13], v[4:5], v[6:7] op_sel_hi:[1,0,1]
	s_nop 0
	v_mov_b32_e32 v9, v5
	s_waitcnt vmcnt(1) lgkmcnt(0)
	v_pk_mul_f32 v[4:5], v[14:15], v[50:51] op_sel:[1,1] op_sel_hi:[0,1]
	v_pk_fma_f32 v[6:7], v[14:15], v[50:51], v[4:5] neg_lo:[0,0,1] neg_hi:[0,0,1]
	v_pk_fma_f32 v[4:5], v[14:15], v[50:51], v[4:5] op_sel_hi:[1,0,1]
	v_pk_add_f32 v[2:3], v[2:3], v[8:9]
	v_mov_b32_e32 v7, v5
	v_pk_add_f32 v[2:3], v[2:3], v[6:7]
	s_waitcnt vmcnt(0)
	v_pk_add_f32 v[2:3], v[56:57], v[2:3] neg_lo:[0,1] neg_hi:[0,1]
	scratch_store_dwordx2 off, v[2:3], off offset:296
	s_and_saveexec_b64 s[0:1], vcc
	s_cbranch_execz .LBB62_319
; %bb.318:
	scratch_load_dwordx2 v[2:3], off, off offset:288
	v_mov_b32_e32 v59, v58
	scratch_store_dwordx2 off, v[58:59], off offset:288
	s_waitcnt vmcnt(1)
	ds_write_b64 v1, v[2:3]
.LBB62_319:
	s_or_b64 exec, exec, s[0:1]
	s_waitcnt lgkmcnt(0)
	; wave barrier
	scratch_load_dwordx4 v[2:5], off, off offset:296
	scratch_load_dwordx4 v[18:21], off, off offset:312
	;; [unrolled: 1-line block ×9, first 2 shown]
	ds_read2_b64 v[60:63], v58 offset0:101 offset1:102
	ds_read2_b64 v[64:67], v58 offset0:103 offset1:104
	;; [unrolled: 1-line block ×8, first 2 shown]
	scratch_load_dwordx4 v[50:53], off, off offset:440
	scratch_load_dwordx4 v[34:37], off, off offset:456
	;; [unrolled: 1-line block ×4, first 2 shown]
	ds_read2_b64 v[88:91], v58 offset0:117 offset1:118
	ds_read2_b64 v[92:95], v58 offset0:119 offset1:120
	scratch_load_dwordx2 v[96:97], off, off offset:288
	v_cmp_lt_u32_e32 vcc, 35, v0
	s_waitcnt vmcnt(13) lgkmcnt(9)
	v_mul_f32_e32 v59, v60, v3
	v_mul_f32_e32 v98, v62, v5
	;; [unrolled: 1-line block ×3, first 2 shown]
	s_waitcnt vmcnt(10) lgkmcnt(6)
	v_mul_f32_e32 v105, v72, v7
	v_mul_f32_e32 v7, v73, v7
	v_fmac_f32_e32 v59, v61, v2
	v_mul_f32_e32 v100, v64, v19
	v_mul_f32_e32 v5, v63, v5
	v_fmac_f32_e32 v98, v63, v4
	v_fmac_f32_e32 v105, v73, v6
	v_fma_f32 v2, v60, v2, -v3
	v_fma_f32 v6, v72, v6, -v7
	v_add_f32_e32 v7, 0, v59
	v_mul_f32_e32 v102, v66, v21
	v_fmac_f32_e32 v100, v65, v18
	v_fma_f32 v3, v62, v4, -v5
	v_add_f32_e32 v2, 0, v2
	v_add_f32_e32 v7, v7, v98
	v_mul_f32_e32 v103, v68, v39
	v_fmac_f32_e32 v102, v67, v20
	v_add_f32_e32 v2, v2, v3
	v_add_f32_e32 v3, v7, v100
	v_mul_f32_e32 v104, v70, v41
	v_fmac_f32_e32 v103, v69, v38
	v_add_f32_e32 v3, v3, v102
	v_fmac_f32_e32 v104, v71, v40
	v_add_f32_e32 v3, v3, v103
	v_mul_f32_e32 v106, v74, v9
	v_add_f32_e32 v3, v3, v104
	s_waitcnt vmcnt(9) lgkmcnt(5)
	v_mul_f32_e32 v107, v76, v15
	v_fmac_f32_e32 v106, v75, v8
	v_add_f32_e32 v3, v3, v105
	v_mul_f32_e32 v108, v78, v17
	v_fmac_f32_e32 v107, v77, v14
	v_add_f32_e32 v3, v3, v106
	s_waitcnt vmcnt(8) lgkmcnt(4)
	v_mul_f32_e32 v109, v80, v23
	v_fmac_f32_e32 v108, v79, v16
	v_add_f32_e32 v3, v3, v107
	v_mul_f32_e32 v110, v82, v25
	v_fmac_f32_e32 v109, v81, v22
	v_add_f32_e32 v3, v3, v108
	s_waitcnt vmcnt(7) lgkmcnt(3)
	v_mul_f32_e32 v111, v84, v31
	v_mul_f32_e32 v19, v65, v19
	v_fmac_f32_e32 v110, v83, v24
	v_add_f32_e32 v3, v3, v109
	v_mul_f32_e32 v112, v86, v33
	v_mul_f32_e32 v21, v67, v21
	v_fmac_f32_e32 v111, v85, v30
	v_fma_f32 v4, v64, v18, -v19
	v_add_f32_e32 v3, v3, v110
	s_waitcnt vmcnt(6) lgkmcnt(2)
	v_mul_f32_e32 v113, v54, v43
	v_mul_f32_e32 v39, v69, v39
	v_fmac_f32_e32 v112, v87, v32
	v_fma_f32 v5, v66, v20, -v21
	v_add_f32_e32 v2, v2, v4
	v_add_f32_e32 v3, v3, v111
	v_mul_f32_e32 v114, v56, v45
	v_mul_f32_e32 v41, v71, v41
	v_fmac_f32_e32 v113, v55, v42
	v_fma_f32 v18, v68, v38, -v39
	v_add_f32_e32 v2, v2, v5
	v_add_f32_e32 v3, v3, v112
	v_fmac_f32_e32 v114, v57, v44
	v_fma_f32 v19, v70, v40, -v41
	v_add_f32_e32 v2, v2, v18
	v_add_f32_e32 v3, v3, v113
	;; [unrolled: 1-line block ×4, first 2 shown]
	v_mul_f32_e32 v3, v75, v9
	v_add_f32_e32 v2, v2, v6
	v_fma_f32 v3, v74, v8, -v3
	v_add_f32_e32 v2, v2, v3
	v_mul_f32_e32 v3, v77, v15
	v_fma_f32 v3, v76, v14, -v3
	v_add_f32_e32 v2, v2, v3
	v_mul_f32_e32 v3, v79, v17
	;; [unrolled: 3-line block ×8, first 2 shown]
	v_fma_f32 v3, v56, v44, -v3
	s_waitcnt vmcnt(5) lgkmcnt(1)
	v_mul_f32_e32 v99, v88, v47
	v_add_f32_e32 v18, v2, v3
	v_mul_f32_e32 v2, v89, v47
	s_waitcnt vmcnt(4) lgkmcnt(0)
	v_pk_mul_f32 v[20:21], v[92:93], v[50:51] op_sel:[1,1] op_sel_hi:[0,1]
	v_mul_f32_e32 v101, v90, v49
	v_fmac_f32_e32 v99, v89, v46
	v_fma_f32 v98, v88, v46, -v2
	v_mul_f32_e32 v2, v91, v49
	v_pk_fma_f32 v[22:23], v[92:93], v[50:51], v[20:21] neg_lo:[0,0,1] neg_hi:[0,0,1]
	v_pk_fma_f32 v[20:21], v[92:93], v[50:51], v[20:21] op_sel_hi:[1,0,1]
	v_fmac_f32_e32 v101, v91, v48
	v_fma_f32 v100, v90, v48, -v2
	ds_read2_b64 v[2:5], v58 offset0:121 offset1:122
	ds_read2_b64 v[6:9], v58 offset0:123 offset1:124
	;; [unrolled: 1-line block ×3, first 2 shown]
	v_pk_add_f32 v[18:19], v[18:19], v[98:99]
	v_mov_b32_e32 v20, v53
	v_pk_add_f32 v[18:19], v[18:19], v[100:101]
	v_mov_b32_e32 v23, v21
	v_pk_mul_f32 v[20:21], v[94:95], v[20:21] op_sel:[1,0] op_sel_hi:[0,0]
	v_pk_add_f32 v[18:19], v[18:19], v[22:23]
	v_pk_fma_f32 v[22:23], v[94:95], v[52:53], v[20:21] neg_lo:[0,0,1] neg_hi:[0,0,1]
	v_pk_fma_f32 v[20:21], v[94:95], v[52:53], v[20:21] op_sel_hi:[1,0,1]
	s_nop 0
	v_mov_b32_e32 v23, v21
	s_waitcnt vmcnt(3) lgkmcnt(2)
	v_pk_mul_f32 v[20:21], v[2:3], v[34:35] op_sel:[1,1] op_sel_hi:[0,1]
	v_pk_add_f32 v[18:19], v[18:19], v[22:23]
	v_pk_fma_f32 v[22:23], v[2:3], v[34:35], v[20:21] neg_lo:[0,0,1] neg_hi:[0,0,1]
	v_pk_fma_f32 v[2:3], v[2:3], v[34:35], v[20:21] op_sel_hi:[1,0,1]
	s_nop 0
	v_mov_b32_e32 v23, v3
	v_pk_add_f32 v[2:3], v[18:19], v[22:23]
	v_mov_b32_e32 v18, v37
	v_pk_mul_f32 v[18:19], v[4:5], v[18:19] op_sel:[1,0] op_sel_hi:[0,0]
	v_pk_fma_f32 v[20:21], v[4:5], v[36:37], v[18:19] neg_lo:[0,0,1] neg_hi:[0,0,1]
	v_pk_fma_f32 v[4:5], v[4:5], v[36:37], v[18:19] op_sel_hi:[1,0,1]
	s_nop 0
	v_mov_b32_e32 v21, v5
	s_waitcnt vmcnt(2) lgkmcnt(1)
	v_pk_mul_f32 v[4:5], v[6:7], v[26:27] op_sel:[1,1] op_sel_hi:[0,1]
	v_pk_fma_f32 v[18:19], v[6:7], v[26:27], v[4:5] neg_lo:[0,0,1] neg_hi:[0,0,1]
	v_pk_fma_f32 v[4:5], v[6:7], v[26:27], v[4:5] op_sel_hi:[1,0,1]
	v_pk_add_f32 v[2:3], v[2:3], v[20:21]
	v_mov_b32_e32 v4, v29
	v_mov_b32_e32 v19, v5
	v_pk_mul_f32 v[4:5], v[8:9], v[4:5] op_sel:[1,0] op_sel_hi:[0,0]
	v_pk_fma_f32 v[6:7], v[8:9], v[28:29], v[4:5] neg_lo:[0,0,1] neg_hi:[0,0,1]
	v_pk_fma_f32 v[4:5], v[8:9], v[28:29], v[4:5] op_sel_hi:[1,0,1]
	v_pk_add_f32 v[2:3], v[2:3], v[18:19]
	v_mov_b32_e32 v7, v5
	s_waitcnt vmcnt(1) lgkmcnt(0)
	v_pk_mul_f32 v[4:5], v[14:15], v[10:11] op_sel:[1,1] op_sel_hi:[0,1]
	v_pk_add_f32 v[2:3], v[2:3], v[6:7]
	v_pk_fma_f32 v[6:7], v[14:15], v[10:11], v[4:5] neg_lo:[0,0,1] neg_hi:[0,0,1]
	v_pk_fma_f32 v[4:5], v[14:15], v[10:11], v[4:5] op_sel_hi:[1,0,1]
	s_nop 0
	v_mov_b32_e32 v4, v13
	v_mov_b32_e32 v7, v5
	v_pk_mul_f32 v[4:5], v[16:17], v[4:5] op_sel:[1,0] op_sel_hi:[0,0]
	v_pk_add_f32 v[2:3], v[2:3], v[6:7]
	v_pk_fma_f32 v[6:7], v[16:17], v[12:13], v[4:5] neg_lo:[0,0,1] neg_hi:[0,0,1]
	v_pk_fma_f32 v[4:5], v[16:17], v[12:13], v[4:5] op_sel_hi:[1,0,1]
	s_nop 0
	v_mov_b32_e32 v7, v5
	v_pk_add_f32 v[2:3], v[2:3], v[6:7]
	s_waitcnt vmcnt(0)
	v_pk_add_f32 v[2:3], v[96:97], v[2:3] neg_lo:[0,1] neg_hi:[0,1]
	scratch_store_dwordx2 off, v[2:3], off offset:288
	s_and_saveexec_b64 s[0:1], vcc
	s_cbranch_execz .LBB62_321
; %bb.320:
	scratch_load_dwordx2 v[2:3], off, off offset:280
	v_mov_b32_e32 v4, 0
	v_mov_b32_e32 v5, v4
	scratch_store_dwordx2 off, v[4:5], off offset:280
	s_waitcnt vmcnt(1)
	ds_write_b64 v1, v[2:3]
.LBB62_321:
	s_or_b64 exec, exec, s[0:1]
	s_waitcnt lgkmcnt(0)
	; wave barrier
	scratch_load_dwordx4 v[18:21], off, off offset:288
	scratch_load_dwordx4 v[30:33], off, off offset:304
	;; [unrolled: 1-line block ×13, first 2 shown]
	scratch_load_dwordx2 v[54:55], off, off offset:496
	scratch_load_dwordx2 v[80:81], off, off offset:280
	v_mov_b32_e32 v82, 0
	ds_read_b128 v[56:59], v82 offset:800
	ds_read_b128 v[60:63], v82 offset:816
	;; [unrolled: 1-line block ×10, first 2 shown]
	v_cmp_lt_u32_e32 vcc, 34, v0
	s_waitcnt vmcnt(14) lgkmcnt(9)
	v_mul_f32_e32 v83, v56, v19
	v_mul_f32_e32 v100, v58, v21
	s_waitcnt vmcnt(12) lgkmcnt(7)
	v_mul_f32_e32 v105, v64, v3
	v_mul_f32_e32 v3, v65, v3
	v_fmac_f32_e32 v83, v57, v18
	v_mul_f32_e32 v102, v60, v31
	v_fmac_f32_e32 v100, v59, v20
	v_fmac_f32_e32 v105, v65, v2
	v_fma_f32 v2, v64, v2, -v3
	v_add_f32_e32 v3, 0, v83
	v_mul_f32_e32 v104, v62, v33
	v_fmac_f32_e32 v102, v61, v30
	v_add_f32_e32 v3, v3, v100
	v_fmac_f32_e32 v104, v63, v32
	v_add_f32_e32 v3, v3, v102
	v_mul_f32_e32 v106, v66, v5
	v_add_f32_e32 v3, v3, v104
	s_waitcnt vmcnt(11) lgkmcnt(6)
	v_mul_f32_e32 v107, v68, v7
	v_fmac_f32_e32 v106, v67, v4
	v_add_f32_e32 v3, v3, v105
	v_mul_f32_e32 v108, v70, v9
	v_fmac_f32_e32 v107, v69, v6
	v_add_f32_e32 v3, v3, v106
	s_waitcnt vmcnt(10) lgkmcnt(5)
	v_mul_f32_e32 v109, v72, v15
	v_fmac_f32_e32 v108, v71, v8
	v_add_f32_e32 v3, v3, v107
	v_mul_f32_e32 v110, v74, v17
	v_fmac_f32_e32 v109, v73, v14
	;; [unrolled: 7-line block ×3, first 2 shown]
	v_add_f32_e32 v3, v3, v110
	s_waitcnt vmcnt(8) lgkmcnt(3)
	v_mul_f32_e32 v113, v84, v35
	v_mul_f32_e32 v19, v57, v19
	v_fmac_f32_e32 v112, v79, v24
	v_add_f32_e32 v3, v3, v111
	v_mul_f32_e32 v114, v86, v37
	v_mul_f32_e32 v21, v59, v21
	v_fmac_f32_e32 v113, v85, v34
	v_fma_f32 v18, v56, v18, -v19
	v_add_f32_e32 v3, v3, v112
	s_waitcnt vmcnt(7) lgkmcnt(2)
	v_mul_f32_e32 v115, v88, v39
	v_mul_f32_e32 v31, v61, v31
	v_fmac_f32_e32 v114, v87, v36
	v_fma_f32 v19, v58, v20, -v21
	v_add_f32_e32 v18, 0, v18
	v_add_f32_e32 v3, v3, v113
	v_mul_f32_e32 v116, v90, v41
	v_mul_f32_e32 v33, v63, v33
	v_fmac_f32_e32 v115, v89, v38
	v_fma_f32 v20, v60, v30, -v31
	v_add_f32_e32 v18, v18, v19
	v_add_f32_e32 v3, v3, v114
	s_waitcnt vmcnt(6) lgkmcnt(1)
	v_mul_f32_e32 v117, v92, v51
	v_fmac_f32_e32 v116, v91, v40
	v_fma_f32 v21, v62, v32, -v33
	v_add_f32_e32 v18, v18, v20
	v_add_f32_e32 v3, v3, v115
	v_mul_f32_e32 v5, v67, v5
	v_fmac_f32_e32 v117, v93, v50
	v_add_f32_e32 v18, v18, v21
	v_add_f32_e32 v3, v3, v116
	;; [unrolled: 1-line block ×4, first 2 shown]
	v_fma_f32 v3, v66, v4, -v5
	v_add_f32_e32 v2, v2, v3
	v_mul_f32_e32 v3, v69, v7
	v_fma_f32 v3, v68, v6, -v3
	v_add_f32_e32 v2, v2, v3
	v_mul_f32_e32 v3, v71, v9
	v_fma_f32 v3, v70, v8, -v3
	v_add_f32_e32 v2, v2, v3
	v_mul_f32_e32 v3, v73, v15
	v_fma_f32 v3, v72, v14, -v3
	v_add_f32_e32 v2, v2, v3
	v_mul_f32_e32 v3, v75, v17
	v_fma_f32 v3, v74, v16, -v3
	v_add_f32_e32 v2, v2, v3
	v_mul_f32_e32 v3, v77, v23
	v_fma_f32 v3, v76, v22, -v3
	v_add_f32_e32 v2, v2, v3
	v_mul_f32_e32 v3, v79, v25
	v_fma_f32 v3, v78, v24, -v3
	v_add_f32_e32 v2, v2, v3
	v_mul_f32_e32 v3, v85, v35
	v_fma_f32 v3, v84, v34, -v3
	v_add_f32_e32 v2, v2, v3
	v_mul_f32_e32 v3, v87, v37
	v_fma_f32 v3, v86, v36, -v3
	v_add_f32_e32 v2, v2, v3
	v_mul_f32_e32 v3, v89, v39
	v_fma_f32 v3, v88, v38, -v3
	v_add_f32_e32 v2, v2, v3
	v_mul_f32_e32 v3, v91, v41
	v_fma_f32 v3, v90, v40, -v3
	v_add_f32_e32 v2, v2, v3
	v_mul_f32_e32 v3, v93, v51
	v_fma_f32 v3, v92, v50, -v3
	v_add_f32_e32 v18, v2, v3
	v_mul_f32_e32 v2, v95, v53
	v_mul_f32_e32 v101, v94, v53
	v_fma_f32 v100, v94, v52, -v2
	s_waitcnt vmcnt(5) lgkmcnt(0)
	v_mul_f32_e32 v2, v97, v47
	v_mov_b32_e32 v22, v49
	v_mul_f32_e32 v103, v96, v47
	v_fmac_f32_e32 v101, v95, v52
	v_fma_f32 v102, v96, v46, -v2
	ds_read_b128 v[2:5], v82 offset:960
	ds_read_b128 v[6:9], v82 offset:976
	;; [unrolled: 1-line block ×3, first 2 shown]
	ds_read_b64 v[20:21], v82 offset:1008
	v_pk_mul_f32 v[22:23], v[98:99], v[22:23] op_sel:[1,0] op_sel_hi:[0,0]
	v_fmac_f32_e32 v103, v97, v46
	v_pk_add_f32 v[18:19], v[18:19], v[100:101]
	v_pk_fma_f32 v[24:25], v[98:99], v[48:49], v[22:23] neg_lo:[0,0,1] neg_hi:[0,0,1]
	v_pk_fma_f32 v[22:23], v[98:99], v[48:49], v[22:23] op_sel_hi:[1,0,1]
	v_pk_add_f32 v[18:19], v[18:19], v[102:103]
	v_mov_b32_e32 v25, v23
	s_waitcnt vmcnt(4) lgkmcnt(3)
	v_pk_mul_f32 v[22:23], v[2:3], v[42:43] op_sel:[1,1] op_sel_hi:[0,1]
	v_pk_add_f32 v[18:19], v[18:19], v[24:25]
	v_pk_fma_f32 v[24:25], v[2:3], v[42:43], v[22:23] neg_lo:[0,0,1] neg_hi:[0,0,1]
	v_pk_fma_f32 v[2:3], v[2:3], v[42:43], v[22:23] op_sel_hi:[1,0,1]
	s_nop 0
	v_mov_b32_e32 v25, v3
	v_pk_add_f32 v[2:3], v[18:19], v[24:25]
	v_mov_b32_e32 v18, v45
	v_pk_mul_f32 v[18:19], v[4:5], v[18:19] op_sel:[1,0] op_sel_hi:[0,0]
	v_pk_fma_f32 v[22:23], v[4:5], v[44:45], v[18:19] neg_lo:[0,0,1] neg_hi:[0,0,1]
	v_pk_fma_f32 v[4:5], v[4:5], v[44:45], v[18:19] op_sel_hi:[1,0,1]
	s_nop 0
	v_mov_b32_e32 v23, v5
	s_waitcnt vmcnt(3) lgkmcnt(2)
	v_pk_mul_f32 v[4:5], v[6:7], v[26:27] op_sel:[1,1] op_sel_hi:[0,1]
	v_pk_fma_f32 v[18:19], v[6:7], v[26:27], v[4:5] neg_lo:[0,0,1] neg_hi:[0,0,1]
	v_pk_fma_f32 v[4:5], v[6:7], v[26:27], v[4:5] op_sel_hi:[1,0,1]
	v_pk_add_f32 v[2:3], v[2:3], v[22:23]
	v_mov_b32_e32 v4, v29
	v_mov_b32_e32 v19, v5
	v_pk_mul_f32 v[4:5], v[8:9], v[4:5] op_sel:[1,0] op_sel_hi:[0,0]
	v_pk_fma_f32 v[6:7], v[8:9], v[28:29], v[4:5] neg_lo:[0,0,1] neg_hi:[0,0,1]
	v_pk_fma_f32 v[4:5], v[8:9], v[28:29], v[4:5] op_sel_hi:[1,0,1]
	v_pk_add_f32 v[2:3], v[2:3], v[18:19]
	v_mov_b32_e32 v7, v5
	s_waitcnt vmcnt(2) lgkmcnt(1)
	v_pk_mul_f32 v[4:5], v[14:15], v[10:11] op_sel:[1,1] op_sel_hi:[0,1]
	v_pk_add_f32 v[2:3], v[2:3], v[6:7]
	v_pk_fma_f32 v[6:7], v[14:15], v[10:11], v[4:5] neg_lo:[0,0,1] neg_hi:[0,0,1]
	v_pk_fma_f32 v[4:5], v[14:15], v[10:11], v[4:5] op_sel_hi:[1,0,1]
	s_nop 0
	v_mov_b32_e32 v4, v13
	v_mov_b32_e32 v7, v5
	v_pk_mul_f32 v[4:5], v[16:17], v[4:5] op_sel:[1,0] op_sel_hi:[0,0]
	v_pk_add_f32 v[2:3], v[2:3], v[6:7]
	v_pk_fma_f32 v[6:7], v[16:17], v[12:13], v[4:5] neg_lo:[0,0,1] neg_hi:[0,0,1]
	v_pk_fma_f32 v[4:5], v[16:17], v[12:13], v[4:5] op_sel_hi:[1,0,1]
	s_nop 0
	v_mov_b32_e32 v7, v5
	s_waitcnt vmcnt(1) lgkmcnt(0)
	v_pk_mul_f32 v[4:5], v[20:21], v[54:55] op_sel:[1,1] op_sel_hi:[0,1]
	v_pk_add_f32 v[2:3], v[2:3], v[6:7]
	v_pk_fma_f32 v[6:7], v[20:21], v[54:55], v[4:5] neg_lo:[0,0,1] neg_hi:[0,0,1]
	v_pk_fma_f32 v[4:5], v[20:21], v[54:55], v[4:5] op_sel_hi:[1,0,1]
	s_nop 0
	v_mov_b32_e32 v7, v5
	v_pk_add_f32 v[2:3], v[2:3], v[6:7]
	s_waitcnt vmcnt(0)
	v_pk_add_f32 v[2:3], v[80:81], v[2:3] neg_lo:[0,1] neg_hi:[0,1]
	scratch_store_dwordx2 off, v[2:3], off offset:280
	s_and_saveexec_b64 s[0:1], vcc
	s_cbranch_execz .LBB62_323
; %bb.322:
	scratch_load_dwordx2 v[2:3], off, off offset:272
	v_mov_b32_e32 v83, v82
	scratch_store_dwordx2 off, v[82:83], off offset:272
	s_waitcnt vmcnt(1)
	ds_write_b64 v1, v[2:3]
.LBB62_323:
	s_or_b64 exec, exec, s[0:1]
	s_waitcnt lgkmcnt(0)
	; wave barrier
	scratch_load_dwordx4 v[10:13], off, off offset:280
	scratch_load_dwordx4 v[26:29], off, off offset:296
	;; [unrolled: 1-line block ×10, first 2 shown]
	ds_read2_b64 v[84:87], v82 offset0:99 offset1:100
	ds_read2_b64 v[88:91], v82 offset0:101 offset1:102
	;; [unrolled: 1-line block ×10, first 2 shown]
	scratch_load_dwordx4 v[54:57], off, off offset:440
	scratch_load_dwordx4 v[46:49], off, off offset:456
	;; [unrolled: 1-line block ×4, first 2 shown]
	scratch_load_dwordx2 v[100:101], off, off offset:272
	v_cmp_lt_u32_e32 vcc, 33, v0
	s_waitcnt vmcnt(14) lgkmcnt(9)
	v_mul_f32_e32 v83, v84, v11
	v_mul_f32_e32 v102, v86, v13
	s_waitcnt vmcnt(12) lgkmcnt(7)
	v_mul_f32_e32 v107, v92, v3
	v_mul_f32_e32 v3, v93, v3
	v_fmac_f32_e32 v83, v85, v10
	v_mul_f32_e32 v104, v88, v27
	v_fmac_f32_e32 v102, v87, v12
	v_fmac_f32_e32 v107, v93, v2
	v_fma_f32 v2, v92, v2, -v3
	v_add_f32_e32 v3, 0, v83
	v_mul_f32_e32 v106, v90, v29
	v_fmac_f32_e32 v104, v89, v26
	v_add_f32_e32 v3, v3, v102
	v_fmac_f32_e32 v106, v91, v28
	v_add_f32_e32 v3, v3, v104
	v_mul_f32_e32 v108, v94, v5
	v_add_f32_e32 v3, v3, v106
	s_waitcnt vmcnt(11) lgkmcnt(6)
	v_mul_f32_e32 v109, v96, v7
	v_fmac_f32_e32 v108, v95, v4
	v_add_f32_e32 v3, v3, v107
	v_mul_f32_e32 v110, v98, v9
	v_fmac_f32_e32 v109, v97, v6
	v_add_f32_e32 v3, v3, v108
	s_waitcnt vmcnt(10) lgkmcnt(5)
	v_mul_f32_e32 v111, v78, v15
	v_fmac_f32_e32 v110, v99, v8
	v_add_f32_e32 v3, v3, v109
	v_mul_f32_e32 v112, v80, v17
	v_fmac_f32_e32 v111, v79, v14
	;; [unrolled: 7-line block ×4, first 2 shown]
	v_add_f32_e32 v3, v3, v114
	s_waitcnt vmcnt(7) lgkmcnt(2)
	v_mul_f32_e32 v117, v66, v39
	v_mul_f32_e32 v11, v85, v11
	v_fmac_f32_e32 v116, v73, v32
	v_add_f32_e32 v3, v3, v115
	v_mul_f32_e32 v118, v68, v41
	v_mul_f32_e32 v13, v87, v13
	v_fmac_f32_e32 v117, v67, v38
	v_fma_f32 v10, v84, v10, -v11
	v_add_f32_e32 v3, v3, v116
	s_waitcnt vmcnt(6) lgkmcnt(1)
	v_mul_f32_e32 v119, v62, v43
	v_mul_f32_e32 v27, v89, v27
	v_fmac_f32_e32 v118, v69, v40
	v_fma_f32 v11, v86, v12, -v13
	v_add_f32_e32 v10, 0, v10
	v_add_f32_e32 v3, v3, v117
	v_mul_f32_e32 v120, v64, v45
	v_mul_f32_e32 v29, v91, v29
	v_fmac_f32_e32 v119, v63, v42
	v_fma_f32 v12, v88, v26, -v27
	v_add_f32_e32 v10, v10, v11
	v_add_f32_e32 v3, v3, v118
	v_fmac_f32_e32 v120, v65, v44
	v_fma_f32 v13, v90, v28, -v29
	v_add_f32_e32 v10, v10, v12
	v_add_f32_e32 v3, v3, v119
	;; [unrolled: 1-line block ×4, first 2 shown]
	v_mul_f32_e32 v3, v95, v5
	v_add_f32_e32 v2, v10, v2
	v_fma_f32 v3, v94, v4, -v3
	v_add_f32_e32 v2, v2, v3
	v_mul_f32_e32 v3, v97, v7
	v_fma_f32 v3, v96, v6, -v3
	v_add_f32_e32 v2, v2, v3
	v_mul_f32_e32 v3, v99, v9
	;; [unrolled: 3-line block ×12, first 2 shown]
	v_fma_f32 v3, v64, v44, -v3
	v_add_f32_e32 v26, v2, v3
	s_waitcnt vmcnt(5) lgkmcnt(0)
	v_mul_f32_e32 v2, v59, v51
	v_fma_f32 v102, v58, v50, -v2
	v_mul_f32_e32 v2, v61, v53
	v_fma_f32 v104, v60, v52, -v2
	ds_read2_b64 v[2:5], v82 offset0:119 offset1:120
	ds_read2_b64 v[6:9], v82 offset0:121 offset1:122
	;; [unrolled: 1-line block ×4, first 2 shown]
	v_mul_f32_e32 v103, v58, v51
	v_mul_f32_e32 v105, v60, v53
	v_fmac_f32_e32 v103, v59, v50
	s_waitcnt vmcnt(4) lgkmcnt(3)
	v_pk_mul_f32 v[24:25], v[2:3], v[54:55] op_sel:[1,1] op_sel_hi:[0,1]
	v_fmac_f32_e32 v105, v61, v52
	v_pk_add_f32 v[22:23], v[26:27], v[102:103]
	v_pk_fma_f32 v[26:27], v[2:3], v[54:55], v[24:25] neg_lo:[0,0,1] neg_hi:[0,0,1]
	v_pk_fma_f32 v[2:3], v[2:3], v[54:55], v[24:25] op_sel_hi:[1,0,1]
	v_pk_add_f32 v[22:23], v[22:23], v[104:105]
	v_mov_b32_e32 v27, v3
	v_pk_add_f32 v[2:3], v[22:23], v[26:27]
	v_mov_b32_e32 v22, v57
	v_pk_mul_f32 v[22:23], v[4:5], v[22:23] op_sel:[1,0] op_sel_hi:[0,0]
	v_pk_fma_f32 v[24:25], v[4:5], v[56:57], v[22:23] neg_lo:[0,0,1] neg_hi:[0,0,1]
	v_pk_fma_f32 v[4:5], v[4:5], v[56:57], v[22:23] op_sel_hi:[1,0,1]
	s_nop 0
	v_mov_b32_e32 v25, v5
	s_waitcnt vmcnt(3) lgkmcnt(2)
	v_pk_mul_f32 v[4:5], v[6:7], v[46:47] op_sel:[1,1] op_sel_hi:[0,1]
	v_pk_fma_f32 v[22:23], v[6:7], v[46:47], v[4:5] neg_lo:[0,0,1] neg_hi:[0,0,1]
	v_pk_fma_f32 v[4:5], v[6:7], v[46:47], v[4:5] op_sel_hi:[1,0,1]
	v_pk_add_f32 v[2:3], v[2:3], v[24:25]
	v_mov_b32_e32 v4, v49
	v_mov_b32_e32 v23, v5
	v_pk_mul_f32 v[4:5], v[8:9], v[4:5] op_sel:[1,0] op_sel_hi:[0,0]
	v_pk_fma_f32 v[6:7], v[8:9], v[48:49], v[4:5] neg_lo:[0,0,1] neg_hi:[0,0,1]
	v_pk_fma_f32 v[4:5], v[8:9], v[48:49], v[4:5] op_sel_hi:[1,0,1]
	v_pk_add_f32 v[2:3], v[2:3], v[22:23]
	v_mov_b32_e32 v7, v5
	s_waitcnt vmcnt(2) lgkmcnt(1)
	v_pk_mul_f32 v[4:5], v[10:11], v[34:35] op_sel:[1,1] op_sel_hi:[0,1]
	v_pk_add_f32 v[2:3], v[2:3], v[6:7]
	v_pk_fma_f32 v[6:7], v[10:11], v[34:35], v[4:5] neg_lo:[0,0,1] neg_hi:[0,0,1]
	v_pk_fma_f32 v[4:5], v[10:11], v[34:35], v[4:5] op_sel_hi:[1,0,1]
	s_nop 0
	v_mov_b32_e32 v4, v37
	v_mov_b32_e32 v7, v5
	v_pk_mul_f32 v[4:5], v[12:13], v[4:5] op_sel:[1,0] op_sel_hi:[0,0]
	v_pk_add_f32 v[2:3], v[2:3], v[6:7]
	v_pk_fma_f32 v[6:7], v[12:13], v[36:37], v[4:5] neg_lo:[0,0,1] neg_hi:[0,0,1]
	v_pk_fma_f32 v[4:5], v[12:13], v[36:37], v[4:5] op_sel_hi:[1,0,1]
	s_nop 0
	v_mov_b32_e32 v7, v5
	s_waitcnt vmcnt(1) lgkmcnt(0)
	v_pk_mul_f32 v[4:5], v[14:15], v[18:19] op_sel:[1,1] op_sel_hi:[0,1]
	v_pk_add_f32 v[2:3], v[2:3], v[6:7]
	v_pk_fma_f32 v[6:7], v[14:15], v[18:19], v[4:5] neg_lo:[0,0,1] neg_hi:[0,0,1]
	v_pk_fma_f32 v[4:5], v[14:15], v[18:19], v[4:5] op_sel_hi:[1,0,1]
	s_nop 0
	v_mov_b32_e32 v4, v21
	v_mov_b32_e32 v7, v5
	v_pk_mul_f32 v[4:5], v[16:17], v[4:5] op_sel:[1,0] op_sel_hi:[0,0]
	v_pk_add_f32 v[2:3], v[2:3], v[6:7]
	v_pk_fma_f32 v[6:7], v[16:17], v[20:21], v[4:5] neg_lo:[0,0,1] neg_hi:[0,0,1]
	v_pk_fma_f32 v[4:5], v[16:17], v[20:21], v[4:5] op_sel_hi:[1,0,1]
	s_nop 0
	v_mov_b32_e32 v7, v5
	v_pk_add_f32 v[2:3], v[2:3], v[6:7]
	s_waitcnt vmcnt(0)
	v_pk_add_f32 v[2:3], v[100:101], v[2:3] neg_lo:[0,1] neg_hi:[0,1]
	scratch_store_dwordx2 off, v[2:3], off offset:272
	s_and_saveexec_b64 s[0:1], vcc
	s_cbranch_execz .LBB62_325
; %bb.324:
	scratch_load_dwordx2 v[2:3], off, off offset:264
	v_mov_b32_e32 v4, 0
	v_mov_b32_e32 v5, v4
	scratch_store_dwordx2 off, v[4:5], off offset:264
	s_waitcnt vmcnt(1)
	ds_write_b64 v1, v[2:3]
.LBB62_325:
	s_or_b64 exec, exec, s[0:1]
	s_waitcnt lgkmcnt(0)
	; wave barrier
	scratch_load_dwordx4 v[72:75], off, off offset:272
	scratch_load_dwordx4 v[76:79], off, off offset:288
	;; [unrolled: 1-line block ×14, first 2 shown]
	scratch_load_dwordx2 v[62:63], off, off offset:496
	v_mov_b32_e32 v70, 0
	ds_read_b128 v[92:95], v70 offset:784
	ds_read_b128 v[96:99], v70 offset:800
	;; [unrolled: 1-line block ×11, first 2 shown]
	v_cmp_lt_u32_e32 vcc, 32, v0
	s_waitcnt vmcnt(14) lgkmcnt(10)
	v_mul_f32_e32 v64, v92, v73
	v_mul_f32_e32 v66, v94, v75
	v_fmac_f32_e32 v64, v93, v72
	s_waitcnt vmcnt(13) lgkmcnt(9)
	v_mul_f32_e32 v68, v96, v77
	v_fmac_f32_e32 v66, v95, v74
	s_waitcnt vmcnt(9) lgkmcnt(5)
	v_mul_f32_e32 v117, v58, v23
	v_mul_f32_e32 v23, v59, v23
	v_fmac_f32_e32 v117, v59, v22
	v_fma_f32 v58, v58, v22, -v23
	scratch_load_dwordx2 v[22:23], off, off offset:264
	v_add_f32_e32 v64, 0, v64
	v_mul_f32_e32 v69, v98, v79
	v_fmac_f32_e32 v68, v97, v76
	v_add_f32_e32 v64, v64, v66
	v_mul_f32_e32 v71, v100, v81
	v_fmac_f32_e32 v69, v99, v78
	v_add_f32_e32 v64, v64, v68
	v_mul_f32_e32 v112, v102, v83
	v_fmac_f32_e32 v71, v101, v80
	v_add_f32_e32 v64, v64, v69
	v_mul_f32_e32 v113, v104, v85
	v_fmac_f32_e32 v112, v103, v82
	v_add_f32_e32 v64, v64, v71
	v_mul_f32_e32 v114, v106, v87
	v_fmac_f32_e32 v113, v105, v84
	v_add_f32_e32 v64, v64, v112
	v_mul_f32_e32 v115, v108, v89
	v_fmac_f32_e32 v114, v107, v86
	v_add_f32_e32 v64, v64, v113
	v_mul_f32_e32 v116, v110, v91
	v_fmac_f32_e32 v115, v109, v88
	v_add_f32_e32 v64, v64, v114
	v_fmac_f32_e32 v116, v111, v90
	v_add_f32_e32 v64, v64, v115
	v_mul_f32_e32 v118, v60, v25
	v_add_f32_e32 v64, v64, v116
	s_waitcnt vmcnt(9) lgkmcnt(4)
	v_mul_f32_e32 v119, v54, v27
	v_fmac_f32_e32 v118, v61, v24
	v_add_f32_e32 v64, v64, v117
	v_mul_f32_e32 v120, v56, v29
	v_fmac_f32_e32 v119, v55, v26
	v_add_f32_e32 v64, v64, v118
	s_waitcnt vmcnt(8) lgkmcnt(3)
	v_mul_f32_e32 v121, v50, v31
	v_fmac_f32_e32 v120, v57, v28
	v_add_f32_e32 v64, v64, v119
	v_mul_f32_e32 v122, v52, v33
	v_mul_f32_e32 v73, v93, v73
	v_fmac_f32_e32 v121, v51, v30
	v_add_f32_e32 v64, v64, v120
	s_waitcnt vmcnt(7) lgkmcnt(2)
	v_mul_f32_e32 v123, v46, v35
	v_mul_f32_e32 v75, v95, v75
	v_fmac_f32_e32 v122, v53, v32
	v_fma_f32 v72, v92, v72, -v73
	v_add_f32_e32 v64, v64, v121
	v_mul_f32_e32 v124, v48, v37
	v_mul_f32_e32 v77, v97, v77
	v_fmac_f32_e32 v123, v47, v34
	v_fma_f32 v73, v94, v74, -v75
	v_add_f32_e32 v72, 0, v72
	v_add_f32_e32 v64, v64, v122
	s_waitcnt vmcnt(6) lgkmcnt(1)
	v_mul_f32_e32 v125, v42, v39
	v_mul_f32_e32 v79, v99, v79
	v_fmac_f32_e32 v124, v49, v36
	v_fma_f32 v74, v96, v76, -v77
	v_add_f32_e32 v66, v72, v73
	v_add_f32_e32 v64, v64, v123
	v_fmac_f32_e32 v125, v43, v38
	v_fma_f32 v75, v98, v78, -v79
	v_add_f32_e32 v66, v66, v74
	v_add_f32_e32 v64, v64, v124
	v_add_f32_e32 v69, v64, v125
	v_add_f32_e32 v64, v66, v75
	v_mul_f32_e32 v66, v101, v81
	v_fma_f32 v66, v100, v80, -v66
	v_add_f32_e32 v64, v64, v66
	v_mul_f32_e32 v66, v103, v83
	v_fma_f32 v66, v102, v82, -v66
	v_add_f32_e32 v64, v64, v66
	;; [unrolled: 3-line block ×6, first 2 shown]
	v_mul_f32_e32 v25, v61, v25
	v_add_f32_e32 v58, v64, v58
	v_fma_f32 v24, v60, v24, -v25
	v_mul_f32_e32 v25, v55, v27
	v_add_f32_e32 v24, v58, v24
	v_fma_f32 v25, v54, v26, -v25
	v_add_f32_e32 v24, v24, v25
	v_mul_f32_e32 v25, v57, v29
	v_fma_f32 v25, v56, v28, -v25
	v_add_f32_e32 v24, v24, v25
	v_mul_f32_e32 v25, v51, v31
	;; [unrolled: 3-line block ×6, first 2 shown]
	v_fma_f32 v25, v42, v38, -v25
	v_mul_f32_e32 v67, v44, v41
	v_add_f32_e32 v68, v24, v25
	v_mul_f32_e32 v24, v45, v41
	s_waitcnt vmcnt(5)
	v_mov_b32_e32 v36, v13
	s_waitcnt lgkmcnt(0)
	v_mul_f32_e32 v65, v18, v11
	v_fmac_f32_e32 v67, v45, v40
	v_fma_f32 v66, v44, v40, -v24
	v_mul_f32_e32 v11, v19, v11
	v_pk_mul_f32 v[36:37], v[20:21], v[36:37] op_sel:[1,0] op_sel_hi:[0,0]
	v_fmac_f32_e32 v65, v19, v10
	v_fma_f32 v64, v18, v10, -v11
	ds_read_b128 v[24:27], v70 offset:960
	ds_read_b128 v[28:31], v70 offset:976
	;; [unrolled: 1-line block ×3, first 2 shown]
	ds_read_b64 v[10:11], v70 offset:1008
	v_pk_add_f32 v[18:19], v[68:69], v[66:67]
	v_pk_fma_f32 v[38:39], v[20:21], v[12:13], v[36:37] neg_lo:[0,0,1] neg_hi:[0,0,1]
	v_pk_fma_f32 v[12:13], v[20:21], v[12:13], v[36:37] op_sel_hi:[1,0,1]
	v_pk_add_f32 v[18:19], v[18:19], v[64:65]
	v_mov_b32_e32 v39, v13
	v_pk_add_f32 v[12:13], v[18:19], v[38:39]
	s_waitcnt vmcnt(4) lgkmcnt(3)
	v_pk_mul_f32 v[18:19], v[24:25], v[14:15] op_sel:[1,1] op_sel_hi:[0,1]
	v_pk_fma_f32 v[20:21], v[24:25], v[14:15], v[18:19] neg_lo:[0,0,1] neg_hi:[0,0,1]
	v_pk_fma_f32 v[14:15], v[24:25], v[14:15], v[18:19] op_sel_hi:[1,0,1]
	s_nop 0
	v_mov_b32_e32 v14, v17
	v_mov_b32_e32 v21, v15
	v_pk_mul_f32 v[14:15], v[26:27], v[14:15] op_sel:[1,0] op_sel_hi:[0,0]
	v_pk_fma_f32 v[18:19], v[26:27], v[16:17], v[14:15] neg_lo:[0,0,1] neg_hi:[0,0,1]
	v_pk_fma_f32 v[14:15], v[26:27], v[16:17], v[14:15] op_sel_hi:[1,0,1]
	v_pk_add_f32 v[12:13], v[12:13], v[20:21]
	v_mov_b32_e32 v19, v15
	s_waitcnt vmcnt(3) lgkmcnt(2)
	v_pk_mul_f32 v[14:15], v[28:29], v[6:7] op_sel:[1,1] op_sel_hi:[0,1]
	v_pk_fma_f32 v[16:17], v[28:29], v[6:7], v[14:15] neg_lo:[0,0,1] neg_hi:[0,0,1]
	v_pk_fma_f32 v[6:7], v[28:29], v[6:7], v[14:15] op_sel_hi:[1,0,1]
	v_pk_add_f32 v[12:13], v[12:13], v[18:19]
	v_mov_b32_e32 v17, v7
	v_pk_add_f32 v[6:7], v[12:13], v[16:17]
	v_mov_b32_e32 v12, v9
	v_pk_mul_f32 v[12:13], v[30:31], v[12:13] op_sel:[1,0] op_sel_hi:[0,0]
	v_pk_fma_f32 v[14:15], v[30:31], v[8:9], v[12:13] neg_lo:[0,0,1] neg_hi:[0,0,1]
	v_pk_fma_f32 v[8:9], v[30:31], v[8:9], v[12:13] op_sel_hi:[1,0,1]
	s_nop 0
	v_mov_b32_e32 v15, v9
	s_waitcnt vmcnt(2) lgkmcnt(1)
	v_pk_mul_f32 v[8:9], v[32:33], v[2:3] op_sel:[1,1] op_sel_hi:[0,1]
	v_pk_fma_f32 v[12:13], v[32:33], v[2:3], v[8:9] neg_lo:[0,0,1] neg_hi:[0,0,1]
	v_pk_fma_f32 v[2:3], v[32:33], v[2:3], v[8:9] op_sel_hi:[1,0,1]
	v_pk_add_f32 v[6:7], v[6:7], v[14:15]
	v_mov_b32_e32 v13, v3
	v_pk_add_f32 v[2:3], v[6:7], v[12:13]
	v_mov_b32_e32 v6, v5
	v_pk_mul_f32 v[6:7], v[34:35], v[6:7] op_sel:[1,0] op_sel_hi:[0,0]
	v_pk_fma_f32 v[8:9], v[34:35], v[4:5], v[6:7] neg_lo:[0,0,1] neg_hi:[0,0,1]
	v_pk_fma_f32 v[4:5], v[34:35], v[4:5], v[6:7] op_sel_hi:[1,0,1]
	s_nop 0
	v_mov_b32_e32 v9, v5
	s_waitcnt vmcnt(1) lgkmcnt(0)
	v_pk_mul_f32 v[4:5], v[10:11], v[62:63] op_sel:[1,1] op_sel_hi:[0,1]
	v_pk_fma_f32 v[6:7], v[10:11], v[62:63], v[4:5] neg_lo:[0,0,1] neg_hi:[0,0,1]
	v_pk_fma_f32 v[4:5], v[10:11], v[62:63], v[4:5] op_sel_hi:[1,0,1]
	v_pk_add_f32 v[2:3], v[2:3], v[8:9]
	v_mov_b32_e32 v7, v5
	v_pk_add_f32 v[2:3], v[2:3], v[6:7]
	s_waitcnt vmcnt(0)
	v_pk_add_f32 v[2:3], v[22:23], v[2:3] neg_lo:[0,1] neg_hi:[0,1]
	scratch_store_dwordx2 off, v[2:3], off offset:264
	s_and_saveexec_b64 s[0:1], vcc
	s_cbranch_execz .LBB62_327
; %bb.326:
	scratch_load_dwordx2 v[2:3], off, off offset:256
	v_mov_b32_e32 v71, v70
	scratch_store_dwordx2 off, v[70:71], off offset:256
	s_waitcnt vmcnt(1)
	ds_write_b64 v1, v[2:3]
.LBB62_327:
	s_or_b64 exec, exec, s[0:1]
	s_waitcnt lgkmcnt(0)
	; wave barrier
	scratch_load_dwordx4 v[62:65], off, off offset:264
	scratch_load_dwordx4 v[58:61], off, off offset:280
	;; [unrolled: 1-line block ×11, first 2 shown]
	ds_read2_b64 v[88:91], v70 offset0:97 offset1:98
	ds_read2_b64 v[92:95], v70 offset0:99 offset1:100
	;; [unrolled: 1-line block ×11, first 2 shown]
	scratch_load_dwordx4 v[14:17], off, off offset:440
	scratch_load_dwordx4 v[10:13], off, off offset:456
	;; [unrolled: 1-line block ×4, first 2 shown]
	v_cmp_lt_u32_e32 vcc, 31, v0
	s_waitcnt vmcnt(14) lgkmcnt(10)
	v_mul_f32_e32 v71, v88, v63
	v_mul_f32_e32 v63, v89, v63
	;; [unrolled: 1-line block ×4, first 2 shown]
	v_fmac_f32_e32 v71, v89, v62
	v_fma_f32 v62, v88, v62, -v63
	s_waitcnt vmcnt(13) lgkmcnt(9)
	v_mul_f32_e32 v74, v92, v59
	v_mul_f32_e32 v59, v93, v59
	v_fma_f32 v63, v90, v64, -v65
	v_add_f32_e32 v62, 0, v62
	v_mul_f32_e32 v112, v94, v61
	v_mul_f32_e32 v61, v95, v61
	v_fmac_f32_e32 v74, v93, v58
	v_fma_f32 v58, v92, v58, -v59
	v_add_f32_e32 v62, v62, v63
	v_fmac_f32_e32 v112, v95, v60
	v_add_f32_e32 v58, v62, v58
	v_fma_f32 v60, v94, v60, -v61
	v_add_f32_e32 v58, v58, v60
	s_waitcnt vmcnt(12) lgkmcnt(8)
	v_mul_f32_e32 v60, v97, v67
	v_fma_f32 v60, v96, v66, -v60
	v_add_f32_e32 v58, v58, v60
	v_mul_f32_e32 v60, v99, v69
	v_fma_f32 v60, v98, v68, -v60
	v_add_f32_e32 v58, v58, v60
	s_waitcnt vmcnt(11) lgkmcnt(7)
	v_mul_f32_e32 v60, v101, v77
	v_fma_f32 v60, v100, v76, -v60
	v_add_f32_e32 v58, v58, v60
	v_mul_f32_e32 v60, v103, v79
	v_fma_f32 v60, v102, v78, -v60
	v_add_f32_e32 v58, v58, v60
	s_waitcnt vmcnt(10) lgkmcnt(6)
	v_mul_f32_e32 v60, v105, v81
	v_fma_f32 v60, v104, v80, -v60
	v_add_f32_e32 v58, v58, v60
	v_mul_f32_e32 v60, v107, v83
	v_fma_f32 v60, v106, v82, -v60
	v_add_f32_e32 v58, v58, v60
	s_waitcnt vmcnt(9) lgkmcnt(5)
	v_mul_f32_e32 v60, v109, v85
	v_fma_f32 v60, v108, v84, -v60
	v_add_f32_e32 v58, v58, v60
	v_mul_f32_e32 v60, v111, v87
	v_fma_f32 v62, v110, v86, -v60
	scratch_load_dwordx2 v[60:61], off, off offset:256
	s_waitcnt vmcnt(9) lgkmcnt(4)
	v_mul_f32_e32 v121, v54, v19
	v_fmac_f32_e32 v72, v91, v64
	v_add_f32_e32 v59, 0, v71
	v_mul_f32_e32 v19, v55, v19
	v_fmac_f32_e32 v121, v55, v18
	v_add_f32_e32 v59, v59, v72
	v_add_f32_e32 v58, v58, v62
	v_fma_f32 v18, v54, v18, -v19
	v_mul_f32_e32 v19, v57, v21
	v_mul_f32_e32 v113, v96, v67
	v_add_f32_e32 v59, v59, v74
	v_add_f32_e32 v18, v58, v18
	v_fma_f32 v19, v56, v20, -v19
	v_mul_f32_e32 v114, v98, v69
	v_fmac_f32_e32 v113, v97, v66
	v_add_f32_e32 v59, v59, v112
	v_add_f32_e32 v18, v18, v19
	s_waitcnt vmcnt(8) lgkmcnt(3)
	v_mul_f32_e32 v19, v51, v23
	v_mul_f32_e32 v115, v100, v77
	v_fmac_f32_e32 v114, v99, v68
	v_add_f32_e32 v59, v59, v113
	v_fma_f32 v19, v50, v22, -v19
	v_mul_f32_e32 v116, v102, v79
	v_fmac_f32_e32 v115, v101, v76
	v_add_f32_e32 v59, v59, v114
	v_add_f32_e32 v18, v18, v19
	v_mul_f32_e32 v19, v53, v25
	v_mul_f32_e32 v117, v104, v81
	v_fmac_f32_e32 v116, v103, v78
	v_add_f32_e32 v59, v59, v115
	v_fma_f32 v19, v52, v24, -v19
	v_mul_f32_e32 v118, v106, v83
	v_fmac_f32_e32 v117, v105, v80
	v_add_f32_e32 v59, v59, v116
	v_add_f32_e32 v18, v18, v19
	s_waitcnt vmcnt(7) lgkmcnt(2)
	v_mul_f32_e32 v19, v47, v27
	v_mul_f32_e32 v119, v108, v85
	v_fmac_f32_e32 v118, v107, v82
	v_add_f32_e32 v59, v59, v117
	v_fma_f32 v19, v46, v26, -v19
	v_mul_f32_e32 v120, v110, v87
	v_fmac_f32_e32 v119, v109, v84
	v_add_f32_e32 v59, v59, v118
	v_add_f32_e32 v18, v18, v19
	v_mul_f32_e32 v19, v49, v29
	v_fmac_f32_e32 v120, v111, v86
	v_add_f32_e32 v59, v59, v119
	v_fma_f32 v19, v48, v28, -v19
	v_mul_f32_e32 v122, v56, v21
	v_add_f32_e32 v59, v59, v120
	v_add_f32_e32 v18, v18, v19
	s_waitcnt vmcnt(6) lgkmcnt(1)
	v_mul_f32_e32 v19, v43, v31
	v_mul_f32_e32 v123, v50, v23
	v_fmac_f32_e32 v122, v57, v20
	v_add_f32_e32 v59, v59, v121
	v_fma_f32 v19, v42, v30, -v19
	v_mul_f32_e32 v124, v52, v25
	v_fmac_f32_e32 v123, v51, v22
	v_add_f32_e32 v59, v59, v122
	v_add_f32_e32 v18, v18, v19
	v_mul_f32_e32 v19, v45, v33
	v_mul_f32_e32 v125, v46, v27
	v_fmac_f32_e32 v124, v53, v24
	v_add_f32_e32 v59, v59, v123
	v_fma_f32 v19, v44, v32, -v19
	v_mul_f32_e32 v126, v48, v29
	v_fmac_f32_e32 v125, v47, v26
	v_add_f32_e32 v59, v59, v124
	v_add_f32_e32 v58, v18, v19
	s_waitcnt vmcnt(5) lgkmcnt(0)
	v_mul_f32_e32 v18, v39, v35
	v_mul_f32_e32 v127, v42, v31
	;; [unrolled: 1-line block ×3, first 2 shown]
	v_fmac_f32_e32 v126, v49, v28
	v_add_f32_e32 v59, v59, v125
	v_fma_f32 v74, v38, v34, -v18
	v_mul_f32_e32 v18, v41, v37
	v_fmac_f32_e32 v127, v43, v30
	v_fmac_f32_e32 v128, v45, v32
	v_add_f32_e32 v59, v59, v126
	v_fma_f32 v72, v40, v36, -v18
	ds_read2_b64 v[18:21], v70 offset0:119 offset1:120
	ds_read2_b64 v[22:25], v70 offset0:121 offset1:122
	;; [unrolled: 1-line block ×4, first 2 shown]
	v_mul_f32_e32 v75, v38, v35
	v_mul_f32_e32 v73, v40, v37
	v_add_f32_e32 v59, v59, v127
	v_fmac_f32_e32 v75, v39, v34
	v_fmac_f32_e32 v73, v41, v36
	v_add_f32_e32 v59, v59, v128
	s_waitcnt vmcnt(4) lgkmcnt(3)
	v_pk_mul_f32 v[36:37], v[18:19], v[14:15] op_sel:[1,1] op_sel_hi:[0,1]
	v_pk_add_f32 v[34:35], v[58:59], v[74:75]
	v_pk_fma_f32 v[38:39], v[18:19], v[14:15], v[36:37] neg_lo:[0,0,1] neg_hi:[0,0,1]
	v_pk_fma_f32 v[14:15], v[18:19], v[14:15], v[36:37] op_sel_hi:[1,0,1]
	v_mov_b32_e32 v18, v17
	v_pk_add_f32 v[34:35], v[34:35], v[72:73]
	v_mov_b32_e32 v39, v15
	v_pk_mul_f32 v[18:19], v[20:21], v[18:19] op_sel:[1,0] op_sel_hi:[0,0]
	v_pk_add_f32 v[14:15], v[34:35], v[38:39]
	v_pk_fma_f32 v[34:35], v[20:21], v[16:17], v[18:19] neg_lo:[0,0,1] neg_hi:[0,0,1]
	v_pk_fma_f32 v[16:17], v[20:21], v[16:17], v[18:19] op_sel_hi:[1,0,1]
	s_nop 0
	v_mov_b32_e32 v35, v17
	s_waitcnt vmcnt(3) lgkmcnt(2)
	v_pk_mul_f32 v[16:17], v[22:23], v[10:11] op_sel:[1,1] op_sel_hi:[0,1]
	v_pk_fma_f32 v[18:19], v[22:23], v[10:11], v[16:17] neg_lo:[0,0,1] neg_hi:[0,0,1]
	v_pk_fma_f32 v[10:11], v[22:23], v[10:11], v[16:17] op_sel_hi:[1,0,1]
	v_pk_add_f32 v[14:15], v[14:15], v[34:35]
	v_mov_b32_e32 v19, v11
	v_pk_add_f32 v[10:11], v[14:15], v[18:19]
	v_mov_b32_e32 v14, v13
	v_pk_mul_f32 v[14:15], v[24:25], v[14:15] op_sel:[1,0] op_sel_hi:[0,0]
	v_pk_fma_f32 v[16:17], v[24:25], v[12:13], v[14:15] neg_lo:[0,0,1] neg_hi:[0,0,1]
	v_pk_fma_f32 v[12:13], v[24:25], v[12:13], v[14:15] op_sel_hi:[1,0,1]
	s_nop 0
	v_mov_b32_e32 v17, v13
	s_waitcnt vmcnt(2) lgkmcnt(1)
	v_pk_mul_f32 v[12:13], v[26:27], v[6:7] op_sel:[1,1] op_sel_hi:[0,1]
	v_pk_fma_f32 v[14:15], v[26:27], v[6:7], v[12:13] neg_lo:[0,0,1] neg_hi:[0,0,1]
	v_pk_fma_f32 v[6:7], v[26:27], v[6:7], v[12:13] op_sel_hi:[1,0,1]
	v_pk_add_f32 v[10:11], v[10:11], v[16:17]
	v_mov_b32_e32 v15, v7
	v_pk_add_f32 v[6:7], v[10:11], v[14:15]
	v_mov_b32_e32 v10, v9
	v_pk_mul_f32 v[10:11], v[28:29], v[10:11] op_sel:[1,0] op_sel_hi:[0,0]
	;; [unrolled: 13-line block ×3, first 2 shown]
	v_pk_fma_f32 v[8:9], v[32:33], v[4:5], v[6:7] neg_lo:[0,0,1] neg_hi:[0,0,1]
	v_pk_fma_f32 v[4:5], v[32:33], v[4:5], v[6:7] op_sel_hi:[1,0,1]
	s_nop 0
	v_mov_b32_e32 v9, v5
	v_pk_add_f32 v[2:3], v[2:3], v[8:9]
	s_waitcnt vmcnt(0)
	v_pk_add_f32 v[2:3], v[60:61], v[2:3] neg_lo:[0,1] neg_hi:[0,1]
	scratch_store_dwordx2 off, v[2:3], off offset:256
	s_and_saveexec_b64 s[0:1], vcc
	s_cbranch_execz .LBB62_329
; %bb.328:
	scratch_load_dwordx2 v[2:3], off, off offset:248
	v_mov_b32_e32 v4, 0
	v_mov_b32_e32 v5, v4
	scratch_store_dwordx2 off, v[4:5], off offset:248
	s_waitcnt vmcnt(1)
	ds_write_b64 v1, v[2:3]
.LBB62_329:
	s_or_b64 exec, exec, s[0:1]
	v_mov_b32_e32 v62, 0
	s_waitcnt lgkmcnt(0)
	; wave barrier
	ds_read_b128 v[14:17], v62 offset:768
	ds_read_b128 v[10:13], v62 offset:784
	;; [unrolled: 1-line block ×4, first 2 shown]
	scratch_load_dwordx4 v[18:21], off, off offset:256
	scratch_load_dwordx4 v[38:41], off, off offset:320
	;; [unrolled: 1-line block ×6, first 2 shown]
	v_cmp_lt_u32_e32 vcc, 30, v0
	scratch_load_dwordx4 v[46:49], off, off offset:336
	scratch_load_dwordx4 v[54:57], off, off offset:352
	;; [unrolled: 1-line block ×3, first 2 shown]
	s_waitcnt vmcnt(8) lgkmcnt(3)
	v_mul_f32_e32 v22, v14, v19
	v_fmac_f32_e32 v22, v15, v18
	v_mul_f32_e32 v23, v16, v21
	v_add_f32_e32 v22, 0, v22
	v_fmac_f32_e32 v23, v17, v20
	v_add_f32_e32 v26, v22, v23
	scratch_load_dwordx4 v[22:25], off, off offset:272
	v_mul_f32_e32 v15, v15, v19
	v_fma_f32 v14, v14, v18, -v15
	v_mul_f32_e32 v15, v17, v21
	v_add_f32_e32 v14, 0, v14
	v_fma_f32 v15, v16, v20, -v15
	v_add_f32_e32 v14, v14, v15
	s_waitcnt vmcnt(4)
	v_mov_b32_e32 v18, v99
	s_waitcnt vmcnt(0) lgkmcnt(2)
	v_mul_f32_e32 v27, v10, v23
	v_fmac_f32_e32 v27, v11, v22
	v_add_f32_e32 v26, v26, v27
	v_mul_f32_e32 v27, v12, v25
	v_fmac_f32_e32 v27, v13, v24
	v_add_f32_e32 v30, v26, v27
	scratch_load_dwordx4 v[26:29], off, off offset:288
	v_mul_f32_e32 v11, v11, v23
	v_fma_f32 v10, v10, v22, -v11
	v_mul_f32_e32 v11, v13, v25
	v_add_f32_e32 v10, v14, v10
	v_fma_f32 v11, v12, v24, -v11
	v_add_f32_e32 v10, v10, v11
	s_waitcnt vmcnt(0) lgkmcnt(1)
	v_mul_f32_e32 v31, v6, v27
	v_fmac_f32_e32 v31, v7, v26
	v_add_f32_e32 v30, v30, v31
	v_mul_f32_e32 v31, v8, v29
	v_fmac_f32_e32 v31, v9, v28
	v_add_f32_e32 v34, v30, v31
	scratch_load_dwordx4 v[30:33], off, off offset:304
	v_mul_f32_e32 v7, v7, v27
	v_fma_f32 v6, v6, v26, -v7
	v_mul_f32_e32 v7, v9, v29
	v_add_f32_e32 v6, v10, v6
	v_fma_f32 v7, v8, v28, -v7
	v_add_f32_e32 v6, v6, v7
	s_waitcnt vmcnt(0) lgkmcnt(0)
	v_mul_f32_e32 v35, v2, v31
	v_fmac_f32_e32 v35, v3, v30
	v_add_f32_e32 v34, v34, v35
	v_mul_f32_e32 v35, v4, v33
	v_fmac_f32_e32 v35, v5, v32
	v_add_f32_e32 v42, v34, v35
	ds_read_b128 v[34:37], v62 offset:832
	v_mul_f32_e32 v3, v3, v31
	v_fma_f32 v2, v2, v30, -v3
	v_mul_f32_e32 v3, v5, v33
	v_add_f32_e32 v2, v6, v2
	s_waitcnt lgkmcnt(0)
	v_mul_f32_e32 v43, v34, v39
	v_fmac_f32_e32 v43, v35, v38
	v_add_f32_e32 v42, v42, v43
	v_mul_f32_e32 v43, v36, v41
	v_fmac_f32_e32 v43, v37, v40
	v_add_f32_e32 v50, v42, v43
	ds_read_b128 v[42:45], v62 offset:848
	v_fma_f32 v3, v4, v32, -v3
	v_add_f32_e32 v2, v2, v3
	v_mul_f32_e32 v3, v35, v39
	v_fma_f32 v3, v34, v38, -v3
	s_waitcnt lgkmcnt(0)
	v_mul_f32_e32 v51, v42, v47
	v_fmac_f32_e32 v51, v43, v46
	v_add_f32_e32 v50, v50, v51
	v_mul_f32_e32 v51, v44, v49
	v_fmac_f32_e32 v51, v45, v48
	v_add_f32_e32 v58, v50, v51
	ds_read_b128 v[50:53], v62 offset:864
	v_add_f32_e32 v2, v2, v3
	v_mul_f32_e32 v3, v37, v41
	v_fma_f32 v3, v36, v40, -v3
	v_add_f32_e32 v2, v2, v3
	s_waitcnt lgkmcnt(0)
	v_mul_f32_e32 v59, v50, v55
	v_fmac_f32_e32 v59, v51, v54
	v_add_f32_e32 v58, v58, v59
	v_mul_f32_e32 v59, v52, v57
	v_fmac_f32_e32 v59, v53, v56
	v_add_f32_e32 v63, v58, v59
	ds_read_b128 v[58:61], v62 offset:880
	v_mul_f32_e32 v3, v43, v47
	v_fma_f32 v3, v42, v46, -v3
	v_add_f32_e32 v2, v2, v3
	v_mul_f32_e32 v3, v45, v49
	s_waitcnt lgkmcnt(0)
	v_mul_f32_e32 v68, v58, v65
	v_fmac_f32_e32 v68, v59, v64
	v_add_f32_e32 v63, v63, v68
	v_mul_f32_e32 v68, v60, v67
	v_fmac_f32_e32 v68, v61, v66
	v_add_f32_e32 v63, v63, v68
	ds_read_b128 v[68:71], v62 offset:896
	v_fma_f32 v3, v44, v48, -v3
	v_add_f32_e32 v2, v2, v3
	v_mul_f32_e32 v3, v51, v55
	v_fma_f32 v3, v50, v54, -v3
	s_waitcnt lgkmcnt(0)
	v_mul_f32_e32 v76, v68, v73
	v_fmac_f32_e32 v76, v69, v72
	v_add_f32_e32 v63, v63, v76
	v_mul_f32_e32 v76, v70, v75
	v_fmac_f32_e32 v76, v71, v74
	v_add_f32_e32 v63, v63, v76
	ds_read_b128 v[76:79], v62 offset:912
	v_add_f32_e32 v2, v2, v3
	v_mul_f32_e32 v3, v53, v57
	v_fma_f32 v3, v52, v56, -v3
	v_add_f32_e32 v2, v2, v3
	s_waitcnt lgkmcnt(0)
	v_mul_f32_e32 v84, v76, v81
	v_fmac_f32_e32 v84, v77, v80
	v_add_f32_e32 v63, v63, v84
	v_mul_f32_e32 v84, v78, v83
	v_fmac_f32_e32 v84, v79, v82
	v_add_f32_e32 v63, v63, v84
	ds_read_b128 v[84:87], v62 offset:928
	v_mul_f32_e32 v3, v59, v65
	v_fma_f32 v3, v58, v64, -v3
	v_add_f32_e32 v2, v2, v3
	v_mul_f32_e32 v3, v61, v67
	s_waitcnt lgkmcnt(0)
	v_mul_f32_e32 v92, v84, v89
	v_fmac_f32_e32 v92, v85, v88
	v_add_f32_e32 v113, v63, v92
	ds_read_b128 v[92:95], v62 offset:944
	scratch_load_dwordx4 v[100:103], off, off offset:448
	scratch_load_dwordx4 v[104:107], off, off offset:464
	;; [unrolled: 1-line block ×3, first 2 shown]
	scratch_load_dwordx2 v[118:119], off, off offset:496
	v_fma_f32 v3, v60, v66, -v3
	v_add_f32_e32 v2, v2, v3
	v_mul_f32_e32 v3, v69, v73
	v_fma_f32 v3, v68, v72, -v3
	v_add_f32_e32 v2, v2, v3
	v_mul_f32_e32 v3, v71, v75
	;; [unrolled: 3-line block ×6, first 2 shown]
	v_mul_f32_e32 v115, v86, v91
	v_fma_f32 v114, v86, v90, -v2
	s_waitcnt lgkmcnt(0)
	v_mul_f32_e32 v2, v93, v97
	v_fmac_f32_e32 v115, v87, v90
	v_mul_f32_e32 v117, v92, v97
	v_fma_f32 v116, v92, v96, -v2
	ds_read_b128 v[2:5], v62 offset:960
	ds_read_b128 v[6:9], v62 offset:976
	ds_read_b128 v[10:13], v62 offset:992
	ds_read_b64 v[14:15], v62 offset:1008
	v_pk_mul_f32 v[18:19], v[94:95], v[18:19] op_sel:[1,0] op_sel_hi:[0,0]
	v_fmac_f32_e32 v117, v93, v96
	v_pk_add_f32 v[16:17], v[112:113], v[114:115]
	v_pk_fma_f32 v[20:21], v[94:95], v[98:99], v[18:19] neg_lo:[0,0,1] neg_hi:[0,0,1]
	v_pk_fma_f32 v[18:19], v[94:95], v[98:99], v[18:19] op_sel_hi:[1,0,1]
	v_pk_add_f32 v[16:17], v[16:17], v[116:117]
	v_mov_b32_e32 v21, v19
	v_pk_add_f32 v[16:17], v[16:17], v[20:21]
	s_waitcnt vmcnt(3) lgkmcnt(3)
	v_pk_mul_f32 v[18:19], v[2:3], v[100:101] op_sel:[1,1] op_sel_hi:[0,1]
	v_pk_fma_f32 v[20:21], v[2:3], v[100:101], v[18:19] neg_lo:[0,0,1] neg_hi:[0,0,1]
	v_pk_fma_f32 v[2:3], v[2:3], v[100:101], v[18:19] op_sel_hi:[1,0,1]
	s_nop 0
	v_mov_b32_e32 v21, v3
	v_pk_add_f32 v[2:3], v[16:17], v[20:21]
	v_mov_b32_e32 v16, v103
	v_pk_mul_f32 v[16:17], v[4:5], v[16:17] op_sel:[1,0] op_sel_hi:[0,0]
	v_pk_fma_f32 v[18:19], v[4:5], v[102:103], v[16:17] neg_lo:[0,0,1] neg_hi:[0,0,1]
	v_pk_fma_f32 v[4:5], v[4:5], v[102:103], v[16:17] op_sel_hi:[1,0,1]
	s_nop 0
	v_mov_b32_e32 v19, v5
	s_waitcnt vmcnt(2) lgkmcnt(2)
	v_pk_mul_f32 v[4:5], v[6:7], v[104:105] op_sel:[1,1] op_sel_hi:[0,1]
	v_pk_fma_f32 v[16:17], v[6:7], v[104:105], v[4:5] neg_lo:[0,0,1] neg_hi:[0,0,1]
	v_pk_fma_f32 v[4:5], v[6:7], v[104:105], v[4:5] op_sel_hi:[1,0,1]
	v_pk_add_f32 v[2:3], v[2:3], v[18:19]
	v_mov_b32_e32 v4, v107
	v_mov_b32_e32 v17, v5
	v_pk_mul_f32 v[4:5], v[8:9], v[4:5] op_sel:[1,0] op_sel_hi:[0,0]
	v_pk_fma_f32 v[6:7], v[8:9], v[106:107], v[4:5] neg_lo:[0,0,1] neg_hi:[0,0,1]
	v_pk_fma_f32 v[4:5], v[8:9], v[106:107], v[4:5] op_sel_hi:[1,0,1]
	v_pk_add_f32 v[2:3], v[2:3], v[16:17]
	v_mov_b32_e32 v7, v5
	s_waitcnt vmcnt(1) lgkmcnt(1)
	v_pk_mul_f32 v[4:5], v[10:11], v[108:109] op_sel:[1,1] op_sel_hi:[0,1]
	v_pk_add_f32 v[2:3], v[2:3], v[6:7]
	v_pk_fma_f32 v[6:7], v[10:11], v[108:109], v[4:5] neg_lo:[0,0,1] neg_hi:[0,0,1]
	v_pk_fma_f32 v[4:5], v[10:11], v[108:109], v[4:5] op_sel_hi:[1,0,1]
	s_nop 0
	v_mov_b32_e32 v4, v111
	v_mov_b32_e32 v7, v5
	v_pk_mul_f32 v[4:5], v[12:13], v[4:5] op_sel:[1,0] op_sel_hi:[0,0]
	v_pk_add_f32 v[2:3], v[2:3], v[6:7]
	v_pk_fma_f32 v[6:7], v[12:13], v[110:111], v[4:5] neg_lo:[0,0,1] neg_hi:[0,0,1]
	v_pk_fma_f32 v[4:5], v[12:13], v[110:111], v[4:5] op_sel_hi:[1,0,1]
	s_nop 0
	v_mov_b32_e32 v7, v5
	s_waitcnt vmcnt(0) lgkmcnt(0)
	v_pk_mul_f32 v[4:5], v[14:15], v[118:119] op_sel:[1,1] op_sel_hi:[0,1]
	v_pk_add_f32 v[2:3], v[2:3], v[6:7]
	v_pk_fma_f32 v[6:7], v[14:15], v[118:119], v[4:5] neg_lo:[0,0,1] neg_hi:[0,0,1]
	v_pk_fma_f32 v[4:5], v[14:15], v[118:119], v[4:5] op_sel_hi:[1,0,1]
	s_nop 0
	v_mov_b32_e32 v7, v5
	scratch_load_dwordx2 v[4:5], off, off offset:248
	v_pk_add_f32 v[2:3], v[2:3], v[6:7]
	s_waitcnt vmcnt(0)
	v_pk_add_f32 v[2:3], v[4:5], v[2:3] neg_lo:[0,1] neg_hi:[0,1]
	scratch_store_dwordx2 off, v[2:3], off offset:248
	s_and_saveexec_b64 s[0:1], vcc
	s_cbranch_execz .LBB62_331
; %bb.330:
	scratch_load_dwordx2 v[2:3], off, off offset:240
	v_mov_b32_e32 v63, v62
	scratch_store_dwordx2 off, v[62:63], off offset:240
	s_waitcnt vmcnt(1)
	ds_write_b64 v1, v[2:3]
.LBB62_331:
	s_or_b64 exec, exec, s[0:1]
	s_waitcnt lgkmcnt(0)
	; wave barrier
	scratch_load_dwordx4 v[6:9], off, off offset:248
	scratch_load_dwordx4 v[14:17], off, off offset:264
	;; [unrolled: 1-line block ×10, first 2 shown]
	ds_read2_b64 v[2:5], v62 offset0:95 offset1:96
	scratch_load_dwordx4 v[88:91], off, off offset:408
	scratch_load_dwordx4 v[96:99], off, off offset:424
	v_cmp_lt_u32_e32 vcc, 29, v0
	s_waitcnt vmcnt(11) lgkmcnt(0)
	v_mul_f32_e32 v10, v2, v7
	v_fmac_f32_e32 v10, v3, v6
	v_mul_f32_e32 v11, v4, v9
	v_add_f32_e32 v10, 0, v10
	v_fmac_f32_e32 v11, v5, v8
	v_add_f32_e32 v18, v10, v11
	ds_read2_b64 v[10:13], v62 offset0:97 offset1:98
	v_mul_f32_e32 v3, v3, v7
	v_fma_f32 v2, v2, v6, -v3
	v_mul_f32_e32 v3, v5, v9
	v_add_f32_e32 v2, 0, v2
	s_waitcnt vmcnt(10) lgkmcnt(0)
	v_mul_f32_e32 v19, v10, v15
	v_fmac_f32_e32 v19, v11, v14
	v_add_f32_e32 v18, v18, v19
	v_mul_f32_e32 v19, v12, v17
	v_fmac_f32_e32 v19, v13, v16
	v_add_f32_e32 v26, v18, v19
	ds_read2_b64 v[18:21], v62 offset0:99 offset1:100
	v_fma_f32 v3, v4, v8, -v3
	v_add_f32_e32 v2, v2, v3
	v_mul_f32_e32 v3, v11, v15
	v_fma_f32 v3, v10, v14, -v3
	s_waitcnt vmcnt(9) lgkmcnt(0)
	v_mul_f32_e32 v27, v18, v23
	v_fmac_f32_e32 v27, v19, v22
	v_add_f32_e32 v26, v26, v27
	v_mul_f32_e32 v27, v20, v25
	v_fmac_f32_e32 v27, v21, v24
	v_add_f32_e32 v34, v26, v27
	ds_read2_b64 v[26:29], v62 offset0:101 offset1:102
	v_add_f32_e32 v2, v2, v3
	v_mul_f32_e32 v3, v13, v17
	v_fma_f32 v3, v12, v16, -v3
	v_add_f32_e32 v2, v2, v3
	s_waitcnt vmcnt(8) lgkmcnt(0)
	v_mul_f32_e32 v35, v26, v31
	v_fmac_f32_e32 v35, v27, v30
	v_add_f32_e32 v34, v34, v35
	v_mul_f32_e32 v35, v28, v33
	v_fmac_f32_e32 v35, v29, v32
	v_add_f32_e32 v42, v34, v35
	ds_read2_b64 v[34:37], v62 offset0:103 offset1:104
	v_mul_f32_e32 v3, v19, v23
	v_fma_f32 v3, v18, v22, -v3
	v_add_f32_e32 v2, v2, v3
	v_mul_f32_e32 v3, v21, v25
	s_waitcnt vmcnt(7) lgkmcnt(0)
	v_mul_f32_e32 v43, v34, v39
	v_fmac_f32_e32 v43, v35, v38
	v_add_f32_e32 v42, v42, v43
	v_mul_f32_e32 v43, v36, v41
	v_fmac_f32_e32 v43, v37, v40
	v_add_f32_e32 v50, v42, v43
	ds_read2_b64 v[42:45], v62 offset0:105 offset1:106
	v_fma_f32 v3, v20, v24, -v3
	v_add_f32_e32 v2, v2, v3
	v_mul_f32_e32 v3, v27, v31
	v_fma_f32 v3, v26, v30, -v3
	s_waitcnt vmcnt(6) lgkmcnt(0)
	v_mul_f32_e32 v51, v42, v47
	v_fmac_f32_e32 v51, v43, v46
	v_add_f32_e32 v50, v50, v51
	v_mul_f32_e32 v51, v44, v49
	v_fmac_f32_e32 v51, v45, v48
	v_add_f32_e32 v58, v50, v51
	ds_read2_b64 v[50:53], v62 offset0:107 offset1:108
	v_add_f32_e32 v2, v2, v3
	v_mul_f32_e32 v3, v29, v33
	v_fma_f32 v3, v28, v32, -v3
	v_add_f32_e32 v2, v2, v3
	s_waitcnt vmcnt(5) lgkmcnt(0)
	v_mul_f32_e32 v59, v50, v55
	v_fmac_f32_e32 v59, v51, v54
	v_add_f32_e32 v58, v58, v59
	v_mul_f32_e32 v59, v52, v57
	v_fmac_f32_e32 v59, v53, v56
	v_add_f32_e32 v63, v58, v59
	ds_read2_b64 v[58:61], v62 offset0:109 offset1:110
	v_mul_f32_e32 v3, v35, v39
	v_fma_f32 v3, v34, v38, -v3
	v_add_f32_e32 v2, v2, v3
	v_mul_f32_e32 v3, v37, v41
	;; [unrolled: 36-line block ×3, first 2 shown]
	s_waitcnt vmcnt(1) lgkmcnt(0)
	v_mul_f32_e32 v92, v84, v89
	v_fmac_f32_e32 v92, v85, v88
	v_add_f32_e32 v63, v63, v92
	v_mul_f32_e32 v92, v86, v91
	v_fmac_f32_e32 v92, v87, v90
	v_add_f32_e32 v117, v63, v92
	ds_read2_b64 v[92:95], v62 offset0:117 offset1:118
	scratch_load_dwordx4 v[100:103], off, off offset:440
	scratch_load_dwordx4 v[104:107], off, off offset:456
	;; [unrolled: 1-line block ×4, first 2 shown]
	v_fma_f32 v3, v52, v56, -v3
	v_add_f32_e32 v2, v2, v3
	v_mul_f32_e32 v3, v59, v65
	v_fma_f32 v3, v58, v64, -v3
	v_add_f32_e32 v2, v2, v3
	v_mul_f32_e32 v3, v61, v67
	;; [unrolled: 3-line block ×8, first 2 shown]
	v_fma_f32 v3, v86, v90, -v3
	v_add_f32_e32 v116, v2, v3
	s_waitcnt vmcnt(4) lgkmcnt(0)
	v_mul_f32_e32 v2, v93, v97
	v_fma_f32 v118, v92, v96, -v2
	v_mul_f32_e32 v2, v95, v99
	v_fma_f32 v120, v94, v98, -v2
	ds_read2_b64 v[2:5], v62 offset0:119 offset1:120
	ds_read2_b64 v[6:9], v62 offset0:121 offset1:122
	;; [unrolled: 1-line block ×4, first 2 shown]
	v_mul_f32_e32 v119, v92, v97
	v_fmac_f32_e32 v119, v93, v96
	v_mul_f32_e32 v121, v94, v99
	v_fmac_f32_e32 v121, v95, v98
	v_pk_add_f32 v[18:19], v[116:117], v[118:119]
	s_waitcnt vmcnt(3) lgkmcnt(3)
	v_pk_mul_f32 v[20:21], v[2:3], v[100:101] op_sel:[1,1] op_sel_hi:[0,1]
	v_pk_fma_f32 v[22:23], v[2:3], v[100:101], v[20:21] neg_lo:[0,0,1] neg_hi:[0,0,1]
	v_pk_fma_f32 v[2:3], v[2:3], v[100:101], v[20:21] op_sel_hi:[1,0,1]
	v_pk_add_f32 v[18:19], v[18:19], v[120:121]
	v_mov_b32_e32 v23, v3
	v_pk_add_f32 v[2:3], v[18:19], v[22:23]
	v_mov_b32_e32 v18, v103
	v_pk_mul_f32 v[18:19], v[4:5], v[18:19] op_sel:[1,0] op_sel_hi:[0,0]
	v_pk_fma_f32 v[20:21], v[4:5], v[102:103], v[18:19] neg_lo:[0,0,1] neg_hi:[0,0,1]
	v_pk_fma_f32 v[4:5], v[4:5], v[102:103], v[18:19] op_sel_hi:[1,0,1]
	s_nop 0
	v_mov_b32_e32 v21, v5
	s_waitcnt vmcnt(2) lgkmcnt(2)
	v_pk_mul_f32 v[4:5], v[6:7], v[104:105] op_sel:[1,1] op_sel_hi:[0,1]
	v_pk_fma_f32 v[18:19], v[6:7], v[104:105], v[4:5] neg_lo:[0,0,1] neg_hi:[0,0,1]
	v_pk_fma_f32 v[4:5], v[6:7], v[104:105], v[4:5] op_sel_hi:[1,0,1]
	v_pk_add_f32 v[2:3], v[2:3], v[20:21]
	v_mov_b32_e32 v4, v107
	v_mov_b32_e32 v19, v5
	v_pk_mul_f32 v[4:5], v[8:9], v[4:5] op_sel:[1,0] op_sel_hi:[0,0]
	v_pk_fma_f32 v[6:7], v[8:9], v[106:107], v[4:5] neg_lo:[0,0,1] neg_hi:[0,0,1]
	v_pk_fma_f32 v[4:5], v[8:9], v[106:107], v[4:5] op_sel_hi:[1,0,1]
	v_pk_add_f32 v[2:3], v[2:3], v[18:19]
	v_mov_b32_e32 v7, v5
	s_waitcnt vmcnt(1) lgkmcnt(1)
	v_pk_mul_f32 v[4:5], v[10:11], v[108:109] op_sel:[1,1] op_sel_hi:[0,1]
	v_pk_add_f32 v[2:3], v[2:3], v[6:7]
	v_pk_fma_f32 v[6:7], v[10:11], v[108:109], v[4:5] neg_lo:[0,0,1] neg_hi:[0,0,1]
	v_pk_fma_f32 v[4:5], v[10:11], v[108:109], v[4:5] op_sel_hi:[1,0,1]
	s_nop 0
	v_mov_b32_e32 v4, v111
	v_mov_b32_e32 v7, v5
	v_pk_mul_f32 v[4:5], v[12:13], v[4:5] op_sel:[1,0] op_sel_hi:[0,0]
	v_pk_add_f32 v[2:3], v[2:3], v[6:7]
	v_pk_fma_f32 v[6:7], v[12:13], v[110:111], v[4:5] neg_lo:[0,0,1] neg_hi:[0,0,1]
	v_pk_fma_f32 v[4:5], v[12:13], v[110:111], v[4:5] op_sel_hi:[1,0,1]
	s_nop 0
	v_mov_b32_e32 v7, v5
	s_waitcnt vmcnt(0) lgkmcnt(0)
	v_pk_mul_f32 v[4:5], v[14:15], v[112:113] op_sel:[1,1] op_sel_hi:[0,1]
	v_pk_add_f32 v[2:3], v[2:3], v[6:7]
	v_pk_fma_f32 v[6:7], v[14:15], v[112:113], v[4:5] neg_lo:[0,0,1] neg_hi:[0,0,1]
	v_pk_fma_f32 v[4:5], v[14:15], v[112:113], v[4:5] op_sel_hi:[1,0,1]
	s_nop 0
	v_mov_b32_e32 v4, v115
	v_mov_b32_e32 v7, v5
	v_pk_mul_f32 v[4:5], v[16:17], v[4:5] op_sel:[1,0] op_sel_hi:[0,0]
	v_pk_add_f32 v[2:3], v[2:3], v[6:7]
	v_pk_fma_f32 v[6:7], v[16:17], v[114:115], v[4:5] neg_lo:[0,0,1] neg_hi:[0,0,1]
	v_pk_fma_f32 v[4:5], v[16:17], v[114:115], v[4:5] op_sel_hi:[1,0,1]
	s_nop 0
	v_mov_b32_e32 v7, v5
	scratch_load_dwordx2 v[4:5], off, off offset:240
	v_pk_add_f32 v[2:3], v[2:3], v[6:7]
	s_waitcnt vmcnt(0)
	v_pk_add_f32 v[2:3], v[4:5], v[2:3] neg_lo:[0,1] neg_hi:[0,1]
	scratch_store_dwordx2 off, v[2:3], off offset:240
	s_and_saveexec_b64 s[0:1], vcc
	s_cbranch_execz .LBB62_333
; %bb.332:
	scratch_load_dwordx2 v[2:3], off, off offset:232
	v_mov_b32_e32 v4, 0
	v_mov_b32_e32 v5, v4
	scratch_store_dwordx2 off, v[4:5], off offset:232
	s_waitcnt vmcnt(1)
	ds_write_b64 v1, v[2:3]
.LBB62_333:
	s_or_b64 exec, exec, s[0:1]
	v_mov_b32_e32 v70, 0
	s_waitcnt lgkmcnt(0)
	; wave barrier
	ds_read_b128 v[14:17], v70 offset:752
	ds_read_b128 v[10:13], v70 offset:768
	;; [unrolled: 1-line block ×4, first 2 shown]
	scratch_load_dwordx4 v[18:21], off, off offset:240
	scratch_load_dwordx4 v[38:41], off, off offset:304
	;; [unrolled: 1-line block ×7, first 2 shown]
	v_cmp_lt_u32_e32 vcc, 28, v0
	scratch_load_dwordx4 v[46:49], off, off offset:320
	scratch_load_dwordx4 v[54:57], off, off offset:336
	;; [unrolled: 1-line block ×3, first 2 shown]
	s_waitcnt vmcnt(9) lgkmcnt(3)
	v_mul_f32_e32 v22, v14, v19
	v_fmac_f32_e32 v22, v15, v18
	v_mul_f32_e32 v23, v16, v21
	v_add_f32_e32 v22, 0, v22
	v_fmac_f32_e32 v23, v17, v20
	v_add_f32_e32 v26, v22, v23
	scratch_load_dwordx4 v[22:25], off, off offset:256
	v_mul_f32_e32 v15, v15, v19
	v_fma_f32 v14, v14, v18, -v15
	v_mul_f32_e32 v15, v17, v21
	v_add_f32_e32 v14, 0, v14
	v_fma_f32 v15, v16, v20, -v15
	v_add_f32_e32 v14, v14, v15
	s_waitcnt vmcnt(4)
	v_mov_b32_e32 v18, v107
	s_waitcnt vmcnt(0) lgkmcnt(2)
	v_mul_f32_e32 v27, v10, v23
	v_fmac_f32_e32 v27, v11, v22
	v_add_f32_e32 v26, v26, v27
	v_mul_f32_e32 v27, v12, v25
	v_fmac_f32_e32 v27, v13, v24
	v_add_f32_e32 v30, v26, v27
	scratch_load_dwordx4 v[26:29], off, off offset:272
	v_mul_f32_e32 v11, v11, v23
	v_fma_f32 v10, v10, v22, -v11
	v_mul_f32_e32 v11, v13, v25
	v_add_f32_e32 v10, v14, v10
	v_fma_f32 v11, v12, v24, -v11
	v_add_f32_e32 v10, v10, v11
	s_waitcnt vmcnt(0) lgkmcnt(1)
	v_mul_f32_e32 v31, v6, v27
	v_fmac_f32_e32 v31, v7, v26
	v_add_f32_e32 v30, v30, v31
	v_mul_f32_e32 v31, v8, v29
	v_fmac_f32_e32 v31, v9, v28
	v_add_f32_e32 v34, v30, v31
	scratch_load_dwordx4 v[30:33], off, off offset:288
	v_mul_f32_e32 v7, v7, v27
	v_fma_f32 v6, v6, v26, -v7
	v_mul_f32_e32 v7, v9, v29
	v_add_f32_e32 v6, v10, v6
	v_fma_f32 v7, v8, v28, -v7
	v_add_f32_e32 v6, v6, v7
	s_waitcnt vmcnt(0) lgkmcnt(0)
	v_mul_f32_e32 v35, v2, v31
	v_fmac_f32_e32 v35, v3, v30
	v_add_f32_e32 v34, v34, v35
	v_mul_f32_e32 v35, v4, v33
	v_fmac_f32_e32 v35, v5, v32
	v_add_f32_e32 v42, v34, v35
	ds_read_b128 v[34:37], v70 offset:816
	v_mul_f32_e32 v3, v3, v31
	v_fma_f32 v2, v2, v30, -v3
	v_mul_f32_e32 v3, v5, v33
	v_add_f32_e32 v2, v6, v2
	s_waitcnt lgkmcnt(0)
	v_mul_f32_e32 v43, v34, v39
	v_fmac_f32_e32 v43, v35, v38
	v_add_f32_e32 v42, v42, v43
	v_mul_f32_e32 v43, v36, v41
	v_fmac_f32_e32 v43, v37, v40
	v_add_f32_e32 v50, v42, v43
	ds_read_b128 v[42:45], v70 offset:832
	v_fma_f32 v3, v4, v32, -v3
	v_add_f32_e32 v2, v2, v3
	v_mul_f32_e32 v3, v35, v39
	v_fma_f32 v3, v34, v38, -v3
	s_waitcnt lgkmcnt(0)
	v_mul_f32_e32 v51, v42, v47
	v_fmac_f32_e32 v51, v43, v46
	v_add_f32_e32 v50, v50, v51
	v_mul_f32_e32 v51, v44, v49
	v_fmac_f32_e32 v51, v45, v48
	v_add_f32_e32 v58, v50, v51
	ds_read_b128 v[50:53], v70 offset:848
	v_add_f32_e32 v2, v2, v3
	v_mul_f32_e32 v3, v37, v41
	v_fma_f32 v3, v36, v40, -v3
	v_add_f32_e32 v2, v2, v3
	s_waitcnt lgkmcnt(0)
	v_mul_f32_e32 v59, v50, v55
	v_fmac_f32_e32 v59, v51, v54
	v_add_f32_e32 v58, v58, v59
	v_mul_f32_e32 v59, v52, v57
	v_fmac_f32_e32 v59, v53, v56
	v_add_f32_e32 v66, v58, v59
	ds_read_b128 v[58:61], v70 offset:864
	v_mul_f32_e32 v3, v43, v47
	v_fma_f32 v3, v42, v46, -v3
	v_add_f32_e32 v2, v2, v3
	v_mul_f32_e32 v3, v45, v49
	s_waitcnt lgkmcnt(0)
	v_mul_f32_e32 v67, v58, v63
	v_fmac_f32_e32 v67, v59, v62
	v_add_f32_e32 v66, v66, v67
	v_mul_f32_e32 v67, v60, v65
	v_fmac_f32_e32 v67, v61, v64
	v_add_f32_e32 v71, v66, v67
	ds_read_b128 v[66:69], v70 offset:880
	v_fma_f32 v3, v44, v48, -v3
	v_add_f32_e32 v2, v2, v3
	v_mul_f32_e32 v3, v51, v55
	v_fma_f32 v3, v50, v54, -v3
	s_waitcnt lgkmcnt(0)
	v_mul_f32_e32 v76, v66, v73
	v_fmac_f32_e32 v76, v67, v72
	v_add_f32_e32 v71, v71, v76
	v_mul_f32_e32 v76, v68, v75
	v_fmac_f32_e32 v76, v69, v74
	v_add_f32_e32 v71, v71, v76
	ds_read_b128 v[76:79], v70 offset:896
	v_add_f32_e32 v2, v2, v3
	v_mul_f32_e32 v3, v53, v57
	v_fma_f32 v3, v52, v56, -v3
	v_add_f32_e32 v2, v2, v3
	s_waitcnt lgkmcnt(0)
	v_mul_f32_e32 v84, v76, v81
	v_fmac_f32_e32 v84, v77, v80
	v_add_f32_e32 v71, v71, v84
	v_mul_f32_e32 v84, v78, v83
	v_fmac_f32_e32 v84, v79, v82
	v_add_f32_e32 v71, v71, v84
	ds_read_b128 v[84:87], v70 offset:912
	v_mul_f32_e32 v3, v59, v63
	v_fma_f32 v3, v58, v62, -v3
	v_add_f32_e32 v2, v2, v3
	v_mul_f32_e32 v3, v61, v65
	s_waitcnt lgkmcnt(0)
	v_mul_f32_e32 v92, v84, v89
	v_fmac_f32_e32 v92, v85, v88
	v_add_f32_e32 v71, v71, v92
	v_mul_f32_e32 v92, v86, v91
	v_fmac_f32_e32 v92, v87, v90
	v_add_f32_e32 v71, v71, v92
	ds_read_b128 v[92:95], v70 offset:928
	v_fma_f32 v3, v60, v64, -v3
	v_add_f32_e32 v2, v2, v3
	v_mul_f32_e32 v3, v67, v73
	v_fma_f32 v3, v66, v72, -v3
	s_waitcnt lgkmcnt(0)
	v_mul_f32_e32 v100, v92, v97
	v_fmac_f32_e32 v100, v93, v96
	v_add_f32_e32 v121, v71, v100
	ds_read_b128 v[100:103], v70 offset:944
	scratch_load_dwordx4 v[108:111], off, off offset:448
	scratch_load_dwordx4 v[112:115], off, off offset:464
	;; [unrolled: 1-line block ×3, first 2 shown]
	scratch_load_dwordx2 v[126:127], off, off offset:496
	v_add_f32_e32 v2, v2, v3
	v_mul_f32_e32 v3, v69, v75
	v_fma_f32 v3, v68, v74, -v3
	v_add_f32_e32 v2, v2, v3
	v_mul_f32_e32 v3, v77, v81
	v_fma_f32 v3, v76, v80, -v3
	;; [unrolled: 3-line block ×6, first 2 shown]
	v_add_f32_e32 v120, v2, v3
	v_mul_f32_e32 v2, v95, v99
	v_mul_f32_e32 v123, v94, v99
	v_fma_f32 v122, v94, v98, -v2
	s_waitcnt lgkmcnt(0)
	v_mul_f32_e32 v2, v101, v105
	v_fmac_f32_e32 v123, v95, v98
	v_mul_f32_e32 v125, v100, v105
	v_fma_f32 v124, v100, v104, -v2
	ds_read_b128 v[2:5], v70 offset:960
	ds_read_b128 v[6:9], v70 offset:976
	ds_read_b128 v[10:13], v70 offset:992
	ds_read_b64 v[14:15], v70 offset:1008
	v_pk_mul_f32 v[18:19], v[102:103], v[18:19] op_sel:[1,0] op_sel_hi:[0,0]
	v_fmac_f32_e32 v125, v101, v104
	v_pk_add_f32 v[16:17], v[120:121], v[122:123]
	v_pk_fma_f32 v[20:21], v[102:103], v[106:107], v[18:19] neg_lo:[0,0,1] neg_hi:[0,0,1]
	v_pk_fma_f32 v[18:19], v[102:103], v[106:107], v[18:19] op_sel_hi:[1,0,1]
	v_pk_add_f32 v[16:17], v[16:17], v[124:125]
	v_mov_b32_e32 v21, v19
	v_pk_add_f32 v[16:17], v[16:17], v[20:21]
	s_waitcnt vmcnt(3) lgkmcnt(3)
	v_pk_mul_f32 v[18:19], v[2:3], v[108:109] op_sel:[1,1] op_sel_hi:[0,1]
	v_pk_fma_f32 v[20:21], v[2:3], v[108:109], v[18:19] neg_lo:[0,0,1] neg_hi:[0,0,1]
	v_pk_fma_f32 v[2:3], v[2:3], v[108:109], v[18:19] op_sel_hi:[1,0,1]
	s_nop 0
	v_mov_b32_e32 v21, v3
	v_pk_add_f32 v[2:3], v[16:17], v[20:21]
	v_mov_b32_e32 v16, v111
	v_pk_mul_f32 v[16:17], v[4:5], v[16:17] op_sel:[1,0] op_sel_hi:[0,0]
	v_pk_fma_f32 v[18:19], v[4:5], v[110:111], v[16:17] neg_lo:[0,0,1] neg_hi:[0,0,1]
	v_pk_fma_f32 v[4:5], v[4:5], v[110:111], v[16:17] op_sel_hi:[1,0,1]
	s_nop 0
	v_mov_b32_e32 v19, v5
	s_waitcnt vmcnt(2) lgkmcnt(2)
	v_pk_mul_f32 v[4:5], v[6:7], v[112:113] op_sel:[1,1] op_sel_hi:[0,1]
	v_pk_fma_f32 v[16:17], v[6:7], v[112:113], v[4:5] neg_lo:[0,0,1] neg_hi:[0,0,1]
	v_pk_fma_f32 v[4:5], v[6:7], v[112:113], v[4:5] op_sel_hi:[1,0,1]
	v_pk_add_f32 v[2:3], v[2:3], v[18:19]
	v_mov_b32_e32 v4, v115
	v_mov_b32_e32 v17, v5
	v_pk_mul_f32 v[4:5], v[8:9], v[4:5] op_sel:[1,0] op_sel_hi:[0,0]
	v_pk_fma_f32 v[6:7], v[8:9], v[114:115], v[4:5] neg_lo:[0,0,1] neg_hi:[0,0,1]
	v_pk_fma_f32 v[4:5], v[8:9], v[114:115], v[4:5] op_sel_hi:[1,0,1]
	v_pk_add_f32 v[2:3], v[2:3], v[16:17]
	v_mov_b32_e32 v7, v5
	s_waitcnt vmcnt(1) lgkmcnt(1)
	v_pk_mul_f32 v[4:5], v[10:11], v[116:117] op_sel:[1,1] op_sel_hi:[0,1]
	v_pk_add_f32 v[2:3], v[2:3], v[6:7]
	v_pk_fma_f32 v[6:7], v[10:11], v[116:117], v[4:5] neg_lo:[0,0,1] neg_hi:[0,0,1]
	v_pk_fma_f32 v[4:5], v[10:11], v[116:117], v[4:5] op_sel_hi:[1,0,1]
	s_nop 0
	v_mov_b32_e32 v4, v119
	v_mov_b32_e32 v7, v5
	v_pk_mul_f32 v[4:5], v[12:13], v[4:5] op_sel:[1,0] op_sel_hi:[0,0]
	v_pk_add_f32 v[2:3], v[2:3], v[6:7]
	v_pk_fma_f32 v[6:7], v[12:13], v[118:119], v[4:5] neg_lo:[0,0,1] neg_hi:[0,0,1]
	v_pk_fma_f32 v[4:5], v[12:13], v[118:119], v[4:5] op_sel_hi:[1,0,1]
	s_nop 0
	v_mov_b32_e32 v7, v5
	s_waitcnt vmcnt(0) lgkmcnt(0)
	v_pk_mul_f32 v[4:5], v[14:15], v[126:127] op_sel:[1,1] op_sel_hi:[0,1]
	v_pk_add_f32 v[2:3], v[2:3], v[6:7]
	v_pk_fma_f32 v[6:7], v[14:15], v[126:127], v[4:5] neg_lo:[0,0,1] neg_hi:[0,0,1]
	v_pk_fma_f32 v[4:5], v[14:15], v[126:127], v[4:5] op_sel_hi:[1,0,1]
	s_nop 0
	v_mov_b32_e32 v7, v5
	scratch_load_dwordx2 v[4:5], off, off offset:232
	v_pk_add_f32 v[2:3], v[2:3], v[6:7]
	s_waitcnt vmcnt(0)
	v_pk_add_f32 v[2:3], v[4:5], v[2:3] neg_lo:[0,1] neg_hi:[0,1]
	scratch_store_dwordx2 off, v[2:3], off offset:232
	s_and_saveexec_b64 s[0:1], vcc
	s_cbranch_execz .LBB62_335
; %bb.334:
	scratch_load_dwordx2 v[2:3], off, off offset:224
	v_mov_b32_e32 v71, v70
	scratch_store_dwordx2 off, v[70:71], off offset:224
	s_waitcnt vmcnt(1)
	ds_write_b64 v1, v[2:3]
.LBB62_335:
	s_or_b64 exec, exec, s[0:1]
	s_waitcnt lgkmcnt(0)
	; wave barrier
	scratch_load_dwordx4 v[6:9], off, off offset:232
	scratch_load_dwordx4 v[14:17], off, off offset:248
	;; [unrolled: 1-line block ×12, first 2 shown]
	ds_read2_b64 v[2:5], v70 offset0:93 offset1:94
	ds_read2_b64 v[38:41], v70 offset0:101 offset1:102
	;; [unrolled: 1-line block ×6, first 2 shown]
	scratch_load_dwordx4 v[126:129], off, off offset:424
	ds_read2_b64 v[122:125], v70 offset0:117 offset1:118
	v_cmp_lt_u32_e32 vcc, 27, v0
	ds_read2_b64 v[54:57], v70 offset0:103 offset1:104
	ds_read2_b64 v[66:69], v70 offset0:105 offset1:106
	;; [unrolled: 1-line block ×3, first 2 shown]
	s_waitcnt vmcnt(12) lgkmcnt(9)
	v_mul_f32_e32 v10, v2, v7
	v_fmac_f32_e32 v10, v3, v6
	v_mul_f32_e32 v11, v4, v9
	v_add_f32_e32 v10, 0, v10
	v_fmac_f32_e32 v11, v5, v8
	v_add_f32_e32 v18, v10, v11
	ds_read2_b64 v[10:13], v70 offset0:95 offset1:96
	v_mul_f32_e32 v3, v3, v7
	v_fma_f32 v2, v2, v6, -v3
	v_mul_f32_e32 v3, v5, v9
	v_add_f32_e32 v2, 0, v2
	s_waitcnt vmcnt(11) lgkmcnt(0)
	v_mul_f32_e32 v19, v10, v15
	v_fmac_f32_e32 v19, v11, v14
	v_add_f32_e32 v18, v18, v19
	v_mul_f32_e32 v19, v12, v17
	v_fmac_f32_e32 v19, v13, v16
	v_add_f32_e32 v26, v18, v19
	ds_read2_b64 v[18:21], v70 offset0:97 offset1:98
	v_fma_f32 v3, v4, v8, -v3
	v_add_f32_e32 v2, v2, v3
	v_mul_f32_e32 v3, v11, v15
	v_fma_f32 v3, v10, v14, -v3
	s_waitcnt vmcnt(10) lgkmcnt(0)
	v_mul_f32_e32 v27, v18, v23
	v_fmac_f32_e32 v27, v19, v22
	v_add_f32_e32 v26, v26, v27
	v_mul_f32_e32 v27, v20, v25
	v_fmac_f32_e32 v27, v21, v24
	v_add_f32_e32 v30, v26, v27
	ds_read2_b64 v[26:29], v70 offset0:99 offset1:100
	v_add_f32_e32 v2, v2, v3
	v_mul_f32_e32 v3, v13, v17
	v_fma_f32 v3, v12, v16, -v3
	v_add_f32_e32 v2, v2, v3
	s_waitcnt vmcnt(9) lgkmcnt(0)
	v_mul_f32_e32 v31, v26, v35
	v_fmac_f32_e32 v31, v27, v34
	v_add_f32_e32 v30, v30, v31
	v_mul_f32_e32 v31, v28, v37
	v_fmac_f32_e32 v31, v29, v36
	v_add_f32_e32 v30, v30, v31
	s_waitcnt vmcnt(8)
	v_mul_f32_e32 v31, v38, v51
	v_fmac_f32_e32 v31, v39, v50
	v_add_f32_e32 v30, v30, v31
	v_mul_f32_e32 v31, v40, v53
	v_fmac_f32_e32 v31, v41, v52
	v_add_f32_e32 v30, v30, v31
	s_waitcnt vmcnt(7)
	;; [unrolled: 7-line block ×8, first 2 shown]
	v_mul_f32_e32 v31, v114, v119
	v_fmac_f32_e32 v31, v115, v118
	v_add_f32_e32 v30, v30, v31
	v_mul_f32_e32 v31, v116, v121
	v_fmac_f32_e32 v31, v117, v120
	v_add_f32_e32 v73, v30, v31
	scratch_load_dwordx4 v[58:61], off, off offset:440
	scratch_load_dwordx4 v[46:49], off, off offset:456
	;; [unrolled: 1-line block ×4, first 2 shown]
	v_mul_f32_e32 v3, v19, v23
	v_fma_f32 v3, v18, v22, -v3
	v_add_f32_e32 v2, v2, v3
	v_mul_f32_e32 v3, v21, v25
	v_fma_f32 v3, v20, v24, -v3
	v_add_f32_e32 v2, v2, v3
	;; [unrolled: 3-line block ×20, first 2 shown]
	s_waitcnt vmcnt(4)
	v_mul_f32_e32 v2, v123, v127
	v_fma_f32 v74, v122, v126, -v2
	v_mul_f32_e32 v2, v125, v129
	v_fma_f32 v76, v124, v128, -v2
	ds_read2_b64 v[2:5], v70 offset0:119 offset1:120
	ds_read2_b64 v[6:9], v70 offset0:121 offset1:122
	;; [unrolled: 1-line block ×4, first 2 shown]
	v_mul_f32_e32 v75, v122, v127
	v_fmac_f32_e32 v75, v123, v126
	v_mul_f32_e32 v77, v124, v129
	v_fmac_f32_e32 v77, v125, v128
	v_pk_add_f32 v[18:19], v[72:73], v[74:75]
	s_waitcnt vmcnt(3) lgkmcnt(3)
	v_pk_mul_f32 v[20:21], v[2:3], v[58:59] op_sel:[1,1] op_sel_hi:[0,1]
	v_pk_fma_f32 v[22:23], v[2:3], v[58:59], v[20:21] neg_lo:[0,0,1] neg_hi:[0,0,1]
	v_pk_fma_f32 v[2:3], v[2:3], v[58:59], v[20:21] op_sel_hi:[1,0,1]
	v_pk_add_f32 v[18:19], v[18:19], v[76:77]
	v_mov_b32_e32 v23, v3
	v_pk_add_f32 v[2:3], v[18:19], v[22:23]
	v_mov_b32_e32 v18, v61
	v_pk_mul_f32 v[18:19], v[4:5], v[18:19] op_sel:[1,0] op_sel_hi:[0,0]
	v_pk_fma_f32 v[20:21], v[4:5], v[60:61], v[18:19] neg_lo:[0,0,1] neg_hi:[0,0,1]
	v_pk_fma_f32 v[4:5], v[4:5], v[60:61], v[18:19] op_sel_hi:[1,0,1]
	s_nop 0
	v_mov_b32_e32 v21, v5
	s_waitcnt vmcnt(2) lgkmcnt(2)
	v_pk_mul_f32 v[4:5], v[6:7], v[46:47] op_sel:[1,1] op_sel_hi:[0,1]
	v_pk_fma_f32 v[18:19], v[6:7], v[46:47], v[4:5] neg_lo:[0,0,1] neg_hi:[0,0,1]
	v_pk_fma_f32 v[4:5], v[6:7], v[46:47], v[4:5] op_sel_hi:[1,0,1]
	v_pk_add_f32 v[2:3], v[2:3], v[20:21]
	v_mov_b32_e32 v4, v49
	v_mov_b32_e32 v19, v5
	v_pk_mul_f32 v[4:5], v[8:9], v[4:5] op_sel:[1,0] op_sel_hi:[0,0]
	v_pk_fma_f32 v[6:7], v[8:9], v[48:49], v[4:5] neg_lo:[0,0,1] neg_hi:[0,0,1]
	v_pk_fma_f32 v[4:5], v[8:9], v[48:49], v[4:5] op_sel_hi:[1,0,1]
	v_pk_add_f32 v[2:3], v[2:3], v[18:19]
	v_mov_b32_e32 v7, v5
	s_waitcnt vmcnt(1) lgkmcnt(1)
	v_pk_mul_f32 v[4:5], v[10:11], v[42:43] op_sel:[1,1] op_sel_hi:[0,1]
	v_pk_add_f32 v[2:3], v[2:3], v[6:7]
	v_pk_fma_f32 v[6:7], v[10:11], v[42:43], v[4:5] neg_lo:[0,0,1] neg_hi:[0,0,1]
	v_pk_fma_f32 v[4:5], v[10:11], v[42:43], v[4:5] op_sel_hi:[1,0,1]
	s_nop 0
	v_mov_b32_e32 v4, v45
	v_mov_b32_e32 v7, v5
	v_pk_mul_f32 v[4:5], v[12:13], v[4:5] op_sel:[1,0] op_sel_hi:[0,0]
	v_pk_add_f32 v[2:3], v[2:3], v[6:7]
	v_pk_fma_f32 v[6:7], v[12:13], v[44:45], v[4:5] neg_lo:[0,0,1] neg_hi:[0,0,1]
	v_pk_fma_f32 v[4:5], v[12:13], v[44:45], v[4:5] op_sel_hi:[1,0,1]
	s_nop 0
	v_mov_b32_e32 v7, v5
	s_waitcnt vmcnt(0) lgkmcnt(0)
	v_pk_mul_f32 v[4:5], v[14:15], v[30:31] op_sel:[1,1] op_sel_hi:[0,1]
	v_pk_add_f32 v[2:3], v[2:3], v[6:7]
	v_pk_fma_f32 v[6:7], v[14:15], v[30:31], v[4:5] neg_lo:[0,0,1] neg_hi:[0,0,1]
	v_pk_fma_f32 v[4:5], v[14:15], v[30:31], v[4:5] op_sel_hi:[1,0,1]
	s_nop 0
	v_mov_b32_e32 v4, v33
	v_mov_b32_e32 v7, v5
	v_pk_mul_f32 v[4:5], v[16:17], v[4:5] op_sel:[1,0] op_sel_hi:[0,0]
	v_pk_add_f32 v[2:3], v[2:3], v[6:7]
	v_pk_fma_f32 v[6:7], v[16:17], v[32:33], v[4:5] neg_lo:[0,0,1] neg_hi:[0,0,1]
	v_pk_fma_f32 v[4:5], v[16:17], v[32:33], v[4:5] op_sel_hi:[1,0,1]
	s_nop 0
	v_mov_b32_e32 v7, v5
	scratch_load_dwordx2 v[4:5], off, off offset:224
	v_pk_add_f32 v[2:3], v[2:3], v[6:7]
	s_waitcnt vmcnt(0)
	v_pk_add_f32 v[2:3], v[4:5], v[2:3] neg_lo:[0,1] neg_hi:[0,1]
	scratch_store_dwordx2 off, v[2:3], off offset:224
	s_and_saveexec_b64 s[0:1], vcc
	s_cbranch_execz .LBB62_337
; %bb.336:
	scratch_load_dwordx2 v[2:3], off, off offset:216
	v_mov_b32_e32 v4, 0
	v_mov_b32_e32 v5, v4
	scratch_store_dwordx2 off, v[4:5], off offset:216
	s_waitcnt vmcnt(1)
	ds_write_b64 v1, v[2:3]
.LBB62_337:
	s_or_b64 exec, exec, s[0:1]
	v_mov_b32_e32 v70, 0
	s_waitcnt lgkmcnt(0)
	; wave barrier
	ds_read_b128 v[14:17], v70 offset:736
	ds_read_b128 v[10:13], v70 offset:752
	;; [unrolled: 1-line block ×4, first 2 shown]
	scratch_load_dwordx4 v[18:21], off, off offset:224
	scratch_load_dwordx4 v[38:41], off, off offset:288
	;; [unrolled: 1-line block ×8, first 2 shown]
	v_cmp_lt_u32_e32 vcc, 26, v0
	scratch_load_dwordx4 v[46:49], off, off offset:304
	scratch_load_dwordx4 v[54:57], off, off offset:320
	;; [unrolled: 1-line block ×3, first 2 shown]
	s_waitcnt vmcnt(10) lgkmcnt(3)
	v_mul_f32_e32 v22, v14, v19
	v_fmac_f32_e32 v22, v15, v18
	v_mul_f32_e32 v23, v16, v21
	v_add_f32_e32 v22, 0, v22
	v_fmac_f32_e32 v23, v17, v20
	v_add_f32_e32 v26, v22, v23
	scratch_load_dwordx4 v[22:25], off, off offset:240
	v_mul_f32_e32 v15, v15, v19
	v_fma_f32 v14, v14, v18, -v15
	v_mul_f32_e32 v15, v17, v21
	v_add_f32_e32 v14, 0, v14
	v_fma_f32 v15, v16, v20, -v15
	v_add_f32_e32 v14, v14, v15
	s_waitcnt vmcnt(4)
	v_mov_b32_e32 v18, v115
	s_waitcnt vmcnt(0) lgkmcnt(2)
	v_mul_f32_e32 v27, v10, v23
	v_fmac_f32_e32 v27, v11, v22
	v_add_f32_e32 v26, v26, v27
	v_mul_f32_e32 v27, v12, v25
	v_fmac_f32_e32 v27, v13, v24
	v_add_f32_e32 v30, v26, v27
	scratch_load_dwordx4 v[26:29], off, off offset:256
	v_mul_f32_e32 v11, v11, v23
	v_fma_f32 v10, v10, v22, -v11
	v_mul_f32_e32 v11, v13, v25
	v_add_f32_e32 v10, v14, v10
	v_fma_f32 v11, v12, v24, -v11
	v_add_f32_e32 v10, v10, v11
	s_waitcnt vmcnt(0) lgkmcnt(1)
	v_mul_f32_e32 v31, v6, v27
	v_fmac_f32_e32 v31, v7, v26
	v_add_f32_e32 v30, v30, v31
	v_mul_f32_e32 v31, v8, v29
	v_fmac_f32_e32 v31, v9, v28
	v_add_f32_e32 v34, v30, v31
	scratch_load_dwordx4 v[30:33], off, off offset:272
	v_mul_f32_e32 v7, v7, v27
	v_fma_f32 v6, v6, v26, -v7
	v_mul_f32_e32 v7, v9, v29
	v_add_f32_e32 v6, v10, v6
	v_fma_f32 v7, v8, v28, -v7
	v_add_f32_e32 v6, v6, v7
	s_waitcnt vmcnt(0) lgkmcnt(0)
	v_mul_f32_e32 v35, v2, v31
	v_fmac_f32_e32 v35, v3, v30
	v_add_f32_e32 v34, v34, v35
	v_mul_f32_e32 v35, v4, v33
	v_fmac_f32_e32 v35, v5, v32
	v_add_f32_e32 v42, v34, v35
	ds_read_b128 v[34:37], v70 offset:800
	v_mul_f32_e32 v3, v3, v31
	v_fma_f32 v2, v2, v30, -v3
	v_mul_f32_e32 v3, v5, v33
	v_add_f32_e32 v2, v6, v2
	s_waitcnt lgkmcnt(0)
	v_mul_f32_e32 v43, v34, v39
	v_fmac_f32_e32 v43, v35, v38
	v_add_f32_e32 v42, v42, v43
	v_mul_f32_e32 v43, v36, v41
	v_fmac_f32_e32 v43, v37, v40
	v_add_f32_e32 v50, v42, v43
	ds_read_b128 v[42:45], v70 offset:816
	v_fma_f32 v3, v4, v32, -v3
	v_add_f32_e32 v2, v2, v3
	v_mul_f32_e32 v3, v35, v39
	v_fma_f32 v3, v34, v38, -v3
	s_waitcnt lgkmcnt(0)
	v_mul_f32_e32 v51, v42, v47
	v_fmac_f32_e32 v51, v43, v46
	v_add_f32_e32 v50, v50, v51
	v_mul_f32_e32 v51, v44, v49
	v_fmac_f32_e32 v51, v45, v48
	v_add_f32_e32 v58, v50, v51
	ds_read_b128 v[50:53], v70 offset:832
	v_add_f32_e32 v2, v2, v3
	v_mul_f32_e32 v3, v37, v41
	v_fma_f32 v3, v36, v40, -v3
	v_add_f32_e32 v2, v2, v3
	s_waitcnt lgkmcnt(0)
	v_mul_f32_e32 v59, v50, v55
	v_fmac_f32_e32 v59, v51, v54
	v_add_f32_e32 v58, v58, v59
	v_mul_f32_e32 v59, v52, v57
	v_fmac_f32_e32 v59, v53, v56
	v_add_f32_e32 v66, v58, v59
	ds_read_b128 v[58:61], v70 offset:848
	v_mul_f32_e32 v3, v43, v47
	v_fma_f32 v3, v42, v46, -v3
	v_add_f32_e32 v2, v2, v3
	v_mul_f32_e32 v3, v45, v49
	s_waitcnt lgkmcnt(0)
	v_mul_f32_e32 v67, v58, v63
	v_fmac_f32_e32 v67, v59, v62
	v_add_f32_e32 v66, v66, v67
	v_mul_f32_e32 v67, v60, v65
	v_fmac_f32_e32 v67, v61, v64
	v_add_f32_e32 v71, v66, v67
	ds_read_b128 v[66:69], v70 offset:864
	v_fma_f32 v3, v44, v48, -v3
	v_add_f32_e32 v2, v2, v3
	v_mul_f32_e32 v3, v51, v55
	v_fma_f32 v3, v50, v54, -v3
	s_waitcnt lgkmcnt(0)
	v_mul_f32_e32 v76, v66, v73
	v_fmac_f32_e32 v76, v67, v72
	v_add_f32_e32 v71, v71, v76
	v_mul_f32_e32 v76, v68, v75
	v_fmac_f32_e32 v76, v69, v74
	v_add_f32_e32 v71, v71, v76
	ds_read_b128 v[76:79], v70 offset:880
	v_add_f32_e32 v2, v2, v3
	v_mul_f32_e32 v3, v53, v57
	v_fma_f32 v3, v52, v56, -v3
	v_add_f32_e32 v2, v2, v3
	s_waitcnt lgkmcnt(0)
	v_mul_f32_e32 v84, v76, v81
	v_fmac_f32_e32 v84, v77, v80
	v_add_f32_e32 v71, v71, v84
	v_mul_f32_e32 v84, v78, v83
	v_fmac_f32_e32 v84, v79, v82
	v_add_f32_e32 v71, v71, v84
	ds_read_b128 v[84:87], v70 offset:896
	v_mul_f32_e32 v3, v59, v63
	v_fma_f32 v3, v58, v62, -v3
	v_add_f32_e32 v2, v2, v3
	v_mul_f32_e32 v3, v61, v65
	s_waitcnt lgkmcnt(0)
	v_mul_f32_e32 v92, v84, v89
	v_fmac_f32_e32 v92, v85, v88
	v_add_f32_e32 v71, v71, v92
	v_mul_f32_e32 v92, v86, v91
	v_fmac_f32_e32 v92, v87, v90
	v_add_f32_e32 v71, v71, v92
	ds_read_b128 v[92:95], v70 offset:912
	v_fma_f32 v3, v60, v64, -v3
	v_add_f32_e32 v2, v2, v3
	v_mul_f32_e32 v3, v67, v73
	v_fma_f32 v3, v66, v72, -v3
	s_waitcnt lgkmcnt(0)
	v_mul_f32_e32 v100, v92, v97
	v_fmac_f32_e32 v100, v93, v96
	v_add_f32_e32 v71, v71, v100
	v_mul_f32_e32 v100, v94, v99
	v_fmac_f32_e32 v100, v95, v98
	v_add_f32_e32 v71, v71, v100
	ds_read_b128 v[100:103], v70 offset:928
	v_add_f32_e32 v2, v2, v3
	v_mul_f32_e32 v3, v69, v75
	v_fma_f32 v3, v68, v74, -v3
	v_add_f32_e32 v2, v2, v3
	s_waitcnt lgkmcnt(0)
	v_mul_f32_e32 v108, v100, v105
	v_fmac_f32_e32 v108, v101, v104
	v_add_f32_e32 v129, v71, v108
	ds_read_b128 v[108:111], v70 offset:944
	scratch_load_dwordx4 v[116:119], off, off offset:448
	scratch_load_dwordx4 v[120:123], off, off offset:464
	;; [unrolled: 1-line block ×3, first 2 shown]
	scratch_load_dwordx2 v[134:135], off, off offset:496
	v_mul_f32_e32 v3, v77, v81
	v_fma_f32 v3, v76, v80, -v3
	v_add_f32_e32 v2, v2, v3
	v_mul_f32_e32 v3, v79, v83
	v_fma_f32 v3, v78, v82, -v3
	v_add_f32_e32 v2, v2, v3
	;; [unrolled: 3-line block ×7, first 2 shown]
	v_mul_f32_e32 v2, v103, v107
	v_mul_f32_e32 v131, v102, v107
	v_fma_f32 v130, v102, v106, -v2
	s_waitcnt lgkmcnt(0)
	v_mul_f32_e32 v2, v109, v113
	v_fmac_f32_e32 v131, v103, v106
	v_mul_f32_e32 v133, v108, v113
	v_fma_f32 v132, v108, v112, -v2
	ds_read_b128 v[2:5], v70 offset:960
	ds_read_b128 v[6:9], v70 offset:976
	;; [unrolled: 1-line block ×3, first 2 shown]
	ds_read_b64 v[14:15], v70 offset:1008
	v_pk_mul_f32 v[18:19], v[110:111], v[18:19] op_sel:[1,0] op_sel_hi:[0,0]
	v_fmac_f32_e32 v133, v109, v112
	v_pk_add_f32 v[16:17], v[128:129], v[130:131]
	v_pk_fma_f32 v[20:21], v[110:111], v[114:115], v[18:19] neg_lo:[0,0,1] neg_hi:[0,0,1]
	v_pk_fma_f32 v[18:19], v[110:111], v[114:115], v[18:19] op_sel_hi:[1,0,1]
	v_pk_add_f32 v[16:17], v[16:17], v[132:133]
	v_mov_b32_e32 v21, v19
	v_pk_add_f32 v[16:17], v[16:17], v[20:21]
	s_waitcnt vmcnt(3) lgkmcnt(3)
	v_pk_mul_f32 v[18:19], v[2:3], v[116:117] op_sel:[1,1] op_sel_hi:[0,1]
	v_pk_fma_f32 v[20:21], v[2:3], v[116:117], v[18:19] neg_lo:[0,0,1] neg_hi:[0,0,1]
	v_pk_fma_f32 v[2:3], v[2:3], v[116:117], v[18:19] op_sel_hi:[1,0,1]
	s_nop 0
	v_mov_b32_e32 v21, v3
	v_pk_add_f32 v[2:3], v[16:17], v[20:21]
	v_mov_b32_e32 v16, v119
	v_pk_mul_f32 v[16:17], v[4:5], v[16:17] op_sel:[1,0] op_sel_hi:[0,0]
	v_pk_fma_f32 v[18:19], v[4:5], v[118:119], v[16:17] neg_lo:[0,0,1] neg_hi:[0,0,1]
	v_pk_fma_f32 v[4:5], v[4:5], v[118:119], v[16:17] op_sel_hi:[1,0,1]
	s_nop 0
	v_mov_b32_e32 v19, v5
	s_waitcnt vmcnt(2) lgkmcnt(2)
	v_pk_mul_f32 v[4:5], v[6:7], v[120:121] op_sel:[1,1] op_sel_hi:[0,1]
	v_pk_fma_f32 v[16:17], v[6:7], v[120:121], v[4:5] neg_lo:[0,0,1] neg_hi:[0,0,1]
	v_pk_fma_f32 v[4:5], v[6:7], v[120:121], v[4:5] op_sel_hi:[1,0,1]
	v_pk_add_f32 v[2:3], v[2:3], v[18:19]
	v_mov_b32_e32 v4, v123
	v_mov_b32_e32 v17, v5
	v_pk_mul_f32 v[4:5], v[8:9], v[4:5] op_sel:[1,0] op_sel_hi:[0,0]
	v_pk_fma_f32 v[6:7], v[8:9], v[122:123], v[4:5] neg_lo:[0,0,1] neg_hi:[0,0,1]
	v_pk_fma_f32 v[4:5], v[8:9], v[122:123], v[4:5] op_sel_hi:[1,0,1]
	v_pk_add_f32 v[2:3], v[2:3], v[16:17]
	v_mov_b32_e32 v7, v5
	s_waitcnt vmcnt(1) lgkmcnt(1)
	v_pk_mul_f32 v[4:5], v[10:11], v[124:125] op_sel:[1,1] op_sel_hi:[0,1]
	v_pk_add_f32 v[2:3], v[2:3], v[6:7]
	v_pk_fma_f32 v[6:7], v[10:11], v[124:125], v[4:5] neg_lo:[0,0,1] neg_hi:[0,0,1]
	v_pk_fma_f32 v[4:5], v[10:11], v[124:125], v[4:5] op_sel_hi:[1,0,1]
	s_nop 0
	v_mov_b32_e32 v4, v127
	v_mov_b32_e32 v7, v5
	v_pk_mul_f32 v[4:5], v[12:13], v[4:5] op_sel:[1,0] op_sel_hi:[0,0]
	v_pk_add_f32 v[2:3], v[2:3], v[6:7]
	v_pk_fma_f32 v[6:7], v[12:13], v[126:127], v[4:5] neg_lo:[0,0,1] neg_hi:[0,0,1]
	v_pk_fma_f32 v[4:5], v[12:13], v[126:127], v[4:5] op_sel_hi:[1,0,1]
	s_nop 0
	v_mov_b32_e32 v7, v5
	s_waitcnt vmcnt(0) lgkmcnt(0)
	v_pk_mul_f32 v[4:5], v[14:15], v[134:135] op_sel:[1,1] op_sel_hi:[0,1]
	v_pk_add_f32 v[2:3], v[2:3], v[6:7]
	v_pk_fma_f32 v[6:7], v[14:15], v[134:135], v[4:5] neg_lo:[0,0,1] neg_hi:[0,0,1]
	v_pk_fma_f32 v[4:5], v[14:15], v[134:135], v[4:5] op_sel_hi:[1,0,1]
	s_nop 0
	v_mov_b32_e32 v7, v5
	scratch_load_dwordx2 v[4:5], off, off offset:216
	v_pk_add_f32 v[2:3], v[2:3], v[6:7]
	s_waitcnt vmcnt(0)
	v_pk_add_f32 v[2:3], v[4:5], v[2:3] neg_lo:[0,1] neg_hi:[0,1]
	scratch_store_dwordx2 off, v[2:3], off offset:216
	s_and_saveexec_b64 s[0:1], vcc
	s_cbranch_execz .LBB62_339
; %bb.338:
	scratch_load_dwordx2 v[2:3], off, off offset:208
	v_mov_b32_e32 v71, v70
	scratch_store_dwordx2 off, v[70:71], off offset:208
	s_waitcnt vmcnt(1)
	ds_write_b64 v1, v[2:3]
.LBB62_339:
	s_or_b64 exec, exec, s[0:1]
	s_waitcnt lgkmcnt(0)
	; wave barrier
	scratch_load_dwordx4 v[6:9], off, off offset:216
	scratch_load_dwordx4 v[14:17], off, off offset:232
	;; [unrolled: 1-line block ×10, first 2 shown]
	ds_read2_b64 v[2:5], v70 offset0:91 offset1:92
	scratch_load_dwordx4 v[88:91], off, off offset:376
	scratch_load_dwordx4 v[96:99], off, off offset:392
	;; [unrolled: 1-line block ×4, first 2 shown]
	v_cmp_lt_u32_e32 vcc, 25, v0
	s_waitcnt vmcnt(13) lgkmcnt(0)
	v_mul_f32_e32 v10, v2, v7
	v_fmac_f32_e32 v10, v3, v6
	v_mul_f32_e32 v11, v4, v9
	v_add_f32_e32 v10, 0, v10
	v_fmac_f32_e32 v11, v5, v8
	v_add_f32_e32 v18, v10, v11
	ds_read2_b64 v[10:13], v70 offset0:93 offset1:94
	v_mul_f32_e32 v3, v3, v7
	v_fma_f32 v2, v2, v6, -v3
	v_mul_f32_e32 v3, v5, v9
	v_add_f32_e32 v2, 0, v2
	s_waitcnt vmcnt(12) lgkmcnt(0)
	v_mul_f32_e32 v19, v10, v15
	v_fmac_f32_e32 v19, v11, v14
	v_add_f32_e32 v18, v18, v19
	v_mul_f32_e32 v19, v12, v17
	v_fmac_f32_e32 v19, v13, v16
	v_add_f32_e32 v26, v18, v19
	ds_read2_b64 v[18:21], v70 offset0:95 offset1:96
	v_fma_f32 v3, v4, v8, -v3
	v_add_f32_e32 v2, v2, v3
	v_mul_f32_e32 v3, v11, v15
	v_fma_f32 v3, v10, v14, -v3
	s_waitcnt vmcnt(11) lgkmcnt(0)
	v_mul_f32_e32 v27, v18, v23
	v_fmac_f32_e32 v27, v19, v22
	v_add_f32_e32 v26, v26, v27
	v_mul_f32_e32 v27, v20, v25
	v_fmac_f32_e32 v27, v21, v24
	v_add_f32_e32 v34, v26, v27
	ds_read2_b64 v[26:29], v70 offset0:97 offset1:98
	v_add_f32_e32 v2, v2, v3
	v_mul_f32_e32 v3, v13, v17
	v_fma_f32 v3, v12, v16, -v3
	v_add_f32_e32 v2, v2, v3
	s_waitcnt vmcnt(10) lgkmcnt(0)
	v_mul_f32_e32 v35, v26, v31
	v_fmac_f32_e32 v35, v27, v30
	v_add_f32_e32 v34, v34, v35
	v_mul_f32_e32 v35, v28, v33
	v_fmac_f32_e32 v35, v29, v32
	v_add_f32_e32 v42, v34, v35
	ds_read2_b64 v[34:37], v70 offset0:99 offset1:100
	v_mul_f32_e32 v3, v19, v23
	v_fma_f32 v3, v18, v22, -v3
	v_add_f32_e32 v2, v2, v3
	v_mul_f32_e32 v3, v21, v25
	s_waitcnt vmcnt(9) lgkmcnt(0)
	v_mul_f32_e32 v43, v34, v39
	v_fmac_f32_e32 v43, v35, v38
	v_add_f32_e32 v42, v42, v43
	v_mul_f32_e32 v43, v36, v41
	v_fmac_f32_e32 v43, v37, v40
	v_add_f32_e32 v50, v42, v43
	ds_read2_b64 v[42:45], v70 offset0:101 offset1:102
	v_fma_f32 v3, v20, v24, -v3
	v_add_f32_e32 v2, v2, v3
	v_mul_f32_e32 v3, v27, v31
	v_fma_f32 v3, v26, v30, -v3
	s_waitcnt vmcnt(8) lgkmcnt(0)
	v_mul_f32_e32 v51, v42, v47
	v_fmac_f32_e32 v51, v43, v46
	v_add_f32_e32 v50, v50, v51
	v_mul_f32_e32 v51, v44, v49
	v_fmac_f32_e32 v51, v45, v48
	v_add_f32_e32 v58, v50, v51
	ds_read2_b64 v[50:53], v70 offset0:103 offset1:104
	v_add_f32_e32 v2, v2, v3
	v_mul_f32_e32 v3, v29, v33
	v_fma_f32 v3, v28, v32, -v3
	v_add_f32_e32 v2, v2, v3
	s_waitcnt vmcnt(7) lgkmcnt(0)
	v_mul_f32_e32 v59, v50, v55
	v_fmac_f32_e32 v59, v51, v54
	v_add_f32_e32 v58, v58, v59
	v_mul_f32_e32 v59, v52, v57
	v_fmac_f32_e32 v59, v53, v56
	v_add_f32_e32 v66, v58, v59
	ds_read2_b64 v[58:61], v70 offset0:105 offset1:106
	v_mul_f32_e32 v3, v35, v39
	v_fma_f32 v3, v34, v38, -v3
	v_add_f32_e32 v2, v2, v3
	v_mul_f32_e32 v3, v37, v41
	s_waitcnt vmcnt(6) lgkmcnt(0)
	v_mul_f32_e32 v67, v58, v63
	v_fmac_f32_e32 v67, v59, v62
	v_add_f32_e32 v66, v66, v67
	v_mul_f32_e32 v67, v60, v65
	v_fmac_f32_e32 v67, v61, v64
	v_add_f32_e32 v71, v66, v67
	ds_read2_b64 v[66:69], v70 offset0:107 offset1:108
	v_fma_f32 v3, v36, v40, -v3
	v_add_f32_e32 v2, v2, v3
	v_mul_f32_e32 v3, v43, v47
	v_fma_f32 v3, v42, v46, -v3
	s_waitcnt vmcnt(5) lgkmcnt(0)
	v_mul_f32_e32 v76, v66, v73
	v_fmac_f32_e32 v76, v67, v72
	v_add_f32_e32 v71, v71, v76
	v_mul_f32_e32 v76, v68, v75
	v_fmac_f32_e32 v76, v69, v74
	v_add_f32_e32 v71, v71, v76
	ds_read2_b64 v[76:79], v70 offset0:109 offset1:110
	v_add_f32_e32 v2, v2, v3
	v_mul_f32_e32 v3, v45, v49
	v_fma_f32 v3, v44, v48, -v3
	v_add_f32_e32 v2, v2, v3
	s_waitcnt vmcnt(4) lgkmcnt(0)
	v_mul_f32_e32 v84, v76, v81
	v_fmac_f32_e32 v84, v77, v80
	v_add_f32_e32 v71, v71, v84
	v_mul_f32_e32 v84, v78, v83
	v_fmac_f32_e32 v84, v79, v82
	v_add_f32_e32 v71, v71, v84
	ds_read2_b64 v[84:87], v70 offset0:111 offset1:112
	v_mul_f32_e32 v3, v51, v55
	v_fma_f32 v3, v50, v54, -v3
	v_add_f32_e32 v2, v2, v3
	v_mul_f32_e32 v3, v53, v57
	s_waitcnt vmcnt(3) lgkmcnt(0)
	v_mul_f32_e32 v92, v84, v89
	v_fmac_f32_e32 v92, v85, v88
	v_add_f32_e32 v71, v71, v92
	v_mul_f32_e32 v92, v86, v91
	v_fmac_f32_e32 v92, v87, v90
	v_add_f32_e32 v71, v71, v92
	ds_read2_b64 v[92:95], v70 offset0:113 offset1:114
	v_fma_f32 v3, v52, v56, -v3
	v_add_f32_e32 v2, v2, v3
	v_mul_f32_e32 v3, v59, v63
	v_fma_f32 v3, v58, v62, -v3
	s_waitcnt vmcnt(2) lgkmcnt(0)
	v_mul_f32_e32 v100, v92, v97
	v_fmac_f32_e32 v100, v93, v96
	v_add_f32_e32 v71, v71, v100
	v_mul_f32_e32 v100, v94, v99
	v_fmac_f32_e32 v100, v95, v98
	v_add_f32_e32 v71, v71, v100
	ds_read2_b64 v[100:103], v70 offset0:115 offset1:116
	v_add_f32_e32 v2, v2, v3
	v_mul_f32_e32 v3, v61, v65
	v_fma_f32 v3, v60, v64, -v3
	v_add_f32_e32 v2, v2, v3
	s_waitcnt vmcnt(1) lgkmcnt(0)
	v_mul_f32_e32 v108, v100, v105
	v_fmac_f32_e32 v108, v101, v104
	v_add_f32_e32 v71, v71, v108
	v_mul_f32_e32 v108, v102, v107
	v_fmac_f32_e32 v108, v103, v106
	v_add_f32_e32 v133, v71, v108
	ds_read2_b64 v[108:111], v70 offset0:117 offset1:118
	scratch_load_dwordx4 v[116:119], off, off offset:440
	scratch_load_dwordx4 v[120:123], off, off offset:456
	;; [unrolled: 1-line block ×4, first 2 shown]
	v_mul_f32_e32 v3, v67, v73
	v_fma_f32 v3, v66, v72, -v3
	v_add_f32_e32 v2, v2, v3
	v_mul_f32_e32 v3, v69, v75
	v_fma_f32 v3, v68, v74, -v3
	v_add_f32_e32 v2, v2, v3
	;; [unrolled: 3-line block ×10, first 2 shown]
	s_waitcnt vmcnt(4) lgkmcnt(0)
	v_mul_f32_e32 v2, v109, v113
	v_fma_f32 v134, v108, v112, -v2
	v_mul_f32_e32 v2, v111, v115
	v_fma_f32 v136, v110, v114, -v2
	ds_read2_b64 v[2:5], v70 offset0:119 offset1:120
	ds_read2_b64 v[6:9], v70 offset0:121 offset1:122
	ds_read2_b64 v[10:13], v70 offset0:123 offset1:124
	ds_read2_b64 v[14:17], v70 offset0:125 offset1:126
	v_mul_f32_e32 v135, v108, v113
	v_fmac_f32_e32 v135, v109, v112
	v_mul_f32_e32 v137, v110, v115
	v_fmac_f32_e32 v137, v111, v114
	v_pk_add_f32 v[18:19], v[132:133], v[134:135]
	s_waitcnt vmcnt(3) lgkmcnt(3)
	v_pk_mul_f32 v[20:21], v[2:3], v[116:117] op_sel:[1,1] op_sel_hi:[0,1]
	v_pk_fma_f32 v[22:23], v[2:3], v[116:117], v[20:21] neg_lo:[0,0,1] neg_hi:[0,0,1]
	v_pk_fma_f32 v[2:3], v[2:3], v[116:117], v[20:21] op_sel_hi:[1,0,1]
	v_pk_add_f32 v[18:19], v[18:19], v[136:137]
	v_mov_b32_e32 v23, v3
	v_pk_add_f32 v[2:3], v[18:19], v[22:23]
	v_mov_b32_e32 v18, v119
	v_pk_mul_f32 v[18:19], v[4:5], v[18:19] op_sel:[1,0] op_sel_hi:[0,0]
	v_pk_fma_f32 v[20:21], v[4:5], v[118:119], v[18:19] neg_lo:[0,0,1] neg_hi:[0,0,1]
	v_pk_fma_f32 v[4:5], v[4:5], v[118:119], v[18:19] op_sel_hi:[1,0,1]
	s_nop 0
	v_mov_b32_e32 v21, v5
	s_waitcnt vmcnt(2) lgkmcnt(2)
	v_pk_mul_f32 v[4:5], v[6:7], v[120:121] op_sel:[1,1] op_sel_hi:[0,1]
	v_pk_fma_f32 v[18:19], v[6:7], v[120:121], v[4:5] neg_lo:[0,0,1] neg_hi:[0,0,1]
	v_pk_fma_f32 v[4:5], v[6:7], v[120:121], v[4:5] op_sel_hi:[1,0,1]
	v_pk_add_f32 v[2:3], v[2:3], v[20:21]
	v_mov_b32_e32 v4, v123
	v_mov_b32_e32 v19, v5
	v_pk_mul_f32 v[4:5], v[8:9], v[4:5] op_sel:[1,0] op_sel_hi:[0,0]
	v_pk_fma_f32 v[6:7], v[8:9], v[122:123], v[4:5] neg_lo:[0,0,1] neg_hi:[0,0,1]
	v_pk_fma_f32 v[4:5], v[8:9], v[122:123], v[4:5] op_sel_hi:[1,0,1]
	v_pk_add_f32 v[2:3], v[2:3], v[18:19]
	v_mov_b32_e32 v7, v5
	s_waitcnt vmcnt(1) lgkmcnt(1)
	v_pk_mul_f32 v[4:5], v[10:11], v[124:125] op_sel:[1,1] op_sel_hi:[0,1]
	v_pk_add_f32 v[2:3], v[2:3], v[6:7]
	v_pk_fma_f32 v[6:7], v[10:11], v[124:125], v[4:5] neg_lo:[0,0,1] neg_hi:[0,0,1]
	v_pk_fma_f32 v[4:5], v[10:11], v[124:125], v[4:5] op_sel_hi:[1,0,1]
	s_nop 0
	v_mov_b32_e32 v4, v127
	v_mov_b32_e32 v7, v5
	v_pk_mul_f32 v[4:5], v[12:13], v[4:5] op_sel:[1,0] op_sel_hi:[0,0]
	v_pk_add_f32 v[2:3], v[2:3], v[6:7]
	v_pk_fma_f32 v[6:7], v[12:13], v[126:127], v[4:5] neg_lo:[0,0,1] neg_hi:[0,0,1]
	v_pk_fma_f32 v[4:5], v[12:13], v[126:127], v[4:5] op_sel_hi:[1,0,1]
	s_nop 0
	v_mov_b32_e32 v7, v5
	s_waitcnt vmcnt(0) lgkmcnt(0)
	v_pk_mul_f32 v[4:5], v[14:15], v[128:129] op_sel:[1,1] op_sel_hi:[0,1]
	v_pk_add_f32 v[2:3], v[2:3], v[6:7]
	v_pk_fma_f32 v[6:7], v[14:15], v[128:129], v[4:5] neg_lo:[0,0,1] neg_hi:[0,0,1]
	v_pk_fma_f32 v[4:5], v[14:15], v[128:129], v[4:5] op_sel_hi:[1,0,1]
	s_nop 0
	v_mov_b32_e32 v4, v131
	v_mov_b32_e32 v7, v5
	v_pk_mul_f32 v[4:5], v[16:17], v[4:5] op_sel:[1,0] op_sel_hi:[0,0]
	v_pk_add_f32 v[2:3], v[2:3], v[6:7]
	v_pk_fma_f32 v[6:7], v[16:17], v[130:131], v[4:5] neg_lo:[0,0,1] neg_hi:[0,0,1]
	v_pk_fma_f32 v[4:5], v[16:17], v[130:131], v[4:5] op_sel_hi:[1,0,1]
	s_nop 0
	v_mov_b32_e32 v7, v5
	scratch_load_dwordx2 v[4:5], off, off offset:208
	v_pk_add_f32 v[2:3], v[2:3], v[6:7]
	s_waitcnt vmcnt(0)
	v_pk_add_f32 v[2:3], v[4:5], v[2:3] neg_lo:[0,1] neg_hi:[0,1]
	scratch_store_dwordx2 off, v[2:3], off offset:208
	s_and_saveexec_b64 s[0:1], vcc
	s_cbranch_execz .LBB62_341
; %bb.340:
	scratch_load_dwordx2 v[2:3], off, off offset:200
	v_mov_b32_e32 v4, 0
	v_mov_b32_e32 v5, v4
	scratch_store_dwordx2 off, v[4:5], off offset:200
	s_waitcnt vmcnt(1)
	ds_write_b64 v1, v[2:3]
.LBB62_341:
	s_or_b64 exec, exec, s[0:1]
	v_mov_b32_e32 v86, 0
	s_waitcnt lgkmcnt(0)
	; wave barrier
	ds_read_b128 v[14:17], v86 offset:720
	ds_read_b128 v[10:13], v86 offset:736
	;; [unrolled: 1-line block ×4, first 2 shown]
	scratch_load_dwordx4 v[18:21], off, off offset:208
	scratch_load_dwordx4 v[38:41], off, off offset:272
	;; [unrolled: 1-line block ×9, first 2 shown]
	v_cmp_lt_u32_e32 vcc, 24, v0
	scratch_load_dwordx4 v[46:49], off, off offset:288
	scratch_load_dwordx4 v[54:57], off, off offset:304
	;; [unrolled: 1-line block ×3, first 2 shown]
	s_waitcnt vmcnt(11) lgkmcnt(3)
	v_mul_f32_e32 v22, v14, v19
	v_fmac_f32_e32 v22, v15, v18
	v_mul_f32_e32 v23, v16, v21
	v_add_f32_e32 v22, 0, v22
	v_fmac_f32_e32 v23, v17, v20
	v_add_f32_e32 v26, v22, v23
	scratch_load_dwordx4 v[22:25], off, off offset:224
	v_mul_f32_e32 v15, v15, v19
	v_fma_f32 v14, v14, v18, -v15
	v_mul_f32_e32 v15, v17, v21
	v_add_f32_e32 v14, 0, v14
	v_fma_f32 v15, v16, v20, -v15
	v_add_f32_e32 v14, v14, v15
	s_waitcnt vmcnt(4)
	v_mov_b32_e32 v18, v123
	s_waitcnt vmcnt(0) lgkmcnt(2)
	v_mul_f32_e32 v27, v10, v23
	v_fmac_f32_e32 v27, v11, v22
	v_add_f32_e32 v26, v26, v27
	v_mul_f32_e32 v27, v12, v25
	v_fmac_f32_e32 v27, v13, v24
	v_add_f32_e32 v30, v26, v27
	scratch_load_dwordx4 v[26:29], off, off offset:240
	v_mul_f32_e32 v11, v11, v23
	v_fma_f32 v10, v10, v22, -v11
	v_mul_f32_e32 v11, v13, v25
	v_add_f32_e32 v10, v14, v10
	v_fma_f32 v11, v12, v24, -v11
	v_add_f32_e32 v10, v10, v11
	s_waitcnt vmcnt(0) lgkmcnt(1)
	v_mul_f32_e32 v31, v6, v27
	v_fmac_f32_e32 v31, v7, v26
	v_add_f32_e32 v30, v30, v31
	v_mul_f32_e32 v31, v8, v29
	v_fmac_f32_e32 v31, v9, v28
	v_add_f32_e32 v34, v30, v31
	scratch_load_dwordx4 v[30:33], off, off offset:256
	v_mul_f32_e32 v7, v7, v27
	v_fma_f32 v6, v6, v26, -v7
	v_mul_f32_e32 v7, v9, v29
	v_add_f32_e32 v6, v10, v6
	v_fma_f32 v7, v8, v28, -v7
	v_add_f32_e32 v6, v6, v7
	s_waitcnt vmcnt(0) lgkmcnt(0)
	v_mul_f32_e32 v35, v2, v31
	v_fmac_f32_e32 v35, v3, v30
	v_add_f32_e32 v34, v34, v35
	v_mul_f32_e32 v35, v4, v33
	v_fmac_f32_e32 v35, v5, v32
	v_add_f32_e32 v42, v34, v35
	ds_read_b128 v[34:37], v86 offset:784
	v_mul_f32_e32 v3, v3, v31
	v_fma_f32 v2, v2, v30, -v3
	v_mul_f32_e32 v3, v5, v33
	v_add_f32_e32 v2, v6, v2
	s_waitcnt lgkmcnt(0)
	v_mul_f32_e32 v43, v34, v39
	v_fmac_f32_e32 v43, v35, v38
	v_add_f32_e32 v42, v42, v43
	v_mul_f32_e32 v43, v36, v41
	v_fmac_f32_e32 v43, v37, v40
	v_add_f32_e32 v50, v42, v43
	ds_read_b128 v[42:45], v86 offset:800
	v_fma_f32 v3, v4, v32, -v3
	v_add_f32_e32 v2, v2, v3
	v_mul_f32_e32 v3, v35, v39
	v_fma_f32 v3, v34, v38, -v3
	s_waitcnt lgkmcnt(0)
	v_mul_f32_e32 v51, v42, v47
	v_fmac_f32_e32 v51, v43, v46
	v_add_f32_e32 v50, v50, v51
	v_mul_f32_e32 v51, v44, v49
	v_fmac_f32_e32 v51, v45, v48
	v_add_f32_e32 v58, v50, v51
	ds_read_b128 v[50:53], v86 offset:816
	v_add_f32_e32 v2, v2, v3
	v_mul_f32_e32 v3, v37, v41
	v_fma_f32 v3, v36, v40, -v3
	v_add_f32_e32 v2, v2, v3
	s_waitcnt lgkmcnt(0)
	v_mul_f32_e32 v59, v50, v55
	v_fmac_f32_e32 v59, v51, v54
	v_add_f32_e32 v58, v58, v59
	v_mul_f32_e32 v59, v52, v57
	v_fmac_f32_e32 v59, v53, v56
	v_add_f32_e32 v66, v58, v59
	ds_read_b128 v[58:61], v86 offset:832
	v_mul_f32_e32 v3, v43, v47
	v_fma_f32 v3, v42, v46, -v3
	v_add_f32_e32 v2, v2, v3
	v_mul_f32_e32 v3, v45, v49
	s_waitcnt lgkmcnt(0)
	v_mul_f32_e32 v67, v58, v63
	v_fmac_f32_e32 v67, v59, v62
	v_add_f32_e32 v66, v66, v67
	v_mul_f32_e32 v67, v60, v65
	v_fmac_f32_e32 v67, v61, v64
	v_add_f32_e32 v74, v66, v67
	ds_read_b128 v[66:69], v86 offset:848
	v_fma_f32 v3, v44, v48, -v3
	v_add_f32_e32 v2, v2, v3
	v_mul_f32_e32 v3, v51, v55
	v_fma_f32 v3, v50, v54, -v3
	s_waitcnt lgkmcnt(0)
	v_mul_f32_e32 v75, v66, v71
	v_fmac_f32_e32 v75, v67, v70
	v_add_f32_e32 v74, v74, v75
	v_mul_f32_e32 v75, v68, v73
	v_fmac_f32_e32 v75, v69, v72
	v_add_f32_e32 v82, v74, v75
	ds_read_b128 v[74:77], v86 offset:864
	v_add_f32_e32 v2, v2, v3
	v_mul_f32_e32 v3, v53, v57
	v_fma_f32 v3, v52, v56, -v3
	v_add_f32_e32 v2, v2, v3
	s_waitcnt lgkmcnt(0)
	v_mul_f32_e32 v83, v74, v79
	v_fmac_f32_e32 v83, v75, v78
	v_add_f32_e32 v82, v82, v83
	v_mul_f32_e32 v83, v76, v81
	v_fmac_f32_e32 v83, v77, v80
	v_add_f32_e32 v87, v82, v83
	ds_read_b128 v[82:85], v86 offset:880
	v_mul_f32_e32 v3, v59, v63
	v_fma_f32 v3, v58, v62, -v3
	v_add_f32_e32 v2, v2, v3
	v_mul_f32_e32 v3, v61, v65
	;; [unrolled: 36-line block ×3, first 2 shown]
	s_waitcnt lgkmcnt(0)
	v_mul_f32_e32 v116, v108, v113
	v_fmac_f32_e32 v116, v109, v112
	v_add_f32_e32 v137, v87, v116
	ds_read_b128 v[116:119], v86 offset:944
	scratch_load_dwordx4 v[124:127], off, off offset:448
	scratch_load_dwordx4 v[128:131], off, off offset:464
	scratch_load_dwordx4 v[132:135], off, off offset:480
	scratch_load_dwordx2 v[142:143], off, off offset:496
	v_fma_f32 v3, v76, v80, -v3
	v_add_f32_e32 v2, v2, v3
	v_mul_f32_e32 v3, v83, v89
	v_fma_f32 v3, v82, v88, -v3
	v_add_f32_e32 v2, v2, v3
	v_mul_f32_e32 v3, v85, v91
	;; [unrolled: 3-line block ×8, first 2 shown]
	v_mul_f32_e32 v139, v110, v115
	v_fma_f32 v138, v110, v114, -v2
	s_waitcnt lgkmcnt(0)
	v_mul_f32_e32 v2, v117, v121
	v_fmac_f32_e32 v139, v111, v114
	v_mul_f32_e32 v141, v116, v121
	v_fma_f32 v140, v116, v120, -v2
	ds_read_b128 v[2:5], v86 offset:960
	ds_read_b128 v[6:9], v86 offset:976
	;; [unrolled: 1-line block ×3, first 2 shown]
	ds_read_b64 v[14:15], v86 offset:1008
	v_pk_mul_f32 v[18:19], v[118:119], v[18:19] op_sel:[1,0] op_sel_hi:[0,0]
	v_fmac_f32_e32 v141, v117, v120
	v_pk_add_f32 v[16:17], v[136:137], v[138:139]
	v_pk_fma_f32 v[20:21], v[118:119], v[122:123], v[18:19] neg_lo:[0,0,1] neg_hi:[0,0,1]
	v_pk_fma_f32 v[18:19], v[118:119], v[122:123], v[18:19] op_sel_hi:[1,0,1]
	v_pk_add_f32 v[16:17], v[16:17], v[140:141]
	v_mov_b32_e32 v21, v19
	v_pk_add_f32 v[16:17], v[16:17], v[20:21]
	s_waitcnt vmcnt(3) lgkmcnt(3)
	v_pk_mul_f32 v[18:19], v[2:3], v[124:125] op_sel:[1,1] op_sel_hi:[0,1]
	v_pk_fma_f32 v[20:21], v[2:3], v[124:125], v[18:19] neg_lo:[0,0,1] neg_hi:[0,0,1]
	v_pk_fma_f32 v[2:3], v[2:3], v[124:125], v[18:19] op_sel_hi:[1,0,1]
	s_nop 0
	v_mov_b32_e32 v21, v3
	v_pk_add_f32 v[2:3], v[16:17], v[20:21]
	v_mov_b32_e32 v16, v127
	v_pk_mul_f32 v[16:17], v[4:5], v[16:17] op_sel:[1,0] op_sel_hi:[0,0]
	v_pk_fma_f32 v[18:19], v[4:5], v[126:127], v[16:17] neg_lo:[0,0,1] neg_hi:[0,0,1]
	v_pk_fma_f32 v[4:5], v[4:5], v[126:127], v[16:17] op_sel_hi:[1,0,1]
	s_nop 0
	v_mov_b32_e32 v19, v5
	s_waitcnt vmcnt(2) lgkmcnt(2)
	v_pk_mul_f32 v[4:5], v[6:7], v[128:129] op_sel:[1,1] op_sel_hi:[0,1]
	v_pk_fma_f32 v[16:17], v[6:7], v[128:129], v[4:5] neg_lo:[0,0,1] neg_hi:[0,0,1]
	v_pk_fma_f32 v[4:5], v[6:7], v[128:129], v[4:5] op_sel_hi:[1,0,1]
	v_pk_add_f32 v[2:3], v[2:3], v[18:19]
	v_mov_b32_e32 v4, v131
	v_mov_b32_e32 v17, v5
	v_pk_mul_f32 v[4:5], v[8:9], v[4:5] op_sel:[1,0] op_sel_hi:[0,0]
	v_pk_fma_f32 v[6:7], v[8:9], v[130:131], v[4:5] neg_lo:[0,0,1] neg_hi:[0,0,1]
	v_pk_fma_f32 v[4:5], v[8:9], v[130:131], v[4:5] op_sel_hi:[1,0,1]
	v_pk_add_f32 v[2:3], v[2:3], v[16:17]
	v_mov_b32_e32 v7, v5
	s_waitcnt vmcnt(1) lgkmcnt(1)
	v_pk_mul_f32 v[4:5], v[10:11], v[132:133] op_sel:[1,1] op_sel_hi:[0,1]
	v_pk_add_f32 v[2:3], v[2:3], v[6:7]
	v_pk_fma_f32 v[6:7], v[10:11], v[132:133], v[4:5] neg_lo:[0,0,1] neg_hi:[0,0,1]
	v_pk_fma_f32 v[4:5], v[10:11], v[132:133], v[4:5] op_sel_hi:[1,0,1]
	s_nop 0
	v_mov_b32_e32 v4, v135
	v_mov_b32_e32 v7, v5
	v_pk_mul_f32 v[4:5], v[12:13], v[4:5] op_sel:[1,0] op_sel_hi:[0,0]
	v_pk_add_f32 v[2:3], v[2:3], v[6:7]
	v_pk_fma_f32 v[6:7], v[12:13], v[134:135], v[4:5] neg_lo:[0,0,1] neg_hi:[0,0,1]
	v_pk_fma_f32 v[4:5], v[12:13], v[134:135], v[4:5] op_sel_hi:[1,0,1]
	s_nop 0
	v_mov_b32_e32 v7, v5
	s_waitcnt vmcnt(0) lgkmcnt(0)
	v_pk_mul_f32 v[4:5], v[14:15], v[142:143] op_sel:[1,1] op_sel_hi:[0,1]
	v_pk_add_f32 v[2:3], v[2:3], v[6:7]
	v_pk_fma_f32 v[6:7], v[14:15], v[142:143], v[4:5] neg_lo:[0,0,1] neg_hi:[0,0,1]
	v_pk_fma_f32 v[4:5], v[14:15], v[142:143], v[4:5] op_sel_hi:[1,0,1]
	s_nop 0
	v_mov_b32_e32 v7, v5
	scratch_load_dwordx2 v[4:5], off, off offset:200
	v_pk_add_f32 v[2:3], v[2:3], v[6:7]
	s_waitcnt vmcnt(0)
	v_pk_add_f32 v[2:3], v[4:5], v[2:3] neg_lo:[0,1] neg_hi:[0,1]
	scratch_store_dwordx2 off, v[2:3], off offset:200
	s_and_saveexec_b64 s[0:1], vcc
	s_cbranch_execz .LBB62_343
; %bb.342:
	scratch_load_dwordx2 v[2:3], off, off offset:192
	v_mov_b32_e32 v87, v86
	scratch_store_dwordx2 off, v[86:87], off offset:192
	s_waitcnt vmcnt(1)
	ds_write_b64 v1, v[2:3]
.LBB62_343:
	s_or_b64 exec, exec, s[0:1]
	s_waitcnt lgkmcnt(0)
	; wave barrier
	scratch_load_dwordx4 v[6:9], off, off offset:200
	scratch_load_dwordx4 v[14:17], off, off offset:216
	;; [unrolled: 1-line block ×10, first 2 shown]
	ds_read2_b64 v[2:5], v86 offset0:89 offset1:90
	scratch_load_dwordx4 v[88:91], off, off offset:360
	scratch_load_dwordx4 v[96:99], off, off offset:376
	scratch_load_dwordx4 v[104:107], off, off offset:392
	scratch_load_dwordx4 v[112:115], off, off offset:408
	scratch_load_dwordx4 v[120:123], off, off offset:424
	v_cmp_lt_u32_e32 vcc, 23, v0
	s_waitcnt vmcnt(14) lgkmcnt(0)
	v_mul_f32_e32 v10, v2, v7
	v_fmac_f32_e32 v10, v3, v6
	v_mul_f32_e32 v11, v4, v9
	v_add_f32_e32 v10, 0, v10
	v_fmac_f32_e32 v11, v5, v8
	v_add_f32_e32 v18, v10, v11
	ds_read2_b64 v[10:13], v86 offset0:91 offset1:92
	v_mul_f32_e32 v3, v3, v7
	v_fma_f32 v2, v2, v6, -v3
	v_mul_f32_e32 v3, v5, v9
	v_add_f32_e32 v2, 0, v2
	s_waitcnt vmcnt(13) lgkmcnt(0)
	v_mul_f32_e32 v19, v10, v15
	v_fmac_f32_e32 v19, v11, v14
	v_add_f32_e32 v18, v18, v19
	v_mul_f32_e32 v19, v12, v17
	v_fmac_f32_e32 v19, v13, v16
	v_add_f32_e32 v26, v18, v19
	ds_read2_b64 v[18:21], v86 offset0:93 offset1:94
	v_fma_f32 v3, v4, v8, -v3
	v_add_f32_e32 v2, v2, v3
	v_mul_f32_e32 v3, v11, v15
	v_fma_f32 v3, v10, v14, -v3
	s_waitcnt vmcnt(12) lgkmcnt(0)
	v_mul_f32_e32 v27, v18, v23
	v_fmac_f32_e32 v27, v19, v22
	v_add_f32_e32 v26, v26, v27
	v_mul_f32_e32 v27, v20, v25
	v_fmac_f32_e32 v27, v21, v24
	v_add_f32_e32 v34, v26, v27
	ds_read2_b64 v[26:29], v86 offset0:95 offset1:96
	v_add_f32_e32 v2, v2, v3
	v_mul_f32_e32 v3, v13, v17
	v_fma_f32 v3, v12, v16, -v3
	v_add_f32_e32 v2, v2, v3
	s_waitcnt vmcnt(11) lgkmcnt(0)
	v_mul_f32_e32 v35, v26, v31
	v_fmac_f32_e32 v35, v27, v30
	v_add_f32_e32 v34, v34, v35
	v_mul_f32_e32 v35, v28, v33
	v_fmac_f32_e32 v35, v29, v32
	v_add_f32_e32 v42, v34, v35
	ds_read2_b64 v[34:37], v86 offset0:97 offset1:98
	v_mul_f32_e32 v3, v19, v23
	v_fma_f32 v3, v18, v22, -v3
	v_add_f32_e32 v2, v2, v3
	v_mul_f32_e32 v3, v21, v25
	s_waitcnt vmcnt(10) lgkmcnt(0)
	v_mul_f32_e32 v43, v34, v39
	v_fmac_f32_e32 v43, v35, v38
	v_add_f32_e32 v42, v42, v43
	v_mul_f32_e32 v43, v36, v41
	v_fmac_f32_e32 v43, v37, v40
	v_add_f32_e32 v50, v42, v43
	ds_read2_b64 v[42:45], v86 offset0:99 offset1:100
	v_fma_f32 v3, v20, v24, -v3
	v_add_f32_e32 v2, v2, v3
	v_mul_f32_e32 v3, v27, v31
	v_fma_f32 v3, v26, v30, -v3
	s_waitcnt vmcnt(9) lgkmcnt(0)
	v_mul_f32_e32 v51, v42, v47
	v_fmac_f32_e32 v51, v43, v46
	v_add_f32_e32 v50, v50, v51
	v_mul_f32_e32 v51, v44, v49
	v_fmac_f32_e32 v51, v45, v48
	v_add_f32_e32 v58, v50, v51
	ds_read2_b64 v[50:53], v86 offset0:101 offset1:102
	v_add_f32_e32 v2, v2, v3
	v_mul_f32_e32 v3, v29, v33
	v_fma_f32 v3, v28, v32, -v3
	v_add_f32_e32 v2, v2, v3
	s_waitcnt vmcnt(8) lgkmcnt(0)
	v_mul_f32_e32 v59, v50, v55
	v_fmac_f32_e32 v59, v51, v54
	v_add_f32_e32 v58, v58, v59
	v_mul_f32_e32 v59, v52, v57
	v_fmac_f32_e32 v59, v53, v56
	v_add_f32_e32 v66, v58, v59
	ds_read2_b64 v[58:61], v86 offset0:103 offset1:104
	v_mul_f32_e32 v3, v35, v39
	v_fma_f32 v3, v34, v38, -v3
	v_add_f32_e32 v2, v2, v3
	v_mul_f32_e32 v3, v37, v41
	s_waitcnt vmcnt(7) lgkmcnt(0)
	v_mul_f32_e32 v67, v58, v63
	v_fmac_f32_e32 v67, v59, v62
	v_add_f32_e32 v66, v66, v67
	v_mul_f32_e32 v67, v60, v65
	v_fmac_f32_e32 v67, v61, v64
	v_add_f32_e32 v74, v66, v67
	ds_read2_b64 v[66:69], v86 offset0:105 offset1:106
	v_fma_f32 v3, v36, v40, -v3
	v_add_f32_e32 v2, v2, v3
	v_mul_f32_e32 v3, v43, v47
	v_fma_f32 v3, v42, v46, -v3
	s_waitcnt vmcnt(6) lgkmcnt(0)
	v_mul_f32_e32 v75, v66, v71
	v_fmac_f32_e32 v75, v67, v70
	v_add_f32_e32 v74, v74, v75
	v_mul_f32_e32 v75, v68, v73
	v_fmac_f32_e32 v75, v69, v72
	v_add_f32_e32 v82, v74, v75
	ds_read2_b64 v[74:77], v86 offset0:107 offset1:108
	v_add_f32_e32 v2, v2, v3
	v_mul_f32_e32 v3, v45, v49
	v_fma_f32 v3, v44, v48, -v3
	v_add_f32_e32 v2, v2, v3
	s_waitcnt vmcnt(5) lgkmcnt(0)
	v_mul_f32_e32 v83, v74, v79
	v_fmac_f32_e32 v83, v75, v78
	v_add_f32_e32 v82, v82, v83
	v_mul_f32_e32 v83, v76, v81
	v_fmac_f32_e32 v83, v77, v80
	v_add_f32_e32 v87, v82, v83
	ds_read2_b64 v[82:85], v86 offset0:109 offset1:110
	v_mul_f32_e32 v3, v51, v55
	v_fma_f32 v3, v50, v54, -v3
	v_add_f32_e32 v2, v2, v3
	v_mul_f32_e32 v3, v53, v57
	s_waitcnt vmcnt(4) lgkmcnt(0)
	v_mul_f32_e32 v92, v82, v89
	v_fmac_f32_e32 v92, v83, v88
	v_add_f32_e32 v87, v87, v92
	v_mul_f32_e32 v92, v84, v91
	v_fmac_f32_e32 v92, v85, v90
	v_add_f32_e32 v87, v87, v92
	ds_read2_b64 v[92:95], v86 offset0:111 offset1:112
	v_fma_f32 v3, v52, v56, -v3
	v_add_f32_e32 v2, v2, v3
	v_mul_f32_e32 v3, v59, v63
	v_fma_f32 v3, v58, v62, -v3
	s_waitcnt vmcnt(3) lgkmcnt(0)
	v_mul_f32_e32 v100, v92, v97
	v_fmac_f32_e32 v100, v93, v96
	v_add_f32_e32 v87, v87, v100
	v_mul_f32_e32 v100, v94, v99
	v_fmac_f32_e32 v100, v95, v98
	v_add_f32_e32 v87, v87, v100
	ds_read2_b64 v[100:103], v86 offset0:113 offset1:114
	v_add_f32_e32 v2, v2, v3
	v_mul_f32_e32 v3, v61, v65
	v_fma_f32 v3, v60, v64, -v3
	v_add_f32_e32 v2, v2, v3
	s_waitcnt vmcnt(2) lgkmcnt(0)
	v_mul_f32_e32 v108, v100, v105
	v_fmac_f32_e32 v108, v101, v104
	v_add_f32_e32 v87, v87, v108
	v_mul_f32_e32 v108, v102, v107
	v_fmac_f32_e32 v108, v103, v106
	v_add_f32_e32 v87, v87, v108
	ds_read2_b64 v[108:111], v86 offset0:115 offset1:116
	v_mul_f32_e32 v3, v67, v71
	v_fma_f32 v3, v66, v70, -v3
	v_add_f32_e32 v2, v2, v3
	v_mul_f32_e32 v3, v69, v73
	s_waitcnt vmcnt(1) lgkmcnt(0)
	v_mul_f32_e32 v116, v108, v113
	v_fmac_f32_e32 v116, v109, v112
	v_add_f32_e32 v87, v87, v116
	v_mul_f32_e32 v116, v110, v115
	v_fmac_f32_e32 v116, v111, v114
	v_add_f32_e32 v141, v87, v116
	ds_read2_b64 v[116:119], v86 offset0:117 offset1:118
	scratch_load_dwordx4 v[124:127], off, off offset:440
	scratch_load_dwordx4 v[128:131], off, off offset:456
	;; [unrolled: 1-line block ×4, first 2 shown]
	v_fma_f32 v3, v68, v72, -v3
	v_add_f32_e32 v2, v2, v3
	v_mul_f32_e32 v3, v75, v79
	v_fma_f32 v3, v74, v78, -v3
	v_add_f32_e32 v2, v2, v3
	v_mul_f32_e32 v3, v77, v81
	;; [unrolled: 3-line block ×10, first 2 shown]
	v_fma_f32 v3, v110, v114, -v3
	v_add_f32_e32 v140, v2, v3
	s_waitcnt vmcnt(4) lgkmcnt(0)
	v_mul_f32_e32 v2, v117, v121
	v_fma_f32 v142, v116, v120, -v2
	v_mul_f32_e32 v2, v119, v123
	v_fma_f32 v144, v118, v122, -v2
	ds_read2_b64 v[2:5], v86 offset0:119 offset1:120
	ds_read2_b64 v[6:9], v86 offset0:121 offset1:122
	;; [unrolled: 1-line block ×4, first 2 shown]
	v_mul_f32_e32 v143, v116, v121
	v_fmac_f32_e32 v143, v117, v120
	v_mul_f32_e32 v145, v118, v123
	v_fmac_f32_e32 v145, v119, v122
	v_pk_add_f32 v[18:19], v[140:141], v[142:143]
	s_waitcnt vmcnt(3) lgkmcnt(3)
	v_pk_mul_f32 v[20:21], v[2:3], v[124:125] op_sel:[1,1] op_sel_hi:[0,1]
	v_pk_fma_f32 v[22:23], v[2:3], v[124:125], v[20:21] neg_lo:[0,0,1] neg_hi:[0,0,1]
	v_pk_fma_f32 v[2:3], v[2:3], v[124:125], v[20:21] op_sel_hi:[1,0,1]
	v_pk_add_f32 v[18:19], v[18:19], v[144:145]
	v_mov_b32_e32 v23, v3
	v_pk_add_f32 v[2:3], v[18:19], v[22:23]
	v_mov_b32_e32 v18, v127
	v_pk_mul_f32 v[18:19], v[4:5], v[18:19] op_sel:[1,0] op_sel_hi:[0,0]
	v_pk_fma_f32 v[20:21], v[4:5], v[126:127], v[18:19] neg_lo:[0,0,1] neg_hi:[0,0,1]
	v_pk_fma_f32 v[4:5], v[4:5], v[126:127], v[18:19] op_sel_hi:[1,0,1]
	s_nop 0
	v_mov_b32_e32 v21, v5
	s_waitcnt vmcnt(2) lgkmcnt(2)
	v_pk_mul_f32 v[4:5], v[6:7], v[128:129] op_sel:[1,1] op_sel_hi:[0,1]
	v_pk_fma_f32 v[18:19], v[6:7], v[128:129], v[4:5] neg_lo:[0,0,1] neg_hi:[0,0,1]
	v_pk_fma_f32 v[4:5], v[6:7], v[128:129], v[4:5] op_sel_hi:[1,0,1]
	v_pk_add_f32 v[2:3], v[2:3], v[20:21]
	v_mov_b32_e32 v4, v131
	v_mov_b32_e32 v19, v5
	v_pk_mul_f32 v[4:5], v[8:9], v[4:5] op_sel:[1,0] op_sel_hi:[0,0]
	v_pk_fma_f32 v[6:7], v[8:9], v[130:131], v[4:5] neg_lo:[0,0,1] neg_hi:[0,0,1]
	v_pk_fma_f32 v[4:5], v[8:9], v[130:131], v[4:5] op_sel_hi:[1,0,1]
	v_pk_add_f32 v[2:3], v[2:3], v[18:19]
	v_mov_b32_e32 v7, v5
	s_waitcnt vmcnt(1) lgkmcnt(1)
	v_pk_mul_f32 v[4:5], v[10:11], v[132:133] op_sel:[1,1] op_sel_hi:[0,1]
	v_pk_add_f32 v[2:3], v[2:3], v[6:7]
	v_pk_fma_f32 v[6:7], v[10:11], v[132:133], v[4:5] neg_lo:[0,0,1] neg_hi:[0,0,1]
	v_pk_fma_f32 v[4:5], v[10:11], v[132:133], v[4:5] op_sel_hi:[1,0,1]
	s_nop 0
	v_mov_b32_e32 v4, v135
	v_mov_b32_e32 v7, v5
	v_pk_mul_f32 v[4:5], v[12:13], v[4:5] op_sel:[1,0] op_sel_hi:[0,0]
	v_pk_add_f32 v[2:3], v[2:3], v[6:7]
	v_pk_fma_f32 v[6:7], v[12:13], v[134:135], v[4:5] neg_lo:[0,0,1] neg_hi:[0,0,1]
	v_pk_fma_f32 v[4:5], v[12:13], v[134:135], v[4:5] op_sel_hi:[1,0,1]
	s_nop 0
	v_mov_b32_e32 v7, v5
	s_waitcnt vmcnt(0) lgkmcnt(0)
	v_pk_mul_f32 v[4:5], v[14:15], v[136:137] op_sel:[1,1] op_sel_hi:[0,1]
	v_pk_add_f32 v[2:3], v[2:3], v[6:7]
	v_pk_fma_f32 v[6:7], v[14:15], v[136:137], v[4:5] neg_lo:[0,0,1] neg_hi:[0,0,1]
	v_pk_fma_f32 v[4:5], v[14:15], v[136:137], v[4:5] op_sel_hi:[1,0,1]
	s_nop 0
	v_mov_b32_e32 v4, v139
	v_mov_b32_e32 v7, v5
	v_pk_mul_f32 v[4:5], v[16:17], v[4:5] op_sel:[1,0] op_sel_hi:[0,0]
	v_pk_add_f32 v[2:3], v[2:3], v[6:7]
	v_pk_fma_f32 v[6:7], v[16:17], v[138:139], v[4:5] neg_lo:[0,0,1] neg_hi:[0,0,1]
	v_pk_fma_f32 v[4:5], v[16:17], v[138:139], v[4:5] op_sel_hi:[1,0,1]
	s_nop 0
	v_mov_b32_e32 v7, v5
	scratch_load_dwordx2 v[4:5], off, off offset:192
	v_pk_add_f32 v[2:3], v[2:3], v[6:7]
	s_waitcnt vmcnt(0)
	v_pk_add_f32 v[2:3], v[4:5], v[2:3] neg_lo:[0,1] neg_hi:[0,1]
	scratch_store_dwordx2 off, v[2:3], off offset:192
	s_and_saveexec_b64 s[0:1], vcc
	s_cbranch_execz .LBB62_345
; %bb.344:
	scratch_load_dwordx2 v[2:3], off, off offset:184
	v_mov_b32_e32 v4, 0
	v_mov_b32_e32 v5, v4
	scratch_store_dwordx2 off, v[4:5], off offset:184
	s_waitcnt vmcnt(1)
	ds_write_b64 v1, v[2:3]
.LBB62_345:
	s_or_b64 exec, exec, s[0:1]
	v_mov_b32_e32 v94, 0
	s_waitcnt lgkmcnt(0)
	; wave barrier
	ds_read_b128 v[14:17], v94 offset:704
	ds_read_b128 v[10:13], v94 offset:720
	;; [unrolled: 1-line block ×4, first 2 shown]
	scratch_load_dwordx4 v[18:21], off, off offset:192
	scratch_load_dwordx4 v[38:41], off, off offset:256
	;; [unrolled: 1-line block ×10, first 2 shown]
	v_cmp_lt_u32_e32 vcc, 22, v0
	scratch_load_dwordx4 v[46:49], off, off offset:272
	scratch_load_dwordx4 v[54:57], off, off offset:288
	;; [unrolled: 1-line block ×3, first 2 shown]
	s_waitcnt vmcnt(12) lgkmcnt(3)
	v_mul_f32_e32 v22, v14, v19
	v_fmac_f32_e32 v22, v15, v18
	v_mul_f32_e32 v23, v16, v21
	v_add_f32_e32 v22, 0, v22
	v_fmac_f32_e32 v23, v17, v20
	v_add_f32_e32 v26, v22, v23
	scratch_load_dwordx4 v[22:25], off, off offset:208
	v_mul_f32_e32 v15, v15, v19
	v_fma_f32 v14, v14, v18, -v15
	v_mul_f32_e32 v15, v17, v21
	v_add_f32_e32 v14, 0, v14
	v_fma_f32 v15, v16, v20, -v15
	v_add_f32_e32 v14, v14, v15
	s_waitcnt vmcnt(4)
	v_mov_b32_e32 v18, v131
	s_waitcnt vmcnt(0) lgkmcnt(2)
	v_mul_f32_e32 v27, v10, v23
	v_fmac_f32_e32 v27, v11, v22
	v_add_f32_e32 v26, v26, v27
	v_mul_f32_e32 v27, v12, v25
	v_fmac_f32_e32 v27, v13, v24
	v_add_f32_e32 v30, v26, v27
	scratch_load_dwordx4 v[26:29], off, off offset:224
	v_mul_f32_e32 v11, v11, v23
	v_fma_f32 v10, v10, v22, -v11
	v_mul_f32_e32 v11, v13, v25
	v_add_f32_e32 v10, v14, v10
	v_fma_f32 v11, v12, v24, -v11
	v_add_f32_e32 v10, v10, v11
	s_waitcnt vmcnt(0) lgkmcnt(1)
	v_mul_f32_e32 v31, v6, v27
	v_fmac_f32_e32 v31, v7, v26
	v_add_f32_e32 v30, v30, v31
	v_mul_f32_e32 v31, v8, v29
	v_fmac_f32_e32 v31, v9, v28
	v_add_f32_e32 v34, v30, v31
	scratch_load_dwordx4 v[30:33], off, off offset:240
	v_mul_f32_e32 v7, v7, v27
	v_fma_f32 v6, v6, v26, -v7
	v_mul_f32_e32 v7, v9, v29
	v_add_f32_e32 v6, v10, v6
	v_fma_f32 v7, v8, v28, -v7
	v_add_f32_e32 v6, v6, v7
	s_waitcnt vmcnt(0) lgkmcnt(0)
	v_mul_f32_e32 v35, v2, v31
	v_fmac_f32_e32 v35, v3, v30
	v_add_f32_e32 v34, v34, v35
	v_mul_f32_e32 v35, v4, v33
	v_fmac_f32_e32 v35, v5, v32
	v_add_f32_e32 v42, v34, v35
	ds_read_b128 v[34:37], v94 offset:768
	v_mul_f32_e32 v3, v3, v31
	v_fma_f32 v2, v2, v30, -v3
	v_mul_f32_e32 v3, v5, v33
	v_add_f32_e32 v2, v6, v2
	s_waitcnt lgkmcnt(0)
	v_mul_f32_e32 v43, v34, v39
	v_fmac_f32_e32 v43, v35, v38
	v_add_f32_e32 v42, v42, v43
	v_mul_f32_e32 v43, v36, v41
	v_fmac_f32_e32 v43, v37, v40
	v_add_f32_e32 v50, v42, v43
	ds_read_b128 v[42:45], v94 offset:784
	v_fma_f32 v3, v4, v32, -v3
	v_add_f32_e32 v2, v2, v3
	v_mul_f32_e32 v3, v35, v39
	v_fma_f32 v3, v34, v38, -v3
	s_waitcnt lgkmcnt(0)
	v_mul_f32_e32 v51, v42, v47
	v_fmac_f32_e32 v51, v43, v46
	v_add_f32_e32 v50, v50, v51
	v_mul_f32_e32 v51, v44, v49
	v_fmac_f32_e32 v51, v45, v48
	v_add_f32_e32 v58, v50, v51
	ds_read_b128 v[50:53], v94 offset:800
	v_add_f32_e32 v2, v2, v3
	v_mul_f32_e32 v3, v37, v41
	v_fma_f32 v3, v36, v40, -v3
	v_add_f32_e32 v2, v2, v3
	s_waitcnt lgkmcnt(0)
	v_mul_f32_e32 v59, v50, v55
	v_fmac_f32_e32 v59, v51, v54
	v_add_f32_e32 v58, v58, v59
	v_mul_f32_e32 v59, v52, v57
	v_fmac_f32_e32 v59, v53, v56
	v_add_f32_e32 v66, v58, v59
	ds_read_b128 v[58:61], v94 offset:816
	v_mul_f32_e32 v3, v43, v47
	v_fma_f32 v3, v42, v46, -v3
	v_add_f32_e32 v2, v2, v3
	v_mul_f32_e32 v3, v45, v49
	s_waitcnt lgkmcnt(0)
	v_mul_f32_e32 v67, v58, v63
	v_fmac_f32_e32 v67, v59, v62
	v_add_f32_e32 v66, v66, v67
	v_mul_f32_e32 v67, v60, v65
	v_fmac_f32_e32 v67, v61, v64
	v_add_f32_e32 v74, v66, v67
	ds_read_b128 v[66:69], v94 offset:832
	v_fma_f32 v3, v44, v48, -v3
	v_add_f32_e32 v2, v2, v3
	v_mul_f32_e32 v3, v51, v55
	v_fma_f32 v3, v50, v54, -v3
	s_waitcnt lgkmcnt(0)
	v_mul_f32_e32 v75, v66, v71
	v_fmac_f32_e32 v75, v67, v70
	v_add_f32_e32 v74, v74, v75
	v_mul_f32_e32 v75, v68, v73
	v_fmac_f32_e32 v75, v69, v72
	v_add_f32_e32 v82, v74, v75
	ds_read_b128 v[74:77], v94 offset:848
	v_add_f32_e32 v2, v2, v3
	v_mul_f32_e32 v3, v53, v57
	v_fma_f32 v3, v52, v56, -v3
	v_add_f32_e32 v2, v2, v3
	s_waitcnt lgkmcnt(0)
	v_mul_f32_e32 v83, v74, v79
	v_fmac_f32_e32 v83, v75, v78
	v_add_f32_e32 v82, v82, v83
	v_mul_f32_e32 v83, v76, v81
	v_fmac_f32_e32 v83, v77, v80
	v_add_f32_e32 v90, v82, v83
	ds_read_b128 v[82:85], v94 offset:864
	v_mul_f32_e32 v3, v59, v63
	v_fma_f32 v3, v58, v62, -v3
	v_add_f32_e32 v2, v2, v3
	v_mul_f32_e32 v3, v61, v65
	;; [unrolled: 36-line block ×3, first 2 shown]
	s_waitcnt lgkmcnt(0)
	v_mul_f32_e32 v116, v108, v113
	v_fmac_f32_e32 v116, v109, v112
	v_add_f32_e32 v95, v95, v116
	v_mul_f32_e32 v116, v110, v115
	v_fmac_f32_e32 v116, v111, v114
	v_add_f32_e32 v95, v95, v116
	ds_read_b128 v[116:119], v94 offset:928
	v_fma_f32 v3, v76, v80, -v3
	v_add_f32_e32 v2, v2, v3
	v_mul_f32_e32 v3, v83, v87
	v_fma_f32 v3, v82, v86, -v3
	s_waitcnt lgkmcnt(0)
	v_mul_f32_e32 v124, v116, v121
	v_fmac_f32_e32 v124, v117, v120
	v_add_f32_e32 v145, v95, v124
	ds_read_b128 v[124:127], v94 offset:944
	scratch_load_dwordx4 v[132:135], off, off offset:448
	scratch_load_dwordx4 v[136:139], off, off offset:464
	;; [unrolled: 1-line block ×3, first 2 shown]
	scratch_load_dwordx2 v[170:171], off, off offset:496
	v_add_f32_e32 v2, v2, v3
	v_mul_f32_e32 v3, v85, v89
	v_fma_f32 v3, v84, v88, -v3
	v_add_f32_e32 v2, v2, v3
	v_mul_f32_e32 v3, v91, v97
	v_fma_f32 v3, v90, v96, -v3
	;; [unrolled: 3-line block ×8, first 2 shown]
	v_add_f32_e32 v144, v2, v3
	v_mul_f32_e32 v2, v119, v123
	v_mul_f32_e32 v147, v118, v123
	v_fma_f32 v146, v118, v122, -v2
	s_waitcnt lgkmcnt(0)
	v_mul_f32_e32 v2, v125, v129
	v_fmac_f32_e32 v147, v119, v122
	v_mul_f32_e32 v149, v124, v129
	v_fma_f32 v148, v124, v128, -v2
	ds_read_b128 v[2:5], v94 offset:960
	ds_read_b128 v[6:9], v94 offset:976
	;; [unrolled: 1-line block ×3, first 2 shown]
	ds_read_b64 v[14:15], v94 offset:1008
	v_pk_mul_f32 v[18:19], v[126:127], v[18:19] op_sel:[1,0] op_sel_hi:[0,0]
	v_fmac_f32_e32 v149, v125, v128
	v_pk_add_f32 v[16:17], v[144:145], v[146:147]
	v_pk_fma_f32 v[20:21], v[126:127], v[130:131], v[18:19] neg_lo:[0,0,1] neg_hi:[0,0,1]
	v_pk_fma_f32 v[18:19], v[126:127], v[130:131], v[18:19] op_sel_hi:[1,0,1]
	v_pk_add_f32 v[16:17], v[16:17], v[148:149]
	v_mov_b32_e32 v21, v19
	v_pk_add_f32 v[16:17], v[16:17], v[20:21]
	s_waitcnt vmcnt(3) lgkmcnt(3)
	v_pk_mul_f32 v[18:19], v[2:3], v[132:133] op_sel:[1,1] op_sel_hi:[0,1]
	v_pk_fma_f32 v[20:21], v[2:3], v[132:133], v[18:19] neg_lo:[0,0,1] neg_hi:[0,0,1]
	v_pk_fma_f32 v[2:3], v[2:3], v[132:133], v[18:19] op_sel_hi:[1,0,1]
	s_nop 0
	v_mov_b32_e32 v21, v3
	v_pk_add_f32 v[2:3], v[16:17], v[20:21]
	v_mov_b32_e32 v16, v135
	v_pk_mul_f32 v[16:17], v[4:5], v[16:17] op_sel:[1,0] op_sel_hi:[0,0]
	v_pk_fma_f32 v[18:19], v[4:5], v[134:135], v[16:17] neg_lo:[0,0,1] neg_hi:[0,0,1]
	v_pk_fma_f32 v[4:5], v[4:5], v[134:135], v[16:17] op_sel_hi:[1,0,1]
	s_nop 0
	v_mov_b32_e32 v19, v5
	s_waitcnt vmcnt(2) lgkmcnt(2)
	v_pk_mul_f32 v[4:5], v[6:7], v[136:137] op_sel:[1,1] op_sel_hi:[0,1]
	v_pk_fma_f32 v[16:17], v[6:7], v[136:137], v[4:5] neg_lo:[0,0,1] neg_hi:[0,0,1]
	v_pk_fma_f32 v[4:5], v[6:7], v[136:137], v[4:5] op_sel_hi:[1,0,1]
	v_pk_add_f32 v[2:3], v[2:3], v[18:19]
	v_mov_b32_e32 v4, v139
	v_mov_b32_e32 v17, v5
	v_pk_mul_f32 v[4:5], v[8:9], v[4:5] op_sel:[1,0] op_sel_hi:[0,0]
	v_pk_fma_f32 v[6:7], v[8:9], v[138:139], v[4:5] neg_lo:[0,0,1] neg_hi:[0,0,1]
	v_pk_fma_f32 v[4:5], v[8:9], v[138:139], v[4:5] op_sel_hi:[1,0,1]
	v_pk_add_f32 v[2:3], v[2:3], v[16:17]
	v_mov_b32_e32 v7, v5
	s_waitcnt vmcnt(1) lgkmcnt(1)
	v_pk_mul_f32 v[4:5], v[10:11], v[140:141] op_sel:[1,1] op_sel_hi:[0,1]
	v_pk_add_f32 v[2:3], v[2:3], v[6:7]
	v_pk_fma_f32 v[6:7], v[10:11], v[140:141], v[4:5] neg_lo:[0,0,1] neg_hi:[0,0,1]
	v_pk_fma_f32 v[4:5], v[10:11], v[140:141], v[4:5] op_sel_hi:[1,0,1]
	s_nop 0
	v_mov_b32_e32 v4, v143
	v_mov_b32_e32 v7, v5
	v_pk_mul_f32 v[4:5], v[12:13], v[4:5] op_sel:[1,0] op_sel_hi:[0,0]
	v_pk_add_f32 v[2:3], v[2:3], v[6:7]
	v_pk_fma_f32 v[6:7], v[12:13], v[142:143], v[4:5] neg_lo:[0,0,1] neg_hi:[0,0,1]
	v_pk_fma_f32 v[4:5], v[12:13], v[142:143], v[4:5] op_sel_hi:[1,0,1]
	s_nop 0
	v_mov_b32_e32 v7, v5
	s_waitcnt vmcnt(0) lgkmcnt(0)
	v_pk_mul_f32 v[4:5], v[14:15], v[170:171] op_sel:[1,1] op_sel_hi:[0,1]
	v_pk_add_f32 v[2:3], v[2:3], v[6:7]
	v_pk_fma_f32 v[6:7], v[14:15], v[170:171], v[4:5] neg_lo:[0,0,1] neg_hi:[0,0,1]
	v_pk_fma_f32 v[4:5], v[14:15], v[170:171], v[4:5] op_sel_hi:[1,0,1]
	s_nop 0
	v_mov_b32_e32 v7, v5
	scratch_load_dwordx2 v[4:5], off, off offset:184
	v_pk_add_f32 v[2:3], v[2:3], v[6:7]
	s_waitcnt vmcnt(0)
	v_pk_add_f32 v[2:3], v[4:5], v[2:3] neg_lo:[0,1] neg_hi:[0,1]
	scratch_store_dwordx2 off, v[2:3], off offset:184
	s_and_saveexec_b64 s[0:1], vcc
	s_cbranch_execz .LBB62_347
; %bb.346:
	scratch_load_dwordx2 v[2:3], off, off offset:176
	v_mov_b32_e32 v95, v94
	scratch_store_dwordx2 off, v[94:95], off offset:176
	s_waitcnt vmcnt(1)
	ds_write_b64 v1, v[2:3]
.LBB62_347:
	s_or_b64 exec, exec, s[0:1]
	s_waitcnt lgkmcnt(0)
	; wave barrier
	scratch_load_dwordx4 v[6:9], off, off offset:184
	scratch_load_dwordx4 v[14:17], off, off offset:200
	;; [unrolled: 1-line block ×10, first 2 shown]
	ds_read2_b64 v[2:5], v94 offset0:87 offset1:88
	scratch_load_dwordx4 v[86:89], off, off offset:344
	scratch_load_dwordx4 v[96:99], off, off offset:360
	;; [unrolled: 1-line block ×6, first 2 shown]
	v_cmp_lt_u32_e32 vcc, 21, v0
	s_waitcnt vmcnt(15) lgkmcnt(0)
	v_mul_f32_e32 v10, v2, v7
	v_fmac_f32_e32 v10, v3, v6
	v_mul_f32_e32 v11, v4, v9
	v_add_f32_e32 v10, 0, v10
	v_fmac_f32_e32 v11, v5, v8
	v_add_f32_e32 v18, v10, v11
	ds_read2_b64 v[10:13], v94 offset0:89 offset1:90
	v_mul_f32_e32 v3, v3, v7
	v_fma_f32 v2, v2, v6, -v3
	v_mul_f32_e32 v3, v5, v9
	v_add_f32_e32 v2, 0, v2
	s_waitcnt vmcnt(14) lgkmcnt(0)
	v_mul_f32_e32 v19, v10, v15
	v_fmac_f32_e32 v19, v11, v14
	v_add_f32_e32 v18, v18, v19
	v_mul_f32_e32 v19, v12, v17
	v_fmac_f32_e32 v19, v13, v16
	v_add_f32_e32 v26, v18, v19
	ds_read2_b64 v[18:21], v94 offset0:91 offset1:92
	v_fma_f32 v3, v4, v8, -v3
	v_add_f32_e32 v2, v2, v3
	v_mul_f32_e32 v3, v11, v15
	v_fma_f32 v3, v10, v14, -v3
	s_waitcnt vmcnt(13) lgkmcnt(0)
	v_mul_f32_e32 v27, v18, v23
	v_fmac_f32_e32 v27, v19, v22
	v_add_f32_e32 v26, v26, v27
	v_mul_f32_e32 v27, v20, v25
	v_fmac_f32_e32 v27, v21, v24
	v_add_f32_e32 v34, v26, v27
	ds_read2_b64 v[26:29], v94 offset0:93 offset1:94
	v_add_f32_e32 v2, v2, v3
	v_mul_f32_e32 v3, v13, v17
	v_fma_f32 v3, v12, v16, -v3
	v_add_f32_e32 v2, v2, v3
	s_waitcnt vmcnt(12) lgkmcnt(0)
	v_mul_f32_e32 v35, v26, v31
	v_fmac_f32_e32 v35, v27, v30
	v_add_f32_e32 v34, v34, v35
	v_mul_f32_e32 v35, v28, v33
	v_fmac_f32_e32 v35, v29, v32
	v_add_f32_e32 v42, v34, v35
	ds_read2_b64 v[34:37], v94 offset0:95 offset1:96
	v_mul_f32_e32 v3, v19, v23
	v_fma_f32 v3, v18, v22, -v3
	v_add_f32_e32 v2, v2, v3
	v_mul_f32_e32 v3, v21, v25
	s_waitcnt vmcnt(11) lgkmcnt(0)
	v_mul_f32_e32 v43, v34, v39
	v_fmac_f32_e32 v43, v35, v38
	v_add_f32_e32 v42, v42, v43
	v_mul_f32_e32 v43, v36, v41
	v_fmac_f32_e32 v43, v37, v40
	v_add_f32_e32 v50, v42, v43
	ds_read2_b64 v[42:45], v94 offset0:97 offset1:98
	v_fma_f32 v3, v20, v24, -v3
	v_add_f32_e32 v2, v2, v3
	v_mul_f32_e32 v3, v27, v31
	v_fma_f32 v3, v26, v30, -v3
	s_waitcnt vmcnt(10) lgkmcnt(0)
	v_mul_f32_e32 v51, v42, v47
	v_fmac_f32_e32 v51, v43, v46
	v_add_f32_e32 v50, v50, v51
	v_mul_f32_e32 v51, v44, v49
	v_fmac_f32_e32 v51, v45, v48
	v_add_f32_e32 v58, v50, v51
	ds_read2_b64 v[50:53], v94 offset0:99 offset1:100
	v_add_f32_e32 v2, v2, v3
	v_mul_f32_e32 v3, v29, v33
	v_fma_f32 v3, v28, v32, -v3
	v_add_f32_e32 v2, v2, v3
	s_waitcnt vmcnt(9) lgkmcnt(0)
	v_mul_f32_e32 v59, v50, v55
	v_fmac_f32_e32 v59, v51, v54
	v_add_f32_e32 v58, v58, v59
	v_mul_f32_e32 v59, v52, v57
	v_fmac_f32_e32 v59, v53, v56
	v_add_f32_e32 v66, v58, v59
	ds_read2_b64 v[58:61], v94 offset0:101 offset1:102
	v_mul_f32_e32 v3, v35, v39
	v_fma_f32 v3, v34, v38, -v3
	v_add_f32_e32 v2, v2, v3
	v_mul_f32_e32 v3, v37, v41
	;; [unrolled: 36-line block ×4, first 2 shown]
	s_waitcnt vmcnt(2) lgkmcnt(0)
	v_mul_f32_e32 v116, v108, v113
	v_fmac_f32_e32 v116, v109, v112
	v_add_f32_e32 v95, v95, v116
	v_mul_f32_e32 v116, v110, v115
	v_fmac_f32_e32 v116, v111, v114
	v_add_f32_e32 v95, v95, v116
	ds_read2_b64 v[116:119], v94 offset0:115 offset1:116
	v_fma_f32 v3, v68, v72, -v3
	v_add_f32_e32 v2, v2, v3
	v_mul_f32_e32 v3, v75, v79
	v_fma_f32 v3, v74, v78, -v3
	s_waitcnt vmcnt(1) lgkmcnt(0)
	v_mul_f32_e32 v124, v116, v121
	v_fmac_f32_e32 v124, v117, v120
	v_add_f32_e32 v95, v95, v124
	v_mul_f32_e32 v124, v118, v123
	v_fmac_f32_e32 v124, v119, v122
	v_add_f32_e32 v149, v95, v124
	ds_read2_b64 v[124:127], v94 offset0:117 offset1:118
	scratch_load_dwordx4 v[132:135], off, off offset:440
	scratch_load_dwordx4 v[136:139], off, off offset:456
	;; [unrolled: 1-line block ×4, first 2 shown]
	v_add_f32_e32 v2, v2, v3
	v_mul_f32_e32 v3, v77, v81
	v_fma_f32 v3, v76, v80, -v3
	v_add_f32_e32 v2, v2, v3
	v_mul_f32_e32 v3, v83, v87
	v_fma_f32 v3, v82, v86, -v3
	;; [unrolled: 3-line block ×11, first 2 shown]
	v_add_f32_e32 v148, v2, v3
	s_waitcnt vmcnt(4) lgkmcnt(0)
	v_mul_f32_e32 v2, v125, v129
	v_fma_f32 v170, v124, v128, -v2
	v_mul_f32_e32 v2, v127, v131
	v_fma_f32 v172, v126, v130, -v2
	ds_read2_b64 v[2:5], v94 offset0:119 offset1:120
	ds_read2_b64 v[6:9], v94 offset0:121 offset1:122
	;; [unrolled: 1-line block ×4, first 2 shown]
	v_mul_f32_e32 v171, v124, v129
	v_fmac_f32_e32 v171, v125, v128
	v_mul_f32_e32 v173, v126, v131
	v_fmac_f32_e32 v173, v127, v130
	v_pk_add_f32 v[18:19], v[148:149], v[170:171]
	s_waitcnt vmcnt(3) lgkmcnt(3)
	v_pk_mul_f32 v[20:21], v[2:3], v[132:133] op_sel:[1,1] op_sel_hi:[0,1]
	v_pk_fma_f32 v[22:23], v[2:3], v[132:133], v[20:21] neg_lo:[0,0,1] neg_hi:[0,0,1]
	v_pk_fma_f32 v[2:3], v[2:3], v[132:133], v[20:21] op_sel_hi:[1,0,1]
	v_pk_add_f32 v[18:19], v[18:19], v[172:173]
	v_mov_b32_e32 v23, v3
	v_pk_add_f32 v[2:3], v[18:19], v[22:23]
	v_mov_b32_e32 v18, v135
	v_pk_mul_f32 v[18:19], v[4:5], v[18:19] op_sel:[1,0] op_sel_hi:[0,0]
	v_pk_fma_f32 v[20:21], v[4:5], v[134:135], v[18:19] neg_lo:[0,0,1] neg_hi:[0,0,1]
	v_pk_fma_f32 v[4:5], v[4:5], v[134:135], v[18:19] op_sel_hi:[1,0,1]
	s_nop 0
	v_mov_b32_e32 v21, v5
	s_waitcnt vmcnt(2) lgkmcnt(2)
	v_pk_mul_f32 v[4:5], v[6:7], v[136:137] op_sel:[1,1] op_sel_hi:[0,1]
	v_pk_fma_f32 v[18:19], v[6:7], v[136:137], v[4:5] neg_lo:[0,0,1] neg_hi:[0,0,1]
	v_pk_fma_f32 v[4:5], v[6:7], v[136:137], v[4:5] op_sel_hi:[1,0,1]
	v_pk_add_f32 v[2:3], v[2:3], v[20:21]
	v_mov_b32_e32 v4, v139
	v_mov_b32_e32 v19, v5
	v_pk_mul_f32 v[4:5], v[8:9], v[4:5] op_sel:[1,0] op_sel_hi:[0,0]
	v_pk_fma_f32 v[6:7], v[8:9], v[138:139], v[4:5] neg_lo:[0,0,1] neg_hi:[0,0,1]
	v_pk_fma_f32 v[4:5], v[8:9], v[138:139], v[4:5] op_sel_hi:[1,0,1]
	v_pk_add_f32 v[2:3], v[2:3], v[18:19]
	v_mov_b32_e32 v7, v5
	s_waitcnt vmcnt(1) lgkmcnt(1)
	v_pk_mul_f32 v[4:5], v[10:11], v[140:141] op_sel:[1,1] op_sel_hi:[0,1]
	v_pk_add_f32 v[2:3], v[2:3], v[6:7]
	v_pk_fma_f32 v[6:7], v[10:11], v[140:141], v[4:5] neg_lo:[0,0,1] neg_hi:[0,0,1]
	v_pk_fma_f32 v[4:5], v[10:11], v[140:141], v[4:5] op_sel_hi:[1,0,1]
	s_nop 0
	v_mov_b32_e32 v4, v143
	v_mov_b32_e32 v7, v5
	v_pk_mul_f32 v[4:5], v[12:13], v[4:5] op_sel:[1,0] op_sel_hi:[0,0]
	v_pk_add_f32 v[2:3], v[2:3], v[6:7]
	v_pk_fma_f32 v[6:7], v[12:13], v[142:143], v[4:5] neg_lo:[0,0,1] neg_hi:[0,0,1]
	v_pk_fma_f32 v[4:5], v[12:13], v[142:143], v[4:5] op_sel_hi:[1,0,1]
	s_nop 0
	v_mov_b32_e32 v7, v5
	s_waitcnt vmcnt(0) lgkmcnt(0)
	v_pk_mul_f32 v[4:5], v[14:15], v[144:145] op_sel:[1,1] op_sel_hi:[0,1]
	v_pk_add_f32 v[2:3], v[2:3], v[6:7]
	v_pk_fma_f32 v[6:7], v[14:15], v[144:145], v[4:5] neg_lo:[0,0,1] neg_hi:[0,0,1]
	v_pk_fma_f32 v[4:5], v[14:15], v[144:145], v[4:5] op_sel_hi:[1,0,1]
	s_nop 0
	v_mov_b32_e32 v4, v147
	v_mov_b32_e32 v7, v5
	v_pk_mul_f32 v[4:5], v[16:17], v[4:5] op_sel:[1,0] op_sel_hi:[0,0]
	v_pk_add_f32 v[2:3], v[2:3], v[6:7]
	v_pk_fma_f32 v[6:7], v[16:17], v[146:147], v[4:5] neg_lo:[0,0,1] neg_hi:[0,0,1]
	v_pk_fma_f32 v[4:5], v[16:17], v[146:147], v[4:5] op_sel_hi:[1,0,1]
	s_nop 0
	v_mov_b32_e32 v7, v5
	scratch_load_dwordx2 v[4:5], off, off offset:176
	v_pk_add_f32 v[2:3], v[2:3], v[6:7]
	s_waitcnt vmcnt(0)
	v_pk_add_f32 v[2:3], v[4:5], v[2:3] neg_lo:[0,1] neg_hi:[0,1]
	scratch_store_dwordx2 off, v[2:3], off offset:176
	s_and_saveexec_b64 s[0:1], vcc
	s_cbranch_execz .LBB62_349
; %bb.348:
	scratch_load_dwordx2 v[2:3], off, off offset:168
	v_mov_b32_e32 v4, 0
	v_mov_b32_e32 v5, v4
	scratch_store_dwordx2 off, v[4:5], off offset:168
	s_waitcnt vmcnt(1)
	ds_write_b64 v1, v[2:3]
.LBB62_349:
	s_or_b64 exec, exec, s[0:1]
	v_mov_b32_e32 v102, 0
	s_waitcnt lgkmcnt(0)
	; wave barrier
	ds_read_b128 v[14:17], v102 offset:688
	ds_read_b128 v[10:13], v102 offset:704
	;; [unrolled: 1-line block ×4, first 2 shown]
	scratch_load_dwordx4 v[18:21], off, off offset:176
	scratch_load_dwordx4 v[38:41], off, off offset:240
	;; [unrolled: 1-line block ×11, first 2 shown]
	v_cmp_lt_u32_e32 vcc, 20, v0
	scratch_load_dwordx4 v[46:49], off, off offset:256
	scratch_load_dwordx4 v[54:57], off, off offset:272
	;; [unrolled: 1-line block ×3, first 2 shown]
	s_waitcnt vmcnt(13) lgkmcnt(3)
	v_mul_f32_e32 v22, v14, v19
	v_fmac_f32_e32 v22, v15, v18
	v_mul_f32_e32 v23, v16, v21
	v_add_f32_e32 v22, 0, v22
	v_fmac_f32_e32 v23, v17, v20
	v_add_f32_e32 v26, v22, v23
	scratch_load_dwordx4 v[22:25], off, off offset:192
	v_mul_f32_e32 v15, v15, v19
	v_fma_f32 v14, v14, v18, -v15
	v_mul_f32_e32 v15, v17, v21
	v_add_f32_e32 v14, 0, v14
	v_fma_f32 v15, v16, v20, -v15
	v_add_f32_e32 v14, v14, v15
	s_waitcnt vmcnt(4)
	v_mov_b32_e32 v18, v139
	s_waitcnt vmcnt(0) lgkmcnt(2)
	v_mul_f32_e32 v27, v10, v23
	v_fmac_f32_e32 v27, v11, v22
	v_add_f32_e32 v26, v26, v27
	v_mul_f32_e32 v27, v12, v25
	v_fmac_f32_e32 v27, v13, v24
	v_add_f32_e32 v30, v26, v27
	scratch_load_dwordx4 v[26:29], off, off offset:208
	v_mul_f32_e32 v11, v11, v23
	v_fma_f32 v10, v10, v22, -v11
	v_mul_f32_e32 v11, v13, v25
	v_add_f32_e32 v10, v14, v10
	v_fma_f32 v11, v12, v24, -v11
	v_add_f32_e32 v10, v10, v11
	s_waitcnt vmcnt(0) lgkmcnt(1)
	v_mul_f32_e32 v31, v6, v27
	v_fmac_f32_e32 v31, v7, v26
	v_add_f32_e32 v30, v30, v31
	v_mul_f32_e32 v31, v8, v29
	v_fmac_f32_e32 v31, v9, v28
	v_add_f32_e32 v34, v30, v31
	scratch_load_dwordx4 v[30:33], off, off offset:224
	v_mul_f32_e32 v7, v7, v27
	v_fma_f32 v6, v6, v26, -v7
	v_mul_f32_e32 v7, v9, v29
	v_add_f32_e32 v6, v10, v6
	v_fma_f32 v7, v8, v28, -v7
	v_add_f32_e32 v6, v6, v7
	s_waitcnt vmcnt(0) lgkmcnt(0)
	v_mul_f32_e32 v35, v2, v31
	v_fmac_f32_e32 v35, v3, v30
	v_add_f32_e32 v34, v34, v35
	v_mul_f32_e32 v35, v4, v33
	v_fmac_f32_e32 v35, v5, v32
	v_add_f32_e32 v42, v34, v35
	ds_read_b128 v[34:37], v102 offset:752
	v_mul_f32_e32 v3, v3, v31
	v_fma_f32 v2, v2, v30, -v3
	v_mul_f32_e32 v3, v5, v33
	v_add_f32_e32 v2, v6, v2
	s_waitcnt lgkmcnt(0)
	v_mul_f32_e32 v43, v34, v39
	v_fmac_f32_e32 v43, v35, v38
	v_add_f32_e32 v42, v42, v43
	v_mul_f32_e32 v43, v36, v41
	v_fmac_f32_e32 v43, v37, v40
	v_add_f32_e32 v50, v42, v43
	ds_read_b128 v[42:45], v102 offset:768
	v_fma_f32 v3, v4, v32, -v3
	v_add_f32_e32 v2, v2, v3
	v_mul_f32_e32 v3, v35, v39
	v_fma_f32 v3, v34, v38, -v3
	s_waitcnt lgkmcnt(0)
	v_mul_f32_e32 v51, v42, v47
	v_fmac_f32_e32 v51, v43, v46
	v_add_f32_e32 v50, v50, v51
	v_mul_f32_e32 v51, v44, v49
	v_fmac_f32_e32 v51, v45, v48
	v_add_f32_e32 v58, v50, v51
	ds_read_b128 v[50:53], v102 offset:784
	v_add_f32_e32 v2, v2, v3
	v_mul_f32_e32 v3, v37, v41
	v_fma_f32 v3, v36, v40, -v3
	v_add_f32_e32 v2, v2, v3
	s_waitcnt lgkmcnt(0)
	v_mul_f32_e32 v59, v50, v55
	v_fmac_f32_e32 v59, v51, v54
	v_add_f32_e32 v58, v58, v59
	v_mul_f32_e32 v59, v52, v57
	v_fmac_f32_e32 v59, v53, v56
	v_add_f32_e32 v66, v58, v59
	ds_read_b128 v[58:61], v102 offset:800
	v_mul_f32_e32 v3, v43, v47
	v_fma_f32 v3, v42, v46, -v3
	v_add_f32_e32 v2, v2, v3
	v_mul_f32_e32 v3, v45, v49
	s_waitcnt lgkmcnt(0)
	v_mul_f32_e32 v67, v58, v63
	v_fmac_f32_e32 v67, v59, v62
	v_add_f32_e32 v66, v66, v67
	v_mul_f32_e32 v67, v60, v65
	v_fmac_f32_e32 v67, v61, v64
	v_add_f32_e32 v74, v66, v67
	ds_read_b128 v[66:69], v102 offset:816
	v_fma_f32 v3, v44, v48, -v3
	v_add_f32_e32 v2, v2, v3
	v_mul_f32_e32 v3, v51, v55
	v_fma_f32 v3, v50, v54, -v3
	s_waitcnt lgkmcnt(0)
	v_mul_f32_e32 v75, v66, v71
	v_fmac_f32_e32 v75, v67, v70
	v_add_f32_e32 v74, v74, v75
	v_mul_f32_e32 v75, v68, v73
	v_fmac_f32_e32 v75, v69, v72
	v_add_f32_e32 v82, v74, v75
	ds_read_b128 v[74:77], v102 offset:832
	v_add_f32_e32 v2, v2, v3
	v_mul_f32_e32 v3, v53, v57
	v_fma_f32 v3, v52, v56, -v3
	v_add_f32_e32 v2, v2, v3
	s_waitcnt lgkmcnt(0)
	v_mul_f32_e32 v83, v74, v79
	v_fmac_f32_e32 v83, v75, v78
	v_add_f32_e32 v82, v82, v83
	v_mul_f32_e32 v83, v76, v81
	v_fmac_f32_e32 v83, v77, v80
	v_add_f32_e32 v90, v82, v83
	ds_read_b128 v[82:85], v102 offset:848
	v_mul_f32_e32 v3, v59, v63
	v_fma_f32 v3, v58, v62, -v3
	v_add_f32_e32 v2, v2, v3
	v_mul_f32_e32 v3, v61, v65
	;; [unrolled: 36-line block ×3, first 2 shown]
	s_waitcnt lgkmcnt(0)
	v_mul_f32_e32 v116, v108, v113
	v_fmac_f32_e32 v116, v109, v112
	v_add_f32_e32 v103, v103, v116
	v_mul_f32_e32 v116, v110, v115
	v_fmac_f32_e32 v116, v111, v114
	v_add_f32_e32 v103, v103, v116
	ds_read_b128 v[116:119], v102 offset:912
	v_fma_f32 v3, v76, v80, -v3
	v_add_f32_e32 v2, v2, v3
	v_mul_f32_e32 v3, v83, v87
	v_fma_f32 v3, v82, v86, -v3
	s_waitcnt lgkmcnt(0)
	v_mul_f32_e32 v124, v116, v121
	v_fmac_f32_e32 v124, v117, v120
	v_add_f32_e32 v103, v103, v124
	v_mul_f32_e32 v124, v118, v123
	v_fmac_f32_e32 v124, v119, v122
	v_add_f32_e32 v103, v103, v124
	ds_read_b128 v[124:127], v102 offset:928
	v_add_f32_e32 v2, v2, v3
	v_mul_f32_e32 v3, v85, v89
	v_fma_f32 v3, v84, v88, -v3
	v_add_f32_e32 v2, v2, v3
	s_waitcnt lgkmcnt(0)
	v_mul_f32_e32 v132, v124, v129
	v_fmac_f32_e32 v132, v125, v128
	v_add_f32_e32 v149, v103, v132
	ds_read_b128 v[132:135], v102 offset:944
	scratch_load_dwordx4 v[140:143], off, off offset:448
	scratch_load_dwordx4 v[144:147], off, off offset:464
	;; [unrolled: 1-line block ×3, first 2 shown]
	scratch_load_dwordx2 v[178:179], off, off offset:496
	v_mul_f32_e32 v3, v91, v95
	v_fma_f32 v3, v90, v94, -v3
	v_add_f32_e32 v2, v2, v3
	v_mul_f32_e32 v3, v93, v97
	v_fma_f32 v3, v92, v96, -v3
	v_add_f32_e32 v2, v2, v3
	;; [unrolled: 3-line block ×9, first 2 shown]
	v_mul_f32_e32 v2, v127, v131
	v_mul_f32_e32 v175, v126, v131
	v_fma_f32 v174, v126, v130, -v2
	s_waitcnt lgkmcnt(0)
	v_mul_f32_e32 v2, v133, v137
	v_fmac_f32_e32 v175, v127, v130
	v_mul_f32_e32 v177, v132, v137
	v_fma_f32 v176, v132, v136, -v2
	ds_read_b128 v[2:5], v102 offset:960
	ds_read_b128 v[6:9], v102 offset:976
	;; [unrolled: 1-line block ×3, first 2 shown]
	ds_read_b64 v[14:15], v102 offset:1008
	v_pk_mul_f32 v[18:19], v[134:135], v[18:19] op_sel:[1,0] op_sel_hi:[0,0]
	v_fmac_f32_e32 v177, v133, v136
	v_pk_add_f32 v[16:17], v[148:149], v[174:175]
	v_pk_fma_f32 v[20:21], v[134:135], v[138:139], v[18:19] neg_lo:[0,0,1] neg_hi:[0,0,1]
	v_pk_fma_f32 v[18:19], v[134:135], v[138:139], v[18:19] op_sel_hi:[1,0,1]
	v_pk_add_f32 v[16:17], v[16:17], v[176:177]
	v_mov_b32_e32 v21, v19
	v_pk_add_f32 v[16:17], v[16:17], v[20:21]
	s_waitcnt vmcnt(3) lgkmcnt(3)
	v_pk_mul_f32 v[18:19], v[2:3], v[140:141] op_sel:[1,1] op_sel_hi:[0,1]
	v_pk_fma_f32 v[20:21], v[2:3], v[140:141], v[18:19] neg_lo:[0,0,1] neg_hi:[0,0,1]
	v_pk_fma_f32 v[2:3], v[2:3], v[140:141], v[18:19] op_sel_hi:[1,0,1]
	s_nop 0
	v_mov_b32_e32 v21, v3
	v_pk_add_f32 v[2:3], v[16:17], v[20:21]
	v_mov_b32_e32 v16, v143
	v_pk_mul_f32 v[16:17], v[4:5], v[16:17] op_sel:[1,0] op_sel_hi:[0,0]
	v_pk_fma_f32 v[18:19], v[4:5], v[142:143], v[16:17] neg_lo:[0,0,1] neg_hi:[0,0,1]
	v_pk_fma_f32 v[4:5], v[4:5], v[142:143], v[16:17] op_sel_hi:[1,0,1]
	s_nop 0
	v_mov_b32_e32 v19, v5
	s_waitcnt vmcnt(2) lgkmcnt(2)
	v_pk_mul_f32 v[4:5], v[6:7], v[144:145] op_sel:[1,1] op_sel_hi:[0,1]
	v_pk_fma_f32 v[16:17], v[6:7], v[144:145], v[4:5] neg_lo:[0,0,1] neg_hi:[0,0,1]
	v_pk_fma_f32 v[4:5], v[6:7], v[144:145], v[4:5] op_sel_hi:[1,0,1]
	v_pk_add_f32 v[2:3], v[2:3], v[18:19]
	v_mov_b32_e32 v4, v147
	v_mov_b32_e32 v17, v5
	v_pk_mul_f32 v[4:5], v[8:9], v[4:5] op_sel:[1,0] op_sel_hi:[0,0]
	v_pk_fma_f32 v[6:7], v[8:9], v[146:147], v[4:5] neg_lo:[0,0,1] neg_hi:[0,0,1]
	v_pk_fma_f32 v[4:5], v[8:9], v[146:147], v[4:5] op_sel_hi:[1,0,1]
	v_pk_add_f32 v[2:3], v[2:3], v[16:17]
	v_mov_b32_e32 v7, v5
	s_waitcnt vmcnt(1) lgkmcnt(1)
	v_pk_mul_f32 v[4:5], v[10:11], v[170:171] op_sel:[1,1] op_sel_hi:[0,1]
	v_pk_add_f32 v[2:3], v[2:3], v[6:7]
	v_pk_fma_f32 v[6:7], v[10:11], v[170:171], v[4:5] neg_lo:[0,0,1] neg_hi:[0,0,1]
	v_pk_fma_f32 v[4:5], v[10:11], v[170:171], v[4:5] op_sel_hi:[1,0,1]
	s_nop 0
	v_mov_b32_e32 v4, v173
	v_mov_b32_e32 v7, v5
	v_pk_mul_f32 v[4:5], v[12:13], v[4:5] op_sel:[1,0] op_sel_hi:[0,0]
	v_pk_add_f32 v[2:3], v[2:3], v[6:7]
	v_pk_fma_f32 v[6:7], v[12:13], v[172:173], v[4:5] neg_lo:[0,0,1] neg_hi:[0,0,1]
	v_pk_fma_f32 v[4:5], v[12:13], v[172:173], v[4:5] op_sel_hi:[1,0,1]
	s_nop 0
	v_mov_b32_e32 v7, v5
	s_waitcnt vmcnt(0) lgkmcnt(0)
	v_pk_mul_f32 v[4:5], v[14:15], v[178:179] op_sel:[1,1] op_sel_hi:[0,1]
	v_pk_add_f32 v[2:3], v[2:3], v[6:7]
	v_pk_fma_f32 v[6:7], v[14:15], v[178:179], v[4:5] neg_lo:[0,0,1] neg_hi:[0,0,1]
	v_pk_fma_f32 v[4:5], v[14:15], v[178:179], v[4:5] op_sel_hi:[1,0,1]
	s_nop 0
	v_mov_b32_e32 v7, v5
	scratch_load_dwordx2 v[4:5], off, off offset:168
	v_pk_add_f32 v[2:3], v[2:3], v[6:7]
	s_waitcnt vmcnt(0)
	v_pk_add_f32 v[2:3], v[4:5], v[2:3] neg_lo:[0,1] neg_hi:[0,1]
	scratch_store_dwordx2 off, v[2:3], off offset:168
	s_and_saveexec_b64 s[0:1], vcc
	s_cbranch_execz .LBB62_351
; %bb.350:
	scratch_load_dwordx2 v[2:3], off, off offset:160
	v_mov_b32_e32 v103, v102
	scratch_store_dwordx2 off, v[102:103], off offset:160
	s_waitcnt vmcnt(1)
	ds_write_b64 v1, v[2:3]
.LBB62_351:
	s_or_b64 exec, exec, s[0:1]
	s_waitcnt lgkmcnt(0)
	; wave barrier
	scratch_load_dwordx4 v[6:9], off, off offset:168
	scratch_load_dwordx4 v[14:17], off, off offset:184
	;; [unrolled: 1-line block ×10, first 2 shown]
	ds_read2_b64 v[2:5], v102 offset0:85 offset1:86
	scratch_load_dwordx4 v[86:89], off, off offset:328
	scratch_load_dwordx4 v[94:97], off, off offset:344
	;; [unrolled: 1-line block ×7, first 2 shown]
	v_cmp_lt_u32_e32 vcc, 19, v0
	s_waitcnt vmcnt(16) lgkmcnt(0)
	v_mul_f32_e32 v10, v2, v7
	v_fmac_f32_e32 v10, v3, v6
	v_mul_f32_e32 v11, v4, v9
	v_add_f32_e32 v10, 0, v10
	v_fmac_f32_e32 v11, v5, v8
	v_add_f32_e32 v18, v10, v11
	ds_read2_b64 v[10:13], v102 offset0:87 offset1:88
	v_mul_f32_e32 v3, v3, v7
	v_fma_f32 v2, v2, v6, -v3
	v_mul_f32_e32 v3, v5, v9
	v_add_f32_e32 v2, 0, v2
	s_waitcnt vmcnt(15) lgkmcnt(0)
	v_mul_f32_e32 v19, v10, v15
	v_fmac_f32_e32 v19, v11, v14
	v_add_f32_e32 v18, v18, v19
	v_mul_f32_e32 v19, v12, v17
	v_fmac_f32_e32 v19, v13, v16
	v_add_f32_e32 v26, v18, v19
	ds_read2_b64 v[18:21], v102 offset0:89 offset1:90
	v_fma_f32 v3, v4, v8, -v3
	v_add_f32_e32 v2, v2, v3
	v_mul_f32_e32 v3, v11, v15
	v_fma_f32 v3, v10, v14, -v3
	s_waitcnt vmcnt(14) lgkmcnt(0)
	v_mul_f32_e32 v27, v18, v23
	v_fmac_f32_e32 v27, v19, v22
	v_add_f32_e32 v26, v26, v27
	v_mul_f32_e32 v27, v20, v25
	v_fmac_f32_e32 v27, v21, v24
	v_add_f32_e32 v34, v26, v27
	ds_read2_b64 v[26:29], v102 offset0:91 offset1:92
	v_add_f32_e32 v2, v2, v3
	v_mul_f32_e32 v3, v13, v17
	v_fma_f32 v3, v12, v16, -v3
	v_add_f32_e32 v2, v2, v3
	s_waitcnt vmcnt(13) lgkmcnt(0)
	v_mul_f32_e32 v35, v26, v31
	v_fmac_f32_e32 v35, v27, v30
	v_add_f32_e32 v34, v34, v35
	v_mul_f32_e32 v35, v28, v33
	v_fmac_f32_e32 v35, v29, v32
	v_add_f32_e32 v42, v34, v35
	ds_read2_b64 v[34:37], v102 offset0:93 offset1:94
	v_mul_f32_e32 v3, v19, v23
	v_fma_f32 v3, v18, v22, -v3
	v_add_f32_e32 v2, v2, v3
	v_mul_f32_e32 v3, v21, v25
	s_waitcnt vmcnt(12) lgkmcnt(0)
	v_mul_f32_e32 v43, v34, v39
	v_fmac_f32_e32 v43, v35, v38
	v_add_f32_e32 v42, v42, v43
	v_mul_f32_e32 v43, v36, v41
	v_fmac_f32_e32 v43, v37, v40
	v_add_f32_e32 v50, v42, v43
	ds_read2_b64 v[42:45], v102 offset0:95 offset1:96
	v_fma_f32 v3, v20, v24, -v3
	v_add_f32_e32 v2, v2, v3
	v_mul_f32_e32 v3, v27, v31
	v_fma_f32 v3, v26, v30, -v3
	s_waitcnt vmcnt(11) lgkmcnt(0)
	v_mul_f32_e32 v51, v42, v47
	v_fmac_f32_e32 v51, v43, v46
	v_add_f32_e32 v50, v50, v51
	v_mul_f32_e32 v51, v44, v49
	v_fmac_f32_e32 v51, v45, v48
	v_add_f32_e32 v58, v50, v51
	ds_read2_b64 v[50:53], v102 offset0:97 offset1:98
	v_add_f32_e32 v2, v2, v3
	v_mul_f32_e32 v3, v29, v33
	v_fma_f32 v3, v28, v32, -v3
	v_add_f32_e32 v2, v2, v3
	s_waitcnt vmcnt(10) lgkmcnt(0)
	v_mul_f32_e32 v59, v50, v55
	v_fmac_f32_e32 v59, v51, v54
	v_add_f32_e32 v58, v58, v59
	v_mul_f32_e32 v59, v52, v57
	v_fmac_f32_e32 v59, v53, v56
	v_add_f32_e32 v66, v58, v59
	ds_read2_b64 v[58:61], v102 offset0:99 offset1:100
	v_mul_f32_e32 v3, v35, v39
	v_fma_f32 v3, v34, v38, -v3
	v_add_f32_e32 v2, v2, v3
	v_mul_f32_e32 v3, v37, v41
	;; [unrolled: 36-line block ×4, first 2 shown]
	s_waitcnt vmcnt(3) lgkmcnt(0)
	v_mul_f32_e32 v116, v108, v113
	v_fmac_f32_e32 v116, v109, v112
	v_add_f32_e32 v103, v103, v116
	v_mul_f32_e32 v116, v110, v115
	v_fmac_f32_e32 v116, v111, v114
	v_add_f32_e32 v103, v103, v116
	ds_read2_b64 v[116:119], v102 offset0:113 offset1:114
	v_fma_f32 v3, v68, v72, -v3
	v_add_f32_e32 v2, v2, v3
	v_mul_f32_e32 v3, v75, v79
	v_fma_f32 v3, v74, v78, -v3
	s_waitcnt vmcnt(2) lgkmcnt(0)
	v_mul_f32_e32 v124, v116, v121
	v_fmac_f32_e32 v124, v117, v120
	v_add_f32_e32 v103, v103, v124
	v_mul_f32_e32 v124, v118, v123
	v_fmac_f32_e32 v124, v119, v122
	v_add_f32_e32 v103, v103, v124
	ds_read2_b64 v[124:127], v102 offset0:115 offset1:116
	v_add_f32_e32 v2, v2, v3
	v_mul_f32_e32 v3, v77, v81
	v_fma_f32 v3, v76, v80, -v3
	v_add_f32_e32 v2, v2, v3
	s_waitcnt vmcnt(1) lgkmcnt(0)
	v_mul_f32_e32 v132, v124, v129
	v_fmac_f32_e32 v132, v125, v128
	v_add_f32_e32 v103, v103, v132
	v_mul_f32_e32 v132, v126, v131
	v_fmac_f32_e32 v132, v127, v130
	v_add_f32_e32 v149, v103, v132
	ds_read2_b64 v[132:135], v102 offset0:117 offset1:118
	scratch_load_dwordx4 v[140:143], off, off offset:440
	scratch_load_dwordx4 v[144:147], off, off offset:456
	;; [unrolled: 1-line block ×4, first 2 shown]
	v_mul_f32_e32 v3, v83, v87
	v_fma_f32 v3, v82, v86, -v3
	v_add_f32_e32 v2, v2, v3
	v_mul_f32_e32 v3, v85, v89
	v_fma_f32 v3, v84, v88, -v3
	v_add_f32_e32 v2, v2, v3
	;; [unrolled: 3-line block ×12, first 2 shown]
	s_waitcnt vmcnt(4) lgkmcnt(0)
	v_mul_f32_e32 v2, v133, v137
	v_fma_f32 v178, v132, v136, -v2
	v_mul_f32_e32 v2, v135, v139
	v_fma_f32 v180, v134, v138, -v2
	ds_read2_b64 v[2:5], v102 offset0:119 offset1:120
	ds_read2_b64 v[6:9], v102 offset0:121 offset1:122
	;; [unrolled: 1-line block ×4, first 2 shown]
	v_mul_f32_e32 v179, v132, v137
	v_fmac_f32_e32 v179, v133, v136
	v_mul_f32_e32 v181, v134, v139
	v_fmac_f32_e32 v181, v135, v138
	v_pk_add_f32 v[18:19], v[148:149], v[178:179]
	s_waitcnt vmcnt(3) lgkmcnt(3)
	v_pk_mul_f32 v[20:21], v[2:3], v[140:141] op_sel:[1,1] op_sel_hi:[0,1]
	v_pk_fma_f32 v[22:23], v[2:3], v[140:141], v[20:21] neg_lo:[0,0,1] neg_hi:[0,0,1]
	v_pk_fma_f32 v[2:3], v[2:3], v[140:141], v[20:21] op_sel_hi:[1,0,1]
	v_pk_add_f32 v[18:19], v[18:19], v[180:181]
	v_mov_b32_e32 v23, v3
	v_pk_add_f32 v[2:3], v[18:19], v[22:23]
	v_mov_b32_e32 v18, v143
	v_pk_mul_f32 v[18:19], v[4:5], v[18:19] op_sel:[1,0] op_sel_hi:[0,0]
	v_pk_fma_f32 v[20:21], v[4:5], v[142:143], v[18:19] neg_lo:[0,0,1] neg_hi:[0,0,1]
	v_pk_fma_f32 v[4:5], v[4:5], v[142:143], v[18:19] op_sel_hi:[1,0,1]
	s_nop 0
	v_mov_b32_e32 v21, v5
	s_waitcnt vmcnt(2) lgkmcnt(2)
	v_pk_mul_f32 v[4:5], v[6:7], v[144:145] op_sel:[1,1] op_sel_hi:[0,1]
	v_pk_fma_f32 v[18:19], v[6:7], v[144:145], v[4:5] neg_lo:[0,0,1] neg_hi:[0,0,1]
	v_pk_fma_f32 v[4:5], v[6:7], v[144:145], v[4:5] op_sel_hi:[1,0,1]
	v_pk_add_f32 v[2:3], v[2:3], v[20:21]
	v_mov_b32_e32 v4, v147
	v_mov_b32_e32 v19, v5
	v_pk_mul_f32 v[4:5], v[8:9], v[4:5] op_sel:[1,0] op_sel_hi:[0,0]
	v_pk_fma_f32 v[6:7], v[8:9], v[146:147], v[4:5] neg_lo:[0,0,1] neg_hi:[0,0,1]
	v_pk_fma_f32 v[4:5], v[8:9], v[146:147], v[4:5] op_sel_hi:[1,0,1]
	v_pk_add_f32 v[2:3], v[2:3], v[18:19]
	v_mov_b32_e32 v7, v5
	s_waitcnt vmcnt(1) lgkmcnt(1)
	v_pk_mul_f32 v[4:5], v[10:11], v[170:171] op_sel:[1,1] op_sel_hi:[0,1]
	v_pk_add_f32 v[2:3], v[2:3], v[6:7]
	v_pk_fma_f32 v[6:7], v[10:11], v[170:171], v[4:5] neg_lo:[0,0,1] neg_hi:[0,0,1]
	v_pk_fma_f32 v[4:5], v[10:11], v[170:171], v[4:5] op_sel_hi:[1,0,1]
	s_nop 0
	v_mov_b32_e32 v4, v173
	v_mov_b32_e32 v7, v5
	v_pk_mul_f32 v[4:5], v[12:13], v[4:5] op_sel:[1,0] op_sel_hi:[0,0]
	v_pk_add_f32 v[2:3], v[2:3], v[6:7]
	v_pk_fma_f32 v[6:7], v[12:13], v[172:173], v[4:5] neg_lo:[0,0,1] neg_hi:[0,0,1]
	v_pk_fma_f32 v[4:5], v[12:13], v[172:173], v[4:5] op_sel_hi:[1,0,1]
	s_nop 0
	v_mov_b32_e32 v7, v5
	s_waitcnt vmcnt(0) lgkmcnt(0)
	v_pk_mul_f32 v[4:5], v[14:15], v[174:175] op_sel:[1,1] op_sel_hi:[0,1]
	v_pk_add_f32 v[2:3], v[2:3], v[6:7]
	v_pk_fma_f32 v[6:7], v[14:15], v[174:175], v[4:5] neg_lo:[0,0,1] neg_hi:[0,0,1]
	v_pk_fma_f32 v[4:5], v[14:15], v[174:175], v[4:5] op_sel_hi:[1,0,1]
	s_nop 0
	v_mov_b32_e32 v4, v177
	v_mov_b32_e32 v7, v5
	v_pk_mul_f32 v[4:5], v[16:17], v[4:5] op_sel:[1,0] op_sel_hi:[0,0]
	v_pk_add_f32 v[2:3], v[2:3], v[6:7]
	v_pk_fma_f32 v[6:7], v[16:17], v[176:177], v[4:5] neg_lo:[0,0,1] neg_hi:[0,0,1]
	v_pk_fma_f32 v[4:5], v[16:17], v[176:177], v[4:5] op_sel_hi:[1,0,1]
	s_nop 0
	v_mov_b32_e32 v7, v5
	scratch_load_dwordx2 v[4:5], off, off offset:160
	v_pk_add_f32 v[2:3], v[2:3], v[6:7]
	s_waitcnt vmcnt(0)
	v_pk_add_f32 v[2:3], v[4:5], v[2:3] neg_lo:[0,1] neg_hi:[0,1]
	scratch_store_dwordx2 off, v[2:3], off offset:160
	s_and_saveexec_b64 s[0:1], vcc
	s_cbranch_execz .LBB62_353
; %bb.352:
	scratch_load_dwordx2 v[2:3], off, off offset:152
	v_mov_b32_e32 v4, 0
	v_mov_b32_e32 v5, v4
	scratch_store_dwordx2 off, v[4:5], off offset:152
	s_waitcnt vmcnt(1)
	ds_write_b64 v1, v[2:3]
.LBB62_353:
	s_or_b64 exec, exec, s[0:1]
	v_mov_b32_e32 v102, 0
	s_waitcnt lgkmcnt(0)
	; wave barrier
	ds_read_b128 v[14:17], v102 offset:672
	ds_read_b128 v[10:13], v102 offset:688
	;; [unrolled: 1-line block ×4, first 2 shown]
	scratch_load_dwordx4 v[18:21], off, off offset:160
	scratch_load_dwordx4 v[38:41], off, off offset:224
	;; [unrolled: 1-line block ×12, first 2 shown]
	v_cmp_lt_u32_e32 vcc, 18, v0
	scratch_load_dwordx4 v[46:49], off, off offset:240
	scratch_load_dwordx4 v[54:57], off, off offset:256
	;; [unrolled: 1-line block ×3, first 2 shown]
	s_waitcnt vmcnt(14) lgkmcnt(3)
	v_mul_f32_e32 v22, v14, v19
	v_fmac_f32_e32 v22, v15, v18
	v_mul_f32_e32 v23, v16, v21
	v_add_f32_e32 v22, 0, v22
	v_fmac_f32_e32 v23, v17, v20
	v_add_f32_e32 v26, v22, v23
	scratch_load_dwordx4 v[22:25], off, off offset:176
	v_mul_f32_e32 v15, v15, v19
	v_fma_f32 v14, v14, v18, -v15
	v_mul_f32_e32 v15, v17, v21
	v_add_f32_e32 v14, 0, v14
	v_fma_f32 v15, v16, v20, -v15
	v_add_f32_e32 v14, v14, v15
	s_waitcnt vmcnt(4)
	v_mov_b32_e32 v18, v147
	s_waitcnt vmcnt(0) lgkmcnt(2)
	v_mul_f32_e32 v27, v10, v23
	v_fmac_f32_e32 v27, v11, v22
	v_add_f32_e32 v26, v26, v27
	v_mul_f32_e32 v27, v12, v25
	v_fmac_f32_e32 v27, v13, v24
	v_add_f32_e32 v30, v26, v27
	scratch_load_dwordx4 v[26:29], off, off offset:192
	v_mul_f32_e32 v11, v11, v23
	v_fma_f32 v10, v10, v22, -v11
	v_mul_f32_e32 v11, v13, v25
	v_add_f32_e32 v10, v14, v10
	v_fma_f32 v11, v12, v24, -v11
	v_add_f32_e32 v10, v10, v11
	s_waitcnt vmcnt(0) lgkmcnt(1)
	v_mul_f32_e32 v31, v6, v27
	v_fmac_f32_e32 v31, v7, v26
	v_add_f32_e32 v30, v30, v31
	v_mul_f32_e32 v31, v8, v29
	v_fmac_f32_e32 v31, v9, v28
	v_add_f32_e32 v34, v30, v31
	scratch_load_dwordx4 v[30:33], off, off offset:208
	v_mul_f32_e32 v7, v7, v27
	v_fma_f32 v6, v6, v26, -v7
	v_mul_f32_e32 v7, v9, v29
	v_add_f32_e32 v6, v10, v6
	v_fma_f32 v7, v8, v28, -v7
	v_add_f32_e32 v6, v6, v7
	s_waitcnt vmcnt(0) lgkmcnt(0)
	v_mul_f32_e32 v35, v2, v31
	v_fmac_f32_e32 v35, v3, v30
	v_add_f32_e32 v34, v34, v35
	v_mul_f32_e32 v35, v4, v33
	v_fmac_f32_e32 v35, v5, v32
	v_add_f32_e32 v42, v34, v35
	ds_read_b128 v[34:37], v102 offset:736
	v_mul_f32_e32 v3, v3, v31
	v_fma_f32 v2, v2, v30, -v3
	v_mul_f32_e32 v3, v5, v33
	v_add_f32_e32 v2, v6, v2
	s_waitcnt lgkmcnt(0)
	v_mul_f32_e32 v43, v34, v39
	v_fmac_f32_e32 v43, v35, v38
	v_add_f32_e32 v42, v42, v43
	v_mul_f32_e32 v43, v36, v41
	v_fmac_f32_e32 v43, v37, v40
	v_add_f32_e32 v50, v42, v43
	ds_read_b128 v[42:45], v102 offset:752
	v_fma_f32 v3, v4, v32, -v3
	v_add_f32_e32 v2, v2, v3
	v_mul_f32_e32 v3, v35, v39
	v_fma_f32 v3, v34, v38, -v3
	s_waitcnt lgkmcnt(0)
	v_mul_f32_e32 v51, v42, v47
	v_fmac_f32_e32 v51, v43, v46
	v_add_f32_e32 v50, v50, v51
	v_mul_f32_e32 v51, v44, v49
	v_fmac_f32_e32 v51, v45, v48
	v_add_f32_e32 v58, v50, v51
	ds_read_b128 v[50:53], v102 offset:768
	v_add_f32_e32 v2, v2, v3
	v_mul_f32_e32 v3, v37, v41
	v_fma_f32 v3, v36, v40, -v3
	v_add_f32_e32 v2, v2, v3
	s_waitcnt lgkmcnt(0)
	v_mul_f32_e32 v59, v50, v55
	v_fmac_f32_e32 v59, v51, v54
	v_add_f32_e32 v58, v58, v59
	v_mul_f32_e32 v59, v52, v57
	v_fmac_f32_e32 v59, v53, v56
	v_add_f32_e32 v66, v58, v59
	ds_read_b128 v[58:61], v102 offset:784
	v_mul_f32_e32 v3, v43, v47
	v_fma_f32 v3, v42, v46, -v3
	v_add_f32_e32 v2, v2, v3
	v_mul_f32_e32 v3, v45, v49
	s_waitcnt lgkmcnt(0)
	v_mul_f32_e32 v67, v58, v63
	v_fmac_f32_e32 v67, v59, v62
	v_add_f32_e32 v66, v66, v67
	v_mul_f32_e32 v67, v60, v65
	v_fmac_f32_e32 v67, v61, v64
	v_add_f32_e32 v74, v66, v67
	ds_read_b128 v[66:69], v102 offset:800
	v_fma_f32 v3, v44, v48, -v3
	v_add_f32_e32 v2, v2, v3
	v_mul_f32_e32 v3, v51, v55
	v_fma_f32 v3, v50, v54, -v3
	s_waitcnt lgkmcnt(0)
	v_mul_f32_e32 v75, v66, v71
	v_fmac_f32_e32 v75, v67, v70
	v_add_f32_e32 v74, v74, v75
	v_mul_f32_e32 v75, v68, v73
	v_fmac_f32_e32 v75, v69, v72
	v_add_f32_e32 v82, v74, v75
	ds_read_b128 v[74:77], v102 offset:816
	v_add_f32_e32 v2, v2, v3
	v_mul_f32_e32 v3, v53, v57
	v_fma_f32 v3, v52, v56, -v3
	v_add_f32_e32 v2, v2, v3
	s_waitcnt lgkmcnt(0)
	v_mul_f32_e32 v83, v74, v79
	v_fmac_f32_e32 v83, v75, v78
	v_add_f32_e32 v82, v82, v83
	v_mul_f32_e32 v83, v76, v81
	v_fmac_f32_e32 v83, v77, v80
	v_add_f32_e32 v90, v82, v83
	ds_read_b128 v[82:85], v102 offset:832
	v_mul_f32_e32 v3, v59, v63
	v_fma_f32 v3, v58, v62, -v3
	v_add_f32_e32 v2, v2, v3
	v_mul_f32_e32 v3, v61, v65
	;; [unrolled: 36-line block ×4, first 2 shown]
	s_waitcnt lgkmcnt(0)
	v_mul_f32_e32 v140, v132, v137
	v_fmac_f32_e32 v140, v133, v136
	v_add_f32_e32 v149, v103, v140
	ds_read_b128 v[140:143], v102 offset:944
	scratch_load_dwordx4 v[170:173], off, off offset:448
	scratch_load_dwordx4 v[174:177], off, off offset:464
	;; [unrolled: 1-line block ×3, first 2 shown]
	scratch_load_dwordx2 v[186:187], off, off offset:496
	v_fma_f32 v3, v92, v96, -v3
	v_add_f32_e32 v2, v2, v3
	v_mul_f32_e32 v3, v99, v105
	v_fma_f32 v3, v98, v104, -v3
	v_add_f32_e32 v2, v2, v3
	v_mul_f32_e32 v3, v101, v107
	;; [unrolled: 3-line block ×10, first 2 shown]
	v_mul_f32_e32 v183, v134, v139
	v_fma_f32 v182, v134, v138, -v2
	s_waitcnt lgkmcnt(0)
	v_mul_f32_e32 v2, v141, v145
	v_fmac_f32_e32 v183, v135, v138
	v_mul_f32_e32 v185, v140, v145
	v_fma_f32 v184, v140, v144, -v2
	ds_read_b128 v[2:5], v102 offset:960
	ds_read_b128 v[6:9], v102 offset:976
	;; [unrolled: 1-line block ×3, first 2 shown]
	ds_read_b64 v[14:15], v102 offset:1008
	v_pk_mul_f32 v[18:19], v[142:143], v[18:19] op_sel:[1,0] op_sel_hi:[0,0]
	v_fmac_f32_e32 v185, v141, v144
	v_pk_add_f32 v[16:17], v[148:149], v[182:183]
	v_pk_fma_f32 v[20:21], v[142:143], v[146:147], v[18:19] neg_lo:[0,0,1] neg_hi:[0,0,1]
	v_pk_fma_f32 v[18:19], v[142:143], v[146:147], v[18:19] op_sel_hi:[1,0,1]
	v_pk_add_f32 v[16:17], v[16:17], v[184:185]
	v_mov_b32_e32 v21, v19
	v_pk_add_f32 v[16:17], v[16:17], v[20:21]
	s_waitcnt vmcnt(3) lgkmcnt(3)
	v_pk_mul_f32 v[18:19], v[2:3], v[170:171] op_sel:[1,1] op_sel_hi:[0,1]
	v_pk_fma_f32 v[20:21], v[2:3], v[170:171], v[18:19] neg_lo:[0,0,1] neg_hi:[0,0,1]
	v_pk_fma_f32 v[2:3], v[2:3], v[170:171], v[18:19] op_sel_hi:[1,0,1]
	s_nop 0
	v_mov_b32_e32 v21, v3
	v_pk_add_f32 v[2:3], v[16:17], v[20:21]
	v_mov_b32_e32 v16, v173
	v_pk_mul_f32 v[16:17], v[4:5], v[16:17] op_sel:[1,0] op_sel_hi:[0,0]
	v_pk_fma_f32 v[18:19], v[4:5], v[172:173], v[16:17] neg_lo:[0,0,1] neg_hi:[0,0,1]
	v_pk_fma_f32 v[4:5], v[4:5], v[172:173], v[16:17] op_sel_hi:[1,0,1]
	s_nop 0
	v_mov_b32_e32 v19, v5
	s_waitcnt vmcnt(2) lgkmcnt(2)
	v_pk_mul_f32 v[4:5], v[6:7], v[174:175] op_sel:[1,1] op_sel_hi:[0,1]
	v_pk_fma_f32 v[16:17], v[6:7], v[174:175], v[4:5] neg_lo:[0,0,1] neg_hi:[0,0,1]
	v_pk_fma_f32 v[4:5], v[6:7], v[174:175], v[4:5] op_sel_hi:[1,0,1]
	v_pk_add_f32 v[2:3], v[2:3], v[18:19]
	v_mov_b32_e32 v4, v177
	v_mov_b32_e32 v17, v5
	v_pk_mul_f32 v[4:5], v[8:9], v[4:5] op_sel:[1,0] op_sel_hi:[0,0]
	v_pk_fma_f32 v[6:7], v[8:9], v[176:177], v[4:5] neg_lo:[0,0,1] neg_hi:[0,0,1]
	v_pk_fma_f32 v[4:5], v[8:9], v[176:177], v[4:5] op_sel_hi:[1,0,1]
	v_pk_add_f32 v[2:3], v[2:3], v[16:17]
	v_mov_b32_e32 v7, v5
	s_waitcnt vmcnt(1) lgkmcnt(1)
	v_pk_mul_f32 v[4:5], v[10:11], v[178:179] op_sel:[1,1] op_sel_hi:[0,1]
	v_pk_add_f32 v[2:3], v[2:3], v[6:7]
	v_pk_fma_f32 v[6:7], v[10:11], v[178:179], v[4:5] neg_lo:[0,0,1] neg_hi:[0,0,1]
	v_pk_fma_f32 v[4:5], v[10:11], v[178:179], v[4:5] op_sel_hi:[1,0,1]
	s_nop 0
	v_mov_b32_e32 v4, v181
	v_mov_b32_e32 v7, v5
	v_pk_mul_f32 v[4:5], v[12:13], v[4:5] op_sel:[1,0] op_sel_hi:[0,0]
	v_pk_add_f32 v[2:3], v[2:3], v[6:7]
	v_pk_fma_f32 v[6:7], v[12:13], v[180:181], v[4:5] neg_lo:[0,0,1] neg_hi:[0,0,1]
	v_pk_fma_f32 v[4:5], v[12:13], v[180:181], v[4:5] op_sel_hi:[1,0,1]
	s_nop 0
	v_mov_b32_e32 v7, v5
	s_waitcnt vmcnt(0) lgkmcnt(0)
	v_pk_mul_f32 v[4:5], v[14:15], v[186:187] op_sel:[1,1] op_sel_hi:[0,1]
	v_pk_add_f32 v[2:3], v[2:3], v[6:7]
	v_pk_fma_f32 v[6:7], v[14:15], v[186:187], v[4:5] neg_lo:[0,0,1] neg_hi:[0,0,1]
	v_pk_fma_f32 v[4:5], v[14:15], v[186:187], v[4:5] op_sel_hi:[1,0,1]
	s_nop 0
	v_mov_b32_e32 v7, v5
	scratch_load_dwordx2 v[4:5], off, off offset:152
	v_pk_add_f32 v[2:3], v[2:3], v[6:7]
	s_waitcnt vmcnt(0)
	v_pk_add_f32 v[2:3], v[4:5], v[2:3] neg_lo:[0,1] neg_hi:[0,1]
	scratch_store_dwordx2 off, v[2:3], off offset:152
	s_and_saveexec_b64 s[0:1], vcc
	s_cbranch_execz .LBB62_355
; %bb.354:
	scratch_load_dwordx2 v[2:3], off, off offset:144
	v_mov_b32_e32 v103, v102
	scratch_store_dwordx2 off, v[102:103], off offset:144
	s_waitcnt vmcnt(1)
	ds_write_b64 v1, v[2:3]
.LBB62_355:
	s_or_b64 exec, exec, s[0:1]
	s_waitcnt lgkmcnt(0)
	; wave barrier
	scratch_load_dwordx4 v[6:9], off, off offset:152
	scratch_load_dwordx4 v[14:17], off, off offset:168
	scratch_load_dwordx4 v[22:25], off, off offset:184
	scratch_load_dwordx4 v[30:33], off, off offset:200
	scratch_load_dwordx4 v[38:41], off, off offset:216
	scratch_load_dwordx4 v[46:49], off, off offset:232
	scratch_load_dwordx4 v[54:57], off, off offset:248
	scratch_load_dwordx4 v[62:65], off, off offset:264
	scratch_load_dwordx4 v[70:73], off, off offset:280
	scratch_load_dwordx4 v[78:81], off, off offset:296
	ds_read2_b64 v[2:5], v102 offset0:83 offset1:84
	scratch_load_dwordx4 v[86:89], off, off offset:312
	scratch_load_dwordx4 v[94:97], off, off offset:328
	;; [unrolled: 1-line block ×8, first 2 shown]
	v_cmp_lt_u32_e32 vcc, 17, v0
	s_waitcnt vmcnt(17) lgkmcnt(0)
	v_mul_f32_e32 v10, v2, v7
	v_fmac_f32_e32 v10, v3, v6
	v_mul_f32_e32 v11, v4, v9
	v_add_f32_e32 v10, 0, v10
	v_fmac_f32_e32 v11, v5, v8
	v_add_f32_e32 v18, v10, v11
	ds_read2_b64 v[10:13], v102 offset0:85 offset1:86
	v_mul_f32_e32 v3, v3, v7
	v_fma_f32 v2, v2, v6, -v3
	v_mul_f32_e32 v3, v5, v9
	v_add_f32_e32 v2, 0, v2
	s_waitcnt vmcnt(16) lgkmcnt(0)
	v_mul_f32_e32 v19, v10, v15
	v_fmac_f32_e32 v19, v11, v14
	v_add_f32_e32 v18, v18, v19
	v_mul_f32_e32 v19, v12, v17
	v_fmac_f32_e32 v19, v13, v16
	v_add_f32_e32 v26, v18, v19
	ds_read2_b64 v[18:21], v102 offset0:87 offset1:88
	v_fma_f32 v3, v4, v8, -v3
	v_add_f32_e32 v2, v2, v3
	v_mul_f32_e32 v3, v11, v15
	v_fma_f32 v3, v10, v14, -v3
	s_waitcnt vmcnt(15) lgkmcnt(0)
	v_mul_f32_e32 v27, v18, v23
	v_fmac_f32_e32 v27, v19, v22
	v_add_f32_e32 v26, v26, v27
	v_mul_f32_e32 v27, v20, v25
	v_fmac_f32_e32 v27, v21, v24
	v_add_f32_e32 v34, v26, v27
	ds_read2_b64 v[26:29], v102 offset0:89 offset1:90
	v_add_f32_e32 v2, v2, v3
	v_mul_f32_e32 v3, v13, v17
	v_fma_f32 v3, v12, v16, -v3
	v_add_f32_e32 v2, v2, v3
	s_waitcnt vmcnt(14) lgkmcnt(0)
	v_mul_f32_e32 v35, v26, v31
	v_fmac_f32_e32 v35, v27, v30
	v_add_f32_e32 v34, v34, v35
	v_mul_f32_e32 v35, v28, v33
	v_fmac_f32_e32 v35, v29, v32
	v_add_f32_e32 v42, v34, v35
	ds_read2_b64 v[34:37], v102 offset0:91 offset1:92
	v_mul_f32_e32 v3, v19, v23
	v_fma_f32 v3, v18, v22, -v3
	v_add_f32_e32 v2, v2, v3
	v_mul_f32_e32 v3, v21, v25
	s_waitcnt vmcnt(13) lgkmcnt(0)
	v_mul_f32_e32 v43, v34, v39
	v_fmac_f32_e32 v43, v35, v38
	v_add_f32_e32 v42, v42, v43
	v_mul_f32_e32 v43, v36, v41
	v_fmac_f32_e32 v43, v37, v40
	v_add_f32_e32 v50, v42, v43
	ds_read2_b64 v[42:45], v102 offset0:93 offset1:94
	v_fma_f32 v3, v20, v24, -v3
	v_add_f32_e32 v2, v2, v3
	v_mul_f32_e32 v3, v27, v31
	v_fma_f32 v3, v26, v30, -v3
	s_waitcnt vmcnt(12) lgkmcnt(0)
	v_mul_f32_e32 v51, v42, v47
	v_fmac_f32_e32 v51, v43, v46
	v_add_f32_e32 v50, v50, v51
	v_mul_f32_e32 v51, v44, v49
	v_fmac_f32_e32 v51, v45, v48
	v_add_f32_e32 v58, v50, v51
	ds_read2_b64 v[50:53], v102 offset0:95 offset1:96
	v_add_f32_e32 v2, v2, v3
	v_mul_f32_e32 v3, v29, v33
	v_fma_f32 v3, v28, v32, -v3
	v_add_f32_e32 v2, v2, v3
	s_waitcnt vmcnt(11) lgkmcnt(0)
	v_mul_f32_e32 v59, v50, v55
	v_fmac_f32_e32 v59, v51, v54
	v_add_f32_e32 v58, v58, v59
	v_mul_f32_e32 v59, v52, v57
	v_fmac_f32_e32 v59, v53, v56
	v_add_f32_e32 v66, v58, v59
	ds_read2_b64 v[58:61], v102 offset0:97 offset1:98
	v_mul_f32_e32 v3, v35, v39
	v_fma_f32 v3, v34, v38, -v3
	v_add_f32_e32 v2, v2, v3
	v_mul_f32_e32 v3, v37, v41
	s_waitcnt vmcnt(10) lgkmcnt(0)
	v_mul_f32_e32 v67, v58, v63
	v_fmac_f32_e32 v67, v59, v62
	v_add_f32_e32 v66, v66, v67
	v_mul_f32_e32 v67, v60, v65
	v_fmac_f32_e32 v67, v61, v64
	v_add_f32_e32 v74, v66, v67
	ds_read2_b64 v[66:69], v102 offset0:99 offset1:100
	v_fma_f32 v3, v36, v40, -v3
	v_add_f32_e32 v2, v2, v3
	v_mul_f32_e32 v3, v43, v47
	v_fma_f32 v3, v42, v46, -v3
	s_waitcnt vmcnt(9) lgkmcnt(0)
	v_mul_f32_e32 v75, v66, v71
	v_fmac_f32_e32 v75, v67, v70
	v_add_f32_e32 v74, v74, v75
	v_mul_f32_e32 v75, v68, v73
	v_fmac_f32_e32 v75, v69, v72
	v_add_f32_e32 v82, v74, v75
	ds_read2_b64 v[74:77], v102 offset0:101 offset1:102
	v_add_f32_e32 v2, v2, v3
	v_mul_f32_e32 v3, v45, v49
	v_fma_f32 v3, v44, v48, -v3
	v_add_f32_e32 v2, v2, v3
	s_waitcnt vmcnt(8) lgkmcnt(0)
	v_mul_f32_e32 v83, v74, v79
	v_fmac_f32_e32 v83, v75, v78
	v_add_f32_e32 v82, v82, v83
	v_mul_f32_e32 v83, v76, v81
	v_fmac_f32_e32 v83, v77, v80
	v_add_f32_e32 v90, v82, v83
	ds_read2_b64 v[82:85], v102 offset0:103 offset1:104
	v_mul_f32_e32 v3, v51, v55
	v_fma_f32 v3, v50, v54, -v3
	v_add_f32_e32 v2, v2, v3
	v_mul_f32_e32 v3, v53, v57
	s_waitcnt vmcnt(7) lgkmcnt(0)
	v_mul_f32_e32 v91, v82, v87
	v_fmac_f32_e32 v91, v83, v86
	v_add_f32_e32 v90, v90, v91
	v_mul_f32_e32 v91, v84, v89
	v_fmac_f32_e32 v91, v85, v88
	v_add_f32_e32 v98, v90, v91
	ds_read2_b64 v[90:93], v102 offset0:105 offset1:106
	v_fma_f32 v3, v52, v56, -v3
	v_add_f32_e32 v2, v2, v3
	v_mul_f32_e32 v3, v59, v63
	v_fma_f32 v3, v58, v62, -v3
	s_waitcnt vmcnt(6) lgkmcnt(0)
	v_mul_f32_e32 v99, v90, v95
	v_fmac_f32_e32 v99, v91, v94
	v_add_f32_e32 v98, v98, v99
	v_mul_f32_e32 v99, v92, v97
	v_fmac_f32_e32 v99, v93, v96
	v_add_f32_e32 v103, v98, v99
	ds_read2_b64 v[98:101], v102 offset0:107 offset1:108
	v_add_f32_e32 v2, v2, v3
	v_mul_f32_e32 v3, v61, v65
	v_fma_f32 v3, v60, v64, -v3
	v_add_f32_e32 v2, v2, v3
	s_waitcnt vmcnt(5) lgkmcnt(0)
	v_mul_f32_e32 v108, v98, v105
	v_fmac_f32_e32 v108, v99, v104
	v_add_f32_e32 v103, v103, v108
	v_mul_f32_e32 v108, v100, v107
	v_fmac_f32_e32 v108, v101, v106
	v_add_f32_e32 v103, v103, v108
	ds_read2_b64 v[108:111], v102 offset0:109 offset1:110
	v_mul_f32_e32 v3, v67, v71
	v_fma_f32 v3, v66, v70, -v3
	v_add_f32_e32 v2, v2, v3
	v_mul_f32_e32 v3, v69, v73
	s_waitcnt vmcnt(4) lgkmcnt(0)
	v_mul_f32_e32 v116, v108, v113
	v_fmac_f32_e32 v116, v109, v112
	v_add_f32_e32 v103, v103, v116
	v_mul_f32_e32 v116, v110, v115
	v_fmac_f32_e32 v116, v111, v114
	v_add_f32_e32 v103, v103, v116
	ds_read2_b64 v[116:119], v102 offset0:111 offset1:112
	v_fma_f32 v3, v68, v72, -v3
	v_add_f32_e32 v2, v2, v3
	v_mul_f32_e32 v3, v75, v79
	v_fma_f32 v3, v74, v78, -v3
	s_waitcnt vmcnt(3) lgkmcnt(0)
	v_mul_f32_e32 v124, v116, v121
	v_fmac_f32_e32 v124, v117, v120
	v_add_f32_e32 v103, v103, v124
	v_mul_f32_e32 v124, v118, v123
	v_fmac_f32_e32 v124, v119, v122
	v_add_f32_e32 v103, v103, v124
	ds_read2_b64 v[124:127], v102 offset0:113 offset1:114
	v_add_f32_e32 v2, v2, v3
	v_mul_f32_e32 v3, v77, v81
	v_fma_f32 v3, v76, v80, -v3
	v_add_f32_e32 v2, v2, v3
	s_waitcnt vmcnt(2) lgkmcnt(0)
	v_mul_f32_e32 v132, v124, v129
	v_fmac_f32_e32 v132, v125, v128
	v_add_f32_e32 v103, v103, v132
	v_mul_f32_e32 v132, v126, v131
	v_fmac_f32_e32 v132, v127, v130
	v_add_f32_e32 v103, v103, v132
	ds_read2_b64 v[132:135], v102 offset0:115 offset1:116
	v_mul_f32_e32 v3, v83, v87
	v_fma_f32 v3, v82, v86, -v3
	v_add_f32_e32 v2, v2, v3
	v_mul_f32_e32 v3, v85, v89
	s_waitcnt vmcnt(1) lgkmcnt(0)
	v_mul_f32_e32 v140, v132, v137
	v_fmac_f32_e32 v140, v133, v136
	v_add_f32_e32 v103, v103, v140
	v_mul_f32_e32 v140, v134, v139
	v_fmac_f32_e32 v140, v135, v138
	v_add_f32_e32 v149, v103, v140
	ds_read2_b64 v[140:143], v102 offset0:117 offset1:118
	scratch_load_dwordx4 v[170:173], off, off offset:440
	scratch_load_dwordx4 v[174:177], off, off offset:456
	;; [unrolled: 1-line block ×4, first 2 shown]
	v_fma_f32 v3, v84, v88, -v3
	v_add_f32_e32 v2, v2, v3
	v_mul_f32_e32 v3, v91, v95
	v_fma_f32 v3, v90, v94, -v3
	v_add_f32_e32 v2, v2, v3
	v_mul_f32_e32 v3, v93, v97
	;; [unrolled: 3-line block ×12, first 2 shown]
	v_fma_f32 v3, v134, v138, -v3
	v_add_f32_e32 v148, v2, v3
	s_waitcnt vmcnt(4) lgkmcnt(0)
	v_mul_f32_e32 v2, v141, v145
	v_fma_f32 v186, v140, v144, -v2
	v_mul_f32_e32 v2, v143, v147
	v_fma_f32 v188, v142, v146, -v2
	ds_read2_b64 v[2:5], v102 offset0:119 offset1:120
	ds_read2_b64 v[6:9], v102 offset0:121 offset1:122
	;; [unrolled: 1-line block ×4, first 2 shown]
	v_mul_f32_e32 v187, v140, v145
	v_fmac_f32_e32 v187, v141, v144
	v_mul_f32_e32 v189, v142, v147
	v_fmac_f32_e32 v189, v143, v146
	v_pk_add_f32 v[18:19], v[148:149], v[186:187]
	s_waitcnt vmcnt(3) lgkmcnt(3)
	v_pk_mul_f32 v[20:21], v[2:3], v[170:171] op_sel:[1,1] op_sel_hi:[0,1]
	v_pk_fma_f32 v[22:23], v[2:3], v[170:171], v[20:21] neg_lo:[0,0,1] neg_hi:[0,0,1]
	v_pk_fma_f32 v[2:3], v[2:3], v[170:171], v[20:21] op_sel_hi:[1,0,1]
	v_pk_add_f32 v[18:19], v[18:19], v[188:189]
	v_mov_b32_e32 v23, v3
	v_pk_add_f32 v[2:3], v[18:19], v[22:23]
	v_mov_b32_e32 v18, v173
	v_pk_mul_f32 v[18:19], v[4:5], v[18:19] op_sel:[1,0] op_sel_hi:[0,0]
	v_pk_fma_f32 v[20:21], v[4:5], v[172:173], v[18:19] neg_lo:[0,0,1] neg_hi:[0,0,1]
	v_pk_fma_f32 v[4:5], v[4:5], v[172:173], v[18:19] op_sel_hi:[1,0,1]
	s_nop 0
	v_mov_b32_e32 v21, v5
	s_waitcnt vmcnt(2) lgkmcnt(2)
	v_pk_mul_f32 v[4:5], v[6:7], v[174:175] op_sel:[1,1] op_sel_hi:[0,1]
	v_pk_fma_f32 v[18:19], v[6:7], v[174:175], v[4:5] neg_lo:[0,0,1] neg_hi:[0,0,1]
	v_pk_fma_f32 v[4:5], v[6:7], v[174:175], v[4:5] op_sel_hi:[1,0,1]
	v_pk_add_f32 v[2:3], v[2:3], v[20:21]
	v_mov_b32_e32 v4, v177
	v_mov_b32_e32 v19, v5
	v_pk_mul_f32 v[4:5], v[8:9], v[4:5] op_sel:[1,0] op_sel_hi:[0,0]
	v_pk_fma_f32 v[6:7], v[8:9], v[176:177], v[4:5] neg_lo:[0,0,1] neg_hi:[0,0,1]
	v_pk_fma_f32 v[4:5], v[8:9], v[176:177], v[4:5] op_sel_hi:[1,0,1]
	v_pk_add_f32 v[2:3], v[2:3], v[18:19]
	v_mov_b32_e32 v7, v5
	s_waitcnt vmcnt(1) lgkmcnt(1)
	v_pk_mul_f32 v[4:5], v[10:11], v[178:179] op_sel:[1,1] op_sel_hi:[0,1]
	v_pk_add_f32 v[2:3], v[2:3], v[6:7]
	v_pk_fma_f32 v[6:7], v[10:11], v[178:179], v[4:5] neg_lo:[0,0,1] neg_hi:[0,0,1]
	v_pk_fma_f32 v[4:5], v[10:11], v[178:179], v[4:5] op_sel_hi:[1,0,1]
	s_nop 0
	v_mov_b32_e32 v4, v181
	v_mov_b32_e32 v7, v5
	v_pk_mul_f32 v[4:5], v[12:13], v[4:5] op_sel:[1,0] op_sel_hi:[0,0]
	v_pk_add_f32 v[2:3], v[2:3], v[6:7]
	v_pk_fma_f32 v[6:7], v[12:13], v[180:181], v[4:5] neg_lo:[0,0,1] neg_hi:[0,0,1]
	v_pk_fma_f32 v[4:5], v[12:13], v[180:181], v[4:5] op_sel_hi:[1,0,1]
	s_nop 0
	v_mov_b32_e32 v7, v5
	s_waitcnt vmcnt(0) lgkmcnt(0)
	v_pk_mul_f32 v[4:5], v[14:15], v[182:183] op_sel:[1,1] op_sel_hi:[0,1]
	v_pk_add_f32 v[2:3], v[2:3], v[6:7]
	v_pk_fma_f32 v[6:7], v[14:15], v[182:183], v[4:5] neg_lo:[0,0,1] neg_hi:[0,0,1]
	v_pk_fma_f32 v[4:5], v[14:15], v[182:183], v[4:5] op_sel_hi:[1,0,1]
	s_nop 0
	v_mov_b32_e32 v4, v185
	v_mov_b32_e32 v7, v5
	v_pk_mul_f32 v[4:5], v[16:17], v[4:5] op_sel:[1,0] op_sel_hi:[0,0]
	v_pk_add_f32 v[2:3], v[2:3], v[6:7]
	v_pk_fma_f32 v[6:7], v[16:17], v[184:185], v[4:5] neg_lo:[0,0,1] neg_hi:[0,0,1]
	v_pk_fma_f32 v[4:5], v[16:17], v[184:185], v[4:5] op_sel_hi:[1,0,1]
	s_nop 0
	v_mov_b32_e32 v7, v5
	scratch_load_dwordx2 v[4:5], off, off offset:144
	v_pk_add_f32 v[2:3], v[2:3], v[6:7]
	s_waitcnt vmcnt(0)
	v_pk_add_f32 v[2:3], v[4:5], v[2:3] neg_lo:[0,1] neg_hi:[0,1]
	scratch_store_dwordx2 off, v[2:3], off offset:144
	s_and_saveexec_b64 s[0:1], vcc
	s_cbranch_execz .LBB62_357
; %bb.356:
	scratch_load_dwordx2 v[2:3], off, off offset:136
	v_mov_b32_e32 v4, 0
	v_mov_b32_e32 v5, v4
	scratch_store_dwordx2 off, v[4:5], off offset:136
	s_waitcnt vmcnt(1)
	ds_write_b64 v1, v[2:3]
.LBB62_357:
	s_or_b64 exec, exec, s[0:1]
	v_mov_b32_e32 v110, 0
	s_waitcnt lgkmcnt(0)
	; wave barrier
	ds_read_b128 v[14:17], v110 offset:656
	ds_read_b128 v[10:13], v110 offset:672
	;; [unrolled: 1-line block ×4, first 2 shown]
	scratch_load_dwordx4 v[18:21], off, off offset:144
	scratch_load_dwordx4 v[38:41], off, off offset:208
	;; [unrolled: 1-line block ×13, first 2 shown]
	v_cmp_lt_u32_e32 vcc, 16, v0
	scratch_load_dwordx4 v[46:49], off, off offset:224
	scratch_load_dwordx4 v[54:57], off, off offset:240
	;; [unrolled: 1-line block ×3, first 2 shown]
	ds_read_b128 v[170:173], v110 offset:944
	s_waitcnt vmcnt(15) lgkmcnt(4)
	v_mul_f32_e32 v22, v14, v19
	v_fmac_f32_e32 v22, v15, v18
	v_mul_f32_e32 v23, v16, v21
	v_add_f32_e32 v22, 0, v22
	v_fmac_f32_e32 v23, v17, v20
	v_add_f32_e32 v26, v22, v23
	scratch_load_dwordx4 v[22:25], off, off offset:160
	v_mul_f32_e32 v15, v15, v19
	v_fma_f32 v14, v14, v18, -v15
	v_mul_f32_e32 v15, v17, v21
	v_add_f32_e32 v14, 0, v14
	v_fma_f32 v15, v16, v20, -v15
	v_add_f32_e32 v14, v14, v15
	s_waitcnt vmcnt(4)
	v_mov_b32_e32 v18, v177
	s_waitcnt lgkmcnt(0)
	v_mul_f32_e32 v193, v170, v175
	v_pk_mul_f32 v[18:19], v[172:173], v[18:19] op_sel:[1,0] op_sel_hi:[0,0]
	v_fmac_f32_e32 v193, v171, v174
	v_pk_fma_f32 v[20:21], v[172:173], v[176:177], v[18:19] neg_lo:[0,0,1] neg_hi:[0,0,1]
	v_pk_fma_f32 v[18:19], v[172:173], v[176:177], v[18:19] op_sel_hi:[1,0,1]
	s_waitcnt vmcnt(0)
	v_mul_f32_e32 v27, v10, v23
	v_fmac_f32_e32 v27, v11, v22
	v_add_f32_e32 v26, v26, v27
	v_mul_f32_e32 v27, v12, v25
	v_fmac_f32_e32 v27, v13, v24
	v_add_f32_e32 v30, v26, v27
	scratch_load_dwordx4 v[26:29], off, off offset:176
	v_mul_f32_e32 v11, v11, v23
	v_fma_f32 v10, v10, v22, -v11
	v_mul_f32_e32 v11, v13, v25
	v_add_f32_e32 v10, v14, v10
	v_fma_f32 v11, v12, v24, -v11
	v_add_f32_e32 v10, v10, v11
	v_mov_b32_e32 v21, v19
	s_waitcnt vmcnt(0)
	v_mul_f32_e32 v31, v6, v27
	v_fmac_f32_e32 v31, v7, v26
	v_add_f32_e32 v30, v30, v31
	v_mul_f32_e32 v31, v8, v29
	v_fmac_f32_e32 v31, v9, v28
	v_add_f32_e32 v34, v30, v31
	scratch_load_dwordx4 v[30:33], off, off offset:192
	v_mul_f32_e32 v7, v7, v27
	v_fma_f32 v6, v6, v26, -v7
	v_mul_f32_e32 v7, v9, v29
	v_add_f32_e32 v6, v10, v6
	v_fma_f32 v7, v8, v28, -v7
	v_add_f32_e32 v6, v6, v7
	s_waitcnt vmcnt(0)
	v_mul_f32_e32 v35, v2, v31
	v_fmac_f32_e32 v35, v3, v30
	v_add_f32_e32 v34, v34, v35
	v_mul_f32_e32 v35, v4, v33
	v_fmac_f32_e32 v35, v5, v32
	v_add_f32_e32 v42, v34, v35
	ds_read_b128 v[34:37], v110 offset:720
	v_mul_f32_e32 v3, v3, v31
	v_fma_f32 v2, v2, v30, -v3
	v_mul_f32_e32 v3, v5, v33
	v_add_f32_e32 v2, v6, v2
	s_waitcnt lgkmcnt(0)
	v_mul_f32_e32 v43, v34, v39
	v_fmac_f32_e32 v43, v35, v38
	v_add_f32_e32 v42, v42, v43
	v_mul_f32_e32 v43, v36, v41
	v_fmac_f32_e32 v43, v37, v40
	v_add_f32_e32 v50, v42, v43
	ds_read_b128 v[42:45], v110 offset:736
	v_fma_f32 v3, v4, v32, -v3
	v_add_f32_e32 v2, v2, v3
	v_mul_f32_e32 v3, v35, v39
	v_fma_f32 v3, v34, v38, -v3
	s_waitcnt lgkmcnt(0)
	v_mul_f32_e32 v51, v42, v47
	v_fmac_f32_e32 v51, v43, v46
	v_add_f32_e32 v50, v50, v51
	v_mul_f32_e32 v51, v44, v49
	v_fmac_f32_e32 v51, v45, v48
	v_add_f32_e32 v58, v50, v51
	ds_read_b128 v[50:53], v110 offset:752
	v_add_f32_e32 v2, v2, v3
	v_mul_f32_e32 v3, v37, v41
	v_fma_f32 v3, v36, v40, -v3
	v_add_f32_e32 v2, v2, v3
	s_waitcnt lgkmcnt(0)
	v_mul_f32_e32 v59, v50, v55
	v_fmac_f32_e32 v59, v51, v54
	v_add_f32_e32 v58, v58, v59
	v_mul_f32_e32 v59, v52, v57
	v_fmac_f32_e32 v59, v53, v56
	v_add_f32_e32 v66, v58, v59
	ds_read_b128 v[58:61], v110 offset:768
	v_mul_f32_e32 v3, v43, v47
	v_fma_f32 v3, v42, v46, -v3
	v_add_f32_e32 v2, v2, v3
	v_mul_f32_e32 v3, v45, v49
	s_waitcnt lgkmcnt(0)
	v_mul_f32_e32 v67, v58, v63
	v_fmac_f32_e32 v67, v59, v62
	v_add_f32_e32 v66, v66, v67
	v_mul_f32_e32 v67, v60, v65
	v_fmac_f32_e32 v67, v61, v64
	v_add_f32_e32 v74, v66, v67
	ds_read_b128 v[66:69], v110 offset:784
	v_fma_f32 v3, v44, v48, -v3
	v_add_f32_e32 v2, v2, v3
	v_mul_f32_e32 v3, v51, v55
	v_fma_f32 v3, v50, v54, -v3
	s_waitcnt lgkmcnt(0)
	v_mul_f32_e32 v75, v66, v71
	v_fmac_f32_e32 v75, v67, v70
	v_add_f32_e32 v74, v74, v75
	v_mul_f32_e32 v75, v68, v73
	v_fmac_f32_e32 v75, v69, v72
	v_add_f32_e32 v82, v74, v75
	ds_read_b128 v[74:77], v110 offset:800
	v_add_f32_e32 v2, v2, v3
	v_mul_f32_e32 v3, v53, v57
	v_fma_f32 v3, v52, v56, -v3
	v_add_f32_e32 v2, v2, v3
	s_waitcnt lgkmcnt(0)
	v_mul_f32_e32 v83, v74, v79
	v_fmac_f32_e32 v83, v75, v78
	v_add_f32_e32 v82, v82, v83
	v_mul_f32_e32 v83, v76, v81
	v_fmac_f32_e32 v83, v77, v80
	v_add_f32_e32 v90, v82, v83
	ds_read_b128 v[82:85], v110 offset:816
	v_mul_f32_e32 v3, v59, v63
	v_fma_f32 v3, v58, v62, -v3
	v_add_f32_e32 v2, v2, v3
	v_mul_f32_e32 v3, v61, v65
	;; [unrolled: 36-line block ×4, first 2 shown]
	s_waitcnt lgkmcnt(0)
	v_mul_f32_e32 v140, v132, v137
	v_fmac_f32_e32 v140, v133, v136
	v_add_f32_e32 v111, v111, v140
	v_mul_f32_e32 v140, v134, v139
	v_fmac_f32_e32 v140, v135, v138
	v_add_f32_e32 v111, v111, v140
	ds_read_b128 v[140:143], v110 offset:928
	scratch_load_dwordx4 v[178:181], off, off offset:448
	scratch_load_dwordx4 v[182:185], off, off offset:464
	;; [unrolled: 1-line block ×3, first 2 shown]
	scratch_load_dwordx2 v[194:195], off, off offset:496
	v_fma_f32 v3, v92, v96, -v3
	v_add_f32_e32 v2, v2, v3
	v_mul_f32_e32 v3, v99, v103
	v_fma_f32 v3, v98, v102, -v3
	v_add_f32_e32 v2, v2, v3
	v_mul_f32_e32 v3, v101, v105
	v_fma_f32 v3, v100, v104, -v3
	v_add_f32_e32 v2, v2, v3
	v_mul_f32_e32 v3, v107, v113
	v_fma_f32 v3, v106, v112, -v3
	v_add_f32_e32 v2, v2, v3
	v_mul_f32_e32 v3, v109, v115
	v_fma_f32 v3, v108, v114, -v3
	v_add_f32_e32 v2, v2, v3
	v_mul_f32_e32 v3, v117, v121
	v_fma_f32 v3, v116, v120, -v3
	v_add_f32_e32 v2, v2, v3
	v_mul_f32_e32 v3, v119, v123
	v_fma_f32 v3, v118, v122, -v3
	v_add_f32_e32 v2, v2, v3
	v_mul_f32_e32 v3, v125, v129
	v_fma_f32 v3, v124, v128, -v3
	v_add_f32_e32 v2, v2, v3
	v_mul_f32_e32 v3, v127, v131
	v_fma_f32 v3, v126, v130, -v3
	v_add_f32_e32 v2, v2, v3
	v_mul_f32_e32 v3, v133, v137
	v_fma_f32 v3, v132, v136, -v3
	v_add_f32_e32 v2, v2, v3
	v_mul_f32_e32 v3, v135, v139
	v_fma_f32 v3, v134, v138, -v3
	s_waitcnt lgkmcnt(0)
	v_mul_f32_e32 v148, v140, v145
	v_add_f32_e32 v2, v2, v3
	v_mul_f32_e32 v3, v141, v145
	v_fmac_f32_e32 v148, v141, v144
	v_fma_f32 v3, v140, v144, -v3
	v_add_f32_e32 v149, v111, v148
	v_add_f32_e32 v148, v2, v3
	v_mul_f32_e32 v2, v143, v147
	v_mul_f32_e32 v191, v142, v147
	v_fma_f32 v190, v142, v146, -v2
	v_mul_f32_e32 v2, v171, v175
	v_fmac_f32_e32 v191, v143, v146
	v_fma_f32 v192, v170, v174, -v2
	ds_read_b128 v[2:5], v110 offset:960
	ds_read_b128 v[6:9], v110 offset:976
	;; [unrolled: 1-line block ×3, first 2 shown]
	ds_read_b64 v[14:15], v110 offset:1008
	v_pk_add_f32 v[16:17], v[148:149], v[190:191]
	s_waitcnt vmcnt(3) lgkmcnt(3)
	v_pk_mul_f32 v[18:19], v[2:3], v[178:179] op_sel:[1,1] op_sel_hi:[0,1]
	v_pk_add_f32 v[16:17], v[16:17], v[192:193]
	s_nop 0
	v_pk_add_f32 v[16:17], v[16:17], v[20:21]
	v_pk_fma_f32 v[20:21], v[2:3], v[178:179], v[18:19] neg_lo:[0,0,1] neg_hi:[0,0,1]
	v_pk_fma_f32 v[2:3], v[2:3], v[178:179], v[18:19] op_sel_hi:[1,0,1]
	s_nop 0
	v_mov_b32_e32 v21, v3
	v_pk_add_f32 v[2:3], v[16:17], v[20:21]
	v_mov_b32_e32 v16, v181
	v_pk_mul_f32 v[16:17], v[4:5], v[16:17] op_sel:[1,0] op_sel_hi:[0,0]
	v_pk_fma_f32 v[18:19], v[4:5], v[180:181], v[16:17] neg_lo:[0,0,1] neg_hi:[0,0,1]
	v_pk_fma_f32 v[4:5], v[4:5], v[180:181], v[16:17] op_sel_hi:[1,0,1]
	s_nop 0
	v_mov_b32_e32 v19, v5
	s_waitcnt vmcnt(2) lgkmcnt(2)
	v_pk_mul_f32 v[4:5], v[6:7], v[182:183] op_sel:[1,1] op_sel_hi:[0,1]
	v_pk_fma_f32 v[16:17], v[6:7], v[182:183], v[4:5] neg_lo:[0,0,1] neg_hi:[0,0,1]
	v_pk_fma_f32 v[4:5], v[6:7], v[182:183], v[4:5] op_sel_hi:[1,0,1]
	v_pk_add_f32 v[2:3], v[2:3], v[18:19]
	v_mov_b32_e32 v4, v185
	v_mov_b32_e32 v17, v5
	v_pk_mul_f32 v[4:5], v[8:9], v[4:5] op_sel:[1,0] op_sel_hi:[0,0]
	v_pk_fma_f32 v[6:7], v[8:9], v[184:185], v[4:5] neg_lo:[0,0,1] neg_hi:[0,0,1]
	v_pk_fma_f32 v[4:5], v[8:9], v[184:185], v[4:5] op_sel_hi:[1,0,1]
	v_pk_add_f32 v[2:3], v[2:3], v[16:17]
	v_mov_b32_e32 v7, v5
	s_waitcnt vmcnt(1) lgkmcnt(1)
	v_pk_mul_f32 v[4:5], v[10:11], v[186:187] op_sel:[1,1] op_sel_hi:[0,1]
	v_pk_add_f32 v[2:3], v[2:3], v[6:7]
	v_pk_fma_f32 v[6:7], v[10:11], v[186:187], v[4:5] neg_lo:[0,0,1] neg_hi:[0,0,1]
	v_pk_fma_f32 v[4:5], v[10:11], v[186:187], v[4:5] op_sel_hi:[1,0,1]
	s_nop 0
	v_mov_b32_e32 v4, v189
	v_mov_b32_e32 v7, v5
	v_pk_mul_f32 v[4:5], v[12:13], v[4:5] op_sel:[1,0] op_sel_hi:[0,0]
	v_pk_add_f32 v[2:3], v[2:3], v[6:7]
	v_pk_fma_f32 v[6:7], v[12:13], v[188:189], v[4:5] neg_lo:[0,0,1] neg_hi:[0,0,1]
	v_pk_fma_f32 v[4:5], v[12:13], v[188:189], v[4:5] op_sel_hi:[1,0,1]
	s_nop 0
	v_mov_b32_e32 v7, v5
	s_waitcnt vmcnt(0) lgkmcnt(0)
	v_pk_mul_f32 v[4:5], v[14:15], v[194:195] op_sel:[1,1] op_sel_hi:[0,1]
	v_pk_add_f32 v[2:3], v[2:3], v[6:7]
	v_pk_fma_f32 v[6:7], v[14:15], v[194:195], v[4:5] neg_lo:[0,0,1] neg_hi:[0,0,1]
	v_pk_fma_f32 v[4:5], v[14:15], v[194:195], v[4:5] op_sel_hi:[1,0,1]
	s_nop 0
	v_mov_b32_e32 v7, v5
	scratch_load_dwordx2 v[4:5], off, off offset:136
	v_pk_add_f32 v[2:3], v[2:3], v[6:7]
	s_waitcnt vmcnt(0)
	v_pk_add_f32 v[2:3], v[4:5], v[2:3] neg_lo:[0,1] neg_hi:[0,1]
	scratch_store_dwordx2 off, v[2:3], off offset:136
	s_and_saveexec_b64 s[0:1], vcc
	s_cbranch_execz .LBB62_359
; %bb.358:
	scratch_load_dwordx2 v[2:3], off, off offset:128
	v_mov_b32_e32 v111, v110
	scratch_store_dwordx2 off, v[110:111], off offset:128
	s_waitcnt vmcnt(1)
	ds_write_b64 v1, v[2:3]
.LBB62_359:
	s_or_b64 exec, exec, s[0:1]
	s_waitcnt lgkmcnt(0)
	; wave barrier
	scratch_load_dwordx4 v[6:9], off, off offset:136
	scratch_load_dwordx4 v[14:17], off, off offset:152
	scratch_load_dwordx4 v[22:25], off, off offset:168
	scratch_load_dwordx4 v[30:33], off, off offset:184
	scratch_load_dwordx4 v[38:41], off, off offset:200
	scratch_load_dwordx4 v[46:49], off, off offset:216
	scratch_load_dwordx4 v[54:57], off, off offset:232
	scratch_load_dwordx4 v[62:65], off, off offset:248
	scratch_load_dwordx4 v[70:73], off, off offset:264
	scratch_load_dwordx4 v[78:81], off, off offset:280
	ds_read2_b64 v[2:5], v110 offset0:81 offset1:82
	ds_read2_b64 v[170:173], v110 offset0:117 offset1:118
	scratch_load_dwordx4 v[86:89], off, off offset:296
	scratch_load_dwordx4 v[94:97], off, off offset:312
	;; [unrolled: 1-line block ×9, first 2 shown]
	v_cmp_lt_u32_e32 vcc, 15, v0
	s_waitcnt vmcnt(18) lgkmcnt(1)
	v_mul_f32_e32 v10, v2, v7
	v_fmac_f32_e32 v10, v3, v6
	v_mul_f32_e32 v11, v4, v9
	v_add_f32_e32 v10, 0, v10
	v_fmac_f32_e32 v11, v5, v8
	v_add_f32_e32 v18, v10, v11
	ds_read2_b64 v[10:13], v110 offset0:83 offset1:84
	v_mul_f32_e32 v3, v3, v7
	v_fma_f32 v2, v2, v6, -v3
	v_mul_f32_e32 v3, v5, v9
	v_add_f32_e32 v2, 0, v2
	s_waitcnt vmcnt(17) lgkmcnt(0)
	v_mul_f32_e32 v19, v10, v15
	v_fmac_f32_e32 v19, v11, v14
	v_add_f32_e32 v18, v18, v19
	v_mul_f32_e32 v19, v12, v17
	v_fmac_f32_e32 v19, v13, v16
	v_add_f32_e32 v26, v18, v19
	ds_read2_b64 v[18:21], v110 offset0:85 offset1:86
	v_fma_f32 v3, v4, v8, -v3
	v_add_f32_e32 v2, v2, v3
	v_mul_f32_e32 v3, v11, v15
	v_fma_f32 v3, v10, v14, -v3
	s_waitcnt vmcnt(16) lgkmcnt(0)
	v_mul_f32_e32 v27, v18, v23
	v_fmac_f32_e32 v27, v19, v22
	v_add_f32_e32 v26, v26, v27
	v_mul_f32_e32 v27, v20, v25
	v_fmac_f32_e32 v27, v21, v24
	v_add_f32_e32 v34, v26, v27
	ds_read2_b64 v[26:29], v110 offset0:87 offset1:88
	v_add_f32_e32 v2, v2, v3
	v_mul_f32_e32 v3, v13, v17
	v_fma_f32 v3, v12, v16, -v3
	v_add_f32_e32 v2, v2, v3
	s_waitcnt vmcnt(15) lgkmcnt(0)
	v_mul_f32_e32 v35, v26, v31
	v_fmac_f32_e32 v35, v27, v30
	v_add_f32_e32 v34, v34, v35
	v_mul_f32_e32 v35, v28, v33
	v_fmac_f32_e32 v35, v29, v32
	v_add_f32_e32 v42, v34, v35
	ds_read2_b64 v[34:37], v110 offset0:89 offset1:90
	v_mul_f32_e32 v3, v19, v23
	v_fma_f32 v3, v18, v22, -v3
	v_add_f32_e32 v2, v2, v3
	v_mul_f32_e32 v3, v21, v25
	s_waitcnt vmcnt(14) lgkmcnt(0)
	v_mul_f32_e32 v43, v34, v39
	v_fmac_f32_e32 v43, v35, v38
	v_add_f32_e32 v42, v42, v43
	v_mul_f32_e32 v43, v36, v41
	v_fmac_f32_e32 v43, v37, v40
	v_add_f32_e32 v50, v42, v43
	ds_read2_b64 v[42:45], v110 offset0:91 offset1:92
	v_fma_f32 v3, v20, v24, -v3
	v_add_f32_e32 v2, v2, v3
	v_mul_f32_e32 v3, v27, v31
	v_fma_f32 v3, v26, v30, -v3
	s_waitcnt vmcnt(13) lgkmcnt(0)
	v_mul_f32_e32 v51, v42, v47
	v_fmac_f32_e32 v51, v43, v46
	v_add_f32_e32 v50, v50, v51
	v_mul_f32_e32 v51, v44, v49
	v_fmac_f32_e32 v51, v45, v48
	v_add_f32_e32 v58, v50, v51
	ds_read2_b64 v[50:53], v110 offset0:93 offset1:94
	v_add_f32_e32 v2, v2, v3
	v_mul_f32_e32 v3, v29, v33
	v_fma_f32 v3, v28, v32, -v3
	v_add_f32_e32 v2, v2, v3
	s_waitcnt vmcnt(12) lgkmcnt(0)
	v_mul_f32_e32 v59, v50, v55
	v_fmac_f32_e32 v59, v51, v54
	v_add_f32_e32 v58, v58, v59
	v_mul_f32_e32 v59, v52, v57
	v_fmac_f32_e32 v59, v53, v56
	v_add_f32_e32 v66, v58, v59
	ds_read2_b64 v[58:61], v110 offset0:95 offset1:96
	v_mul_f32_e32 v3, v35, v39
	v_fma_f32 v3, v34, v38, -v3
	v_add_f32_e32 v2, v2, v3
	v_mul_f32_e32 v3, v37, v41
	s_waitcnt vmcnt(11) lgkmcnt(0)
	v_mul_f32_e32 v67, v58, v63
	v_fmac_f32_e32 v67, v59, v62
	v_add_f32_e32 v66, v66, v67
	v_mul_f32_e32 v67, v60, v65
	v_fmac_f32_e32 v67, v61, v64
	v_add_f32_e32 v74, v66, v67
	ds_read2_b64 v[66:69], v110 offset0:97 offset1:98
	v_fma_f32 v3, v36, v40, -v3
	v_add_f32_e32 v2, v2, v3
	v_mul_f32_e32 v3, v43, v47
	v_fma_f32 v3, v42, v46, -v3
	s_waitcnt vmcnt(10) lgkmcnt(0)
	v_mul_f32_e32 v75, v66, v71
	v_fmac_f32_e32 v75, v67, v70
	v_add_f32_e32 v74, v74, v75
	v_mul_f32_e32 v75, v68, v73
	v_fmac_f32_e32 v75, v69, v72
	v_add_f32_e32 v82, v74, v75
	ds_read2_b64 v[74:77], v110 offset0:99 offset1:100
	v_add_f32_e32 v2, v2, v3
	v_mul_f32_e32 v3, v45, v49
	v_fma_f32 v3, v44, v48, -v3
	v_add_f32_e32 v2, v2, v3
	s_waitcnt vmcnt(9) lgkmcnt(0)
	v_mul_f32_e32 v83, v74, v79
	v_fmac_f32_e32 v83, v75, v78
	v_add_f32_e32 v82, v82, v83
	v_mul_f32_e32 v83, v76, v81
	v_fmac_f32_e32 v83, v77, v80
	v_add_f32_e32 v90, v82, v83
	ds_read2_b64 v[82:85], v110 offset0:101 offset1:102
	v_mul_f32_e32 v3, v51, v55
	v_fma_f32 v3, v50, v54, -v3
	v_add_f32_e32 v2, v2, v3
	v_mul_f32_e32 v3, v53, v57
	s_waitcnt vmcnt(8) lgkmcnt(0)
	v_mul_f32_e32 v91, v82, v87
	v_fmac_f32_e32 v91, v83, v86
	v_add_f32_e32 v90, v90, v91
	v_mul_f32_e32 v91, v84, v89
	v_fmac_f32_e32 v91, v85, v88
	v_add_f32_e32 v98, v90, v91
	ds_read2_b64 v[90:93], v110 offset0:103 offset1:104
	v_fma_f32 v3, v52, v56, -v3
	v_add_f32_e32 v2, v2, v3
	v_mul_f32_e32 v3, v59, v63
	v_fma_f32 v3, v58, v62, -v3
	s_waitcnt vmcnt(7) lgkmcnt(0)
	v_mul_f32_e32 v99, v90, v95
	v_fmac_f32_e32 v99, v91, v94
	v_add_f32_e32 v98, v98, v99
	v_mul_f32_e32 v99, v92, v97
	v_fmac_f32_e32 v99, v93, v96
	v_add_f32_e32 v106, v98, v99
	ds_read2_b64 v[98:101], v110 offset0:105 offset1:106
	v_add_f32_e32 v2, v2, v3
	v_mul_f32_e32 v3, v61, v65
	v_fma_f32 v3, v60, v64, -v3
	v_add_f32_e32 v2, v2, v3
	s_waitcnt vmcnt(6) lgkmcnt(0)
	v_mul_f32_e32 v107, v98, v103
	v_fmac_f32_e32 v107, v99, v102
	v_add_f32_e32 v106, v106, v107
	v_mul_f32_e32 v107, v100, v105
	v_fmac_f32_e32 v107, v101, v104
	v_add_f32_e32 v111, v106, v107
	ds_read2_b64 v[106:109], v110 offset0:107 offset1:108
	v_mul_f32_e32 v3, v67, v71
	v_fma_f32 v3, v66, v70, -v3
	v_add_f32_e32 v2, v2, v3
	v_mul_f32_e32 v3, v69, v73
	s_waitcnt vmcnt(5) lgkmcnt(0)
	v_mul_f32_e32 v116, v106, v113
	v_fmac_f32_e32 v116, v107, v112
	v_add_f32_e32 v111, v111, v116
	v_mul_f32_e32 v116, v108, v115
	v_fmac_f32_e32 v116, v109, v114
	v_add_f32_e32 v111, v111, v116
	ds_read2_b64 v[116:119], v110 offset0:109 offset1:110
	v_fma_f32 v3, v68, v72, -v3
	v_add_f32_e32 v2, v2, v3
	v_mul_f32_e32 v3, v75, v79
	v_fma_f32 v3, v74, v78, -v3
	s_waitcnt vmcnt(4) lgkmcnt(0)
	v_mul_f32_e32 v124, v116, v121
	v_fmac_f32_e32 v124, v117, v120
	v_add_f32_e32 v111, v111, v124
	v_mul_f32_e32 v124, v118, v123
	v_fmac_f32_e32 v124, v119, v122
	v_add_f32_e32 v111, v111, v124
	ds_read2_b64 v[124:127], v110 offset0:111 offset1:112
	v_add_f32_e32 v2, v2, v3
	v_mul_f32_e32 v3, v77, v81
	v_fma_f32 v3, v76, v80, -v3
	v_add_f32_e32 v2, v2, v3
	s_waitcnt vmcnt(3) lgkmcnt(0)
	v_mul_f32_e32 v132, v124, v129
	v_fmac_f32_e32 v132, v125, v128
	v_add_f32_e32 v111, v111, v132
	v_mul_f32_e32 v132, v126, v131
	v_fmac_f32_e32 v132, v127, v130
	v_add_f32_e32 v111, v111, v132
	ds_read2_b64 v[132:135], v110 offset0:113 offset1:114
	v_mul_f32_e32 v3, v83, v87
	v_fma_f32 v3, v82, v86, -v3
	v_add_f32_e32 v2, v2, v3
	v_mul_f32_e32 v3, v85, v89
	s_waitcnt vmcnt(2) lgkmcnt(0)
	v_mul_f32_e32 v140, v132, v137
	v_fmac_f32_e32 v140, v133, v136
	v_add_f32_e32 v111, v111, v140
	v_mul_f32_e32 v140, v134, v139
	v_fmac_f32_e32 v140, v135, v138
	v_add_f32_e32 v111, v111, v140
	ds_read2_b64 v[140:143], v110 offset0:115 offset1:116
	scratch_load_dwordx4 v[178:181], off, off offset:440
	scratch_load_dwordx4 v[182:185], off, off offset:456
	;; [unrolled: 1-line block ×4, first 2 shown]
	v_fma_f32 v3, v84, v88, -v3
	v_add_f32_e32 v2, v2, v3
	v_mul_f32_e32 v3, v91, v95
	v_fma_f32 v3, v90, v94, -v3
	v_add_f32_e32 v2, v2, v3
	v_mul_f32_e32 v3, v93, v97
	;; [unrolled: 3-line block ×12, first 2 shown]
	v_fma_f32 v3, v134, v138, -v3
	s_waitcnt vmcnt(5) lgkmcnt(0)
	v_mul_f32_e32 v148, v140, v145
	v_add_f32_e32 v2, v2, v3
	v_mul_f32_e32 v3, v141, v145
	v_fmac_f32_e32 v148, v141, v144
	v_fma_f32 v3, v140, v144, -v3
	v_add_f32_e32 v111, v111, v148
	v_mul_f32_e32 v148, v142, v147
	v_add_f32_e32 v2, v2, v3
	v_mul_f32_e32 v3, v143, v147
	v_fmac_f32_e32 v148, v143, v146
	v_fma_f32 v3, v142, v146, -v3
	v_add_f32_e32 v149, v111, v148
	v_add_f32_e32 v148, v2, v3
	s_waitcnt vmcnt(4)
	v_mul_f32_e32 v2, v171, v175
	v_fma_f32 v194, v170, v174, -v2
	v_mul_f32_e32 v2, v173, v177
	v_fma_f32 v196, v172, v176, -v2
	ds_read2_b64 v[2:5], v110 offset0:119 offset1:120
	ds_read2_b64 v[6:9], v110 offset0:121 offset1:122
	ds_read2_b64 v[10:13], v110 offset0:123 offset1:124
	ds_read2_b64 v[14:17], v110 offset0:125 offset1:126
	v_mul_f32_e32 v195, v170, v175
	v_fmac_f32_e32 v195, v171, v174
	v_mul_f32_e32 v197, v172, v177
	v_fmac_f32_e32 v197, v173, v176
	v_pk_add_f32 v[18:19], v[148:149], v[194:195]
	s_waitcnt vmcnt(3) lgkmcnt(3)
	v_pk_mul_f32 v[20:21], v[2:3], v[178:179] op_sel:[1,1] op_sel_hi:[0,1]
	v_pk_fma_f32 v[22:23], v[2:3], v[178:179], v[20:21] neg_lo:[0,0,1] neg_hi:[0,0,1]
	v_pk_fma_f32 v[2:3], v[2:3], v[178:179], v[20:21] op_sel_hi:[1,0,1]
	v_pk_add_f32 v[18:19], v[18:19], v[196:197]
	v_mov_b32_e32 v23, v3
	v_pk_add_f32 v[2:3], v[18:19], v[22:23]
	v_mov_b32_e32 v18, v181
	v_pk_mul_f32 v[18:19], v[4:5], v[18:19] op_sel:[1,0] op_sel_hi:[0,0]
	v_pk_fma_f32 v[20:21], v[4:5], v[180:181], v[18:19] neg_lo:[0,0,1] neg_hi:[0,0,1]
	v_pk_fma_f32 v[4:5], v[4:5], v[180:181], v[18:19] op_sel_hi:[1,0,1]
	s_nop 0
	v_mov_b32_e32 v21, v5
	s_waitcnt vmcnt(2) lgkmcnt(2)
	v_pk_mul_f32 v[4:5], v[6:7], v[182:183] op_sel:[1,1] op_sel_hi:[0,1]
	v_pk_fma_f32 v[18:19], v[6:7], v[182:183], v[4:5] neg_lo:[0,0,1] neg_hi:[0,0,1]
	v_pk_fma_f32 v[4:5], v[6:7], v[182:183], v[4:5] op_sel_hi:[1,0,1]
	v_pk_add_f32 v[2:3], v[2:3], v[20:21]
	v_mov_b32_e32 v4, v185
	v_mov_b32_e32 v19, v5
	v_pk_mul_f32 v[4:5], v[8:9], v[4:5] op_sel:[1,0] op_sel_hi:[0,0]
	v_pk_fma_f32 v[6:7], v[8:9], v[184:185], v[4:5] neg_lo:[0,0,1] neg_hi:[0,0,1]
	v_pk_fma_f32 v[4:5], v[8:9], v[184:185], v[4:5] op_sel_hi:[1,0,1]
	v_pk_add_f32 v[2:3], v[2:3], v[18:19]
	v_mov_b32_e32 v7, v5
	s_waitcnt vmcnt(1) lgkmcnt(1)
	v_pk_mul_f32 v[4:5], v[10:11], v[186:187] op_sel:[1,1] op_sel_hi:[0,1]
	v_pk_add_f32 v[2:3], v[2:3], v[6:7]
	v_pk_fma_f32 v[6:7], v[10:11], v[186:187], v[4:5] neg_lo:[0,0,1] neg_hi:[0,0,1]
	v_pk_fma_f32 v[4:5], v[10:11], v[186:187], v[4:5] op_sel_hi:[1,0,1]
	s_nop 0
	v_mov_b32_e32 v4, v189
	v_mov_b32_e32 v7, v5
	v_pk_mul_f32 v[4:5], v[12:13], v[4:5] op_sel:[1,0] op_sel_hi:[0,0]
	v_pk_add_f32 v[2:3], v[2:3], v[6:7]
	v_pk_fma_f32 v[6:7], v[12:13], v[188:189], v[4:5] neg_lo:[0,0,1] neg_hi:[0,0,1]
	v_pk_fma_f32 v[4:5], v[12:13], v[188:189], v[4:5] op_sel_hi:[1,0,1]
	s_nop 0
	v_mov_b32_e32 v7, v5
	s_waitcnt vmcnt(0) lgkmcnt(0)
	v_pk_mul_f32 v[4:5], v[14:15], v[190:191] op_sel:[1,1] op_sel_hi:[0,1]
	v_pk_add_f32 v[2:3], v[2:3], v[6:7]
	v_pk_fma_f32 v[6:7], v[14:15], v[190:191], v[4:5] neg_lo:[0,0,1] neg_hi:[0,0,1]
	v_pk_fma_f32 v[4:5], v[14:15], v[190:191], v[4:5] op_sel_hi:[1,0,1]
	s_nop 0
	v_mov_b32_e32 v4, v193
	v_mov_b32_e32 v7, v5
	v_pk_mul_f32 v[4:5], v[16:17], v[4:5] op_sel:[1,0] op_sel_hi:[0,0]
	v_pk_add_f32 v[2:3], v[2:3], v[6:7]
	v_pk_fma_f32 v[6:7], v[16:17], v[192:193], v[4:5] neg_lo:[0,0,1] neg_hi:[0,0,1]
	v_pk_fma_f32 v[4:5], v[16:17], v[192:193], v[4:5] op_sel_hi:[1,0,1]
	s_nop 0
	v_mov_b32_e32 v7, v5
	scratch_load_dwordx2 v[4:5], off, off offset:128
	v_pk_add_f32 v[2:3], v[2:3], v[6:7]
	s_waitcnt vmcnt(0)
	v_pk_add_f32 v[2:3], v[4:5], v[2:3] neg_lo:[0,1] neg_hi:[0,1]
	scratch_store_dwordx2 off, v[2:3], off offset:128
	s_and_saveexec_b64 s[0:1], vcc
	s_cbranch_execz .LBB62_361
; %bb.360:
	scratch_load_dwordx2 v[2:3], off, off offset:120
	v_mov_b32_e32 v4, 0
	v_mov_b32_e32 v5, v4
	scratch_store_dwordx2 off, v[4:5], off offset:120
	s_waitcnt vmcnt(1)
	ds_write_b64 v1, v[2:3]
.LBB62_361:
	s_or_b64 exec, exec, s[0:1]
	v_mov_b32_e32 v118, 0
	s_waitcnt lgkmcnt(0)
	; wave barrier
	ds_read_b128 v[14:17], v118 offset:640
	ds_read_b128 v[10:13], v118 offset:656
	;; [unrolled: 1-line block ×4, first 2 shown]
	scratch_load_dwordx4 v[18:21], off, off offset:128
	scratch_load_dwordx4 v[38:41], off, off offset:192
	;; [unrolled: 1-line block ×14, first 2 shown]
	v_cmp_lt_u32_e32 vcc, 14, v0
	scratch_load_dwordx4 v[46:49], off, off offset:208
	scratch_load_dwordx4 v[54:57], off, off offset:224
	;; [unrolled: 1-line block ×3, first 2 shown]
	ds_read_b128 v[170:173], v118 offset:928
	ds_read_b128 v[178:181], v118 offset:944
	s_waitcnt vmcnt(16) lgkmcnt(5)
	v_mul_f32_e32 v22, v14, v19
	v_fmac_f32_e32 v22, v15, v18
	v_mul_f32_e32 v23, v16, v21
	v_add_f32_e32 v22, 0, v22
	v_fmac_f32_e32 v23, v17, v20
	v_add_f32_e32 v26, v22, v23
	scratch_load_dwordx4 v[22:25], off, off offset:144
	v_mul_f32_e32 v15, v15, v19
	v_fma_f32 v14, v14, v18, -v15
	v_mul_f32_e32 v15, v17, v21
	v_add_f32_e32 v14, 0, v14
	v_fma_f32 v15, v16, v20, -v15
	v_add_f32_e32 v14, v14, v15
	s_waitcnt vmcnt(5) lgkmcnt(1)
	v_mul_f32_e32 v199, v172, v177
	s_waitcnt vmcnt(4)
	v_mov_b32_e32 v18, v185
	v_fmac_f32_e32 v199, v173, v176
	s_waitcnt lgkmcnt(0)
	v_mul_f32_e32 v201, v178, v183
	v_pk_mul_f32 v[18:19], v[180:181], v[18:19] op_sel:[1,0] op_sel_hi:[0,0]
	v_fmac_f32_e32 v201, v179, v182
	v_pk_fma_f32 v[20:21], v[180:181], v[184:185], v[18:19] neg_lo:[0,0,1] neg_hi:[0,0,1]
	v_pk_fma_f32 v[18:19], v[180:181], v[184:185], v[18:19] op_sel_hi:[1,0,1]
	s_waitcnt vmcnt(0)
	v_mul_f32_e32 v27, v10, v23
	v_fmac_f32_e32 v27, v11, v22
	v_add_f32_e32 v26, v26, v27
	v_mul_f32_e32 v27, v12, v25
	v_fmac_f32_e32 v27, v13, v24
	v_add_f32_e32 v30, v26, v27
	scratch_load_dwordx4 v[26:29], off, off offset:160
	v_mul_f32_e32 v11, v11, v23
	v_fma_f32 v10, v10, v22, -v11
	v_mul_f32_e32 v11, v13, v25
	v_add_f32_e32 v10, v14, v10
	v_fma_f32 v11, v12, v24, -v11
	v_add_f32_e32 v10, v10, v11
	v_mov_b32_e32 v21, v19
	s_waitcnt vmcnt(0)
	v_mul_f32_e32 v31, v6, v27
	v_fmac_f32_e32 v31, v7, v26
	v_add_f32_e32 v30, v30, v31
	v_mul_f32_e32 v31, v8, v29
	v_fmac_f32_e32 v31, v9, v28
	v_add_f32_e32 v34, v30, v31
	scratch_load_dwordx4 v[30:33], off, off offset:176
	v_mul_f32_e32 v7, v7, v27
	v_fma_f32 v6, v6, v26, -v7
	v_mul_f32_e32 v7, v9, v29
	v_add_f32_e32 v6, v10, v6
	v_fma_f32 v7, v8, v28, -v7
	v_add_f32_e32 v6, v6, v7
	s_waitcnt vmcnt(0)
	v_mul_f32_e32 v35, v2, v31
	v_fmac_f32_e32 v35, v3, v30
	v_add_f32_e32 v34, v34, v35
	v_mul_f32_e32 v35, v4, v33
	v_fmac_f32_e32 v35, v5, v32
	v_add_f32_e32 v42, v34, v35
	ds_read_b128 v[34:37], v118 offset:704
	v_mul_f32_e32 v3, v3, v31
	v_fma_f32 v2, v2, v30, -v3
	v_mul_f32_e32 v3, v5, v33
	v_add_f32_e32 v2, v6, v2
	s_waitcnt lgkmcnt(0)
	v_mul_f32_e32 v43, v34, v39
	v_fmac_f32_e32 v43, v35, v38
	v_add_f32_e32 v42, v42, v43
	v_mul_f32_e32 v43, v36, v41
	v_fmac_f32_e32 v43, v37, v40
	v_add_f32_e32 v50, v42, v43
	ds_read_b128 v[42:45], v118 offset:720
	v_fma_f32 v3, v4, v32, -v3
	v_add_f32_e32 v2, v2, v3
	v_mul_f32_e32 v3, v35, v39
	v_fma_f32 v3, v34, v38, -v3
	s_waitcnt lgkmcnt(0)
	v_mul_f32_e32 v51, v42, v47
	v_fmac_f32_e32 v51, v43, v46
	v_add_f32_e32 v50, v50, v51
	v_mul_f32_e32 v51, v44, v49
	v_fmac_f32_e32 v51, v45, v48
	v_add_f32_e32 v58, v50, v51
	ds_read_b128 v[50:53], v118 offset:736
	v_add_f32_e32 v2, v2, v3
	v_mul_f32_e32 v3, v37, v41
	v_fma_f32 v3, v36, v40, -v3
	v_add_f32_e32 v2, v2, v3
	s_waitcnt lgkmcnt(0)
	v_mul_f32_e32 v59, v50, v55
	v_fmac_f32_e32 v59, v51, v54
	v_add_f32_e32 v58, v58, v59
	v_mul_f32_e32 v59, v52, v57
	v_fmac_f32_e32 v59, v53, v56
	v_add_f32_e32 v66, v58, v59
	ds_read_b128 v[58:61], v118 offset:752
	v_mul_f32_e32 v3, v43, v47
	v_fma_f32 v3, v42, v46, -v3
	v_add_f32_e32 v2, v2, v3
	v_mul_f32_e32 v3, v45, v49
	s_waitcnt lgkmcnt(0)
	v_mul_f32_e32 v67, v58, v63
	v_fmac_f32_e32 v67, v59, v62
	v_add_f32_e32 v66, v66, v67
	v_mul_f32_e32 v67, v60, v65
	v_fmac_f32_e32 v67, v61, v64
	v_add_f32_e32 v74, v66, v67
	ds_read_b128 v[66:69], v118 offset:768
	v_fma_f32 v3, v44, v48, -v3
	v_add_f32_e32 v2, v2, v3
	v_mul_f32_e32 v3, v51, v55
	v_fma_f32 v3, v50, v54, -v3
	s_waitcnt lgkmcnt(0)
	v_mul_f32_e32 v75, v66, v71
	v_fmac_f32_e32 v75, v67, v70
	v_add_f32_e32 v74, v74, v75
	v_mul_f32_e32 v75, v68, v73
	v_fmac_f32_e32 v75, v69, v72
	v_add_f32_e32 v82, v74, v75
	ds_read_b128 v[74:77], v118 offset:784
	v_add_f32_e32 v2, v2, v3
	v_mul_f32_e32 v3, v53, v57
	v_fma_f32 v3, v52, v56, -v3
	v_add_f32_e32 v2, v2, v3
	s_waitcnt lgkmcnt(0)
	v_mul_f32_e32 v83, v74, v79
	v_fmac_f32_e32 v83, v75, v78
	v_add_f32_e32 v82, v82, v83
	v_mul_f32_e32 v83, v76, v81
	v_fmac_f32_e32 v83, v77, v80
	v_add_f32_e32 v90, v82, v83
	ds_read_b128 v[82:85], v118 offset:800
	v_mul_f32_e32 v3, v59, v63
	v_fma_f32 v3, v58, v62, -v3
	v_add_f32_e32 v2, v2, v3
	v_mul_f32_e32 v3, v61, v65
	;; [unrolled: 36-line block ×4, first 2 shown]
	s_waitcnt lgkmcnt(0)
	v_mul_f32_e32 v140, v132, v137
	v_fmac_f32_e32 v140, v133, v136
	v_add_f32_e32 v119, v119, v140
	v_mul_f32_e32 v140, v134, v139
	v_fmac_f32_e32 v140, v135, v138
	v_add_f32_e32 v119, v119, v140
	ds_read_b128 v[140:143], v118 offset:912
	scratch_load_dwordx4 v[186:189], off, off offset:448
	scratch_load_dwordx4 v[190:193], off, off offset:464
	;; [unrolled: 1-line block ×3, first 2 shown]
	scratch_load_dwordx2 v[202:203], off, off offset:496
	v_fma_f32 v3, v92, v96, -v3
	v_add_f32_e32 v2, v2, v3
	v_mul_f32_e32 v3, v99, v103
	v_fma_f32 v3, v98, v102, -v3
	v_add_f32_e32 v2, v2, v3
	v_mul_f32_e32 v3, v101, v105
	v_fma_f32 v3, v100, v104, -v3
	v_add_f32_e32 v2, v2, v3
	v_mul_f32_e32 v3, v107, v111
	v_fma_f32 v3, v106, v110, -v3
	v_add_f32_e32 v2, v2, v3
	v_mul_f32_e32 v3, v109, v113
	v_fma_f32 v3, v108, v112, -v3
	v_add_f32_e32 v2, v2, v3
	v_mul_f32_e32 v3, v115, v121
	v_fma_f32 v3, v114, v120, -v3
	v_add_f32_e32 v2, v2, v3
	v_mul_f32_e32 v3, v117, v123
	v_fma_f32 v3, v116, v122, -v3
	v_add_f32_e32 v2, v2, v3
	v_mul_f32_e32 v3, v125, v129
	v_fma_f32 v3, v124, v128, -v3
	v_add_f32_e32 v2, v2, v3
	v_mul_f32_e32 v3, v127, v131
	v_fma_f32 v3, v126, v130, -v3
	v_add_f32_e32 v2, v2, v3
	v_mul_f32_e32 v3, v133, v137
	v_fma_f32 v3, v132, v136, -v3
	v_add_f32_e32 v2, v2, v3
	v_mul_f32_e32 v3, v135, v139
	v_fma_f32 v3, v134, v138, -v3
	s_waitcnt lgkmcnt(0)
	v_mul_f32_e32 v148, v140, v145
	v_add_f32_e32 v2, v2, v3
	v_mul_f32_e32 v3, v141, v145
	v_fmac_f32_e32 v148, v141, v144
	v_fma_f32 v3, v140, v144, -v3
	v_add_f32_e32 v119, v119, v148
	v_mul_f32_e32 v148, v142, v147
	v_add_f32_e32 v2, v2, v3
	v_mul_f32_e32 v3, v143, v147
	v_fmac_f32_e32 v148, v143, v146
	v_fma_f32 v3, v142, v146, -v3
	v_add_f32_e32 v119, v119, v148
	v_mul_f32_e32 v148, v170, v175
	v_add_f32_e32 v2, v2, v3
	v_mul_f32_e32 v3, v171, v175
	v_fmac_f32_e32 v148, v171, v174
	v_fma_f32 v3, v170, v174, -v3
	v_add_f32_e32 v149, v119, v148
	v_add_f32_e32 v148, v2, v3
	v_mul_f32_e32 v2, v173, v177
	v_fma_f32 v198, v172, v176, -v2
	v_mul_f32_e32 v2, v179, v183
	v_fma_f32 v200, v178, v182, -v2
	ds_read_b128 v[2:5], v118 offset:960
	ds_read_b128 v[6:9], v118 offset:976
	;; [unrolled: 1-line block ×3, first 2 shown]
	ds_read_b64 v[14:15], v118 offset:1008
	v_pk_add_f32 v[16:17], v[148:149], v[198:199]
	s_waitcnt vmcnt(3) lgkmcnt(3)
	v_pk_mul_f32 v[18:19], v[2:3], v[186:187] op_sel:[1,1] op_sel_hi:[0,1]
	v_pk_add_f32 v[16:17], v[16:17], v[200:201]
	s_nop 0
	v_pk_add_f32 v[16:17], v[16:17], v[20:21]
	v_pk_fma_f32 v[20:21], v[2:3], v[186:187], v[18:19] neg_lo:[0,0,1] neg_hi:[0,0,1]
	v_pk_fma_f32 v[2:3], v[2:3], v[186:187], v[18:19] op_sel_hi:[1,0,1]
	s_nop 0
	v_mov_b32_e32 v21, v3
	v_pk_add_f32 v[2:3], v[16:17], v[20:21]
	v_mov_b32_e32 v16, v189
	v_pk_mul_f32 v[16:17], v[4:5], v[16:17] op_sel:[1,0] op_sel_hi:[0,0]
	v_pk_fma_f32 v[18:19], v[4:5], v[188:189], v[16:17] neg_lo:[0,0,1] neg_hi:[0,0,1]
	v_pk_fma_f32 v[4:5], v[4:5], v[188:189], v[16:17] op_sel_hi:[1,0,1]
	s_nop 0
	v_mov_b32_e32 v19, v5
	s_waitcnt vmcnt(2) lgkmcnt(2)
	v_pk_mul_f32 v[4:5], v[6:7], v[190:191] op_sel:[1,1] op_sel_hi:[0,1]
	v_pk_fma_f32 v[16:17], v[6:7], v[190:191], v[4:5] neg_lo:[0,0,1] neg_hi:[0,0,1]
	v_pk_fma_f32 v[4:5], v[6:7], v[190:191], v[4:5] op_sel_hi:[1,0,1]
	v_pk_add_f32 v[2:3], v[2:3], v[18:19]
	v_mov_b32_e32 v4, v193
	v_mov_b32_e32 v17, v5
	v_pk_mul_f32 v[4:5], v[8:9], v[4:5] op_sel:[1,0] op_sel_hi:[0,0]
	v_pk_fma_f32 v[6:7], v[8:9], v[192:193], v[4:5] neg_lo:[0,0,1] neg_hi:[0,0,1]
	v_pk_fma_f32 v[4:5], v[8:9], v[192:193], v[4:5] op_sel_hi:[1,0,1]
	v_pk_add_f32 v[2:3], v[2:3], v[16:17]
	v_mov_b32_e32 v7, v5
	s_waitcnt vmcnt(1) lgkmcnt(1)
	v_pk_mul_f32 v[4:5], v[10:11], v[194:195] op_sel:[1,1] op_sel_hi:[0,1]
	v_pk_add_f32 v[2:3], v[2:3], v[6:7]
	v_pk_fma_f32 v[6:7], v[10:11], v[194:195], v[4:5] neg_lo:[0,0,1] neg_hi:[0,0,1]
	v_pk_fma_f32 v[4:5], v[10:11], v[194:195], v[4:5] op_sel_hi:[1,0,1]
	s_nop 0
	v_mov_b32_e32 v4, v197
	v_mov_b32_e32 v7, v5
	v_pk_mul_f32 v[4:5], v[12:13], v[4:5] op_sel:[1,0] op_sel_hi:[0,0]
	v_pk_add_f32 v[2:3], v[2:3], v[6:7]
	v_pk_fma_f32 v[6:7], v[12:13], v[196:197], v[4:5] neg_lo:[0,0,1] neg_hi:[0,0,1]
	v_pk_fma_f32 v[4:5], v[12:13], v[196:197], v[4:5] op_sel_hi:[1,0,1]
	s_nop 0
	v_mov_b32_e32 v7, v5
	s_waitcnt vmcnt(0) lgkmcnt(0)
	v_pk_mul_f32 v[4:5], v[14:15], v[202:203] op_sel:[1,1] op_sel_hi:[0,1]
	v_pk_add_f32 v[2:3], v[2:3], v[6:7]
	v_pk_fma_f32 v[6:7], v[14:15], v[202:203], v[4:5] neg_lo:[0,0,1] neg_hi:[0,0,1]
	v_pk_fma_f32 v[4:5], v[14:15], v[202:203], v[4:5] op_sel_hi:[1,0,1]
	s_nop 0
	v_mov_b32_e32 v7, v5
	scratch_load_dwordx2 v[4:5], off, off offset:120
	v_pk_add_f32 v[2:3], v[2:3], v[6:7]
	s_waitcnt vmcnt(0)
	v_pk_add_f32 v[2:3], v[4:5], v[2:3] neg_lo:[0,1] neg_hi:[0,1]
	scratch_store_dwordx2 off, v[2:3], off offset:120
	s_and_saveexec_b64 s[0:1], vcc
	s_cbranch_execz .LBB62_363
; %bb.362:
	scratch_load_dwordx2 v[2:3], off, off offset:112
	v_mov_b32_e32 v119, v118
	scratch_store_dwordx2 off, v[118:119], off offset:112
	s_waitcnt vmcnt(1)
	ds_write_b64 v1, v[2:3]
.LBB62_363:
	s_or_b64 exec, exec, s[0:1]
	s_waitcnt lgkmcnt(0)
	; wave barrier
	scratch_load_dwordx4 v[6:9], off, off offset:120
	scratch_load_dwordx4 v[14:17], off, off offset:136
	;; [unrolled: 1-line block ×10, first 2 shown]
	ds_read2_b64 v[2:5], v118 offset0:79 offset1:80
	ds_read2_b64 v[170:173], v118 offset0:115 offset1:116
	scratch_load_dwordx4 v[86:89], off, off offset:280
	scratch_load_dwordx4 v[94:97], off, off offset:296
	scratch_load_dwordx4 v[102:105], off, off offset:312
	scratch_load_dwordx4 v[110:113], off, off offset:328
	scratch_load_dwordx4 v[120:123], off, off offset:344
	scratch_load_dwordx4 v[128:131], off, off offset:360
	scratch_load_dwordx4 v[136:139], off, off offset:376
	scratch_load_dwordx4 v[144:147], off, off offset:392
	scratch_load_dwordx4 v[174:177], off, off offset:408
	scratch_load_dwordx4 v[182:185], off, off offset:424
	v_cmp_lt_u32_e32 vcc, 13, v0
	ds_read2_b64 v[178:181], v118 offset0:117 offset1:118
	s_waitcnt vmcnt(19) lgkmcnt(2)
	v_mul_f32_e32 v10, v2, v7
	v_fmac_f32_e32 v10, v3, v6
	v_mul_f32_e32 v11, v4, v9
	v_add_f32_e32 v10, 0, v10
	v_fmac_f32_e32 v11, v5, v8
	v_add_f32_e32 v18, v10, v11
	ds_read2_b64 v[10:13], v118 offset0:81 offset1:82
	v_mul_f32_e32 v3, v3, v7
	v_fma_f32 v2, v2, v6, -v3
	v_mul_f32_e32 v3, v5, v9
	v_add_f32_e32 v2, 0, v2
	s_waitcnt vmcnt(18) lgkmcnt(0)
	v_mul_f32_e32 v19, v10, v15
	v_fmac_f32_e32 v19, v11, v14
	v_add_f32_e32 v18, v18, v19
	v_mul_f32_e32 v19, v12, v17
	v_fmac_f32_e32 v19, v13, v16
	v_add_f32_e32 v26, v18, v19
	ds_read2_b64 v[18:21], v118 offset0:83 offset1:84
	v_fma_f32 v3, v4, v8, -v3
	v_add_f32_e32 v2, v2, v3
	v_mul_f32_e32 v3, v11, v15
	v_fma_f32 v3, v10, v14, -v3
	s_waitcnt vmcnt(17) lgkmcnt(0)
	v_mul_f32_e32 v27, v18, v23
	v_fmac_f32_e32 v27, v19, v22
	v_add_f32_e32 v26, v26, v27
	v_mul_f32_e32 v27, v20, v25
	v_fmac_f32_e32 v27, v21, v24
	v_add_f32_e32 v34, v26, v27
	ds_read2_b64 v[26:29], v118 offset0:85 offset1:86
	v_add_f32_e32 v2, v2, v3
	v_mul_f32_e32 v3, v13, v17
	v_fma_f32 v3, v12, v16, -v3
	v_add_f32_e32 v2, v2, v3
	s_waitcnt vmcnt(16) lgkmcnt(0)
	v_mul_f32_e32 v35, v26, v31
	v_fmac_f32_e32 v35, v27, v30
	v_add_f32_e32 v34, v34, v35
	v_mul_f32_e32 v35, v28, v33
	v_fmac_f32_e32 v35, v29, v32
	v_add_f32_e32 v42, v34, v35
	ds_read2_b64 v[34:37], v118 offset0:87 offset1:88
	v_mul_f32_e32 v3, v19, v23
	v_fma_f32 v3, v18, v22, -v3
	v_add_f32_e32 v2, v2, v3
	v_mul_f32_e32 v3, v21, v25
	s_waitcnt vmcnt(15) lgkmcnt(0)
	v_mul_f32_e32 v43, v34, v39
	v_fmac_f32_e32 v43, v35, v38
	v_add_f32_e32 v42, v42, v43
	v_mul_f32_e32 v43, v36, v41
	v_fmac_f32_e32 v43, v37, v40
	v_add_f32_e32 v50, v42, v43
	ds_read2_b64 v[42:45], v118 offset0:89 offset1:90
	v_fma_f32 v3, v20, v24, -v3
	v_add_f32_e32 v2, v2, v3
	v_mul_f32_e32 v3, v27, v31
	v_fma_f32 v3, v26, v30, -v3
	s_waitcnt vmcnt(14) lgkmcnt(0)
	v_mul_f32_e32 v51, v42, v47
	v_fmac_f32_e32 v51, v43, v46
	v_add_f32_e32 v50, v50, v51
	v_mul_f32_e32 v51, v44, v49
	v_fmac_f32_e32 v51, v45, v48
	v_add_f32_e32 v58, v50, v51
	ds_read2_b64 v[50:53], v118 offset0:91 offset1:92
	v_add_f32_e32 v2, v2, v3
	v_mul_f32_e32 v3, v29, v33
	v_fma_f32 v3, v28, v32, -v3
	v_add_f32_e32 v2, v2, v3
	s_waitcnt vmcnt(13) lgkmcnt(0)
	v_mul_f32_e32 v59, v50, v55
	v_fmac_f32_e32 v59, v51, v54
	v_add_f32_e32 v58, v58, v59
	v_mul_f32_e32 v59, v52, v57
	v_fmac_f32_e32 v59, v53, v56
	v_add_f32_e32 v66, v58, v59
	ds_read2_b64 v[58:61], v118 offset0:93 offset1:94
	v_mul_f32_e32 v3, v35, v39
	v_fma_f32 v3, v34, v38, -v3
	v_add_f32_e32 v2, v2, v3
	v_mul_f32_e32 v3, v37, v41
	;; [unrolled: 36-line block ×5, first 2 shown]
	s_waitcnt vmcnt(3) lgkmcnt(0)
	v_mul_f32_e32 v140, v132, v137
	v_fmac_f32_e32 v140, v133, v136
	v_add_f32_e32 v119, v119, v140
	v_mul_f32_e32 v140, v134, v139
	v_fmac_f32_e32 v140, v135, v138
	v_add_f32_e32 v119, v119, v140
	ds_read2_b64 v[140:143], v118 offset0:113 offset1:114
	scratch_load_dwordx4 v[186:189], off, off offset:440
	scratch_load_dwordx4 v[190:193], off, off offset:456
	;; [unrolled: 1-line block ×4, first 2 shown]
	v_fma_f32 v3, v84, v88, -v3
	v_add_f32_e32 v2, v2, v3
	v_mul_f32_e32 v3, v91, v95
	v_fma_f32 v3, v90, v94, -v3
	v_add_f32_e32 v2, v2, v3
	v_mul_f32_e32 v3, v93, v97
	;; [unrolled: 3-line block ×12, first 2 shown]
	v_fma_f32 v3, v134, v138, -v3
	s_waitcnt vmcnt(6) lgkmcnt(0)
	v_mul_f32_e32 v148, v140, v145
	v_add_f32_e32 v2, v2, v3
	v_mul_f32_e32 v3, v141, v145
	v_fmac_f32_e32 v148, v141, v144
	v_fma_f32 v3, v140, v144, -v3
	v_add_f32_e32 v119, v119, v148
	v_mul_f32_e32 v148, v142, v147
	v_add_f32_e32 v2, v2, v3
	v_mul_f32_e32 v3, v143, v147
	v_fmac_f32_e32 v148, v143, v146
	v_fma_f32 v3, v142, v146, -v3
	v_add_f32_e32 v119, v119, v148
	s_waitcnt vmcnt(5)
	v_mul_f32_e32 v148, v170, v175
	v_add_f32_e32 v2, v2, v3
	v_mul_f32_e32 v3, v171, v175
	v_fmac_f32_e32 v148, v171, v174
	v_fma_f32 v3, v170, v174, -v3
	v_add_f32_e32 v119, v119, v148
	v_mul_f32_e32 v148, v172, v177
	v_add_f32_e32 v2, v2, v3
	v_mul_f32_e32 v3, v173, v177
	v_fmac_f32_e32 v148, v173, v176
	v_fma_f32 v3, v172, v176, -v3
	v_add_f32_e32 v149, v119, v148
	v_add_f32_e32 v148, v2, v3
	s_waitcnt vmcnt(4)
	v_mul_f32_e32 v2, v179, v183
	v_fma_f32 v202, v178, v182, -v2
	v_mul_f32_e32 v2, v181, v185
	v_fma_f32 v204, v180, v184, -v2
	ds_read2_b64 v[2:5], v118 offset0:119 offset1:120
	ds_read2_b64 v[6:9], v118 offset0:121 offset1:122
	;; [unrolled: 1-line block ×4, first 2 shown]
	v_mul_f32_e32 v203, v178, v183
	v_fmac_f32_e32 v203, v179, v182
	v_mul_f32_e32 v205, v180, v185
	v_fmac_f32_e32 v205, v181, v184
	v_pk_add_f32 v[18:19], v[148:149], v[202:203]
	s_waitcnt vmcnt(3) lgkmcnt(3)
	v_pk_mul_f32 v[20:21], v[2:3], v[186:187] op_sel:[1,1] op_sel_hi:[0,1]
	v_pk_fma_f32 v[22:23], v[2:3], v[186:187], v[20:21] neg_lo:[0,0,1] neg_hi:[0,0,1]
	v_pk_fma_f32 v[2:3], v[2:3], v[186:187], v[20:21] op_sel_hi:[1,0,1]
	v_pk_add_f32 v[18:19], v[18:19], v[204:205]
	v_mov_b32_e32 v23, v3
	v_pk_add_f32 v[2:3], v[18:19], v[22:23]
	v_mov_b32_e32 v18, v189
	v_pk_mul_f32 v[18:19], v[4:5], v[18:19] op_sel:[1,0] op_sel_hi:[0,0]
	v_pk_fma_f32 v[20:21], v[4:5], v[188:189], v[18:19] neg_lo:[0,0,1] neg_hi:[0,0,1]
	v_pk_fma_f32 v[4:5], v[4:5], v[188:189], v[18:19] op_sel_hi:[1,0,1]
	s_nop 0
	v_mov_b32_e32 v21, v5
	s_waitcnt vmcnt(2) lgkmcnt(2)
	v_pk_mul_f32 v[4:5], v[6:7], v[190:191] op_sel:[1,1] op_sel_hi:[0,1]
	v_pk_fma_f32 v[18:19], v[6:7], v[190:191], v[4:5] neg_lo:[0,0,1] neg_hi:[0,0,1]
	v_pk_fma_f32 v[4:5], v[6:7], v[190:191], v[4:5] op_sel_hi:[1,0,1]
	v_pk_add_f32 v[2:3], v[2:3], v[20:21]
	v_mov_b32_e32 v4, v193
	v_mov_b32_e32 v19, v5
	v_pk_mul_f32 v[4:5], v[8:9], v[4:5] op_sel:[1,0] op_sel_hi:[0,0]
	v_pk_fma_f32 v[6:7], v[8:9], v[192:193], v[4:5] neg_lo:[0,0,1] neg_hi:[0,0,1]
	v_pk_fma_f32 v[4:5], v[8:9], v[192:193], v[4:5] op_sel_hi:[1,0,1]
	v_pk_add_f32 v[2:3], v[2:3], v[18:19]
	v_mov_b32_e32 v7, v5
	s_waitcnt vmcnt(1) lgkmcnt(1)
	v_pk_mul_f32 v[4:5], v[10:11], v[194:195] op_sel:[1,1] op_sel_hi:[0,1]
	v_pk_add_f32 v[2:3], v[2:3], v[6:7]
	v_pk_fma_f32 v[6:7], v[10:11], v[194:195], v[4:5] neg_lo:[0,0,1] neg_hi:[0,0,1]
	v_pk_fma_f32 v[4:5], v[10:11], v[194:195], v[4:5] op_sel_hi:[1,0,1]
	s_nop 0
	v_mov_b32_e32 v4, v197
	v_mov_b32_e32 v7, v5
	v_pk_mul_f32 v[4:5], v[12:13], v[4:5] op_sel:[1,0] op_sel_hi:[0,0]
	v_pk_add_f32 v[2:3], v[2:3], v[6:7]
	v_pk_fma_f32 v[6:7], v[12:13], v[196:197], v[4:5] neg_lo:[0,0,1] neg_hi:[0,0,1]
	v_pk_fma_f32 v[4:5], v[12:13], v[196:197], v[4:5] op_sel_hi:[1,0,1]
	s_nop 0
	v_mov_b32_e32 v7, v5
	s_waitcnt vmcnt(0) lgkmcnt(0)
	v_pk_mul_f32 v[4:5], v[14:15], v[198:199] op_sel:[1,1] op_sel_hi:[0,1]
	v_pk_add_f32 v[2:3], v[2:3], v[6:7]
	v_pk_fma_f32 v[6:7], v[14:15], v[198:199], v[4:5] neg_lo:[0,0,1] neg_hi:[0,0,1]
	v_pk_fma_f32 v[4:5], v[14:15], v[198:199], v[4:5] op_sel_hi:[1,0,1]
	s_nop 0
	v_mov_b32_e32 v4, v201
	v_mov_b32_e32 v7, v5
	v_pk_mul_f32 v[4:5], v[16:17], v[4:5] op_sel:[1,0] op_sel_hi:[0,0]
	v_pk_add_f32 v[2:3], v[2:3], v[6:7]
	v_pk_fma_f32 v[6:7], v[16:17], v[200:201], v[4:5] neg_lo:[0,0,1] neg_hi:[0,0,1]
	v_pk_fma_f32 v[4:5], v[16:17], v[200:201], v[4:5] op_sel_hi:[1,0,1]
	s_nop 0
	v_mov_b32_e32 v7, v5
	scratch_load_dwordx2 v[4:5], off, off offset:112
	v_pk_add_f32 v[2:3], v[2:3], v[6:7]
	s_waitcnt vmcnt(0)
	v_pk_add_f32 v[2:3], v[4:5], v[2:3] neg_lo:[0,1] neg_hi:[0,1]
	scratch_store_dwordx2 off, v[2:3], off offset:112
	s_and_saveexec_b64 s[0:1], vcc
	s_cbranch_execz .LBB62_365
; %bb.364:
	scratch_load_dwordx2 v[2:3], off, off offset:104
	v_mov_b32_e32 v4, 0
	v_mov_b32_e32 v5, v4
	scratch_store_dwordx2 off, v[4:5], off offset:104
	s_waitcnt vmcnt(1)
	ds_write_b64 v1, v[2:3]
.LBB62_365:
	s_or_b64 exec, exec, s[0:1]
	v_mov_b32_e32 v134, 0
	s_waitcnt lgkmcnt(0)
	; wave barrier
	ds_read_b128 v[14:17], v134 offset:624
	ds_read_b128 v[10:13], v134 offset:640
	;; [unrolled: 1-line block ×4, first 2 shown]
	scratch_load_dwordx4 v[18:21], off, off offset:112
	scratch_load_dwordx4 v[38:41], off, off offset:176
	scratch_load_dwordx4 v[70:73], off, off offset:240
	scratch_load_dwordx4 v[78:81], off, off offset:256
	scratch_load_dwordx4 v[86:89], off, off offset:272
	scratch_load_dwordx4 v[94:97], off, off offset:288
	scratch_load_dwordx4 v[102:105], off, off offset:304
	scratch_load_dwordx4 v[110:113], off, off offset:320
	scratch_load_dwordx4 v[118:121], off, off offset:336
	scratch_load_dwordx4 v[126:129], off, off offset:352
	scratch_load_dwordx4 v[136:139], off, off offset:368
	scratch_load_dwordx4 v[144:147], off, off offset:384
	scratch_load_dwordx4 v[174:177], off, off offset:400
	scratch_load_dwordx4 v[182:185], off, off offset:416
	scratch_load_dwordx4 v[190:193], off, off offset:432
	v_cmp_lt_u32_e32 vcc, 12, v0
	scratch_load_dwordx4 v[46:49], off, off offset:192
	scratch_load_dwordx4 v[54:57], off, off offset:208
	;; [unrolled: 1-line block ×3, first 2 shown]
	ds_read_b128 v[170:173], v134 offset:912
	ds_read_b128 v[178:181], v134 offset:928
	;; [unrolled: 1-line block ×3, first 2 shown]
	s_waitcnt vmcnt(17) lgkmcnt(6)
	v_mul_f32_e32 v22, v14, v19
	v_fmac_f32_e32 v22, v15, v18
	v_mul_f32_e32 v23, v16, v21
	v_add_f32_e32 v22, 0, v22
	v_fmac_f32_e32 v23, v17, v20
	v_add_f32_e32 v26, v22, v23
	scratch_load_dwordx4 v[22:25], off, off offset:128
	v_mul_f32_e32 v15, v15, v19
	v_fma_f32 v14, v14, v18, -v15
	v_mul_f32_e32 v15, v17, v21
	v_add_f32_e32 v14, 0, v14
	v_fma_f32 v15, v16, v20, -v15
	v_add_f32_e32 v14, v14, v15
	s_waitcnt vmcnt(5) lgkmcnt(1)
	v_mul_f32_e32 v207, v180, v185
	s_waitcnt vmcnt(4)
	v_mov_b32_e32 v18, v193
	v_fmac_f32_e32 v207, v181, v184
	s_waitcnt lgkmcnt(0)
	v_mul_f32_e32 v209, v186, v191
	v_pk_mul_f32 v[18:19], v[188:189], v[18:19] op_sel:[1,0] op_sel_hi:[0,0]
	v_fmac_f32_e32 v209, v187, v190
	v_pk_fma_f32 v[20:21], v[188:189], v[192:193], v[18:19] neg_lo:[0,0,1] neg_hi:[0,0,1]
	v_pk_fma_f32 v[18:19], v[188:189], v[192:193], v[18:19] op_sel_hi:[1,0,1]
	s_waitcnt vmcnt(0)
	v_mul_f32_e32 v27, v10, v23
	v_fmac_f32_e32 v27, v11, v22
	v_add_f32_e32 v26, v26, v27
	v_mul_f32_e32 v27, v12, v25
	v_fmac_f32_e32 v27, v13, v24
	v_add_f32_e32 v30, v26, v27
	scratch_load_dwordx4 v[26:29], off, off offset:144
	v_mul_f32_e32 v11, v11, v23
	v_fma_f32 v10, v10, v22, -v11
	v_mul_f32_e32 v11, v13, v25
	v_add_f32_e32 v10, v14, v10
	v_fma_f32 v11, v12, v24, -v11
	v_add_f32_e32 v10, v10, v11
	v_mov_b32_e32 v21, v19
	s_waitcnt vmcnt(0)
	v_mul_f32_e32 v31, v6, v27
	v_fmac_f32_e32 v31, v7, v26
	v_add_f32_e32 v30, v30, v31
	v_mul_f32_e32 v31, v8, v29
	v_fmac_f32_e32 v31, v9, v28
	v_add_f32_e32 v34, v30, v31
	scratch_load_dwordx4 v[30:33], off, off offset:160
	v_mul_f32_e32 v7, v7, v27
	v_fma_f32 v6, v6, v26, -v7
	v_mul_f32_e32 v7, v9, v29
	v_add_f32_e32 v6, v10, v6
	v_fma_f32 v7, v8, v28, -v7
	v_add_f32_e32 v6, v6, v7
	s_waitcnt vmcnt(0)
	v_mul_f32_e32 v35, v2, v31
	v_fmac_f32_e32 v35, v3, v30
	v_add_f32_e32 v34, v34, v35
	v_mul_f32_e32 v35, v4, v33
	v_fmac_f32_e32 v35, v5, v32
	v_add_f32_e32 v42, v34, v35
	ds_read_b128 v[34:37], v134 offset:688
	v_mul_f32_e32 v3, v3, v31
	v_fma_f32 v2, v2, v30, -v3
	v_mul_f32_e32 v3, v5, v33
	v_add_f32_e32 v2, v6, v2
	s_waitcnt lgkmcnt(0)
	v_mul_f32_e32 v43, v34, v39
	v_fmac_f32_e32 v43, v35, v38
	v_add_f32_e32 v42, v42, v43
	v_mul_f32_e32 v43, v36, v41
	v_fmac_f32_e32 v43, v37, v40
	v_add_f32_e32 v50, v42, v43
	ds_read_b128 v[42:45], v134 offset:704
	v_fma_f32 v3, v4, v32, -v3
	v_add_f32_e32 v2, v2, v3
	v_mul_f32_e32 v3, v35, v39
	v_fma_f32 v3, v34, v38, -v3
	s_waitcnt lgkmcnt(0)
	v_mul_f32_e32 v51, v42, v47
	v_fmac_f32_e32 v51, v43, v46
	v_add_f32_e32 v50, v50, v51
	v_mul_f32_e32 v51, v44, v49
	v_fmac_f32_e32 v51, v45, v48
	v_add_f32_e32 v58, v50, v51
	ds_read_b128 v[50:53], v134 offset:720
	v_add_f32_e32 v2, v2, v3
	v_mul_f32_e32 v3, v37, v41
	v_fma_f32 v3, v36, v40, -v3
	v_add_f32_e32 v2, v2, v3
	s_waitcnt lgkmcnt(0)
	v_mul_f32_e32 v59, v50, v55
	v_fmac_f32_e32 v59, v51, v54
	v_add_f32_e32 v58, v58, v59
	v_mul_f32_e32 v59, v52, v57
	v_fmac_f32_e32 v59, v53, v56
	v_add_f32_e32 v66, v58, v59
	ds_read_b128 v[58:61], v134 offset:736
	v_mul_f32_e32 v3, v43, v47
	v_fma_f32 v3, v42, v46, -v3
	v_add_f32_e32 v2, v2, v3
	v_mul_f32_e32 v3, v45, v49
	s_waitcnt lgkmcnt(0)
	v_mul_f32_e32 v67, v58, v63
	v_fmac_f32_e32 v67, v59, v62
	v_add_f32_e32 v66, v66, v67
	v_mul_f32_e32 v67, v60, v65
	v_fmac_f32_e32 v67, v61, v64
	v_add_f32_e32 v74, v66, v67
	ds_read_b128 v[66:69], v134 offset:752
	v_fma_f32 v3, v44, v48, -v3
	v_add_f32_e32 v2, v2, v3
	v_mul_f32_e32 v3, v51, v55
	v_fma_f32 v3, v50, v54, -v3
	s_waitcnt lgkmcnt(0)
	v_mul_f32_e32 v75, v66, v71
	v_fmac_f32_e32 v75, v67, v70
	v_add_f32_e32 v74, v74, v75
	v_mul_f32_e32 v75, v68, v73
	v_fmac_f32_e32 v75, v69, v72
	v_add_f32_e32 v82, v74, v75
	ds_read_b128 v[74:77], v134 offset:768
	v_add_f32_e32 v2, v2, v3
	v_mul_f32_e32 v3, v53, v57
	v_fma_f32 v3, v52, v56, -v3
	v_add_f32_e32 v2, v2, v3
	s_waitcnt lgkmcnt(0)
	v_mul_f32_e32 v83, v74, v79
	v_fmac_f32_e32 v83, v75, v78
	v_add_f32_e32 v82, v82, v83
	v_mul_f32_e32 v83, v76, v81
	v_fmac_f32_e32 v83, v77, v80
	v_add_f32_e32 v90, v82, v83
	ds_read_b128 v[82:85], v134 offset:784
	v_mul_f32_e32 v3, v59, v63
	v_fma_f32 v3, v58, v62, -v3
	v_add_f32_e32 v2, v2, v3
	v_mul_f32_e32 v3, v61, v65
	;; [unrolled: 36-line block ×4, first 2 shown]
	s_waitcnt lgkmcnt(0)
	v_mul_f32_e32 v140, v130, v137
	v_fmac_f32_e32 v140, v131, v136
	v_add_f32_e32 v135, v135, v140
	v_mul_f32_e32 v140, v132, v139
	v_fmac_f32_e32 v140, v133, v138
	v_add_f32_e32 v135, v135, v140
	ds_read_b128 v[140:143], v134 offset:896
	scratch_load_dwordx4 v[194:197], off, off offset:448
	scratch_load_dwordx4 v[198:201], off, off offset:464
	;; [unrolled: 1-line block ×3, first 2 shown]
	scratch_load_dwordx2 v[210:211], off, off offset:496
	v_fma_f32 v3, v92, v96, -v3
	v_add_f32_e32 v2, v2, v3
	v_mul_f32_e32 v3, v99, v103
	v_fma_f32 v3, v98, v102, -v3
	v_add_f32_e32 v2, v2, v3
	v_mul_f32_e32 v3, v101, v105
	;; [unrolled: 3-line block ×10, first 2 shown]
	v_fma_f32 v3, v132, v138, -v3
	s_waitcnt lgkmcnt(0)
	v_mul_f32_e32 v148, v140, v145
	v_add_f32_e32 v2, v2, v3
	v_mul_f32_e32 v3, v141, v145
	v_fmac_f32_e32 v148, v141, v144
	v_fma_f32 v3, v140, v144, -v3
	v_add_f32_e32 v135, v135, v148
	v_mul_f32_e32 v148, v142, v147
	v_add_f32_e32 v2, v2, v3
	v_mul_f32_e32 v3, v143, v147
	v_fmac_f32_e32 v148, v143, v146
	v_fma_f32 v3, v142, v146, -v3
	v_add_f32_e32 v135, v135, v148
	;; [unrolled: 6-line block ×5, first 2 shown]
	v_add_f32_e32 v148, v2, v3
	v_mul_f32_e32 v2, v181, v185
	v_fma_f32 v206, v180, v184, -v2
	v_mul_f32_e32 v2, v187, v191
	v_fma_f32 v208, v186, v190, -v2
	ds_read_b128 v[2:5], v134 offset:960
	ds_read_b128 v[6:9], v134 offset:976
	;; [unrolled: 1-line block ×3, first 2 shown]
	ds_read_b64 v[14:15], v134 offset:1008
	v_pk_add_f32 v[16:17], v[148:149], v[206:207]
	s_waitcnt vmcnt(3) lgkmcnt(3)
	v_pk_mul_f32 v[18:19], v[2:3], v[194:195] op_sel:[1,1] op_sel_hi:[0,1]
	v_pk_add_f32 v[16:17], v[16:17], v[208:209]
	s_nop 0
	v_pk_add_f32 v[16:17], v[16:17], v[20:21]
	v_pk_fma_f32 v[20:21], v[2:3], v[194:195], v[18:19] neg_lo:[0,0,1] neg_hi:[0,0,1]
	v_pk_fma_f32 v[2:3], v[2:3], v[194:195], v[18:19] op_sel_hi:[1,0,1]
	s_nop 0
	v_mov_b32_e32 v21, v3
	v_pk_add_f32 v[2:3], v[16:17], v[20:21]
	v_mov_b32_e32 v16, v197
	v_pk_mul_f32 v[16:17], v[4:5], v[16:17] op_sel:[1,0] op_sel_hi:[0,0]
	v_pk_fma_f32 v[18:19], v[4:5], v[196:197], v[16:17] neg_lo:[0,0,1] neg_hi:[0,0,1]
	v_pk_fma_f32 v[4:5], v[4:5], v[196:197], v[16:17] op_sel_hi:[1,0,1]
	s_nop 0
	v_mov_b32_e32 v19, v5
	s_waitcnt vmcnt(2) lgkmcnt(2)
	v_pk_mul_f32 v[4:5], v[6:7], v[198:199] op_sel:[1,1] op_sel_hi:[0,1]
	v_pk_fma_f32 v[16:17], v[6:7], v[198:199], v[4:5] neg_lo:[0,0,1] neg_hi:[0,0,1]
	v_pk_fma_f32 v[4:5], v[6:7], v[198:199], v[4:5] op_sel_hi:[1,0,1]
	v_pk_add_f32 v[2:3], v[2:3], v[18:19]
	v_mov_b32_e32 v4, v201
	v_mov_b32_e32 v17, v5
	v_pk_mul_f32 v[4:5], v[8:9], v[4:5] op_sel:[1,0] op_sel_hi:[0,0]
	v_pk_fma_f32 v[6:7], v[8:9], v[200:201], v[4:5] neg_lo:[0,0,1] neg_hi:[0,0,1]
	v_pk_fma_f32 v[4:5], v[8:9], v[200:201], v[4:5] op_sel_hi:[1,0,1]
	v_pk_add_f32 v[2:3], v[2:3], v[16:17]
	v_mov_b32_e32 v7, v5
	s_waitcnt vmcnt(1) lgkmcnt(1)
	v_pk_mul_f32 v[4:5], v[10:11], v[202:203] op_sel:[1,1] op_sel_hi:[0,1]
	v_pk_add_f32 v[2:3], v[2:3], v[6:7]
	v_pk_fma_f32 v[6:7], v[10:11], v[202:203], v[4:5] neg_lo:[0,0,1] neg_hi:[0,0,1]
	v_pk_fma_f32 v[4:5], v[10:11], v[202:203], v[4:5] op_sel_hi:[1,0,1]
	s_nop 0
	v_mov_b32_e32 v4, v205
	v_mov_b32_e32 v7, v5
	v_pk_mul_f32 v[4:5], v[12:13], v[4:5] op_sel:[1,0] op_sel_hi:[0,0]
	v_pk_add_f32 v[2:3], v[2:3], v[6:7]
	v_pk_fma_f32 v[6:7], v[12:13], v[204:205], v[4:5] neg_lo:[0,0,1] neg_hi:[0,0,1]
	v_pk_fma_f32 v[4:5], v[12:13], v[204:205], v[4:5] op_sel_hi:[1,0,1]
	s_nop 0
	v_mov_b32_e32 v7, v5
	s_waitcnt vmcnt(0) lgkmcnt(0)
	v_pk_mul_f32 v[4:5], v[14:15], v[210:211] op_sel:[1,1] op_sel_hi:[0,1]
	v_pk_add_f32 v[2:3], v[2:3], v[6:7]
	v_pk_fma_f32 v[6:7], v[14:15], v[210:211], v[4:5] neg_lo:[0,0,1] neg_hi:[0,0,1]
	v_pk_fma_f32 v[4:5], v[14:15], v[210:211], v[4:5] op_sel_hi:[1,0,1]
	s_nop 0
	v_mov_b32_e32 v7, v5
	scratch_load_dwordx2 v[4:5], off, off offset:104
	v_pk_add_f32 v[2:3], v[2:3], v[6:7]
	s_waitcnt vmcnt(0)
	v_pk_add_f32 v[2:3], v[4:5], v[2:3] neg_lo:[0,1] neg_hi:[0,1]
	scratch_store_dwordx2 off, v[2:3], off offset:104
	s_and_saveexec_b64 s[0:1], vcc
	s_cbranch_execz .LBB62_367
; %bb.366:
	scratch_load_dwordx2 v[2:3], off, off offset:96
	v_mov_b32_e32 v135, v134
	scratch_store_dwordx2 off, v[134:135], off offset:96
	s_waitcnt vmcnt(1)
	ds_write_b64 v1, v[2:3]
.LBB62_367:
	s_or_b64 exec, exec, s[0:1]
	s_waitcnt lgkmcnt(0)
	; wave barrier
	scratch_load_dwordx4 v[6:9], off, off offset:104
	scratch_load_dwordx4 v[14:17], off, off offset:120
	;; [unrolled: 1-line block ×10, first 2 shown]
	ds_read2_b64 v[2:5], v134 offset0:77 offset1:78
	ds_read2_b64 v[170:173], v134 offset0:113 offset1:114
	scratch_load_dwordx4 v[86:89], off, off offset:264
	scratch_load_dwordx4 v[94:97], off, off offset:280
	scratch_load_dwordx4 v[102:105], off, off offset:296
	scratch_load_dwordx4 v[110:113], off, off offset:312
	scratch_load_dwordx4 v[118:121], off, off offset:328
	scratch_load_dwordx4 v[126:129], off, off offset:344
	scratch_load_dwordx4 v[136:139], off, off offset:360
	scratch_load_dwordx4 v[144:147], off, off offset:376
	scratch_load_dwordx4 v[174:177], off, off offset:392
	scratch_load_dwordx4 v[182:185], off, off offset:408
	scratch_load_dwordx4 v[190:193], off, off offset:424
	v_cmp_lt_u32_e32 vcc, 11, v0
	ds_read2_b64 v[178:181], v134 offset0:115 offset1:116
	ds_read2_b64 v[186:189], v134 offset0:117 offset1:118
	s_waitcnt vmcnt(20) lgkmcnt(3)
	v_mul_f32_e32 v10, v2, v7
	v_fmac_f32_e32 v10, v3, v6
	v_mul_f32_e32 v11, v4, v9
	v_add_f32_e32 v10, 0, v10
	v_fmac_f32_e32 v11, v5, v8
	v_add_f32_e32 v18, v10, v11
	ds_read2_b64 v[10:13], v134 offset0:79 offset1:80
	v_mul_f32_e32 v3, v3, v7
	v_fma_f32 v2, v2, v6, -v3
	v_mul_f32_e32 v3, v5, v9
	v_add_f32_e32 v2, 0, v2
	s_waitcnt vmcnt(19) lgkmcnt(0)
	v_mul_f32_e32 v19, v10, v15
	v_fmac_f32_e32 v19, v11, v14
	v_add_f32_e32 v18, v18, v19
	v_mul_f32_e32 v19, v12, v17
	v_fmac_f32_e32 v19, v13, v16
	v_add_f32_e32 v26, v18, v19
	ds_read2_b64 v[18:21], v134 offset0:81 offset1:82
	v_fma_f32 v3, v4, v8, -v3
	v_add_f32_e32 v2, v2, v3
	v_mul_f32_e32 v3, v11, v15
	v_fma_f32 v3, v10, v14, -v3
	s_waitcnt vmcnt(18) lgkmcnt(0)
	v_mul_f32_e32 v27, v18, v23
	v_fmac_f32_e32 v27, v19, v22
	v_add_f32_e32 v26, v26, v27
	v_mul_f32_e32 v27, v20, v25
	v_fmac_f32_e32 v27, v21, v24
	v_add_f32_e32 v34, v26, v27
	ds_read2_b64 v[26:29], v134 offset0:83 offset1:84
	v_add_f32_e32 v2, v2, v3
	v_mul_f32_e32 v3, v13, v17
	v_fma_f32 v3, v12, v16, -v3
	v_add_f32_e32 v2, v2, v3
	s_waitcnt vmcnt(17) lgkmcnt(0)
	v_mul_f32_e32 v35, v26, v31
	v_fmac_f32_e32 v35, v27, v30
	v_add_f32_e32 v34, v34, v35
	v_mul_f32_e32 v35, v28, v33
	v_fmac_f32_e32 v35, v29, v32
	v_add_f32_e32 v42, v34, v35
	ds_read2_b64 v[34:37], v134 offset0:85 offset1:86
	v_mul_f32_e32 v3, v19, v23
	v_fma_f32 v3, v18, v22, -v3
	v_add_f32_e32 v2, v2, v3
	v_mul_f32_e32 v3, v21, v25
	s_waitcnt vmcnt(16) lgkmcnt(0)
	v_mul_f32_e32 v43, v34, v39
	v_fmac_f32_e32 v43, v35, v38
	v_add_f32_e32 v42, v42, v43
	v_mul_f32_e32 v43, v36, v41
	v_fmac_f32_e32 v43, v37, v40
	v_add_f32_e32 v50, v42, v43
	ds_read2_b64 v[42:45], v134 offset0:87 offset1:88
	v_fma_f32 v3, v20, v24, -v3
	v_add_f32_e32 v2, v2, v3
	v_mul_f32_e32 v3, v27, v31
	v_fma_f32 v3, v26, v30, -v3
	s_waitcnt vmcnt(15) lgkmcnt(0)
	v_mul_f32_e32 v51, v42, v47
	v_fmac_f32_e32 v51, v43, v46
	v_add_f32_e32 v50, v50, v51
	v_mul_f32_e32 v51, v44, v49
	v_fmac_f32_e32 v51, v45, v48
	v_add_f32_e32 v58, v50, v51
	ds_read2_b64 v[50:53], v134 offset0:89 offset1:90
	v_add_f32_e32 v2, v2, v3
	v_mul_f32_e32 v3, v29, v33
	v_fma_f32 v3, v28, v32, -v3
	v_add_f32_e32 v2, v2, v3
	s_waitcnt vmcnt(14) lgkmcnt(0)
	v_mul_f32_e32 v59, v50, v55
	v_fmac_f32_e32 v59, v51, v54
	v_add_f32_e32 v58, v58, v59
	v_mul_f32_e32 v59, v52, v57
	v_fmac_f32_e32 v59, v53, v56
	v_add_f32_e32 v66, v58, v59
	ds_read2_b64 v[58:61], v134 offset0:91 offset1:92
	v_mul_f32_e32 v3, v35, v39
	v_fma_f32 v3, v34, v38, -v3
	v_add_f32_e32 v2, v2, v3
	v_mul_f32_e32 v3, v37, v41
	;; [unrolled: 36-line block ×5, first 2 shown]
	s_waitcnt vmcnt(4) lgkmcnt(0)
	v_mul_f32_e32 v140, v130, v137
	v_fmac_f32_e32 v140, v131, v136
	v_add_f32_e32 v135, v135, v140
	v_mul_f32_e32 v140, v132, v139
	v_fmac_f32_e32 v140, v133, v138
	v_add_f32_e32 v135, v135, v140
	ds_read2_b64 v[140:143], v134 offset0:111 offset1:112
	scratch_load_dwordx4 v[194:197], off, off offset:440
	scratch_load_dwordx4 v[198:201], off, off offset:456
	;; [unrolled: 1-line block ×4, first 2 shown]
	v_fma_f32 v3, v84, v88, -v3
	v_add_f32_e32 v2, v2, v3
	v_mul_f32_e32 v3, v91, v95
	v_fma_f32 v3, v90, v94, -v3
	v_add_f32_e32 v2, v2, v3
	v_mul_f32_e32 v3, v93, v97
	;; [unrolled: 3-line block ×12, first 2 shown]
	v_fma_f32 v3, v132, v138, -v3
	s_waitcnt vmcnt(7) lgkmcnt(0)
	v_mul_f32_e32 v148, v140, v145
	v_add_f32_e32 v2, v2, v3
	v_mul_f32_e32 v3, v141, v145
	v_fmac_f32_e32 v148, v141, v144
	v_fma_f32 v3, v140, v144, -v3
	v_add_f32_e32 v135, v135, v148
	v_mul_f32_e32 v148, v142, v147
	v_add_f32_e32 v2, v2, v3
	v_mul_f32_e32 v3, v143, v147
	v_fmac_f32_e32 v148, v143, v146
	v_fma_f32 v3, v142, v146, -v3
	v_add_f32_e32 v135, v135, v148
	s_waitcnt vmcnt(6)
	v_mul_f32_e32 v148, v170, v175
	v_add_f32_e32 v2, v2, v3
	v_mul_f32_e32 v3, v171, v175
	v_fmac_f32_e32 v148, v171, v174
	v_fma_f32 v3, v170, v174, -v3
	v_add_f32_e32 v135, v135, v148
	v_mul_f32_e32 v148, v172, v177
	v_add_f32_e32 v2, v2, v3
	v_mul_f32_e32 v3, v173, v177
	v_fmac_f32_e32 v148, v173, v176
	v_fma_f32 v3, v172, v176, -v3
	v_add_f32_e32 v135, v135, v148
	s_waitcnt vmcnt(5)
	v_mul_f32_e32 v148, v178, v183
	v_add_f32_e32 v2, v2, v3
	v_mul_f32_e32 v3, v179, v183
	v_fmac_f32_e32 v148, v179, v182
	v_fma_f32 v3, v178, v182, -v3
	v_add_f32_e32 v135, v135, v148
	v_mul_f32_e32 v148, v180, v185
	v_add_f32_e32 v2, v2, v3
	v_mul_f32_e32 v3, v181, v185
	v_fmac_f32_e32 v148, v181, v184
	v_fma_f32 v3, v180, v184, -v3
	v_add_f32_e32 v149, v135, v148
	v_add_f32_e32 v148, v2, v3
	s_waitcnt vmcnt(4)
	v_mul_f32_e32 v2, v187, v191
	v_fma_f32 v210, v186, v190, -v2
	v_mul_f32_e32 v2, v189, v193
	v_fma_f32 v212, v188, v192, -v2
	ds_read2_b64 v[2:5], v134 offset0:119 offset1:120
	ds_read2_b64 v[6:9], v134 offset0:121 offset1:122
	ds_read2_b64 v[10:13], v134 offset0:123 offset1:124
	ds_read2_b64 v[14:17], v134 offset0:125 offset1:126
	v_mul_f32_e32 v211, v186, v191
	v_fmac_f32_e32 v211, v187, v190
	v_mul_f32_e32 v213, v188, v193
	s_waitcnt vmcnt(3) lgkmcnt(3)
	v_pk_mul_f32 v[20:21], v[2:3], v[194:195] op_sel:[1,1] op_sel_hi:[0,1]
	v_fmac_f32_e32 v213, v189, v192
	v_pk_add_f32 v[18:19], v[148:149], v[210:211]
	v_pk_fma_f32 v[22:23], v[2:3], v[194:195], v[20:21] neg_lo:[0,0,1] neg_hi:[0,0,1]
	v_pk_fma_f32 v[2:3], v[2:3], v[194:195], v[20:21] op_sel_hi:[1,0,1]
	v_pk_add_f32 v[18:19], v[18:19], v[212:213]
	v_mov_b32_e32 v23, v3
	v_pk_add_f32 v[2:3], v[18:19], v[22:23]
	v_mov_b32_e32 v18, v197
	v_pk_mul_f32 v[18:19], v[4:5], v[18:19] op_sel:[1,0] op_sel_hi:[0,0]
	v_pk_fma_f32 v[20:21], v[4:5], v[196:197], v[18:19] neg_lo:[0,0,1] neg_hi:[0,0,1]
	v_pk_fma_f32 v[4:5], v[4:5], v[196:197], v[18:19] op_sel_hi:[1,0,1]
	s_nop 0
	v_mov_b32_e32 v21, v5
	s_waitcnt vmcnt(2) lgkmcnt(2)
	v_pk_mul_f32 v[4:5], v[6:7], v[198:199] op_sel:[1,1] op_sel_hi:[0,1]
	v_pk_fma_f32 v[18:19], v[6:7], v[198:199], v[4:5] neg_lo:[0,0,1] neg_hi:[0,0,1]
	v_pk_fma_f32 v[4:5], v[6:7], v[198:199], v[4:5] op_sel_hi:[1,0,1]
	v_pk_add_f32 v[2:3], v[2:3], v[20:21]
	v_mov_b32_e32 v4, v201
	v_mov_b32_e32 v19, v5
	v_pk_mul_f32 v[4:5], v[8:9], v[4:5] op_sel:[1,0] op_sel_hi:[0,0]
	v_pk_fma_f32 v[6:7], v[8:9], v[200:201], v[4:5] neg_lo:[0,0,1] neg_hi:[0,0,1]
	v_pk_fma_f32 v[4:5], v[8:9], v[200:201], v[4:5] op_sel_hi:[1,0,1]
	v_pk_add_f32 v[2:3], v[2:3], v[18:19]
	v_mov_b32_e32 v7, v5
	s_waitcnt vmcnt(1) lgkmcnt(1)
	v_pk_mul_f32 v[4:5], v[10:11], v[202:203] op_sel:[1,1] op_sel_hi:[0,1]
	v_pk_add_f32 v[2:3], v[2:3], v[6:7]
	v_pk_fma_f32 v[6:7], v[10:11], v[202:203], v[4:5] neg_lo:[0,0,1] neg_hi:[0,0,1]
	v_pk_fma_f32 v[4:5], v[10:11], v[202:203], v[4:5] op_sel_hi:[1,0,1]
	s_nop 0
	v_mov_b32_e32 v4, v205
	v_mov_b32_e32 v7, v5
	v_pk_mul_f32 v[4:5], v[12:13], v[4:5] op_sel:[1,0] op_sel_hi:[0,0]
	v_pk_add_f32 v[2:3], v[2:3], v[6:7]
	v_pk_fma_f32 v[6:7], v[12:13], v[204:205], v[4:5] neg_lo:[0,0,1] neg_hi:[0,0,1]
	v_pk_fma_f32 v[4:5], v[12:13], v[204:205], v[4:5] op_sel_hi:[1,0,1]
	s_nop 0
	v_mov_b32_e32 v7, v5
	s_waitcnt vmcnt(0) lgkmcnt(0)
	v_pk_mul_f32 v[4:5], v[14:15], v[206:207] op_sel:[1,1] op_sel_hi:[0,1]
	v_pk_add_f32 v[2:3], v[2:3], v[6:7]
	v_pk_fma_f32 v[6:7], v[14:15], v[206:207], v[4:5] neg_lo:[0,0,1] neg_hi:[0,0,1]
	v_pk_fma_f32 v[4:5], v[14:15], v[206:207], v[4:5] op_sel_hi:[1,0,1]
	s_nop 0
	v_mov_b32_e32 v4, v209
	v_mov_b32_e32 v7, v5
	v_pk_mul_f32 v[4:5], v[16:17], v[4:5] op_sel:[1,0] op_sel_hi:[0,0]
	v_pk_add_f32 v[2:3], v[2:3], v[6:7]
	v_pk_fma_f32 v[6:7], v[16:17], v[208:209], v[4:5] neg_lo:[0,0,1] neg_hi:[0,0,1]
	v_pk_fma_f32 v[4:5], v[16:17], v[208:209], v[4:5] op_sel_hi:[1,0,1]
	s_nop 0
	v_mov_b32_e32 v7, v5
	scratch_load_dwordx2 v[4:5], off, off offset:96
	v_pk_add_f32 v[2:3], v[2:3], v[6:7]
	s_waitcnt vmcnt(0)
	v_pk_add_f32 v[2:3], v[4:5], v[2:3] neg_lo:[0,1] neg_hi:[0,1]
	scratch_store_dwordx2 off, v[2:3], off offset:96
	s_and_saveexec_b64 s[0:1], vcc
	s_cbranch_execz .LBB62_369
; %bb.368:
	scratch_load_dwordx2 v[2:3], off, off offset:88
	v_mov_b32_e32 v4, 0
	v_mov_b32_e32 v5, v4
	scratch_store_dwordx2 off, v[4:5], off offset:88
	s_waitcnt vmcnt(1)
	ds_write_b64 v1, v[2:3]
.LBB62_369:
	s_or_b64 exec, exec, s[0:1]
	v_mov_b32_e32 v142, 0
	s_waitcnt lgkmcnt(0)
	; wave barrier
	ds_read_b128 v[14:17], v142 offset:608
	ds_read_b128 v[10:13], v142 offset:624
	;; [unrolled: 1-line block ×4, first 2 shown]
	scratch_load_dwordx4 v[18:21], off, off offset:96
	scratch_load_dwordx4 v[38:41], off, off offset:160
	;; [unrolled: 1-line block ×16, first 2 shown]
	v_cmp_lt_u32_e32 vcc, 10, v0
	scratch_load_dwordx4 v[46:49], off, off offset:176
	scratch_load_dwordx4 v[54:57], off, off offset:192
	;; [unrolled: 1-line block ×3, first 2 shown]
	ds_read_b128 v[170:173], v142 offset:896
	ds_read_b128 v[178:181], v142 offset:912
	;; [unrolled: 1-line block ×4, first 2 shown]
	s_waitcnt vmcnt(18) lgkmcnt(7)
	v_mul_f32_e32 v22, v14, v19
	v_fmac_f32_e32 v22, v15, v18
	v_mul_f32_e32 v23, v16, v21
	v_add_f32_e32 v22, 0, v22
	v_fmac_f32_e32 v23, v17, v20
	v_add_f32_e32 v26, v22, v23
	scratch_load_dwordx4 v[22:25], off, off offset:112
	v_mul_f32_e32 v15, v15, v19
	v_fma_f32 v14, v14, v18, -v15
	v_mul_f32_e32 v15, v17, v21
	v_add_f32_e32 v14, 0, v14
	v_fma_f32 v15, v16, v20, -v15
	v_add_f32_e32 v14, v14, v15
	s_waitcnt vmcnt(5) lgkmcnt(1)
	v_mul_f32_e32 v215, v188, v193
	s_waitcnt vmcnt(4)
	v_mov_b32_e32 v18, v201
	v_fmac_f32_e32 v215, v189, v192
	s_waitcnt lgkmcnt(0)
	v_mul_f32_e32 v217, v194, v199
	v_pk_mul_f32 v[18:19], v[196:197], v[18:19] op_sel:[1,0] op_sel_hi:[0,0]
	v_fmac_f32_e32 v217, v195, v198
	v_pk_fma_f32 v[20:21], v[196:197], v[200:201], v[18:19] neg_lo:[0,0,1] neg_hi:[0,0,1]
	v_pk_fma_f32 v[18:19], v[196:197], v[200:201], v[18:19] op_sel_hi:[1,0,1]
	s_waitcnt vmcnt(0)
	v_mul_f32_e32 v27, v10, v23
	v_fmac_f32_e32 v27, v11, v22
	v_add_f32_e32 v26, v26, v27
	v_mul_f32_e32 v27, v12, v25
	v_fmac_f32_e32 v27, v13, v24
	v_add_f32_e32 v30, v26, v27
	scratch_load_dwordx4 v[26:29], off, off offset:128
	v_mul_f32_e32 v11, v11, v23
	v_fma_f32 v10, v10, v22, -v11
	v_mul_f32_e32 v11, v13, v25
	v_add_f32_e32 v10, v14, v10
	v_fma_f32 v11, v12, v24, -v11
	v_add_f32_e32 v10, v10, v11
	v_mov_b32_e32 v21, v19
	s_waitcnt vmcnt(0)
	v_mul_f32_e32 v31, v6, v27
	v_fmac_f32_e32 v31, v7, v26
	v_add_f32_e32 v30, v30, v31
	v_mul_f32_e32 v31, v8, v29
	v_fmac_f32_e32 v31, v9, v28
	v_add_f32_e32 v34, v30, v31
	scratch_load_dwordx4 v[30:33], off, off offset:144
	v_mul_f32_e32 v7, v7, v27
	v_fma_f32 v6, v6, v26, -v7
	v_mul_f32_e32 v7, v9, v29
	v_add_f32_e32 v6, v10, v6
	v_fma_f32 v7, v8, v28, -v7
	v_add_f32_e32 v6, v6, v7
	s_waitcnt vmcnt(0)
	v_mul_f32_e32 v35, v2, v31
	v_fmac_f32_e32 v35, v3, v30
	v_add_f32_e32 v34, v34, v35
	v_mul_f32_e32 v35, v4, v33
	v_fmac_f32_e32 v35, v5, v32
	v_add_f32_e32 v42, v34, v35
	ds_read_b128 v[34:37], v142 offset:672
	v_mul_f32_e32 v3, v3, v31
	v_fma_f32 v2, v2, v30, -v3
	v_mul_f32_e32 v3, v5, v33
	v_add_f32_e32 v2, v6, v2
	s_waitcnt lgkmcnt(0)
	v_mul_f32_e32 v43, v34, v39
	v_fmac_f32_e32 v43, v35, v38
	v_add_f32_e32 v42, v42, v43
	v_mul_f32_e32 v43, v36, v41
	v_fmac_f32_e32 v43, v37, v40
	v_add_f32_e32 v50, v42, v43
	ds_read_b128 v[42:45], v142 offset:688
	v_fma_f32 v3, v4, v32, -v3
	v_add_f32_e32 v2, v2, v3
	v_mul_f32_e32 v3, v35, v39
	v_fma_f32 v3, v34, v38, -v3
	s_waitcnt lgkmcnt(0)
	v_mul_f32_e32 v51, v42, v47
	v_fmac_f32_e32 v51, v43, v46
	v_add_f32_e32 v50, v50, v51
	v_mul_f32_e32 v51, v44, v49
	v_fmac_f32_e32 v51, v45, v48
	v_add_f32_e32 v58, v50, v51
	ds_read_b128 v[50:53], v142 offset:704
	v_add_f32_e32 v2, v2, v3
	v_mul_f32_e32 v3, v37, v41
	v_fma_f32 v3, v36, v40, -v3
	v_add_f32_e32 v2, v2, v3
	s_waitcnt lgkmcnt(0)
	v_mul_f32_e32 v59, v50, v55
	v_fmac_f32_e32 v59, v51, v54
	v_add_f32_e32 v58, v58, v59
	v_mul_f32_e32 v59, v52, v57
	v_fmac_f32_e32 v59, v53, v56
	v_add_f32_e32 v66, v58, v59
	ds_read_b128 v[58:61], v142 offset:720
	v_mul_f32_e32 v3, v43, v47
	v_fma_f32 v3, v42, v46, -v3
	v_add_f32_e32 v2, v2, v3
	v_mul_f32_e32 v3, v45, v49
	s_waitcnt lgkmcnt(0)
	v_mul_f32_e32 v67, v58, v63
	v_fmac_f32_e32 v67, v59, v62
	v_add_f32_e32 v66, v66, v67
	v_mul_f32_e32 v67, v60, v65
	v_fmac_f32_e32 v67, v61, v64
	v_add_f32_e32 v74, v66, v67
	ds_read_b128 v[66:69], v142 offset:736
	v_fma_f32 v3, v44, v48, -v3
	v_add_f32_e32 v2, v2, v3
	v_mul_f32_e32 v3, v51, v55
	v_fma_f32 v3, v50, v54, -v3
	s_waitcnt lgkmcnt(0)
	v_mul_f32_e32 v75, v66, v71
	v_fmac_f32_e32 v75, v67, v70
	v_add_f32_e32 v74, v74, v75
	v_mul_f32_e32 v75, v68, v73
	v_fmac_f32_e32 v75, v69, v72
	v_add_f32_e32 v82, v74, v75
	ds_read_b128 v[74:77], v142 offset:752
	v_add_f32_e32 v2, v2, v3
	v_mul_f32_e32 v3, v53, v57
	v_fma_f32 v3, v52, v56, -v3
	v_add_f32_e32 v2, v2, v3
	s_waitcnt lgkmcnt(0)
	v_mul_f32_e32 v83, v74, v79
	v_fmac_f32_e32 v83, v75, v78
	v_add_f32_e32 v82, v82, v83
	v_mul_f32_e32 v83, v76, v81
	v_fmac_f32_e32 v83, v77, v80
	v_add_f32_e32 v90, v82, v83
	ds_read_b128 v[82:85], v142 offset:768
	v_mul_f32_e32 v3, v59, v63
	v_fma_f32 v3, v58, v62, -v3
	v_add_f32_e32 v2, v2, v3
	v_mul_f32_e32 v3, v61, v65
	;; [unrolled: 36-line block ×4, first 2 shown]
	s_waitcnt lgkmcnt(0)
	v_mul_f32_e32 v139, v130, v135
	v_fmac_f32_e32 v139, v131, v134
	v_add_f32_e32 v138, v138, v139
	v_mul_f32_e32 v139, v132, v137
	v_fmac_f32_e32 v139, v133, v136
	v_add_f32_e32 v143, v138, v139
	ds_read_b128 v[138:141], v142 offset:880
	scratch_load_dwordx4 v[202:205], off, off offset:448
	scratch_load_dwordx4 v[206:209], off, off offset:464
	;; [unrolled: 1-line block ×3, first 2 shown]
	scratch_load_dwordx2 v[218:219], off, off offset:496
	v_fma_f32 v3, v92, v96, -v3
	v_add_f32_e32 v2, v2, v3
	v_mul_f32_e32 v3, v99, v103
	v_fma_f32 v3, v98, v102, -v3
	v_add_f32_e32 v2, v2, v3
	v_mul_f32_e32 v3, v101, v105
	;; [unrolled: 3-line block ×10, first 2 shown]
	v_fma_f32 v3, v132, v136, -v3
	s_waitcnt lgkmcnt(0)
	v_mul_f32_e32 v148, v138, v145
	v_add_f32_e32 v2, v2, v3
	v_mul_f32_e32 v3, v139, v145
	v_fmac_f32_e32 v148, v139, v144
	v_fma_f32 v3, v138, v144, -v3
	v_add_f32_e32 v143, v143, v148
	v_mul_f32_e32 v148, v140, v147
	v_add_f32_e32 v2, v2, v3
	v_mul_f32_e32 v3, v141, v147
	v_fmac_f32_e32 v148, v141, v146
	v_fma_f32 v3, v140, v146, -v3
	v_add_f32_e32 v143, v143, v148
	;; [unrolled: 6-line block ×7, first 2 shown]
	v_add_f32_e32 v148, v2, v3
	v_mul_f32_e32 v2, v189, v193
	v_fma_f32 v214, v188, v192, -v2
	v_mul_f32_e32 v2, v195, v199
	v_fma_f32 v216, v194, v198, -v2
	ds_read_b128 v[2:5], v142 offset:960
	ds_read_b128 v[6:9], v142 offset:976
	;; [unrolled: 1-line block ×3, first 2 shown]
	ds_read_b64 v[14:15], v142 offset:1008
	v_pk_add_f32 v[16:17], v[148:149], v[214:215]
	s_waitcnt vmcnt(3) lgkmcnt(3)
	v_pk_mul_f32 v[18:19], v[2:3], v[202:203] op_sel:[1,1] op_sel_hi:[0,1]
	v_pk_add_f32 v[16:17], v[16:17], v[216:217]
	s_nop 0
	v_pk_add_f32 v[16:17], v[16:17], v[20:21]
	v_pk_fma_f32 v[20:21], v[2:3], v[202:203], v[18:19] neg_lo:[0,0,1] neg_hi:[0,0,1]
	v_pk_fma_f32 v[2:3], v[2:3], v[202:203], v[18:19] op_sel_hi:[1,0,1]
	s_nop 0
	v_mov_b32_e32 v21, v3
	v_pk_add_f32 v[2:3], v[16:17], v[20:21]
	v_mov_b32_e32 v16, v205
	v_pk_mul_f32 v[16:17], v[4:5], v[16:17] op_sel:[1,0] op_sel_hi:[0,0]
	v_pk_fma_f32 v[18:19], v[4:5], v[204:205], v[16:17] neg_lo:[0,0,1] neg_hi:[0,0,1]
	v_pk_fma_f32 v[4:5], v[4:5], v[204:205], v[16:17] op_sel_hi:[1,0,1]
	s_nop 0
	v_mov_b32_e32 v19, v5
	s_waitcnt vmcnt(2) lgkmcnt(2)
	v_pk_mul_f32 v[4:5], v[6:7], v[206:207] op_sel:[1,1] op_sel_hi:[0,1]
	v_pk_fma_f32 v[16:17], v[6:7], v[206:207], v[4:5] neg_lo:[0,0,1] neg_hi:[0,0,1]
	v_pk_fma_f32 v[4:5], v[6:7], v[206:207], v[4:5] op_sel_hi:[1,0,1]
	v_pk_add_f32 v[2:3], v[2:3], v[18:19]
	v_mov_b32_e32 v4, v209
	v_mov_b32_e32 v17, v5
	v_pk_mul_f32 v[4:5], v[8:9], v[4:5] op_sel:[1,0] op_sel_hi:[0,0]
	v_pk_fma_f32 v[6:7], v[8:9], v[208:209], v[4:5] neg_lo:[0,0,1] neg_hi:[0,0,1]
	v_pk_fma_f32 v[4:5], v[8:9], v[208:209], v[4:5] op_sel_hi:[1,0,1]
	v_pk_add_f32 v[2:3], v[2:3], v[16:17]
	v_mov_b32_e32 v7, v5
	s_waitcnt vmcnt(1) lgkmcnt(1)
	v_pk_mul_f32 v[4:5], v[10:11], v[210:211] op_sel:[1,1] op_sel_hi:[0,1]
	v_pk_add_f32 v[2:3], v[2:3], v[6:7]
	v_pk_fma_f32 v[6:7], v[10:11], v[210:211], v[4:5] neg_lo:[0,0,1] neg_hi:[0,0,1]
	v_pk_fma_f32 v[4:5], v[10:11], v[210:211], v[4:5] op_sel_hi:[1,0,1]
	s_nop 0
	v_mov_b32_e32 v4, v213
	v_mov_b32_e32 v7, v5
	v_pk_mul_f32 v[4:5], v[12:13], v[4:5] op_sel:[1,0] op_sel_hi:[0,0]
	v_pk_add_f32 v[2:3], v[2:3], v[6:7]
	v_pk_fma_f32 v[6:7], v[12:13], v[212:213], v[4:5] neg_lo:[0,0,1] neg_hi:[0,0,1]
	v_pk_fma_f32 v[4:5], v[12:13], v[212:213], v[4:5] op_sel_hi:[1,0,1]
	s_nop 0
	v_mov_b32_e32 v7, v5
	s_waitcnt vmcnt(0) lgkmcnt(0)
	v_pk_mul_f32 v[4:5], v[14:15], v[218:219] op_sel:[1,1] op_sel_hi:[0,1]
	v_pk_add_f32 v[2:3], v[2:3], v[6:7]
	v_pk_fma_f32 v[6:7], v[14:15], v[218:219], v[4:5] neg_lo:[0,0,1] neg_hi:[0,0,1]
	v_pk_fma_f32 v[4:5], v[14:15], v[218:219], v[4:5] op_sel_hi:[1,0,1]
	s_nop 0
	v_mov_b32_e32 v7, v5
	scratch_load_dwordx2 v[4:5], off, off offset:88
	v_pk_add_f32 v[2:3], v[2:3], v[6:7]
	s_waitcnt vmcnt(0)
	v_pk_add_f32 v[2:3], v[4:5], v[2:3] neg_lo:[0,1] neg_hi:[0,1]
	scratch_store_dwordx2 off, v[2:3], off offset:88
	s_and_saveexec_b64 s[0:1], vcc
	s_cbranch_execz .LBB62_371
; %bb.370:
	scratch_load_dwordx2 v[2:3], off, off offset:80
	v_mov_b32_e32 v143, v142
	scratch_store_dwordx2 off, v[142:143], off offset:80
	s_waitcnt vmcnt(1)
	ds_write_b64 v1, v[2:3]
.LBB62_371:
	s_or_b64 exec, exec, s[0:1]
	s_waitcnt lgkmcnt(0)
	; wave barrier
	scratch_load_dwordx4 v[6:9], off, off offset:88
	scratch_load_dwordx4 v[14:17], off, off offset:104
	;; [unrolled: 1-line block ×10, first 2 shown]
	ds_read2_b64 v[2:5], v142 offset0:75 offset1:76
	ds_read2_b64 v[170:173], v142 offset0:111 offset1:112
	scratch_load_dwordx4 v[86:89], off, off offset:248
	scratch_load_dwordx4 v[94:97], off, off offset:264
	;; [unrolled: 1-line block ×12, first 2 shown]
	v_cmp_lt_u32_e32 vcc, 9, v0
	ds_read2_b64 v[178:181], v142 offset0:113 offset1:114
	ds_read2_b64 v[186:189], v142 offset0:115 offset1:116
	;; [unrolled: 1-line block ×3, first 2 shown]
	s_waitcnt vmcnt(21) lgkmcnt(4)
	v_mul_f32_e32 v10, v2, v7
	v_fmac_f32_e32 v10, v3, v6
	v_mul_f32_e32 v11, v4, v9
	v_add_f32_e32 v10, 0, v10
	v_fmac_f32_e32 v11, v5, v8
	v_add_f32_e32 v18, v10, v11
	ds_read2_b64 v[10:13], v142 offset0:77 offset1:78
	v_mul_f32_e32 v3, v3, v7
	v_fma_f32 v2, v2, v6, -v3
	v_mul_f32_e32 v3, v5, v9
	v_add_f32_e32 v2, 0, v2
	s_waitcnt vmcnt(20) lgkmcnt(0)
	v_mul_f32_e32 v19, v10, v15
	v_fmac_f32_e32 v19, v11, v14
	v_add_f32_e32 v18, v18, v19
	v_mul_f32_e32 v19, v12, v17
	v_fmac_f32_e32 v19, v13, v16
	v_add_f32_e32 v26, v18, v19
	ds_read2_b64 v[18:21], v142 offset0:79 offset1:80
	v_fma_f32 v3, v4, v8, -v3
	v_add_f32_e32 v2, v2, v3
	v_mul_f32_e32 v3, v11, v15
	v_fma_f32 v3, v10, v14, -v3
	s_waitcnt vmcnt(19) lgkmcnt(0)
	v_mul_f32_e32 v27, v18, v23
	v_fmac_f32_e32 v27, v19, v22
	v_add_f32_e32 v26, v26, v27
	v_mul_f32_e32 v27, v20, v25
	v_fmac_f32_e32 v27, v21, v24
	v_add_f32_e32 v34, v26, v27
	ds_read2_b64 v[26:29], v142 offset0:81 offset1:82
	v_add_f32_e32 v2, v2, v3
	v_mul_f32_e32 v3, v13, v17
	v_fma_f32 v3, v12, v16, -v3
	v_add_f32_e32 v2, v2, v3
	s_waitcnt vmcnt(18) lgkmcnt(0)
	v_mul_f32_e32 v35, v26, v31
	v_fmac_f32_e32 v35, v27, v30
	v_add_f32_e32 v34, v34, v35
	v_mul_f32_e32 v35, v28, v33
	v_fmac_f32_e32 v35, v29, v32
	v_add_f32_e32 v42, v34, v35
	ds_read2_b64 v[34:37], v142 offset0:83 offset1:84
	v_mul_f32_e32 v3, v19, v23
	v_fma_f32 v3, v18, v22, -v3
	v_add_f32_e32 v2, v2, v3
	v_mul_f32_e32 v3, v21, v25
	s_waitcnt vmcnt(17) lgkmcnt(0)
	v_mul_f32_e32 v43, v34, v39
	v_fmac_f32_e32 v43, v35, v38
	v_add_f32_e32 v42, v42, v43
	v_mul_f32_e32 v43, v36, v41
	v_fmac_f32_e32 v43, v37, v40
	v_add_f32_e32 v50, v42, v43
	ds_read2_b64 v[42:45], v142 offset0:85 offset1:86
	v_fma_f32 v3, v20, v24, -v3
	v_add_f32_e32 v2, v2, v3
	v_mul_f32_e32 v3, v27, v31
	v_fma_f32 v3, v26, v30, -v3
	s_waitcnt vmcnt(16) lgkmcnt(0)
	v_mul_f32_e32 v51, v42, v47
	v_fmac_f32_e32 v51, v43, v46
	v_add_f32_e32 v50, v50, v51
	v_mul_f32_e32 v51, v44, v49
	v_fmac_f32_e32 v51, v45, v48
	v_add_f32_e32 v58, v50, v51
	ds_read2_b64 v[50:53], v142 offset0:87 offset1:88
	v_add_f32_e32 v2, v2, v3
	v_mul_f32_e32 v3, v29, v33
	v_fma_f32 v3, v28, v32, -v3
	v_add_f32_e32 v2, v2, v3
	s_waitcnt vmcnt(15) lgkmcnt(0)
	v_mul_f32_e32 v59, v50, v55
	v_fmac_f32_e32 v59, v51, v54
	v_add_f32_e32 v58, v58, v59
	v_mul_f32_e32 v59, v52, v57
	v_fmac_f32_e32 v59, v53, v56
	v_add_f32_e32 v66, v58, v59
	ds_read2_b64 v[58:61], v142 offset0:89 offset1:90
	v_mul_f32_e32 v3, v35, v39
	v_fma_f32 v3, v34, v38, -v3
	v_add_f32_e32 v2, v2, v3
	v_mul_f32_e32 v3, v37, v41
	;; [unrolled: 36-line block ×5, first 2 shown]
	s_waitcnt vmcnt(5) lgkmcnt(0)
	v_mul_f32_e32 v139, v130, v135
	v_fmac_f32_e32 v139, v131, v134
	v_add_f32_e32 v138, v138, v139
	v_mul_f32_e32 v139, v132, v137
	v_fmac_f32_e32 v139, v133, v136
	v_add_f32_e32 v143, v138, v139
	ds_read2_b64 v[138:141], v142 offset0:109 offset1:110
	scratch_load_dwordx4 v[202:205], off, off offset:440
	scratch_load_dwordx4 v[206:209], off, off offset:456
	;; [unrolled: 1-line block ×4, first 2 shown]
	v_fma_f32 v3, v84, v88, -v3
	v_add_f32_e32 v2, v2, v3
	v_mul_f32_e32 v3, v91, v95
	v_fma_f32 v3, v90, v94, -v3
	v_add_f32_e32 v2, v2, v3
	v_mul_f32_e32 v3, v93, v97
	;; [unrolled: 3-line block ×12, first 2 shown]
	v_fma_f32 v3, v132, v136, -v3
	s_waitcnt vmcnt(8) lgkmcnt(0)
	v_mul_f32_e32 v148, v138, v145
	v_add_f32_e32 v2, v2, v3
	v_mul_f32_e32 v3, v139, v145
	v_fmac_f32_e32 v148, v139, v144
	v_fma_f32 v3, v138, v144, -v3
	v_add_f32_e32 v143, v143, v148
	v_mul_f32_e32 v148, v140, v147
	v_add_f32_e32 v2, v2, v3
	v_mul_f32_e32 v3, v141, v147
	v_fmac_f32_e32 v148, v141, v146
	v_fma_f32 v3, v140, v146, -v3
	v_add_f32_e32 v143, v143, v148
	s_waitcnt vmcnt(7)
	v_mul_f32_e32 v148, v170, v175
	v_add_f32_e32 v2, v2, v3
	v_mul_f32_e32 v3, v171, v175
	v_fmac_f32_e32 v148, v171, v174
	v_fma_f32 v3, v170, v174, -v3
	v_add_f32_e32 v143, v143, v148
	v_mul_f32_e32 v148, v172, v177
	v_add_f32_e32 v2, v2, v3
	v_mul_f32_e32 v3, v173, v177
	v_fmac_f32_e32 v148, v173, v176
	v_fma_f32 v3, v172, v176, -v3
	v_add_f32_e32 v143, v143, v148
	s_waitcnt vmcnt(6)
	;; [unrolled: 13-line block ×3, first 2 shown]
	v_mul_f32_e32 v148, v186, v191
	v_add_f32_e32 v2, v2, v3
	v_mul_f32_e32 v3, v187, v191
	v_fmac_f32_e32 v148, v187, v190
	v_fma_f32 v3, v186, v190, -v3
	v_add_f32_e32 v143, v143, v148
	v_mul_f32_e32 v148, v188, v193
	v_add_f32_e32 v2, v2, v3
	v_mul_f32_e32 v3, v189, v193
	v_fmac_f32_e32 v148, v189, v192
	v_fma_f32 v3, v188, v192, -v3
	v_add_f32_e32 v149, v143, v148
	v_add_f32_e32 v148, v2, v3
	s_waitcnt vmcnt(4)
	v_mul_f32_e32 v2, v195, v199
	v_fma_f32 v218, v194, v198, -v2
	v_mul_f32_e32 v2, v197, v201
	v_fma_f32 v220, v196, v200, -v2
	ds_read2_b64 v[2:5], v142 offset0:119 offset1:120
	ds_read2_b64 v[6:9], v142 offset0:121 offset1:122
	ds_read2_b64 v[10:13], v142 offset0:123 offset1:124
	ds_read2_b64 v[14:17], v142 offset0:125 offset1:126
	v_mul_f32_e32 v219, v194, v199
	v_fmac_f32_e32 v219, v195, v198
	v_mul_f32_e32 v221, v196, v201
	s_waitcnt vmcnt(3) lgkmcnt(3)
	v_pk_mul_f32 v[20:21], v[2:3], v[202:203] op_sel:[1,1] op_sel_hi:[0,1]
	v_fmac_f32_e32 v221, v197, v200
	v_pk_add_f32 v[18:19], v[148:149], v[218:219]
	v_pk_fma_f32 v[22:23], v[2:3], v[202:203], v[20:21] neg_lo:[0,0,1] neg_hi:[0,0,1]
	v_pk_fma_f32 v[2:3], v[2:3], v[202:203], v[20:21] op_sel_hi:[1,0,1]
	v_pk_add_f32 v[18:19], v[18:19], v[220:221]
	v_mov_b32_e32 v23, v3
	v_pk_add_f32 v[2:3], v[18:19], v[22:23]
	v_mov_b32_e32 v18, v205
	v_pk_mul_f32 v[18:19], v[4:5], v[18:19] op_sel:[1,0] op_sel_hi:[0,0]
	v_pk_fma_f32 v[20:21], v[4:5], v[204:205], v[18:19] neg_lo:[0,0,1] neg_hi:[0,0,1]
	v_pk_fma_f32 v[4:5], v[4:5], v[204:205], v[18:19] op_sel_hi:[1,0,1]
	s_nop 0
	v_mov_b32_e32 v21, v5
	s_waitcnt vmcnt(2) lgkmcnt(2)
	v_pk_mul_f32 v[4:5], v[6:7], v[206:207] op_sel:[1,1] op_sel_hi:[0,1]
	v_pk_fma_f32 v[18:19], v[6:7], v[206:207], v[4:5] neg_lo:[0,0,1] neg_hi:[0,0,1]
	v_pk_fma_f32 v[4:5], v[6:7], v[206:207], v[4:5] op_sel_hi:[1,0,1]
	v_pk_add_f32 v[2:3], v[2:3], v[20:21]
	v_mov_b32_e32 v4, v209
	v_mov_b32_e32 v19, v5
	v_pk_mul_f32 v[4:5], v[8:9], v[4:5] op_sel:[1,0] op_sel_hi:[0,0]
	v_pk_fma_f32 v[6:7], v[8:9], v[208:209], v[4:5] neg_lo:[0,0,1] neg_hi:[0,0,1]
	v_pk_fma_f32 v[4:5], v[8:9], v[208:209], v[4:5] op_sel_hi:[1,0,1]
	v_pk_add_f32 v[2:3], v[2:3], v[18:19]
	v_mov_b32_e32 v7, v5
	s_waitcnt vmcnt(1) lgkmcnt(1)
	v_pk_mul_f32 v[4:5], v[10:11], v[210:211] op_sel:[1,1] op_sel_hi:[0,1]
	v_pk_add_f32 v[2:3], v[2:3], v[6:7]
	v_pk_fma_f32 v[6:7], v[10:11], v[210:211], v[4:5] neg_lo:[0,0,1] neg_hi:[0,0,1]
	v_pk_fma_f32 v[4:5], v[10:11], v[210:211], v[4:5] op_sel_hi:[1,0,1]
	s_nop 0
	v_mov_b32_e32 v4, v213
	v_mov_b32_e32 v7, v5
	v_pk_mul_f32 v[4:5], v[12:13], v[4:5] op_sel:[1,0] op_sel_hi:[0,0]
	v_pk_add_f32 v[2:3], v[2:3], v[6:7]
	v_pk_fma_f32 v[6:7], v[12:13], v[212:213], v[4:5] neg_lo:[0,0,1] neg_hi:[0,0,1]
	v_pk_fma_f32 v[4:5], v[12:13], v[212:213], v[4:5] op_sel_hi:[1,0,1]
	s_nop 0
	v_mov_b32_e32 v7, v5
	s_waitcnt vmcnt(0) lgkmcnt(0)
	v_pk_mul_f32 v[4:5], v[14:15], v[214:215] op_sel:[1,1] op_sel_hi:[0,1]
	v_pk_add_f32 v[2:3], v[2:3], v[6:7]
	v_pk_fma_f32 v[6:7], v[14:15], v[214:215], v[4:5] neg_lo:[0,0,1] neg_hi:[0,0,1]
	v_pk_fma_f32 v[4:5], v[14:15], v[214:215], v[4:5] op_sel_hi:[1,0,1]
	s_nop 0
	v_mov_b32_e32 v4, v217
	v_mov_b32_e32 v7, v5
	v_pk_mul_f32 v[4:5], v[16:17], v[4:5] op_sel:[1,0] op_sel_hi:[0,0]
	v_pk_add_f32 v[2:3], v[2:3], v[6:7]
	v_pk_fma_f32 v[6:7], v[16:17], v[216:217], v[4:5] neg_lo:[0,0,1] neg_hi:[0,0,1]
	v_pk_fma_f32 v[4:5], v[16:17], v[216:217], v[4:5] op_sel_hi:[1,0,1]
	s_nop 0
	v_mov_b32_e32 v7, v5
	scratch_load_dwordx2 v[4:5], off, off offset:80
	v_pk_add_f32 v[2:3], v[2:3], v[6:7]
	s_waitcnt vmcnt(0)
	v_pk_add_f32 v[2:3], v[4:5], v[2:3] neg_lo:[0,1] neg_hi:[0,1]
	scratch_store_dwordx2 off, v[2:3], off offset:80
	s_and_saveexec_b64 s[0:1], vcc
	s_cbranch_execz .LBB62_373
; %bb.372:
	scratch_load_dwordx2 v[2:3], off, off offset:72
	v_mov_b32_e32 v4, 0
	v_mov_b32_e32 v5, v4
	scratch_store_dwordx2 off, v[4:5], off offset:72
	s_waitcnt vmcnt(1)
	ds_write_b64 v1, v[2:3]
.LBB62_373:
	s_or_b64 exec, exec, s[0:1]
	v_mov_b32_e32 v170, 0
	s_waitcnt lgkmcnt(0)
	; wave barrier
	ds_read_b128 v[14:17], v170 offset:592
	ds_read_b128 v[10:13], v170 offset:608
	;; [unrolled: 1-line block ×4, first 2 shown]
	scratch_load_dwordx4 v[18:21], off, off offset:80
	scratch_load_dwordx4 v[38:41], off, off offset:144
	scratch_load_dwordx4 v[70:73], off, off offset:208
	scratch_load_dwordx4 v[78:81], off, off offset:224
	scratch_load_dwordx4 v[86:89], off, off offset:240
	scratch_load_dwordx4 v[94:97], off, off offset:256
	scratch_load_dwordx4 v[102:105], off, off offset:272
	scratch_load_dwordx4 v[110:113], off, off offset:288
	scratch_load_dwordx4 v[118:121], off, off offset:304
	scratch_load_dwordx4 v[126:129], off, off offset:320
	scratch_load_dwordx4 v[134:137], off, off offset:336
	scratch_load_dwordx4 v[142:145], off, off offset:352
	scratch_load_dwordx4 v[172:175], off, off offset:368
	scratch_load_dwordx4 v[180:183], off, off offset:384
	scratch_load_dwordx4 v[188:191], off, off offset:400
	scratch_load_dwordx4 v[196:199], off, off offset:416
	scratch_load_dwordx4 v[204:207], off, off offset:432
	v_cmp_lt_u32_e32 vcc, 8, v0
	scratch_load_dwordx4 v[46:49], off, off offset:160
	scratch_load_dwordx4 v[54:57], off, off offset:176
	scratch_load_dwordx4 v[62:65], off, off offset:192
	ds_read_b128 v[176:179], v170 offset:896
	ds_read_b128 v[184:187], v170 offset:912
	;; [unrolled: 1-line block ×4, first 2 shown]
	s_waitcnt vmcnt(19) lgkmcnt(7)
	v_mul_f32_e32 v22, v14, v19
	v_fmac_f32_e32 v22, v15, v18
	v_mul_f32_e32 v23, v16, v21
	v_add_f32_e32 v22, 0, v22
	v_fmac_f32_e32 v23, v17, v20
	v_add_f32_e32 v26, v22, v23
	scratch_load_dwordx4 v[22:25], off, off offset:96
	v_mul_f32_e32 v15, v15, v19
	v_fma_f32 v14, v14, v18, -v15
	v_mul_f32_e32 v15, v17, v21
	v_add_f32_e32 v14, 0, v14
	v_fma_f32 v15, v16, v20, -v15
	v_add_f32_e32 v14, v14, v15
	s_waitcnt vmcnt(5) lgkmcnt(1)
	v_mul_f32_e32 v223, v194, v199
	s_waitcnt vmcnt(4)
	v_mov_b32_e32 v18, v207
	v_fmac_f32_e32 v223, v195, v198
	s_waitcnt lgkmcnt(0)
	v_mul_f32_e32 v225, v200, v205
	v_pk_mul_f32 v[18:19], v[202:203], v[18:19] op_sel:[1,0] op_sel_hi:[0,0]
	v_fmac_f32_e32 v225, v201, v204
	v_pk_fma_f32 v[20:21], v[202:203], v[206:207], v[18:19] neg_lo:[0,0,1] neg_hi:[0,0,1]
	v_pk_fma_f32 v[18:19], v[202:203], v[206:207], v[18:19] op_sel_hi:[1,0,1]
	s_waitcnt vmcnt(0)
	v_mul_f32_e32 v27, v10, v23
	v_fmac_f32_e32 v27, v11, v22
	v_add_f32_e32 v26, v26, v27
	v_mul_f32_e32 v27, v12, v25
	v_fmac_f32_e32 v27, v13, v24
	v_add_f32_e32 v30, v26, v27
	scratch_load_dwordx4 v[26:29], off, off offset:112
	v_mul_f32_e32 v11, v11, v23
	v_fma_f32 v10, v10, v22, -v11
	v_mul_f32_e32 v11, v13, v25
	v_add_f32_e32 v10, v14, v10
	v_fma_f32 v11, v12, v24, -v11
	v_add_f32_e32 v10, v10, v11
	v_mov_b32_e32 v21, v19
	s_waitcnt vmcnt(0)
	v_mul_f32_e32 v31, v6, v27
	v_fmac_f32_e32 v31, v7, v26
	v_add_f32_e32 v30, v30, v31
	v_mul_f32_e32 v31, v8, v29
	v_fmac_f32_e32 v31, v9, v28
	v_add_f32_e32 v34, v30, v31
	scratch_load_dwordx4 v[30:33], off, off offset:128
	v_mul_f32_e32 v7, v7, v27
	v_fma_f32 v6, v6, v26, -v7
	v_mul_f32_e32 v7, v9, v29
	v_add_f32_e32 v6, v10, v6
	v_fma_f32 v7, v8, v28, -v7
	v_add_f32_e32 v6, v6, v7
	s_waitcnt vmcnt(0)
	v_mul_f32_e32 v35, v2, v31
	v_fmac_f32_e32 v35, v3, v30
	v_add_f32_e32 v34, v34, v35
	v_mul_f32_e32 v35, v4, v33
	v_fmac_f32_e32 v35, v5, v32
	v_add_f32_e32 v42, v34, v35
	ds_read_b128 v[34:37], v170 offset:656
	v_mul_f32_e32 v3, v3, v31
	v_fma_f32 v2, v2, v30, -v3
	v_mul_f32_e32 v3, v5, v33
	v_add_f32_e32 v2, v6, v2
	s_waitcnt lgkmcnt(0)
	v_mul_f32_e32 v43, v34, v39
	v_fmac_f32_e32 v43, v35, v38
	v_add_f32_e32 v42, v42, v43
	v_mul_f32_e32 v43, v36, v41
	v_fmac_f32_e32 v43, v37, v40
	v_add_f32_e32 v50, v42, v43
	ds_read_b128 v[42:45], v170 offset:672
	v_fma_f32 v3, v4, v32, -v3
	v_add_f32_e32 v2, v2, v3
	v_mul_f32_e32 v3, v35, v39
	v_fma_f32 v3, v34, v38, -v3
	s_waitcnt lgkmcnt(0)
	v_mul_f32_e32 v51, v42, v47
	v_fmac_f32_e32 v51, v43, v46
	v_add_f32_e32 v50, v50, v51
	v_mul_f32_e32 v51, v44, v49
	v_fmac_f32_e32 v51, v45, v48
	v_add_f32_e32 v58, v50, v51
	ds_read_b128 v[50:53], v170 offset:688
	v_add_f32_e32 v2, v2, v3
	v_mul_f32_e32 v3, v37, v41
	v_fma_f32 v3, v36, v40, -v3
	v_add_f32_e32 v2, v2, v3
	s_waitcnt lgkmcnt(0)
	v_mul_f32_e32 v59, v50, v55
	v_fmac_f32_e32 v59, v51, v54
	v_add_f32_e32 v58, v58, v59
	v_mul_f32_e32 v59, v52, v57
	v_fmac_f32_e32 v59, v53, v56
	v_add_f32_e32 v66, v58, v59
	ds_read_b128 v[58:61], v170 offset:704
	v_mul_f32_e32 v3, v43, v47
	v_fma_f32 v3, v42, v46, -v3
	v_add_f32_e32 v2, v2, v3
	v_mul_f32_e32 v3, v45, v49
	s_waitcnt lgkmcnt(0)
	v_mul_f32_e32 v67, v58, v63
	v_fmac_f32_e32 v67, v59, v62
	v_add_f32_e32 v66, v66, v67
	v_mul_f32_e32 v67, v60, v65
	v_fmac_f32_e32 v67, v61, v64
	v_add_f32_e32 v74, v66, v67
	ds_read_b128 v[66:69], v170 offset:720
	v_fma_f32 v3, v44, v48, -v3
	v_add_f32_e32 v2, v2, v3
	v_mul_f32_e32 v3, v51, v55
	v_fma_f32 v3, v50, v54, -v3
	s_waitcnt lgkmcnt(0)
	v_mul_f32_e32 v75, v66, v71
	v_fmac_f32_e32 v75, v67, v70
	v_add_f32_e32 v74, v74, v75
	v_mul_f32_e32 v75, v68, v73
	v_fmac_f32_e32 v75, v69, v72
	v_add_f32_e32 v82, v74, v75
	ds_read_b128 v[74:77], v170 offset:736
	v_add_f32_e32 v2, v2, v3
	v_mul_f32_e32 v3, v53, v57
	v_fma_f32 v3, v52, v56, -v3
	v_add_f32_e32 v2, v2, v3
	s_waitcnt lgkmcnt(0)
	v_mul_f32_e32 v83, v74, v79
	v_fmac_f32_e32 v83, v75, v78
	v_add_f32_e32 v82, v82, v83
	v_mul_f32_e32 v83, v76, v81
	v_fmac_f32_e32 v83, v77, v80
	v_add_f32_e32 v90, v82, v83
	ds_read_b128 v[82:85], v170 offset:752
	v_mul_f32_e32 v3, v59, v63
	v_fma_f32 v3, v58, v62, -v3
	v_add_f32_e32 v2, v2, v3
	v_mul_f32_e32 v3, v61, v65
	;; [unrolled: 36-line block ×4, first 2 shown]
	s_waitcnt lgkmcnt(0)
	v_mul_f32_e32 v139, v130, v135
	v_fmac_f32_e32 v139, v131, v134
	v_add_f32_e32 v138, v138, v139
	v_mul_f32_e32 v139, v132, v137
	v_fmac_f32_e32 v139, v133, v136
	v_add_f32_e32 v146, v138, v139
	ds_read_b128 v[138:141], v170 offset:864
	v_fma_f32 v3, v92, v96, -v3
	v_add_f32_e32 v2, v2, v3
	v_mul_f32_e32 v3, v99, v103
	v_fma_f32 v3, v98, v102, -v3
	s_waitcnt lgkmcnt(0)
	v_mul_f32_e32 v147, v138, v143
	v_fmac_f32_e32 v147, v139, v142
	v_add_f32_e32 v146, v146, v147
	v_mul_f32_e32 v147, v140, v145
	v_fmac_f32_e32 v147, v141, v144
	v_add_f32_e32 v150, v146, v147
	ds_read_b128 v[146:149], v170 offset:880
	scratch_load_dwordx4 v[208:211], off, off offset:448
	scratch_load_dwordx4 v[212:215], off, off offset:464
	;; [unrolled: 1-line block ×3, first 2 shown]
	scratch_load_dwordx2 v[226:227], off, off offset:496
	v_add_f32_e32 v2, v2, v3
	v_mul_f32_e32 v3, v101, v105
	v_fma_f32 v3, v100, v104, -v3
	v_add_f32_e32 v2, v2, v3
	v_mul_f32_e32 v3, v107, v111
	v_fma_f32 v3, v106, v110, -v3
	;; [unrolled: 3-line block ×11, first 2 shown]
	v_add_f32_e32 v2, v2, v3
	s_waitcnt lgkmcnt(0)
	v_mul_f32_e32 v3, v147, v173
	v_fma_f32 v3, v146, v172, -v3
	v_mul_f32_e32 v151, v146, v173
	v_add_f32_e32 v2, v2, v3
	v_mul_f32_e32 v3, v149, v175
	v_fmac_f32_e32 v151, v147, v172
	v_fma_f32 v3, v148, v174, -v3
	v_add_f32_e32 v150, v150, v151
	v_mul_f32_e32 v151, v148, v175
	v_add_f32_e32 v2, v2, v3
	v_mul_f32_e32 v3, v177, v181
	v_fmac_f32_e32 v151, v149, v174
	v_fma_f32 v3, v176, v180, -v3
	v_add_f32_e32 v150, v150, v151
	;; [unrolled: 6-line block ×6, first 2 shown]
	v_mul_f32_e32 v151, v192, v197
	v_add_f32_e32 v220, v2, v3
	v_mul_f32_e32 v2, v195, v199
	v_fmac_f32_e32 v151, v193, v196
	v_fma_f32 v222, v194, v198, -v2
	v_mul_f32_e32 v2, v201, v205
	v_add_f32_e32 v221, v150, v151
	v_fma_f32 v224, v200, v204, -v2
	ds_read_b128 v[2:5], v170 offset:960
	ds_read_b128 v[6:9], v170 offset:976
	;; [unrolled: 1-line block ×3, first 2 shown]
	ds_read_b64 v[14:15], v170 offset:1008
	v_pk_add_f32 v[16:17], v[220:221], v[222:223]
	s_waitcnt vmcnt(3) lgkmcnt(3)
	v_pk_mul_f32 v[18:19], v[2:3], v[208:209] op_sel:[1,1] op_sel_hi:[0,1]
	v_pk_add_f32 v[16:17], v[16:17], v[224:225]
	s_nop 0
	v_pk_add_f32 v[16:17], v[16:17], v[20:21]
	v_pk_fma_f32 v[20:21], v[2:3], v[208:209], v[18:19] neg_lo:[0,0,1] neg_hi:[0,0,1]
	v_pk_fma_f32 v[2:3], v[2:3], v[208:209], v[18:19] op_sel_hi:[1,0,1]
	s_nop 0
	v_mov_b32_e32 v21, v3
	v_pk_add_f32 v[2:3], v[16:17], v[20:21]
	v_mov_b32_e32 v16, v211
	v_pk_mul_f32 v[16:17], v[4:5], v[16:17] op_sel:[1,0] op_sel_hi:[0,0]
	v_pk_fma_f32 v[18:19], v[4:5], v[210:211], v[16:17] neg_lo:[0,0,1] neg_hi:[0,0,1]
	v_pk_fma_f32 v[4:5], v[4:5], v[210:211], v[16:17] op_sel_hi:[1,0,1]
	s_nop 0
	v_mov_b32_e32 v19, v5
	s_waitcnt vmcnt(2) lgkmcnt(2)
	v_pk_mul_f32 v[4:5], v[6:7], v[212:213] op_sel:[1,1] op_sel_hi:[0,1]
	v_pk_fma_f32 v[16:17], v[6:7], v[212:213], v[4:5] neg_lo:[0,0,1] neg_hi:[0,0,1]
	v_pk_fma_f32 v[4:5], v[6:7], v[212:213], v[4:5] op_sel_hi:[1,0,1]
	v_pk_add_f32 v[2:3], v[2:3], v[18:19]
	v_mov_b32_e32 v4, v215
	v_mov_b32_e32 v17, v5
	v_pk_mul_f32 v[4:5], v[8:9], v[4:5] op_sel:[1,0] op_sel_hi:[0,0]
	v_pk_fma_f32 v[6:7], v[8:9], v[214:215], v[4:5] neg_lo:[0,0,1] neg_hi:[0,0,1]
	v_pk_fma_f32 v[4:5], v[8:9], v[214:215], v[4:5] op_sel_hi:[1,0,1]
	v_pk_add_f32 v[2:3], v[2:3], v[16:17]
	v_mov_b32_e32 v7, v5
	s_waitcnt vmcnt(1) lgkmcnt(1)
	v_pk_mul_f32 v[4:5], v[10:11], v[216:217] op_sel:[1,1] op_sel_hi:[0,1]
	v_pk_add_f32 v[2:3], v[2:3], v[6:7]
	v_pk_fma_f32 v[6:7], v[10:11], v[216:217], v[4:5] neg_lo:[0,0,1] neg_hi:[0,0,1]
	v_pk_fma_f32 v[4:5], v[10:11], v[216:217], v[4:5] op_sel_hi:[1,0,1]
	s_nop 0
	v_mov_b32_e32 v4, v219
	v_mov_b32_e32 v7, v5
	v_pk_mul_f32 v[4:5], v[12:13], v[4:5] op_sel:[1,0] op_sel_hi:[0,0]
	v_pk_add_f32 v[2:3], v[2:3], v[6:7]
	v_pk_fma_f32 v[6:7], v[12:13], v[218:219], v[4:5] neg_lo:[0,0,1] neg_hi:[0,0,1]
	v_pk_fma_f32 v[4:5], v[12:13], v[218:219], v[4:5] op_sel_hi:[1,0,1]
	s_nop 0
	v_mov_b32_e32 v7, v5
	s_waitcnt vmcnt(0) lgkmcnt(0)
	v_pk_mul_f32 v[4:5], v[14:15], v[226:227] op_sel:[1,1] op_sel_hi:[0,1]
	v_pk_add_f32 v[2:3], v[2:3], v[6:7]
	v_pk_fma_f32 v[6:7], v[14:15], v[226:227], v[4:5] neg_lo:[0,0,1] neg_hi:[0,0,1]
	v_pk_fma_f32 v[4:5], v[14:15], v[226:227], v[4:5] op_sel_hi:[1,0,1]
	s_nop 0
	v_mov_b32_e32 v7, v5
	scratch_load_dwordx2 v[4:5], off, off offset:72
	v_pk_add_f32 v[2:3], v[2:3], v[6:7]
	s_waitcnt vmcnt(0)
	v_pk_add_f32 v[2:3], v[4:5], v[2:3] neg_lo:[0,1] neg_hi:[0,1]
	scratch_store_dwordx2 off, v[2:3], off offset:72
	s_and_saveexec_b64 s[0:1], vcc
	s_cbranch_execz .LBB62_375
; %bb.374:
	scratch_load_dwordx2 v[2:3], off, off offset:64
	v_mov_b32_e32 v171, v170
	scratch_store_dwordx2 off, v[170:171], off offset:64
	s_waitcnt vmcnt(1)
	ds_write_b64 v1, v[2:3]
.LBB62_375:
	s_or_b64 exec, exec, s[0:1]
	s_waitcnt lgkmcnt(0)
	; wave barrier
	scratch_load_dwordx4 v[6:9], off, off offset:72
	scratch_load_dwordx4 v[14:17], off, off offset:88
	;; [unrolled: 1-line block ×10, first 2 shown]
	ds_read2_b64 v[2:5], v170 offset0:73 offset1:74
	ds_read2_b64 v[176:179], v170 offset0:111 offset1:112
	scratch_load_dwordx4 v[86:89], off, off offset:232
	scratch_load_dwordx4 v[94:97], off, off offset:248
	;; [unrolled: 1-line block ×13, first 2 shown]
	v_cmp_lt_u32_e32 vcc, 7, v0
	ds_read2_b64 v[184:187], v170 offset0:113 offset1:114
	ds_read2_b64 v[192:195], v170 offset0:115 offset1:116
	;; [unrolled: 1-line block ×3, first 2 shown]
	s_waitcnt vmcnt(22) lgkmcnt(4)
	v_mul_f32_e32 v10, v2, v7
	v_fmac_f32_e32 v10, v3, v6
	v_mul_f32_e32 v11, v4, v9
	v_add_f32_e32 v10, 0, v10
	v_fmac_f32_e32 v11, v5, v8
	v_add_f32_e32 v18, v10, v11
	ds_read2_b64 v[10:13], v170 offset0:75 offset1:76
	v_mul_f32_e32 v3, v3, v7
	v_fma_f32 v2, v2, v6, -v3
	v_mul_f32_e32 v3, v5, v9
	v_add_f32_e32 v2, 0, v2
	s_waitcnt vmcnt(21) lgkmcnt(0)
	v_mul_f32_e32 v19, v10, v15
	v_fmac_f32_e32 v19, v11, v14
	v_add_f32_e32 v18, v18, v19
	v_mul_f32_e32 v19, v12, v17
	v_fmac_f32_e32 v19, v13, v16
	v_add_f32_e32 v26, v18, v19
	ds_read2_b64 v[18:21], v170 offset0:77 offset1:78
	v_fma_f32 v3, v4, v8, -v3
	v_add_f32_e32 v2, v2, v3
	v_mul_f32_e32 v3, v11, v15
	v_fma_f32 v3, v10, v14, -v3
	s_waitcnt vmcnt(20) lgkmcnt(0)
	v_mul_f32_e32 v27, v18, v23
	v_fmac_f32_e32 v27, v19, v22
	v_add_f32_e32 v26, v26, v27
	v_mul_f32_e32 v27, v20, v25
	v_fmac_f32_e32 v27, v21, v24
	v_add_f32_e32 v34, v26, v27
	ds_read2_b64 v[26:29], v170 offset0:79 offset1:80
	v_add_f32_e32 v2, v2, v3
	v_mul_f32_e32 v3, v13, v17
	v_fma_f32 v3, v12, v16, -v3
	v_add_f32_e32 v2, v2, v3
	s_waitcnt vmcnt(19) lgkmcnt(0)
	v_mul_f32_e32 v35, v26, v31
	v_fmac_f32_e32 v35, v27, v30
	v_add_f32_e32 v34, v34, v35
	v_mul_f32_e32 v35, v28, v33
	v_fmac_f32_e32 v35, v29, v32
	v_add_f32_e32 v42, v34, v35
	ds_read2_b64 v[34:37], v170 offset0:81 offset1:82
	v_mul_f32_e32 v3, v19, v23
	v_fma_f32 v3, v18, v22, -v3
	v_add_f32_e32 v2, v2, v3
	v_mul_f32_e32 v3, v21, v25
	s_waitcnt vmcnt(18) lgkmcnt(0)
	v_mul_f32_e32 v43, v34, v39
	v_fmac_f32_e32 v43, v35, v38
	v_add_f32_e32 v42, v42, v43
	v_mul_f32_e32 v43, v36, v41
	v_fmac_f32_e32 v43, v37, v40
	v_add_f32_e32 v50, v42, v43
	ds_read2_b64 v[42:45], v170 offset0:83 offset1:84
	v_fma_f32 v3, v20, v24, -v3
	v_add_f32_e32 v2, v2, v3
	v_mul_f32_e32 v3, v27, v31
	v_fma_f32 v3, v26, v30, -v3
	s_waitcnt vmcnt(17) lgkmcnt(0)
	v_mul_f32_e32 v51, v42, v47
	v_fmac_f32_e32 v51, v43, v46
	v_add_f32_e32 v50, v50, v51
	v_mul_f32_e32 v51, v44, v49
	v_fmac_f32_e32 v51, v45, v48
	v_add_f32_e32 v58, v50, v51
	ds_read2_b64 v[50:53], v170 offset0:85 offset1:86
	v_add_f32_e32 v2, v2, v3
	v_mul_f32_e32 v3, v29, v33
	v_fma_f32 v3, v28, v32, -v3
	v_add_f32_e32 v2, v2, v3
	s_waitcnt vmcnt(16) lgkmcnt(0)
	v_mul_f32_e32 v59, v50, v55
	v_fmac_f32_e32 v59, v51, v54
	v_add_f32_e32 v58, v58, v59
	v_mul_f32_e32 v59, v52, v57
	v_fmac_f32_e32 v59, v53, v56
	v_add_f32_e32 v66, v58, v59
	ds_read2_b64 v[58:61], v170 offset0:87 offset1:88
	v_mul_f32_e32 v3, v35, v39
	v_fma_f32 v3, v34, v38, -v3
	v_add_f32_e32 v2, v2, v3
	v_mul_f32_e32 v3, v37, v41
	;; [unrolled: 36-line block ×5, first 2 shown]
	s_waitcnt vmcnt(6) lgkmcnt(0)
	v_mul_f32_e32 v139, v130, v135
	v_fmac_f32_e32 v139, v131, v134
	v_add_f32_e32 v138, v138, v139
	v_mul_f32_e32 v139, v132, v137
	v_fmac_f32_e32 v139, v133, v136
	v_add_f32_e32 v146, v138, v139
	ds_read2_b64 v[138:141], v170 offset0:107 offset1:108
	v_fma_f32 v3, v84, v88, -v3
	v_add_f32_e32 v2, v2, v3
	v_mul_f32_e32 v3, v91, v95
	v_fma_f32 v3, v90, v94, -v3
	s_waitcnt vmcnt(5) lgkmcnt(0)
	v_mul_f32_e32 v147, v138, v143
	v_fmac_f32_e32 v147, v139, v142
	v_add_f32_e32 v146, v146, v147
	v_mul_f32_e32 v147, v140, v145
	v_fmac_f32_e32 v147, v141, v144
	v_add_f32_e32 v150, v146, v147
	ds_read2_b64 v[146:149], v170 offset0:109 offset1:110
	scratch_load_dwordx4 v[208:211], off, off offset:440
	scratch_load_dwordx4 v[212:215], off, off offset:456
	;; [unrolled: 1-line block ×4, first 2 shown]
	v_add_f32_e32 v2, v2, v3
	v_mul_f32_e32 v3, v93, v97
	v_fma_f32 v3, v92, v96, -v3
	v_add_f32_e32 v2, v2, v3
	v_mul_f32_e32 v3, v99, v103
	v_fma_f32 v3, v98, v102, -v3
	;; [unrolled: 3-line block ×13, first 2 shown]
	v_add_f32_e32 v2, v2, v3
	s_waitcnt vmcnt(8) lgkmcnt(0)
	v_mul_f32_e32 v3, v147, v173
	v_fma_f32 v3, v146, v172, -v3
	v_add_f32_e32 v2, v2, v3
	v_mul_f32_e32 v3, v149, v175
	v_fma_f32 v3, v148, v174, -v3
	v_mul_f32_e32 v151, v146, v173
	v_add_f32_e32 v2, v2, v3
	s_waitcnt vmcnt(7)
	v_mul_f32_e32 v3, v177, v181
	v_fmac_f32_e32 v151, v147, v172
	v_fma_f32 v3, v176, v180, -v3
	v_add_f32_e32 v150, v150, v151
	v_mul_f32_e32 v151, v148, v175
	v_add_f32_e32 v2, v2, v3
	v_mul_f32_e32 v3, v179, v183
	v_fmac_f32_e32 v151, v149, v174
	v_fma_f32 v3, v178, v182, -v3
	v_add_f32_e32 v150, v150, v151
	v_mul_f32_e32 v151, v176, v181
	v_add_f32_e32 v2, v2, v3
	s_waitcnt vmcnt(6)
	v_mul_f32_e32 v3, v185, v189
	v_fmac_f32_e32 v151, v177, v180
	v_fma_f32 v3, v184, v188, -v3
	v_add_f32_e32 v150, v150, v151
	v_mul_f32_e32 v151, v178, v183
	v_add_f32_e32 v2, v2, v3
	v_mul_f32_e32 v3, v187, v191
	v_fmac_f32_e32 v151, v179, v182
	v_fma_f32 v3, v186, v190, -v3
	v_add_f32_e32 v150, v150, v151
	;; [unrolled: 13-line block ×3, first 2 shown]
	v_mul_f32_e32 v151, v192, v197
	v_add_f32_e32 v224, v2, v3
	s_waitcnt vmcnt(4)
	v_mul_f32_e32 v2, v201, v205
	v_fmac_f32_e32 v151, v193, v196
	v_fma_f32 v226, v200, v204, -v2
	v_mul_f32_e32 v2, v203, v207
	v_add_f32_e32 v150, v150, v151
	v_mul_f32_e32 v151, v194, v199
	v_fma_f32 v228, v202, v206, -v2
	ds_read2_b64 v[2:5], v170 offset0:119 offset1:120
	ds_read2_b64 v[6:9], v170 offset0:121 offset1:122
	;; [unrolled: 1-line block ×4, first 2 shown]
	v_fmac_f32_e32 v151, v195, v198
	v_mul_f32_e32 v227, v200, v205
	v_add_f32_e32 v225, v150, v151
	v_fmac_f32_e32 v227, v201, v204
	v_mul_f32_e32 v229, v202, v207
	s_waitcnt vmcnt(3) lgkmcnt(3)
	v_pk_mul_f32 v[20:21], v[2:3], v[208:209] op_sel:[1,1] op_sel_hi:[0,1]
	v_fmac_f32_e32 v229, v203, v206
	v_pk_add_f32 v[18:19], v[224:225], v[226:227]
	v_pk_fma_f32 v[22:23], v[2:3], v[208:209], v[20:21] neg_lo:[0,0,1] neg_hi:[0,0,1]
	v_pk_fma_f32 v[2:3], v[2:3], v[208:209], v[20:21] op_sel_hi:[1,0,1]
	v_pk_add_f32 v[18:19], v[18:19], v[228:229]
	v_mov_b32_e32 v23, v3
	v_pk_add_f32 v[2:3], v[18:19], v[22:23]
	v_mov_b32_e32 v18, v211
	v_pk_mul_f32 v[18:19], v[4:5], v[18:19] op_sel:[1,0] op_sel_hi:[0,0]
	v_pk_fma_f32 v[20:21], v[4:5], v[210:211], v[18:19] neg_lo:[0,0,1] neg_hi:[0,0,1]
	v_pk_fma_f32 v[4:5], v[4:5], v[210:211], v[18:19] op_sel_hi:[1,0,1]
	s_nop 0
	v_mov_b32_e32 v21, v5
	s_waitcnt vmcnt(2) lgkmcnt(2)
	v_pk_mul_f32 v[4:5], v[6:7], v[212:213] op_sel:[1,1] op_sel_hi:[0,1]
	v_pk_fma_f32 v[18:19], v[6:7], v[212:213], v[4:5] neg_lo:[0,0,1] neg_hi:[0,0,1]
	v_pk_fma_f32 v[4:5], v[6:7], v[212:213], v[4:5] op_sel_hi:[1,0,1]
	v_pk_add_f32 v[2:3], v[2:3], v[20:21]
	v_mov_b32_e32 v4, v215
	v_mov_b32_e32 v19, v5
	v_pk_mul_f32 v[4:5], v[8:9], v[4:5] op_sel:[1,0] op_sel_hi:[0,0]
	v_pk_fma_f32 v[6:7], v[8:9], v[214:215], v[4:5] neg_lo:[0,0,1] neg_hi:[0,0,1]
	v_pk_fma_f32 v[4:5], v[8:9], v[214:215], v[4:5] op_sel_hi:[1,0,1]
	v_pk_add_f32 v[2:3], v[2:3], v[18:19]
	v_mov_b32_e32 v7, v5
	s_waitcnt vmcnt(1) lgkmcnt(1)
	v_pk_mul_f32 v[4:5], v[10:11], v[216:217] op_sel:[1,1] op_sel_hi:[0,1]
	v_pk_add_f32 v[2:3], v[2:3], v[6:7]
	v_pk_fma_f32 v[6:7], v[10:11], v[216:217], v[4:5] neg_lo:[0,0,1] neg_hi:[0,0,1]
	v_pk_fma_f32 v[4:5], v[10:11], v[216:217], v[4:5] op_sel_hi:[1,0,1]
	s_nop 0
	v_mov_b32_e32 v4, v219
	v_mov_b32_e32 v7, v5
	v_pk_mul_f32 v[4:5], v[12:13], v[4:5] op_sel:[1,0] op_sel_hi:[0,0]
	v_pk_add_f32 v[2:3], v[2:3], v[6:7]
	v_pk_fma_f32 v[6:7], v[12:13], v[218:219], v[4:5] neg_lo:[0,0,1] neg_hi:[0,0,1]
	v_pk_fma_f32 v[4:5], v[12:13], v[218:219], v[4:5] op_sel_hi:[1,0,1]
	s_nop 0
	v_mov_b32_e32 v7, v5
	s_waitcnt vmcnt(0) lgkmcnt(0)
	v_pk_mul_f32 v[4:5], v[14:15], v[220:221] op_sel:[1,1] op_sel_hi:[0,1]
	v_pk_add_f32 v[2:3], v[2:3], v[6:7]
	v_pk_fma_f32 v[6:7], v[14:15], v[220:221], v[4:5] neg_lo:[0,0,1] neg_hi:[0,0,1]
	v_pk_fma_f32 v[4:5], v[14:15], v[220:221], v[4:5] op_sel_hi:[1,0,1]
	s_nop 0
	v_mov_b32_e32 v4, v223
	v_mov_b32_e32 v7, v5
	v_pk_mul_f32 v[4:5], v[16:17], v[4:5] op_sel:[1,0] op_sel_hi:[0,0]
	v_pk_add_f32 v[2:3], v[2:3], v[6:7]
	v_pk_fma_f32 v[6:7], v[16:17], v[222:223], v[4:5] neg_lo:[0,0,1] neg_hi:[0,0,1]
	v_pk_fma_f32 v[4:5], v[16:17], v[222:223], v[4:5] op_sel_hi:[1,0,1]
	s_nop 0
	v_mov_b32_e32 v7, v5
	scratch_load_dwordx2 v[4:5], off, off offset:64
	v_pk_add_f32 v[2:3], v[2:3], v[6:7]
	s_waitcnt vmcnt(0)
	v_pk_add_f32 v[2:3], v[4:5], v[2:3] neg_lo:[0,1] neg_hi:[0,1]
	scratch_store_dwordx2 off, v[2:3], off offset:64
	s_and_saveexec_b64 s[0:1], vcc
	s_cbranch_execz .LBB62_377
; %bb.376:
	scratch_load_dwordx2 v[2:3], off, off offset:56
	v_mov_b32_e32 v4, 0
	v_mov_b32_e32 v5, v4
	scratch_store_dwordx2 off, v[4:5], off offset:56
	s_waitcnt vmcnt(1)
	ds_write_b64 v1, v[2:3]
.LBB62_377:
	s_or_b64 exec, exec, s[0:1]
	v_mov_b32_e32 v170, 0
	s_waitcnt lgkmcnt(0)
	; wave barrier
	ds_read_b128 v[14:17], v170 offset:576
	ds_read_b128 v[10:13], v170 offset:592
	;; [unrolled: 1-line block ×4, first 2 shown]
	scratch_load_dwordx4 v[18:21], off, off offset:64
	scratch_load_dwordx4 v[38:41], off, off offset:128
	;; [unrolled: 1-line block ×18, first 2 shown]
	v_cmp_lt_u32_e32 vcc, 6, v0
	scratch_load_dwordx4 v[46:49], off, off offset:144
	scratch_load_dwordx4 v[54:57], off, off offset:160
	;; [unrolled: 1-line block ×3, first 2 shown]
	ds_read_b128 v[176:179], v170 offset:880
	ds_read_b128 v[184:187], v170 offset:896
	ds_read_b128 v[192:195], v170 offset:912
	ds_read_b128 v[200:203], v170 offset:928
	ds_read_b128 v[208:211], v170 offset:944
	s_waitcnt vmcnt(20) lgkmcnt(8)
	v_mul_f32_e32 v22, v14, v19
	v_fmac_f32_e32 v22, v15, v18
	v_mul_f32_e32 v23, v16, v21
	v_add_f32_e32 v22, 0, v22
	v_fmac_f32_e32 v23, v17, v20
	v_add_f32_e32 v26, v22, v23
	scratch_load_dwordx4 v[22:25], off, off offset:80
	v_mul_f32_e32 v15, v15, v19
	v_fma_f32 v14, v14, v18, -v15
	v_mul_f32_e32 v15, v17, v21
	v_add_f32_e32 v14, 0, v14
	v_fma_f32 v15, v16, v20, -v15
	v_add_f32_e32 v14, v14, v15
	s_waitcnt vmcnt(5) lgkmcnt(1)
	v_mul_f32_e32 v231, v202, v207
	s_waitcnt vmcnt(4)
	v_mov_b32_e32 v18, v215
	v_fmac_f32_e32 v231, v203, v206
	s_waitcnt lgkmcnt(0)
	v_mul_f32_e32 v233, v208, v213
	v_pk_mul_f32 v[18:19], v[210:211], v[18:19] op_sel:[1,0] op_sel_hi:[0,0]
	v_fmac_f32_e32 v233, v209, v212
	v_pk_fma_f32 v[20:21], v[210:211], v[214:215], v[18:19] neg_lo:[0,0,1] neg_hi:[0,0,1]
	v_pk_fma_f32 v[18:19], v[210:211], v[214:215], v[18:19] op_sel_hi:[1,0,1]
	s_waitcnt vmcnt(0)
	v_mul_f32_e32 v27, v10, v23
	v_fmac_f32_e32 v27, v11, v22
	v_add_f32_e32 v26, v26, v27
	v_mul_f32_e32 v27, v12, v25
	v_fmac_f32_e32 v27, v13, v24
	v_add_f32_e32 v30, v26, v27
	scratch_load_dwordx4 v[26:29], off, off offset:96
	v_mul_f32_e32 v11, v11, v23
	v_fma_f32 v10, v10, v22, -v11
	v_mul_f32_e32 v11, v13, v25
	v_add_f32_e32 v10, v14, v10
	v_fma_f32 v11, v12, v24, -v11
	v_add_f32_e32 v10, v10, v11
	v_mov_b32_e32 v21, v19
	s_waitcnt vmcnt(0)
	v_mul_f32_e32 v31, v6, v27
	v_fmac_f32_e32 v31, v7, v26
	v_add_f32_e32 v30, v30, v31
	v_mul_f32_e32 v31, v8, v29
	v_fmac_f32_e32 v31, v9, v28
	v_add_f32_e32 v34, v30, v31
	scratch_load_dwordx4 v[30:33], off, off offset:112
	v_mul_f32_e32 v7, v7, v27
	v_fma_f32 v6, v6, v26, -v7
	v_mul_f32_e32 v7, v9, v29
	v_add_f32_e32 v6, v10, v6
	v_fma_f32 v7, v8, v28, -v7
	v_add_f32_e32 v6, v6, v7
	s_waitcnt vmcnt(0)
	v_mul_f32_e32 v35, v2, v31
	v_fmac_f32_e32 v35, v3, v30
	v_add_f32_e32 v34, v34, v35
	v_mul_f32_e32 v35, v4, v33
	v_fmac_f32_e32 v35, v5, v32
	v_add_f32_e32 v42, v34, v35
	ds_read_b128 v[34:37], v170 offset:640
	v_mul_f32_e32 v3, v3, v31
	v_fma_f32 v2, v2, v30, -v3
	v_mul_f32_e32 v3, v5, v33
	v_add_f32_e32 v2, v6, v2
	s_waitcnt lgkmcnt(0)
	v_mul_f32_e32 v43, v34, v39
	v_fmac_f32_e32 v43, v35, v38
	v_add_f32_e32 v42, v42, v43
	v_mul_f32_e32 v43, v36, v41
	v_fmac_f32_e32 v43, v37, v40
	v_add_f32_e32 v50, v42, v43
	ds_read_b128 v[42:45], v170 offset:656
	v_fma_f32 v3, v4, v32, -v3
	v_add_f32_e32 v2, v2, v3
	v_mul_f32_e32 v3, v35, v39
	v_fma_f32 v3, v34, v38, -v3
	s_waitcnt lgkmcnt(0)
	v_mul_f32_e32 v51, v42, v47
	v_fmac_f32_e32 v51, v43, v46
	v_add_f32_e32 v50, v50, v51
	v_mul_f32_e32 v51, v44, v49
	v_fmac_f32_e32 v51, v45, v48
	v_add_f32_e32 v58, v50, v51
	ds_read_b128 v[50:53], v170 offset:672
	v_add_f32_e32 v2, v2, v3
	v_mul_f32_e32 v3, v37, v41
	v_fma_f32 v3, v36, v40, -v3
	v_add_f32_e32 v2, v2, v3
	s_waitcnt lgkmcnt(0)
	v_mul_f32_e32 v59, v50, v55
	v_fmac_f32_e32 v59, v51, v54
	v_add_f32_e32 v58, v58, v59
	v_mul_f32_e32 v59, v52, v57
	v_fmac_f32_e32 v59, v53, v56
	v_add_f32_e32 v66, v58, v59
	ds_read_b128 v[58:61], v170 offset:688
	v_mul_f32_e32 v3, v43, v47
	v_fma_f32 v3, v42, v46, -v3
	v_add_f32_e32 v2, v2, v3
	v_mul_f32_e32 v3, v45, v49
	s_waitcnt lgkmcnt(0)
	v_mul_f32_e32 v67, v58, v63
	v_fmac_f32_e32 v67, v59, v62
	v_add_f32_e32 v66, v66, v67
	v_mul_f32_e32 v67, v60, v65
	v_fmac_f32_e32 v67, v61, v64
	v_add_f32_e32 v74, v66, v67
	ds_read_b128 v[66:69], v170 offset:704
	v_fma_f32 v3, v44, v48, -v3
	v_add_f32_e32 v2, v2, v3
	v_mul_f32_e32 v3, v51, v55
	v_fma_f32 v3, v50, v54, -v3
	s_waitcnt lgkmcnt(0)
	v_mul_f32_e32 v75, v66, v71
	v_fmac_f32_e32 v75, v67, v70
	v_add_f32_e32 v74, v74, v75
	v_mul_f32_e32 v75, v68, v73
	v_fmac_f32_e32 v75, v69, v72
	v_add_f32_e32 v82, v74, v75
	ds_read_b128 v[74:77], v170 offset:720
	v_add_f32_e32 v2, v2, v3
	v_mul_f32_e32 v3, v53, v57
	v_fma_f32 v3, v52, v56, -v3
	v_add_f32_e32 v2, v2, v3
	s_waitcnt lgkmcnt(0)
	v_mul_f32_e32 v83, v74, v79
	v_fmac_f32_e32 v83, v75, v78
	v_add_f32_e32 v82, v82, v83
	v_mul_f32_e32 v83, v76, v81
	v_fmac_f32_e32 v83, v77, v80
	v_add_f32_e32 v90, v82, v83
	ds_read_b128 v[82:85], v170 offset:736
	v_mul_f32_e32 v3, v59, v63
	v_fma_f32 v3, v58, v62, -v3
	v_add_f32_e32 v2, v2, v3
	v_mul_f32_e32 v3, v61, v65
	;; [unrolled: 36-line block ×4, first 2 shown]
	s_waitcnt lgkmcnt(0)
	v_mul_f32_e32 v139, v130, v135
	v_fmac_f32_e32 v139, v131, v134
	v_add_f32_e32 v138, v138, v139
	v_mul_f32_e32 v139, v132, v137
	v_fmac_f32_e32 v139, v133, v136
	v_add_f32_e32 v146, v138, v139
	ds_read_b128 v[138:141], v170 offset:848
	v_fma_f32 v3, v92, v96, -v3
	v_add_f32_e32 v2, v2, v3
	v_mul_f32_e32 v3, v99, v103
	v_fma_f32 v3, v98, v102, -v3
	s_waitcnt lgkmcnt(0)
	v_mul_f32_e32 v147, v138, v143
	v_fmac_f32_e32 v147, v139, v142
	v_add_f32_e32 v146, v146, v147
	v_mul_f32_e32 v147, v140, v145
	v_fmac_f32_e32 v147, v141, v144
	v_add_f32_e32 v150, v146, v147
	ds_read_b128 v[146:149], v170 offset:864
	scratch_load_dwordx4 v[216:219], off, off offset:448
	scratch_load_dwordx4 v[220:223], off, off offset:464
	;; [unrolled: 1-line block ×3, first 2 shown]
	scratch_load_dwordx2 v[234:235], off, off offset:496
	v_add_f32_e32 v2, v2, v3
	v_mul_f32_e32 v3, v101, v105
	v_fma_f32 v3, v100, v104, -v3
	v_add_f32_e32 v2, v2, v3
	v_mul_f32_e32 v3, v107, v111
	v_fma_f32 v3, v106, v110, -v3
	v_add_f32_e32 v2, v2, v3
	v_mul_f32_e32 v3, v109, v113
	v_fma_f32 v3, v108, v112, -v3
	v_add_f32_e32 v2, v2, v3
	v_mul_f32_e32 v3, v115, v119
	v_fma_f32 v3, v114, v118, -v3
	v_add_f32_e32 v2, v2, v3
	v_mul_f32_e32 v3, v117, v121
	v_fma_f32 v3, v116, v120, -v3
	v_add_f32_e32 v2, v2, v3
	v_mul_f32_e32 v3, v123, v127
	v_fma_f32 v3, v122, v126, -v3
	v_add_f32_e32 v2, v2, v3
	v_mul_f32_e32 v3, v125, v129
	v_fma_f32 v3, v124, v128, -v3
	v_add_f32_e32 v2, v2, v3
	v_mul_f32_e32 v3, v131, v135
	v_fma_f32 v3, v130, v134, -v3
	v_add_f32_e32 v2, v2, v3
	v_mul_f32_e32 v3, v133, v137
	v_fma_f32 v3, v132, v136, -v3
	v_add_f32_e32 v2, v2, v3
	v_mul_f32_e32 v3, v139, v143
	v_fma_f32 v3, v138, v142, -v3
	v_add_f32_e32 v2, v2, v3
	v_mul_f32_e32 v3, v141, v145
	v_fma_f32 v3, v140, v144, -v3
	v_add_f32_e32 v2, v2, v3
	s_waitcnt lgkmcnt(0)
	v_mul_f32_e32 v3, v147, v173
	v_fma_f32 v3, v146, v172, -v3
	v_mul_f32_e32 v151, v146, v173
	v_add_f32_e32 v2, v2, v3
	v_mul_f32_e32 v3, v149, v175
	v_fmac_f32_e32 v151, v147, v172
	v_fma_f32 v3, v148, v174, -v3
	v_add_f32_e32 v150, v150, v151
	v_mul_f32_e32 v151, v148, v175
	v_add_f32_e32 v2, v2, v3
	v_mul_f32_e32 v3, v177, v181
	v_fmac_f32_e32 v151, v149, v174
	v_fma_f32 v3, v176, v180, -v3
	v_add_f32_e32 v150, v150, v151
	;; [unrolled: 6-line block ×8, first 2 shown]
	v_mul_f32_e32 v151, v200, v205
	v_add_f32_e32 v228, v2, v3
	v_mul_f32_e32 v2, v203, v207
	v_fmac_f32_e32 v151, v201, v204
	v_fma_f32 v230, v202, v206, -v2
	v_mul_f32_e32 v2, v209, v213
	v_add_f32_e32 v229, v150, v151
	v_fma_f32 v232, v208, v212, -v2
	ds_read_b128 v[2:5], v170 offset:960
	ds_read_b128 v[6:9], v170 offset:976
	;; [unrolled: 1-line block ×3, first 2 shown]
	ds_read_b64 v[14:15], v170 offset:1008
	v_pk_add_f32 v[16:17], v[228:229], v[230:231]
	s_waitcnt vmcnt(3) lgkmcnt(3)
	v_pk_mul_f32 v[18:19], v[2:3], v[216:217] op_sel:[1,1] op_sel_hi:[0,1]
	v_pk_add_f32 v[16:17], v[16:17], v[232:233]
	s_nop 0
	v_pk_add_f32 v[16:17], v[16:17], v[20:21]
	v_pk_fma_f32 v[20:21], v[2:3], v[216:217], v[18:19] neg_lo:[0,0,1] neg_hi:[0,0,1]
	v_pk_fma_f32 v[2:3], v[2:3], v[216:217], v[18:19] op_sel_hi:[1,0,1]
	s_nop 0
	v_mov_b32_e32 v21, v3
	v_pk_add_f32 v[2:3], v[16:17], v[20:21]
	v_mov_b32_e32 v16, v219
	v_pk_mul_f32 v[16:17], v[4:5], v[16:17] op_sel:[1,0] op_sel_hi:[0,0]
	v_pk_fma_f32 v[18:19], v[4:5], v[218:219], v[16:17] neg_lo:[0,0,1] neg_hi:[0,0,1]
	v_pk_fma_f32 v[4:5], v[4:5], v[218:219], v[16:17] op_sel_hi:[1,0,1]
	s_nop 0
	v_mov_b32_e32 v19, v5
	s_waitcnt vmcnt(2) lgkmcnt(2)
	v_pk_mul_f32 v[4:5], v[6:7], v[220:221] op_sel:[1,1] op_sel_hi:[0,1]
	v_pk_fma_f32 v[16:17], v[6:7], v[220:221], v[4:5] neg_lo:[0,0,1] neg_hi:[0,0,1]
	v_pk_fma_f32 v[4:5], v[6:7], v[220:221], v[4:5] op_sel_hi:[1,0,1]
	v_pk_add_f32 v[2:3], v[2:3], v[18:19]
	v_mov_b32_e32 v4, v223
	v_mov_b32_e32 v17, v5
	v_pk_mul_f32 v[4:5], v[8:9], v[4:5] op_sel:[1,0] op_sel_hi:[0,0]
	v_pk_fma_f32 v[6:7], v[8:9], v[222:223], v[4:5] neg_lo:[0,0,1] neg_hi:[0,0,1]
	v_pk_fma_f32 v[4:5], v[8:9], v[222:223], v[4:5] op_sel_hi:[1,0,1]
	v_pk_add_f32 v[2:3], v[2:3], v[16:17]
	v_mov_b32_e32 v7, v5
	s_waitcnt vmcnt(1) lgkmcnt(1)
	v_pk_mul_f32 v[4:5], v[10:11], v[224:225] op_sel:[1,1] op_sel_hi:[0,1]
	v_pk_add_f32 v[2:3], v[2:3], v[6:7]
	v_pk_fma_f32 v[6:7], v[10:11], v[224:225], v[4:5] neg_lo:[0,0,1] neg_hi:[0,0,1]
	v_pk_fma_f32 v[4:5], v[10:11], v[224:225], v[4:5] op_sel_hi:[1,0,1]
	s_nop 0
	v_mov_b32_e32 v4, v227
	v_mov_b32_e32 v7, v5
	v_pk_mul_f32 v[4:5], v[12:13], v[4:5] op_sel:[1,0] op_sel_hi:[0,0]
	v_pk_add_f32 v[2:3], v[2:3], v[6:7]
	v_pk_fma_f32 v[6:7], v[12:13], v[226:227], v[4:5] neg_lo:[0,0,1] neg_hi:[0,0,1]
	v_pk_fma_f32 v[4:5], v[12:13], v[226:227], v[4:5] op_sel_hi:[1,0,1]
	s_nop 0
	v_mov_b32_e32 v7, v5
	s_waitcnt vmcnt(0) lgkmcnt(0)
	v_pk_mul_f32 v[4:5], v[14:15], v[234:235] op_sel:[1,1] op_sel_hi:[0,1]
	v_pk_add_f32 v[2:3], v[2:3], v[6:7]
	v_pk_fma_f32 v[6:7], v[14:15], v[234:235], v[4:5] neg_lo:[0,0,1] neg_hi:[0,0,1]
	v_pk_fma_f32 v[4:5], v[14:15], v[234:235], v[4:5] op_sel_hi:[1,0,1]
	s_nop 0
	v_mov_b32_e32 v7, v5
	scratch_load_dwordx2 v[4:5], off, off offset:56
	v_pk_add_f32 v[2:3], v[2:3], v[6:7]
	s_waitcnt vmcnt(0)
	v_pk_add_f32 v[2:3], v[4:5], v[2:3] neg_lo:[0,1] neg_hi:[0,1]
	scratch_store_dwordx2 off, v[2:3], off offset:56
	s_and_saveexec_b64 s[0:1], vcc
	s_cbranch_execz .LBB62_379
; %bb.378:
	scratch_load_dwordx2 v[2:3], off, off offset:48
	v_mov_b32_e32 v171, v170
	scratch_store_dwordx2 off, v[170:171], off offset:48
	s_waitcnt vmcnt(1)
	ds_write_b64 v1, v[2:3]
.LBB62_379:
	s_or_b64 exec, exec, s[0:1]
	s_waitcnt lgkmcnt(0)
	; wave barrier
	scratch_load_dwordx4 v[6:9], off, off offset:56
	scratch_load_dwordx4 v[14:17], off, off offset:72
	;; [unrolled: 1-line block ×10, first 2 shown]
	ds_read2_b64 v[2:5], v170 offset0:71 offset1:72
	ds_read2_b64 v[176:179], v170 offset0:109 offset1:110
	scratch_load_dwordx4 v[86:89], off, off offset:216
	scratch_load_dwordx4 v[94:97], off, off offset:232
	;; [unrolled: 1-line block ×14, first 2 shown]
	v_cmp_lt_u32_e32 vcc, 5, v0
	ds_read2_b64 v[184:187], v170 offset0:111 offset1:112
	ds_read2_b64 v[192:195], v170 offset0:113 offset1:114
	;; [unrolled: 1-line block ×4, first 2 shown]
	s_waitcnt vmcnt(23) lgkmcnt(5)
	v_mul_f32_e32 v10, v2, v7
	v_fmac_f32_e32 v10, v3, v6
	v_mul_f32_e32 v11, v4, v9
	v_add_f32_e32 v10, 0, v10
	v_fmac_f32_e32 v11, v5, v8
	v_add_f32_e32 v18, v10, v11
	ds_read2_b64 v[10:13], v170 offset0:73 offset1:74
	v_mul_f32_e32 v3, v3, v7
	v_fma_f32 v2, v2, v6, -v3
	v_mul_f32_e32 v3, v5, v9
	v_add_f32_e32 v2, 0, v2
	s_waitcnt vmcnt(22) lgkmcnt(0)
	v_mul_f32_e32 v19, v10, v15
	v_fmac_f32_e32 v19, v11, v14
	v_add_f32_e32 v18, v18, v19
	v_mul_f32_e32 v19, v12, v17
	v_fmac_f32_e32 v19, v13, v16
	v_add_f32_e32 v26, v18, v19
	ds_read2_b64 v[18:21], v170 offset0:75 offset1:76
	v_fma_f32 v3, v4, v8, -v3
	v_add_f32_e32 v2, v2, v3
	v_mul_f32_e32 v3, v11, v15
	v_fma_f32 v3, v10, v14, -v3
	s_waitcnt vmcnt(21) lgkmcnt(0)
	v_mul_f32_e32 v27, v18, v23
	v_fmac_f32_e32 v27, v19, v22
	v_add_f32_e32 v26, v26, v27
	v_mul_f32_e32 v27, v20, v25
	v_fmac_f32_e32 v27, v21, v24
	v_add_f32_e32 v34, v26, v27
	ds_read2_b64 v[26:29], v170 offset0:77 offset1:78
	v_add_f32_e32 v2, v2, v3
	v_mul_f32_e32 v3, v13, v17
	v_fma_f32 v3, v12, v16, -v3
	v_add_f32_e32 v2, v2, v3
	s_waitcnt vmcnt(20) lgkmcnt(0)
	v_mul_f32_e32 v35, v26, v31
	v_fmac_f32_e32 v35, v27, v30
	v_add_f32_e32 v34, v34, v35
	v_mul_f32_e32 v35, v28, v33
	v_fmac_f32_e32 v35, v29, v32
	v_add_f32_e32 v42, v34, v35
	ds_read2_b64 v[34:37], v170 offset0:79 offset1:80
	v_mul_f32_e32 v3, v19, v23
	v_fma_f32 v3, v18, v22, -v3
	v_add_f32_e32 v2, v2, v3
	v_mul_f32_e32 v3, v21, v25
	s_waitcnt vmcnt(19) lgkmcnt(0)
	v_mul_f32_e32 v43, v34, v39
	v_fmac_f32_e32 v43, v35, v38
	v_add_f32_e32 v42, v42, v43
	v_mul_f32_e32 v43, v36, v41
	v_fmac_f32_e32 v43, v37, v40
	v_add_f32_e32 v50, v42, v43
	ds_read2_b64 v[42:45], v170 offset0:81 offset1:82
	v_fma_f32 v3, v20, v24, -v3
	v_add_f32_e32 v2, v2, v3
	v_mul_f32_e32 v3, v27, v31
	v_fma_f32 v3, v26, v30, -v3
	s_waitcnt vmcnt(18) lgkmcnt(0)
	v_mul_f32_e32 v51, v42, v47
	v_fmac_f32_e32 v51, v43, v46
	v_add_f32_e32 v50, v50, v51
	v_mul_f32_e32 v51, v44, v49
	v_fmac_f32_e32 v51, v45, v48
	v_add_f32_e32 v58, v50, v51
	ds_read2_b64 v[50:53], v170 offset0:83 offset1:84
	v_add_f32_e32 v2, v2, v3
	v_mul_f32_e32 v3, v29, v33
	v_fma_f32 v3, v28, v32, -v3
	v_add_f32_e32 v2, v2, v3
	s_waitcnt vmcnt(17) lgkmcnt(0)
	v_mul_f32_e32 v59, v50, v55
	v_fmac_f32_e32 v59, v51, v54
	v_add_f32_e32 v58, v58, v59
	v_mul_f32_e32 v59, v52, v57
	v_fmac_f32_e32 v59, v53, v56
	v_add_f32_e32 v66, v58, v59
	ds_read2_b64 v[58:61], v170 offset0:85 offset1:86
	v_mul_f32_e32 v3, v35, v39
	v_fma_f32 v3, v34, v38, -v3
	v_add_f32_e32 v2, v2, v3
	v_mul_f32_e32 v3, v37, v41
	;; [unrolled: 36-line block ×5, first 2 shown]
	s_waitcnt vmcnt(7) lgkmcnt(0)
	v_mul_f32_e32 v139, v130, v135
	v_fmac_f32_e32 v139, v131, v134
	v_add_f32_e32 v138, v138, v139
	v_mul_f32_e32 v139, v132, v137
	v_fmac_f32_e32 v139, v133, v136
	v_add_f32_e32 v146, v138, v139
	ds_read2_b64 v[138:141], v170 offset0:105 offset1:106
	v_fma_f32 v3, v84, v88, -v3
	v_add_f32_e32 v2, v2, v3
	v_mul_f32_e32 v3, v91, v95
	v_fma_f32 v3, v90, v94, -v3
	s_waitcnt vmcnt(6) lgkmcnt(0)
	v_mul_f32_e32 v147, v138, v143
	v_fmac_f32_e32 v147, v139, v142
	v_add_f32_e32 v146, v146, v147
	v_mul_f32_e32 v147, v140, v145
	v_fmac_f32_e32 v147, v141, v144
	v_add_f32_e32 v150, v146, v147
	ds_read2_b64 v[146:149], v170 offset0:107 offset1:108
	scratch_load_dwordx4 v[216:219], off, off offset:440
	scratch_load_dwordx4 v[220:223], off, off offset:456
	;; [unrolled: 1-line block ×4, first 2 shown]
	v_add_f32_e32 v2, v2, v3
	v_mul_f32_e32 v3, v93, v97
	v_fma_f32 v3, v92, v96, -v3
	v_add_f32_e32 v2, v2, v3
	v_mul_f32_e32 v3, v99, v103
	v_fma_f32 v3, v98, v102, -v3
	;; [unrolled: 3-line block ×13, first 2 shown]
	v_add_f32_e32 v2, v2, v3
	s_waitcnt vmcnt(9) lgkmcnt(0)
	v_mul_f32_e32 v3, v147, v173
	v_fma_f32 v3, v146, v172, -v3
	v_add_f32_e32 v2, v2, v3
	v_mul_f32_e32 v3, v149, v175
	v_fma_f32 v3, v148, v174, -v3
	v_mul_f32_e32 v151, v146, v173
	v_add_f32_e32 v2, v2, v3
	s_waitcnt vmcnt(8)
	v_mul_f32_e32 v3, v177, v181
	v_fmac_f32_e32 v151, v147, v172
	v_fma_f32 v3, v176, v180, -v3
	v_add_f32_e32 v150, v150, v151
	v_mul_f32_e32 v151, v148, v175
	v_add_f32_e32 v2, v2, v3
	v_mul_f32_e32 v3, v179, v183
	v_fmac_f32_e32 v151, v149, v174
	v_fma_f32 v3, v178, v182, -v3
	v_add_f32_e32 v150, v150, v151
	v_mul_f32_e32 v151, v176, v181
	v_add_f32_e32 v2, v2, v3
	s_waitcnt vmcnt(7)
	v_mul_f32_e32 v3, v185, v189
	v_fmac_f32_e32 v151, v177, v180
	v_fma_f32 v3, v184, v188, -v3
	v_add_f32_e32 v150, v150, v151
	v_mul_f32_e32 v151, v178, v183
	v_add_f32_e32 v2, v2, v3
	v_mul_f32_e32 v3, v187, v191
	v_fmac_f32_e32 v151, v179, v182
	v_fma_f32 v3, v186, v190, -v3
	v_add_f32_e32 v150, v150, v151
	;; [unrolled: 13-line block ×4, first 2 shown]
	v_mul_f32_e32 v151, v200, v205
	v_add_f32_e32 v232, v2, v3
	s_waitcnt vmcnt(4)
	v_mul_f32_e32 v2, v209, v213
	v_fmac_f32_e32 v151, v201, v204
	v_fma_f32 v234, v208, v212, -v2
	v_mul_f32_e32 v2, v211, v215
	v_add_f32_e32 v150, v150, v151
	v_mul_f32_e32 v151, v202, v207
	v_fma_f32 v236, v210, v214, -v2
	ds_read2_b64 v[2:5], v170 offset0:119 offset1:120
	ds_read2_b64 v[6:9], v170 offset0:121 offset1:122
	;; [unrolled: 1-line block ×4, first 2 shown]
	v_fmac_f32_e32 v151, v203, v206
	v_mul_f32_e32 v235, v208, v213
	v_add_f32_e32 v233, v150, v151
	v_fmac_f32_e32 v235, v209, v212
	v_mul_f32_e32 v237, v210, v215
	s_waitcnt vmcnt(3) lgkmcnt(3)
	v_pk_mul_f32 v[20:21], v[2:3], v[216:217] op_sel:[1,1] op_sel_hi:[0,1]
	v_fmac_f32_e32 v237, v211, v214
	v_pk_add_f32 v[18:19], v[232:233], v[234:235]
	v_pk_fma_f32 v[22:23], v[2:3], v[216:217], v[20:21] neg_lo:[0,0,1] neg_hi:[0,0,1]
	v_pk_fma_f32 v[2:3], v[2:3], v[216:217], v[20:21] op_sel_hi:[1,0,1]
	v_pk_add_f32 v[18:19], v[18:19], v[236:237]
	v_mov_b32_e32 v23, v3
	v_pk_add_f32 v[2:3], v[18:19], v[22:23]
	v_mov_b32_e32 v18, v219
	v_pk_mul_f32 v[18:19], v[4:5], v[18:19] op_sel:[1,0] op_sel_hi:[0,0]
	v_pk_fma_f32 v[20:21], v[4:5], v[218:219], v[18:19] neg_lo:[0,0,1] neg_hi:[0,0,1]
	v_pk_fma_f32 v[4:5], v[4:5], v[218:219], v[18:19] op_sel_hi:[1,0,1]
	s_nop 0
	v_mov_b32_e32 v21, v5
	s_waitcnt vmcnt(2) lgkmcnt(2)
	v_pk_mul_f32 v[4:5], v[6:7], v[220:221] op_sel:[1,1] op_sel_hi:[0,1]
	v_pk_fma_f32 v[18:19], v[6:7], v[220:221], v[4:5] neg_lo:[0,0,1] neg_hi:[0,0,1]
	v_pk_fma_f32 v[4:5], v[6:7], v[220:221], v[4:5] op_sel_hi:[1,0,1]
	v_pk_add_f32 v[2:3], v[2:3], v[20:21]
	v_mov_b32_e32 v4, v223
	v_mov_b32_e32 v19, v5
	v_pk_mul_f32 v[4:5], v[8:9], v[4:5] op_sel:[1,0] op_sel_hi:[0,0]
	v_pk_fma_f32 v[6:7], v[8:9], v[222:223], v[4:5] neg_lo:[0,0,1] neg_hi:[0,0,1]
	v_pk_fma_f32 v[4:5], v[8:9], v[222:223], v[4:5] op_sel_hi:[1,0,1]
	v_pk_add_f32 v[2:3], v[2:3], v[18:19]
	v_mov_b32_e32 v7, v5
	s_waitcnt vmcnt(1) lgkmcnt(1)
	v_pk_mul_f32 v[4:5], v[10:11], v[224:225] op_sel:[1,1] op_sel_hi:[0,1]
	v_pk_add_f32 v[2:3], v[2:3], v[6:7]
	v_pk_fma_f32 v[6:7], v[10:11], v[224:225], v[4:5] neg_lo:[0,0,1] neg_hi:[0,0,1]
	v_pk_fma_f32 v[4:5], v[10:11], v[224:225], v[4:5] op_sel_hi:[1,0,1]
	s_nop 0
	v_mov_b32_e32 v4, v227
	v_mov_b32_e32 v7, v5
	v_pk_mul_f32 v[4:5], v[12:13], v[4:5] op_sel:[1,0] op_sel_hi:[0,0]
	v_pk_add_f32 v[2:3], v[2:3], v[6:7]
	v_pk_fma_f32 v[6:7], v[12:13], v[226:227], v[4:5] neg_lo:[0,0,1] neg_hi:[0,0,1]
	v_pk_fma_f32 v[4:5], v[12:13], v[226:227], v[4:5] op_sel_hi:[1,0,1]
	s_nop 0
	v_mov_b32_e32 v7, v5
	s_waitcnt vmcnt(0) lgkmcnt(0)
	v_pk_mul_f32 v[4:5], v[14:15], v[228:229] op_sel:[1,1] op_sel_hi:[0,1]
	v_pk_add_f32 v[2:3], v[2:3], v[6:7]
	v_pk_fma_f32 v[6:7], v[14:15], v[228:229], v[4:5] neg_lo:[0,0,1] neg_hi:[0,0,1]
	v_pk_fma_f32 v[4:5], v[14:15], v[228:229], v[4:5] op_sel_hi:[1,0,1]
	s_nop 0
	v_mov_b32_e32 v4, v231
	v_mov_b32_e32 v7, v5
	v_pk_mul_f32 v[4:5], v[16:17], v[4:5] op_sel:[1,0] op_sel_hi:[0,0]
	v_pk_add_f32 v[2:3], v[2:3], v[6:7]
	v_pk_fma_f32 v[6:7], v[16:17], v[230:231], v[4:5] neg_lo:[0,0,1] neg_hi:[0,0,1]
	v_pk_fma_f32 v[4:5], v[16:17], v[230:231], v[4:5] op_sel_hi:[1,0,1]
	s_nop 0
	v_mov_b32_e32 v7, v5
	scratch_load_dwordx2 v[4:5], off, off offset:48
	v_pk_add_f32 v[2:3], v[2:3], v[6:7]
	s_waitcnt vmcnt(0)
	v_pk_add_f32 v[2:3], v[4:5], v[2:3] neg_lo:[0,1] neg_hi:[0,1]
	scratch_store_dwordx2 off, v[2:3], off offset:48
	s_and_saveexec_b64 s[0:1], vcc
	s_cbranch_execz .LBB62_381
; %bb.380:
	scratch_load_dwordx2 v[2:3], off, off offset:40
	v_mov_b32_e32 v4, 0
	v_mov_b32_e32 v5, v4
	scratch_store_dwordx2 off, v[4:5], off offset:40
	s_waitcnt vmcnt(1)
	ds_write_b64 v1, v[2:3]
.LBB62_381:
	s_or_b64 exec, exec, s[0:1]
	v_mov_b32_e32 v170, 0
	s_waitcnt lgkmcnt(0)
	; wave barrier
	ds_read_b128 v[14:17], v170 offset:560
	ds_read_b128 v[10:13], v170 offset:576
	;; [unrolled: 1-line block ×4, first 2 shown]
	scratch_load_dwordx4 v[18:21], off, off offset:48
	scratch_load_dwordx4 v[38:41], off, off offset:112
	;; [unrolled: 1-line block ×19, first 2 shown]
	v_cmp_lt_u32_e32 vcc, 4, v0
	scratch_load_dwordx4 v[46:49], off, off offset:128
	scratch_load_dwordx4 v[54:57], off, off offset:144
	;; [unrolled: 1-line block ×3, first 2 shown]
	ds_read_b128 v[176:179], v170 offset:864
	ds_read_b128 v[184:187], v170 offset:880
	;; [unrolled: 1-line block ×6, first 2 shown]
	s_waitcnt vmcnt(21) lgkmcnt(9)
	v_mul_f32_e32 v22, v14, v19
	v_fmac_f32_e32 v22, v15, v18
	v_mul_f32_e32 v23, v16, v21
	v_add_f32_e32 v22, 0, v22
	v_fmac_f32_e32 v23, v17, v20
	v_add_f32_e32 v26, v22, v23
	scratch_load_dwordx4 v[22:25], off, off offset:64
	v_mul_f32_e32 v15, v15, v19
	v_fma_f32 v14, v14, v18, -v15
	v_mul_f32_e32 v15, v17, v21
	v_add_f32_e32 v14, 0, v14
	v_fma_f32 v15, v16, v20, -v15
	v_add_f32_e32 v14, v14, v15
	s_waitcnt vmcnt(5) lgkmcnt(1)
	v_mul_f32_e32 v239, v210, v215
	s_waitcnt vmcnt(4)
	v_mov_b32_e32 v18, v223
	v_fmac_f32_e32 v239, v211, v214
	s_waitcnt lgkmcnt(0)
	v_mul_f32_e32 v241, v216, v221
	v_pk_mul_f32 v[18:19], v[218:219], v[18:19] op_sel:[1,0] op_sel_hi:[0,0]
	v_fmac_f32_e32 v241, v217, v220
	v_pk_fma_f32 v[20:21], v[218:219], v[222:223], v[18:19] neg_lo:[0,0,1] neg_hi:[0,0,1]
	v_pk_fma_f32 v[18:19], v[218:219], v[222:223], v[18:19] op_sel_hi:[1,0,1]
	s_waitcnt vmcnt(0)
	v_mul_f32_e32 v27, v10, v23
	v_fmac_f32_e32 v27, v11, v22
	v_add_f32_e32 v26, v26, v27
	v_mul_f32_e32 v27, v12, v25
	v_fmac_f32_e32 v27, v13, v24
	v_add_f32_e32 v30, v26, v27
	scratch_load_dwordx4 v[26:29], off, off offset:80
	v_mul_f32_e32 v11, v11, v23
	v_fma_f32 v10, v10, v22, -v11
	v_mul_f32_e32 v11, v13, v25
	v_add_f32_e32 v10, v14, v10
	v_fma_f32 v11, v12, v24, -v11
	v_add_f32_e32 v10, v10, v11
	v_mov_b32_e32 v21, v19
	s_waitcnt vmcnt(0)
	v_mul_f32_e32 v31, v6, v27
	v_fmac_f32_e32 v31, v7, v26
	v_add_f32_e32 v30, v30, v31
	v_mul_f32_e32 v31, v8, v29
	v_fmac_f32_e32 v31, v9, v28
	v_add_f32_e32 v34, v30, v31
	scratch_load_dwordx4 v[30:33], off, off offset:96
	v_mul_f32_e32 v7, v7, v27
	v_fma_f32 v6, v6, v26, -v7
	v_mul_f32_e32 v7, v9, v29
	v_add_f32_e32 v6, v10, v6
	v_fma_f32 v7, v8, v28, -v7
	v_add_f32_e32 v6, v6, v7
	s_waitcnt vmcnt(0)
	v_mul_f32_e32 v35, v2, v31
	v_fmac_f32_e32 v35, v3, v30
	v_add_f32_e32 v34, v34, v35
	v_mul_f32_e32 v35, v4, v33
	v_fmac_f32_e32 v35, v5, v32
	v_add_f32_e32 v42, v34, v35
	ds_read_b128 v[34:37], v170 offset:624
	v_mul_f32_e32 v3, v3, v31
	v_fma_f32 v2, v2, v30, -v3
	v_mul_f32_e32 v3, v5, v33
	v_add_f32_e32 v2, v6, v2
	s_waitcnt lgkmcnt(0)
	v_mul_f32_e32 v43, v34, v39
	v_fmac_f32_e32 v43, v35, v38
	v_add_f32_e32 v42, v42, v43
	v_mul_f32_e32 v43, v36, v41
	v_fmac_f32_e32 v43, v37, v40
	v_add_f32_e32 v50, v42, v43
	ds_read_b128 v[42:45], v170 offset:640
	v_fma_f32 v3, v4, v32, -v3
	v_add_f32_e32 v2, v2, v3
	v_mul_f32_e32 v3, v35, v39
	v_fma_f32 v3, v34, v38, -v3
	s_waitcnt lgkmcnt(0)
	v_mul_f32_e32 v51, v42, v47
	v_fmac_f32_e32 v51, v43, v46
	v_add_f32_e32 v50, v50, v51
	v_mul_f32_e32 v51, v44, v49
	v_fmac_f32_e32 v51, v45, v48
	v_add_f32_e32 v58, v50, v51
	ds_read_b128 v[50:53], v170 offset:656
	v_add_f32_e32 v2, v2, v3
	v_mul_f32_e32 v3, v37, v41
	v_fma_f32 v3, v36, v40, -v3
	v_add_f32_e32 v2, v2, v3
	s_waitcnt lgkmcnt(0)
	v_mul_f32_e32 v59, v50, v55
	v_fmac_f32_e32 v59, v51, v54
	v_add_f32_e32 v58, v58, v59
	v_mul_f32_e32 v59, v52, v57
	v_fmac_f32_e32 v59, v53, v56
	v_add_f32_e32 v66, v58, v59
	ds_read_b128 v[58:61], v170 offset:672
	v_mul_f32_e32 v3, v43, v47
	v_fma_f32 v3, v42, v46, -v3
	v_add_f32_e32 v2, v2, v3
	v_mul_f32_e32 v3, v45, v49
	s_waitcnt lgkmcnt(0)
	v_mul_f32_e32 v67, v58, v63
	v_fmac_f32_e32 v67, v59, v62
	v_add_f32_e32 v66, v66, v67
	v_mul_f32_e32 v67, v60, v65
	v_fmac_f32_e32 v67, v61, v64
	v_add_f32_e32 v74, v66, v67
	ds_read_b128 v[66:69], v170 offset:688
	v_fma_f32 v3, v44, v48, -v3
	v_add_f32_e32 v2, v2, v3
	v_mul_f32_e32 v3, v51, v55
	v_fma_f32 v3, v50, v54, -v3
	s_waitcnt lgkmcnt(0)
	v_mul_f32_e32 v75, v66, v71
	v_fmac_f32_e32 v75, v67, v70
	v_add_f32_e32 v74, v74, v75
	v_mul_f32_e32 v75, v68, v73
	v_fmac_f32_e32 v75, v69, v72
	v_add_f32_e32 v82, v74, v75
	ds_read_b128 v[74:77], v170 offset:704
	v_add_f32_e32 v2, v2, v3
	v_mul_f32_e32 v3, v53, v57
	v_fma_f32 v3, v52, v56, -v3
	v_add_f32_e32 v2, v2, v3
	s_waitcnt lgkmcnt(0)
	v_mul_f32_e32 v83, v74, v79
	v_fmac_f32_e32 v83, v75, v78
	v_add_f32_e32 v82, v82, v83
	v_mul_f32_e32 v83, v76, v81
	v_fmac_f32_e32 v83, v77, v80
	v_add_f32_e32 v90, v82, v83
	ds_read_b128 v[82:85], v170 offset:720
	v_mul_f32_e32 v3, v59, v63
	v_fma_f32 v3, v58, v62, -v3
	v_add_f32_e32 v2, v2, v3
	v_mul_f32_e32 v3, v61, v65
	;; [unrolled: 36-line block ×4, first 2 shown]
	s_waitcnt lgkmcnt(0)
	v_mul_f32_e32 v139, v130, v135
	v_fmac_f32_e32 v139, v131, v134
	v_add_f32_e32 v138, v138, v139
	v_mul_f32_e32 v139, v132, v137
	v_fmac_f32_e32 v139, v133, v136
	v_add_f32_e32 v146, v138, v139
	ds_read_b128 v[138:141], v170 offset:832
	v_fma_f32 v3, v92, v96, -v3
	v_add_f32_e32 v2, v2, v3
	v_mul_f32_e32 v3, v99, v103
	v_fma_f32 v3, v98, v102, -v3
	s_waitcnt lgkmcnt(0)
	v_mul_f32_e32 v147, v138, v143
	v_fmac_f32_e32 v147, v139, v142
	v_add_f32_e32 v146, v146, v147
	v_mul_f32_e32 v147, v140, v145
	v_fmac_f32_e32 v147, v141, v144
	v_add_f32_e32 v150, v146, v147
	ds_read_b128 v[146:149], v170 offset:848
	scratch_load_dwordx4 v[224:227], off, off offset:448
	scratch_load_dwordx4 v[228:231], off, off offset:464
	;; [unrolled: 1-line block ×3, first 2 shown]
	scratch_load_dwordx2 v[242:243], off, off offset:496
	v_add_f32_e32 v2, v2, v3
	v_mul_f32_e32 v3, v101, v105
	v_fma_f32 v3, v100, v104, -v3
	v_add_f32_e32 v2, v2, v3
	v_mul_f32_e32 v3, v107, v111
	v_fma_f32 v3, v106, v110, -v3
	;; [unrolled: 3-line block ×11, first 2 shown]
	v_add_f32_e32 v2, v2, v3
	s_waitcnt lgkmcnt(0)
	v_mul_f32_e32 v3, v147, v173
	v_fma_f32 v3, v146, v172, -v3
	v_mul_f32_e32 v151, v146, v173
	v_add_f32_e32 v2, v2, v3
	v_mul_f32_e32 v3, v149, v175
	v_fmac_f32_e32 v151, v147, v172
	v_fma_f32 v3, v148, v174, -v3
	v_add_f32_e32 v150, v150, v151
	v_mul_f32_e32 v151, v148, v175
	v_add_f32_e32 v2, v2, v3
	v_mul_f32_e32 v3, v177, v181
	v_fmac_f32_e32 v151, v149, v174
	v_fma_f32 v3, v176, v180, -v3
	v_add_f32_e32 v150, v150, v151
	;; [unrolled: 6-line block ×10, first 2 shown]
	v_mul_f32_e32 v151, v208, v213
	v_add_f32_e32 v236, v2, v3
	v_mul_f32_e32 v2, v211, v215
	v_fmac_f32_e32 v151, v209, v212
	v_fma_f32 v238, v210, v214, -v2
	v_mul_f32_e32 v2, v217, v221
	v_add_f32_e32 v237, v150, v151
	v_fma_f32 v240, v216, v220, -v2
	ds_read_b128 v[2:5], v170 offset:960
	ds_read_b128 v[6:9], v170 offset:976
	;; [unrolled: 1-line block ×3, first 2 shown]
	ds_read_b64 v[14:15], v170 offset:1008
	v_pk_add_f32 v[16:17], v[236:237], v[238:239]
	s_waitcnt vmcnt(3) lgkmcnt(3)
	v_pk_mul_f32 v[18:19], v[2:3], v[224:225] op_sel:[1,1] op_sel_hi:[0,1]
	v_pk_add_f32 v[16:17], v[16:17], v[240:241]
	s_nop 0
	v_pk_add_f32 v[16:17], v[16:17], v[20:21]
	v_pk_fma_f32 v[20:21], v[2:3], v[224:225], v[18:19] neg_lo:[0,0,1] neg_hi:[0,0,1]
	v_pk_fma_f32 v[2:3], v[2:3], v[224:225], v[18:19] op_sel_hi:[1,0,1]
	s_nop 0
	v_mov_b32_e32 v21, v3
	v_pk_add_f32 v[2:3], v[16:17], v[20:21]
	v_mov_b32_e32 v16, v227
	v_pk_mul_f32 v[16:17], v[4:5], v[16:17] op_sel:[1,0] op_sel_hi:[0,0]
	v_pk_fma_f32 v[18:19], v[4:5], v[226:227], v[16:17] neg_lo:[0,0,1] neg_hi:[0,0,1]
	v_pk_fma_f32 v[4:5], v[4:5], v[226:227], v[16:17] op_sel_hi:[1,0,1]
	s_nop 0
	v_mov_b32_e32 v19, v5
	s_waitcnt vmcnt(2) lgkmcnt(2)
	v_pk_mul_f32 v[4:5], v[6:7], v[228:229] op_sel:[1,1] op_sel_hi:[0,1]
	v_pk_fma_f32 v[16:17], v[6:7], v[228:229], v[4:5] neg_lo:[0,0,1] neg_hi:[0,0,1]
	v_pk_fma_f32 v[4:5], v[6:7], v[228:229], v[4:5] op_sel_hi:[1,0,1]
	v_pk_add_f32 v[2:3], v[2:3], v[18:19]
	v_mov_b32_e32 v4, v231
	v_mov_b32_e32 v17, v5
	v_pk_mul_f32 v[4:5], v[8:9], v[4:5] op_sel:[1,0] op_sel_hi:[0,0]
	v_pk_fma_f32 v[6:7], v[8:9], v[230:231], v[4:5] neg_lo:[0,0,1] neg_hi:[0,0,1]
	v_pk_fma_f32 v[4:5], v[8:9], v[230:231], v[4:5] op_sel_hi:[1,0,1]
	v_pk_add_f32 v[2:3], v[2:3], v[16:17]
	v_mov_b32_e32 v7, v5
	s_waitcnt vmcnt(1) lgkmcnt(1)
	v_pk_mul_f32 v[4:5], v[10:11], v[232:233] op_sel:[1,1] op_sel_hi:[0,1]
	v_pk_add_f32 v[2:3], v[2:3], v[6:7]
	v_pk_fma_f32 v[6:7], v[10:11], v[232:233], v[4:5] neg_lo:[0,0,1] neg_hi:[0,0,1]
	v_pk_fma_f32 v[4:5], v[10:11], v[232:233], v[4:5] op_sel_hi:[1,0,1]
	s_nop 0
	v_mov_b32_e32 v4, v235
	v_mov_b32_e32 v7, v5
	v_pk_mul_f32 v[4:5], v[12:13], v[4:5] op_sel:[1,0] op_sel_hi:[0,0]
	v_pk_add_f32 v[2:3], v[2:3], v[6:7]
	v_pk_fma_f32 v[6:7], v[12:13], v[234:235], v[4:5] neg_lo:[0,0,1] neg_hi:[0,0,1]
	v_pk_fma_f32 v[4:5], v[12:13], v[234:235], v[4:5] op_sel_hi:[1,0,1]
	s_nop 0
	v_mov_b32_e32 v7, v5
	s_waitcnt vmcnt(0) lgkmcnt(0)
	v_pk_mul_f32 v[4:5], v[14:15], v[242:243] op_sel:[1,1] op_sel_hi:[0,1]
	v_pk_add_f32 v[2:3], v[2:3], v[6:7]
	v_pk_fma_f32 v[6:7], v[14:15], v[242:243], v[4:5] neg_lo:[0,0,1] neg_hi:[0,0,1]
	v_pk_fma_f32 v[4:5], v[14:15], v[242:243], v[4:5] op_sel_hi:[1,0,1]
	s_nop 0
	v_mov_b32_e32 v7, v5
	scratch_load_dwordx2 v[4:5], off, off offset:40
	v_pk_add_f32 v[2:3], v[2:3], v[6:7]
	s_waitcnt vmcnt(0)
	v_pk_add_f32 v[2:3], v[4:5], v[2:3] neg_lo:[0,1] neg_hi:[0,1]
	scratch_store_dwordx2 off, v[2:3], off offset:40
	s_and_saveexec_b64 s[0:1], vcc
	s_cbranch_execz .LBB62_383
; %bb.382:
	scratch_load_dwordx2 v[2:3], off, off offset:32
	v_mov_b32_e32 v171, v170
	scratch_store_dwordx2 off, v[170:171], off offset:32
	s_waitcnt vmcnt(1)
	ds_write_b64 v1, v[2:3]
.LBB62_383:
	s_or_b64 exec, exec, s[0:1]
	s_waitcnt lgkmcnt(0)
	; wave barrier
	scratch_load_dwordx4 v[6:9], off, off offset:40
	scratch_load_dwordx4 v[14:17], off, off offset:56
	;; [unrolled: 1-line block ×10, first 2 shown]
	ds_read2_b64 v[2:5], v170 offset0:69 offset1:70
	ds_read2_b64 v[176:179], v170 offset0:107 offset1:108
	scratch_load_dwordx4 v[86:89], off, off offset:200
	scratch_load_dwordx4 v[94:97], off, off offset:216
	;; [unrolled: 1-line block ×15, first 2 shown]
	v_cmp_lt_u32_e32 vcc, 3, v0
	ds_read2_b64 v[184:187], v170 offset0:109 offset1:110
	ds_read2_b64 v[192:195], v170 offset0:111 offset1:112
	;; [unrolled: 1-line block ×5, first 2 shown]
	s_waitcnt vmcnt(24) lgkmcnt(6)
	v_mul_f32_e32 v10, v2, v7
	v_fmac_f32_e32 v10, v3, v6
	v_mul_f32_e32 v11, v4, v9
	v_add_f32_e32 v10, 0, v10
	v_fmac_f32_e32 v11, v5, v8
	v_add_f32_e32 v18, v10, v11
	ds_read2_b64 v[10:13], v170 offset0:71 offset1:72
	v_mul_f32_e32 v3, v3, v7
	v_fma_f32 v2, v2, v6, -v3
	v_mul_f32_e32 v3, v5, v9
	v_add_f32_e32 v2, 0, v2
	s_waitcnt vmcnt(23) lgkmcnt(0)
	v_mul_f32_e32 v19, v10, v15
	v_fmac_f32_e32 v19, v11, v14
	v_add_f32_e32 v18, v18, v19
	v_mul_f32_e32 v19, v12, v17
	v_fmac_f32_e32 v19, v13, v16
	v_add_f32_e32 v26, v18, v19
	ds_read2_b64 v[18:21], v170 offset0:73 offset1:74
	v_fma_f32 v3, v4, v8, -v3
	v_add_f32_e32 v2, v2, v3
	v_mul_f32_e32 v3, v11, v15
	v_fma_f32 v3, v10, v14, -v3
	s_waitcnt vmcnt(22) lgkmcnt(0)
	v_mul_f32_e32 v27, v18, v23
	v_fmac_f32_e32 v27, v19, v22
	v_add_f32_e32 v26, v26, v27
	v_mul_f32_e32 v27, v20, v25
	v_fmac_f32_e32 v27, v21, v24
	v_add_f32_e32 v34, v26, v27
	ds_read2_b64 v[26:29], v170 offset0:75 offset1:76
	v_add_f32_e32 v2, v2, v3
	v_mul_f32_e32 v3, v13, v17
	v_fma_f32 v3, v12, v16, -v3
	v_add_f32_e32 v2, v2, v3
	s_waitcnt vmcnt(21) lgkmcnt(0)
	v_mul_f32_e32 v35, v26, v31
	v_fmac_f32_e32 v35, v27, v30
	v_add_f32_e32 v34, v34, v35
	v_mul_f32_e32 v35, v28, v33
	v_fmac_f32_e32 v35, v29, v32
	v_add_f32_e32 v42, v34, v35
	ds_read2_b64 v[34:37], v170 offset0:77 offset1:78
	v_mul_f32_e32 v3, v19, v23
	v_fma_f32 v3, v18, v22, -v3
	v_add_f32_e32 v2, v2, v3
	v_mul_f32_e32 v3, v21, v25
	s_waitcnt vmcnt(20) lgkmcnt(0)
	v_mul_f32_e32 v43, v34, v39
	v_fmac_f32_e32 v43, v35, v38
	v_add_f32_e32 v42, v42, v43
	v_mul_f32_e32 v43, v36, v41
	v_fmac_f32_e32 v43, v37, v40
	v_add_f32_e32 v50, v42, v43
	ds_read2_b64 v[42:45], v170 offset0:79 offset1:80
	v_fma_f32 v3, v20, v24, -v3
	v_add_f32_e32 v2, v2, v3
	v_mul_f32_e32 v3, v27, v31
	v_fma_f32 v3, v26, v30, -v3
	s_waitcnt vmcnt(19) lgkmcnt(0)
	v_mul_f32_e32 v51, v42, v47
	v_fmac_f32_e32 v51, v43, v46
	v_add_f32_e32 v50, v50, v51
	v_mul_f32_e32 v51, v44, v49
	v_fmac_f32_e32 v51, v45, v48
	v_add_f32_e32 v58, v50, v51
	ds_read2_b64 v[50:53], v170 offset0:81 offset1:82
	v_add_f32_e32 v2, v2, v3
	v_mul_f32_e32 v3, v29, v33
	v_fma_f32 v3, v28, v32, -v3
	v_add_f32_e32 v2, v2, v3
	s_waitcnt vmcnt(18) lgkmcnt(0)
	v_mul_f32_e32 v59, v50, v55
	v_fmac_f32_e32 v59, v51, v54
	v_add_f32_e32 v58, v58, v59
	v_mul_f32_e32 v59, v52, v57
	v_fmac_f32_e32 v59, v53, v56
	v_add_f32_e32 v66, v58, v59
	ds_read2_b64 v[58:61], v170 offset0:83 offset1:84
	v_mul_f32_e32 v3, v35, v39
	v_fma_f32 v3, v34, v38, -v3
	v_add_f32_e32 v2, v2, v3
	v_mul_f32_e32 v3, v37, v41
	;; [unrolled: 36-line block ×5, first 2 shown]
	s_waitcnt vmcnt(8) lgkmcnt(0)
	v_mul_f32_e32 v139, v130, v135
	v_fmac_f32_e32 v139, v131, v134
	v_add_f32_e32 v138, v138, v139
	v_mul_f32_e32 v139, v132, v137
	v_fmac_f32_e32 v139, v133, v136
	v_add_f32_e32 v146, v138, v139
	ds_read2_b64 v[138:141], v170 offset0:103 offset1:104
	v_fma_f32 v3, v84, v88, -v3
	v_add_f32_e32 v2, v2, v3
	v_mul_f32_e32 v3, v91, v95
	v_fma_f32 v3, v90, v94, -v3
	s_waitcnt vmcnt(7) lgkmcnt(0)
	v_mul_f32_e32 v147, v138, v143
	v_fmac_f32_e32 v147, v139, v142
	v_add_f32_e32 v146, v146, v147
	v_mul_f32_e32 v147, v140, v145
	v_fmac_f32_e32 v147, v141, v144
	v_add_f32_e32 v150, v146, v147
	ds_read2_b64 v[146:149], v170 offset0:105 offset1:106
	scratch_load_dwordx4 v[224:227], off, off offset:440
	scratch_load_dwordx4 v[228:231], off, off offset:456
	;; [unrolled: 1-line block ×4, first 2 shown]
	v_add_f32_e32 v2, v2, v3
	v_mul_f32_e32 v3, v93, v97
	v_fma_f32 v3, v92, v96, -v3
	v_add_f32_e32 v2, v2, v3
	v_mul_f32_e32 v3, v99, v103
	v_fma_f32 v3, v98, v102, -v3
	;; [unrolled: 3-line block ×13, first 2 shown]
	v_add_f32_e32 v2, v2, v3
	s_waitcnt vmcnt(10) lgkmcnt(0)
	v_mul_f32_e32 v3, v147, v173
	v_fma_f32 v3, v146, v172, -v3
	v_add_f32_e32 v2, v2, v3
	v_mul_f32_e32 v3, v149, v175
	v_fma_f32 v3, v148, v174, -v3
	v_mul_f32_e32 v151, v146, v173
	v_add_f32_e32 v2, v2, v3
	s_waitcnt vmcnt(9)
	v_mul_f32_e32 v3, v177, v181
	v_fmac_f32_e32 v151, v147, v172
	v_fma_f32 v3, v176, v180, -v3
	v_add_f32_e32 v150, v150, v151
	v_mul_f32_e32 v151, v148, v175
	v_add_f32_e32 v2, v2, v3
	v_mul_f32_e32 v3, v179, v183
	v_fmac_f32_e32 v151, v149, v174
	v_fma_f32 v3, v178, v182, -v3
	v_add_f32_e32 v150, v150, v151
	v_mul_f32_e32 v151, v176, v181
	v_add_f32_e32 v2, v2, v3
	s_waitcnt vmcnt(8)
	v_mul_f32_e32 v3, v185, v189
	v_fmac_f32_e32 v151, v177, v180
	v_fma_f32 v3, v184, v188, -v3
	v_add_f32_e32 v150, v150, v151
	v_mul_f32_e32 v151, v178, v183
	v_add_f32_e32 v2, v2, v3
	v_mul_f32_e32 v3, v187, v191
	v_fmac_f32_e32 v151, v179, v182
	v_fma_f32 v3, v186, v190, -v3
	v_add_f32_e32 v150, v150, v151
	;; [unrolled: 13-line block ×5, first 2 shown]
	v_mul_f32_e32 v151, v208, v213
	v_add_f32_e32 v240, v2, v3
	s_waitcnt vmcnt(4)
	v_mul_f32_e32 v2, v217, v221
	v_fmac_f32_e32 v151, v209, v212
	v_fma_f32 v242, v216, v220, -v2
	v_mul_f32_e32 v2, v219, v223
	v_add_f32_e32 v150, v150, v151
	v_mul_f32_e32 v151, v210, v215
	v_fma_f32 v244, v218, v222, -v2
	ds_read2_b64 v[2:5], v170 offset0:119 offset1:120
	ds_read2_b64 v[6:9], v170 offset0:121 offset1:122
	;; [unrolled: 1-line block ×4, first 2 shown]
	v_fmac_f32_e32 v151, v211, v214
	v_mul_f32_e32 v243, v216, v221
	v_add_f32_e32 v241, v150, v151
	v_fmac_f32_e32 v243, v217, v220
	v_mul_f32_e32 v245, v218, v223
	s_waitcnt vmcnt(3) lgkmcnt(3)
	v_pk_mul_f32 v[20:21], v[2:3], v[224:225] op_sel:[1,1] op_sel_hi:[0,1]
	v_fmac_f32_e32 v245, v219, v222
	v_pk_add_f32 v[18:19], v[240:241], v[242:243]
	v_pk_fma_f32 v[22:23], v[2:3], v[224:225], v[20:21] neg_lo:[0,0,1] neg_hi:[0,0,1]
	v_pk_fma_f32 v[2:3], v[2:3], v[224:225], v[20:21] op_sel_hi:[1,0,1]
	v_pk_add_f32 v[18:19], v[18:19], v[244:245]
	v_mov_b32_e32 v23, v3
	v_pk_add_f32 v[2:3], v[18:19], v[22:23]
	v_mov_b32_e32 v18, v227
	v_pk_mul_f32 v[18:19], v[4:5], v[18:19] op_sel:[1,0] op_sel_hi:[0,0]
	v_pk_fma_f32 v[20:21], v[4:5], v[226:227], v[18:19] neg_lo:[0,0,1] neg_hi:[0,0,1]
	v_pk_fma_f32 v[4:5], v[4:5], v[226:227], v[18:19] op_sel_hi:[1,0,1]
	s_nop 0
	v_mov_b32_e32 v21, v5
	s_waitcnt vmcnt(2) lgkmcnt(2)
	v_pk_mul_f32 v[4:5], v[6:7], v[228:229] op_sel:[1,1] op_sel_hi:[0,1]
	v_pk_fma_f32 v[18:19], v[6:7], v[228:229], v[4:5] neg_lo:[0,0,1] neg_hi:[0,0,1]
	v_pk_fma_f32 v[4:5], v[6:7], v[228:229], v[4:5] op_sel_hi:[1,0,1]
	v_pk_add_f32 v[2:3], v[2:3], v[20:21]
	v_mov_b32_e32 v4, v231
	v_mov_b32_e32 v19, v5
	v_pk_mul_f32 v[4:5], v[8:9], v[4:5] op_sel:[1,0] op_sel_hi:[0,0]
	v_pk_fma_f32 v[6:7], v[8:9], v[230:231], v[4:5] neg_lo:[0,0,1] neg_hi:[0,0,1]
	v_pk_fma_f32 v[4:5], v[8:9], v[230:231], v[4:5] op_sel_hi:[1,0,1]
	v_pk_add_f32 v[2:3], v[2:3], v[18:19]
	v_mov_b32_e32 v7, v5
	s_waitcnt vmcnt(1) lgkmcnt(1)
	v_pk_mul_f32 v[4:5], v[10:11], v[232:233] op_sel:[1,1] op_sel_hi:[0,1]
	v_pk_add_f32 v[2:3], v[2:3], v[6:7]
	v_pk_fma_f32 v[6:7], v[10:11], v[232:233], v[4:5] neg_lo:[0,0,1] neg_hi:[0,0,1]
	v_pk_fma_f32 v[4:5], v[10:11], v[232:233], v[4:5] op_sel_hi:[1,0,1]
	s_nop 0
	v_mov_b32_e32 v4, v235
	v_mov_b32_e32 v7, v5
	v_pk_mul_f32 v[4:5], v[12:13], v[4:5] op_sel:[1,0] op_sel_hi:[0,0]
	v_pk_add_f32 v[2:3], v[2:3], v[6:7]
	v_pk_fma_f32 v[6:7], v[12:13], v[234:235], v[4:5] neg_lo:[0,0,1] neg_hi:[0,0,1]
	v_pk_fma_f32 v[4:5], v[12:13], v[234:235], v[4:5] op_sel_hi:[1,0,1]
	s_nop 0
	v_mov_b32_e32 v7, v5
	s_waitcnt vmcnt(0) lgkmcnt(0)
	v_pk_mul_f32 v[4:5], v[14:15], v[236:237] op_sel:[1,1] op_sel_hi:[0,1]
	v_pk_add_f32 v[2:3], v[2:3], v[6:7]
	v_pk_fma_f32 v[6:7], v[14:15], v[236:237], v[4:5] neg_lo:[0,0,1] neg_hi:[0,0,1]
	v_pk_fma_f32 v[4:5], v[14:15], v[236:237], v[4:5] op_sel_hi:[1,0,1]
	s_nop 0
	v_mov_b32_e32 v4, v239
	v_mov_b32_e32 v7, v5
	v_pk_mul_f32 v[4:5], v[16:17], v[4:5] op_sel:[1,0] op_sel_hi:[0,0]
	v_pk_add_f32 v[2:3], v[2:3], v[6:7]
	v_pk_fma_f32 v[6:7], v[16:17], v[238:239], v[4:5] neg_lo:[0,0,1] neg_hi:[0,0,1]
	v_pk_fma_f32 v[4:5], v[16:17], v[238:239], v[4:5] op_sel_hi:[1,0,1]
	s_nop 0
	v_mov_b32_e32 v7, v5
	scratch_load_dwordx2 v[4:5], off, off offset:32
	v_pk_add_f32 v[2:3], v[2:3], v[6:7]
	s_waitcnt vmcnt(0)
	v_pk_add_f32 v[2:3], v[4:5], v[2:3] neg_lo:[0,1] neg_hi:[0,1]
	scratch_store_dwordx2 off, v[2:3], off offset:32
	s_and_saveexec_b64 s[0:1], vcc
	s_cbranch_execz .LBB62_385
; %bb.384:
	scratch_load_dwordx2 v[2:3], off, off offset:24
	v_mov_b32_e32 v4, 0
	v_mov_b32_e32 v5, v4
	scratch_store_dwordx2 off, v[4:5], off offset:24
	s_waitcnt vmcnt(1)
	ds_write_b64 v1, v[2:3]
.LBB62_385:
	s_or_b64 exec, exec, s[0:1]
	v_mov_b32_e32 v170, 0
	s_waitcnt lgkmcnt(0)
	; wave barrier
	ds_read_b128 v[14:17], v170 offset:544
	ds_read_b128 v[10:13], v170 offset:560
	;; [unrolled: 1-line block ×4, first 2 shown]
	scratch_load_dwordx4 v[18:21], off, off offset:32
	scratch_load_dwordx4 v[38:41], off, off offset:96
	scratch_load_dwordx4 v[70:73], off, off offset:160
	scratch_load_dwordx4 v[78:81], off, off offset:176
	scratch_load_dwordx4 v[86:89], off, off offset:192
	scratch_load_dwordx4 v[94:97], off, off offset:208
	scratch_load_dwordx4 v[102:105], off, off offset:224
	scratch_load_dwordx4 v[110:113], off, off offset:240
	scratch_load_dwordx4 v[118:121], off, off offset:256
	scratch_load_dwordx4 v[126:129], off, off offset:272
	scratch_load_dwordx4 v[134:137], off, off offset:288
	scratch_load_dwordx4 v[142:145], off, off offset:304
	scratch_load_dwordx4 v[172:175], off, off offset:320
	scratch_load_dwordx4 v[180:183], off, off offset:336
	scratch_load_dwordx4 v[188:191], off, off offset:352
	scratch_load_dwordx4 v[196:199], off, off offset:368
	scratch_load_dwordx4 v[204:207], off, off offset:384
	scratch_load_dwordx4 v[212:215], off, off offset:400
	scratch_load_dwordx4 v[220:223], off, off offset:416
	scratch_load_dwordx4 v[228:231], off, off offset:432
	v_cmp_lt_u32_e32 vcc, 2, v0
	scratch_load_dwordx4 v[46:49], off, off offset:112
	scratch_load_dwordx4 v[54:57], off, off offset:128
	scratch_load_dwordx4 v[62:65], off, off offset:144
	ds_read_b128 v[176:179], v170 offset:848
	ds_read_b128 v[184:187], v170 offset:864
	;; [unrolled: 1-line block ×7, first 2 shown]
	s_waitcnt vmcnt(22) lgkmcnt(10)
	v_mul_f32_e32 v22, v14, v19
	v_fmac_f32_e32 v22, v15, v18
	v_mul_f32_e32 v23, v16, v21
	v_add_f32_e32 v22, 0, v22
	v_fmac_f32_e32 v23, v17, v20
	v_add_f32_e32 v26, v22, v23
	scratch_load_dwordx4 v[22:25], off, off offset:48
	v_mul_f32_e32 v15, v15, v19
	v_fma_f32 v14, v14, v18, -v15
	v_mul_f32_e32 v15, v17, v21
	v_add_f32_e32 v14, 0, v14
	v_fma_f32 v15, v16, v20, -v15
	v_add_f32_e32 v14, v14, v15
	s_waitcnt vmcnt(5) lgkmcnt(1)
	v_mul_f32_e32 v247, v218, v223
	s_waitcnt vmcnt(4)
	v_mov_b32_e32 v18, v231
	v_fmac_f32_e32 v247, v219, v222
	s_waitcnt lgkmcnt(0)
	v_mul_f32_e32 v249, v224, v229
	v_pk_mul_f32 v[18:19], v[226:227], v[18:19] op_sel:[1,0] op_sel_hi:[0,0]
	v_fmac_f32_e32 v249, v225, v228
	v_pk_fma_f32 v[20:21], v[226:227], v[230:231], v[18:19] neg_lo:[0,0,1] neg_hi:[0,0,1]
	v_pk_fma_f32 v[18:19], v[226:227], v[230:231], v[18:19] op_sel_hi:[1,0,1]
	s_waitcnt vmcnt(0)
	v_mul_f32_e32 v27, v10, v23
	v_fmac_f32_e32 v27, v11, v22
	v_add_f32_e32 v26, v26, v27
	v_mul_f32_e32 v27, v12, v25
	v_fmac_f32_e32 v27, v13, v24
	v_add_f32_e32 v30, v26, v27
	scratch_load_dwordx4 v[26:29], off, off offset:64
	v_mul_f32_e32 v11, v11, v23
	v_fma_f32 v10, v10, v22, -v11
	v_mul_f32_e32 v11, v13, v25
	v_add_f32_e32 v10, v14, v10
	v_fma_f32 v11, v12, v24, -v11
	v_add_f32_e32 v10, v10, v11
	v_mov_b32_e32 v21, v19
	s_waitcnt vmcnt(0)
	v_mul_f32_e32 v31, v6, v27
	v_fmac_f32_e32 v31, v7, v26
	v_add_f32_e32 v30, v30, v31
	v_mul_f32_e32 v31, v8, v29
	v_fmac_f32_e32 v31, v9, v28
	v_add_f32_e32 v34, v30, v31
	scratch_load_dwordx4 v[30:33], off, off offset:80
	v_mul_f32_e32 v7, v7, v27
	v_fma_f32 v6, v6, v26, -v7
	v_mul_f32_e32 v7, v9, v29
	v_add_f32_e32 v6, v10, v6
	v_fma_f32 v7, v8, v28, -v7
	v_add_f32_e32 v6, v6, v7
	s_waitcnt vmcnt(0)
	v_mul_f32_e32 v35, v2, v31
	v_fmac_f32_e32 v35, v3, v30
	v_add_f32_e32 v34, v34, v35
	v_mul_f32_e32 v35, v4, v33
	v_fmac_f32_e32 v35, v5, v32
	v_add_f32_e32 v42, v34, v35
	ds_read_b128 v[34:37], v170 offset:608
	v_mul_f32_e32 v3, v3, v31
	v_fma_f32 v2, v2, v30, -v3
	v_mul_f32_e32 v3, v5, v33
	v_add_f32_e32 v2, v6, v2
	s_waitcnt lgkmcnt(0)
	v_mul_f32_e32 v43, v34, v39
	v_fmac_f32_e32 v43, v35, v38
	v_add_f32_e32 v42, v42, v43
	v_mul_f32_e32 v43, v36, v41
	v_fmac_f32_e32 v43, v37, v40
	v_add_f32_e32 v50, v42, v43
	ds_read_b128 v[42:45], v170 offset:624
	v_fma_f32 v3, v4, v32, -v3
	v_add_f32_e32 v2, v2, v3
	v_mul_f32_e32 v3, v35, v39
	v_fma_f32 v3, v34, v38, -v3
	s_waitcnt lgkmcnt(0)
	v_mul_f32_e32 v51, v42, v47
	v_fmac_f32_e32 v51, v43, v46
	v_add_f32_e32 v50, v50, v51
	v_mul_f32_e32 v51, v44, v49
	v_fmac_f32_e32 v51, v45, v48
	v_add_f32_e32 v58, v50, v51
	ds_read_b128 v[50:53], v170 offset:640
	v_add_f32_e32 v2, v2, v3
	v_mul_f32_e32 v3, v37, v41
	v_fma_f32 v3, v36, v40, -v3
	v_add_f32_e32 v2, v2, v3
	s_waitcnt lgkmcnt(0)
	v_mul_f32_e32 v59, v50, v55
	v_fmac_f32_e32 v59, v51, v54
	v_add_f32_e32 v58, v58, v59
	v_mul_f32_e32 v59, v52, v57
	v_fmac_f32_e32 v59, v53, v56
	v_add_f32_e32 v66, v58, v59
	ds_read_b128 v[58:61], v170 offset:656
	v_mul_f32_e32 v3, v43, v47
	v_fma_f32 v3, v42, v46, -v3
	v_add_f32_e32 v2, v2, v3
	v_mul_f32_e32 v3, v45, v49
	s_waitcnt lgkmcnt(0)
	v_mul_f32_e32 v67, v58, v63
	v_fmac_f32_e32 v67, v59, v62
	v_add_f32_e32 v66, v66, v67
	v_mul_f32_e32 v67, v60, v65
	v_fmac_f32_e32 v67, v61, v64
	v_add_f32_e32 v74, v66, v67
	ds_read_b128 v[66:69], v170 offset:672
	v_fma_f32 v3, v44, v48, -v3
	v_add_f32_e32 v2, v2, v3
	v_mul_f32_e32 v3, v51, v55
	v_fma_f32 v3, v50, v54, -v3
	s_waitcnt lgkmcnt(0)
	v_mul_f32_e32 v75, v66, v71
	v_fmac_f32_e32 v75, v67, v70
	v_add_f32_e32 v74, v74, v75
	v_mul_f32_e32 v75, v68, v73
	v_fmac_f32_e32 v75, v69, v72
	v_add_f32_e32 v82, v74, v75
	ds_read_b128 v[74:77], v170 offset:688
	v_add_f32_e32 v2, v2, v3
	v_mul_f32_e32 v3, v53, v57
	v_fma_f32 v3, v52, v56, -v3
	v_add_f32_e32 v2, v2, v3
	s_waitcnt lgkmcnt(0)
	v_mul_f32_e32 v83, v74, v79
	v_fmac_f32_e32 v83, v75, v78
	v_add_f32_e32 v82, v82, v83
	v_mul_f32_e32 v83, v76, v81
	v_fmac_f32_e32 v83, v77, v80
	v_add_f32_e32 v90, v82, v83
	ds_read_b128 v[82:85], v170 offset:704
	v_mul_f32_e32 v3, v59, v63
	v_fma_f32 v3, v58, v62, -v3
	v_add_f32_e32 v2, v2, v3
	v_mul_f32_e32 v3, v61, v65
	s_waitcnt lgkmcnt(0)
	v_mul_f32_e32 v91, v82, v87
	v_fmac_f32_e32 v91, v83, v86
	v_add_f32_e32 v90, v90, v91
	v_mul_f32_e32 v91, v84, v89
	v_fmac_f32_e32 v91, v85, v88
	v_add_f32_e32 v98, v90, v91
	ds_read_b128 v[90:93], v170 offset:720
	v_fma_f32 v3, v60, v64, -v3
	v_add_f32_e32 v2, v2, v3
	v_mul_f32_e32 v3, v67, v71
	v_fma_f32 v3, v66, v70, -v3
	s_waitcnt lgkmcnt(0)
	v_mul_f32_e32 v99, v90, v95
	v_fmac_f32_e32 v99, v91, v94
	v_add_f32_e32 v98, v98, v99
	v_mul_f32_e32 v99, v92, v97
	v_fmac_f32_e32 v99, v93, v96
	v_add_f32_e32 v106, v98, v99
	ds_read_b128 v[98:101], v170 offset:736
	v_add_f32_e32 v2, v2, v3
	v_mul_f32_e32 v3, v69, v73
	v_fma_f32 v3, v68, v72, -v3
	v_add_f32_e32 v2, v2, v3
	s_waitcnt lgkmcnt(0)
	v_mul_f32_e32 v107, v98, v103
	v_fmac_f32_e32 v107, v99, v102
	v_add_f32_e32 v106, v106, v107
	v_mul_f32_e32 v107, v100, v105
	v_fmac_f32_e32 v107, v101, v104
	v_add_f32_e32 v114, v106, v107
	ds_read_b128 v[106:109], v170 offset:752
	v_mul_f32_e32 v3, v75, v79
	v_fma_f32 v3, v74, v78, -v3
	v_add_f32_e32 v2, v2, v3
	v_mul_f32_e32 v3, v77, v81
	s_waitcnt lgkmcnt(0)
	v_mul_f32_e32 v115, v106, v111
	v_fmac_f32_e32 v115, v107, v110
	v_add_f32_e32 v114, v114, v115
	v_mul_f32_e32 v115, v108, v113
	v_fmac_f32_e32 v115, v109, v112
	v_add_f32_e32 v122, v114, v115
	ds_read_b128 v[114:117], v170 offset:768
	v_fma_f32 v3, v76, v80, -v3
	v_add_f32_e32 v2, v2, v3
	v_mul_f32_e32 v3, v83, v87
	v_fma_f32 v3, v82, v86, -v3
	s_waitcnt lgkmcnt(0)
	v_mul_f32_e32 v123, v114, v119
	v_fmac_f32_e32 v123, v115, v118
	v_add_f32_e32 v122, v122, v123
	v_mul_f32_e32 v123, v116, v121
	v_fmac_f32_e32 v123, v117, v120
	v_add_f32_e32 v130, v122, v123
	ds_read_b128 v[122:125], v170 offset:784
	v_add_f32_e32 v2, v2, v3
	v_mul_f32_e32 v3, v85, v89
	v_fma_f32 v3, v84, v88, -v3
	v_add_f32_e32 v2, v2, v3
	s_waitcnt lgkmcnt(0)
	v_mul_f32_e32 v131, v122, v127
	v_fmac_f32_e32 v131, v123, v126
	v_add_f32_e32 v130, v130, v131
	v_mul_f32_e32 v131, v124, v129
	v_fmac_f32_e32 v131, v125, v128
	v_add_f32_e32 v138, v130, v131
	ds_read_b128 v[130:133], v170 offset:800
	v_mul_f32_e32 v3, v91, v95
	v_fma_f32 v3, v90, v94, -v3
	v_add_f32_e32 v2, v2, v3
	v_mul_f32_e32 v3, v93, v97
	s_waitcnt lgkmcnt(0)
	v_mul_f32_e32 v139, v130, v135
	v_fmac_f32_e32 v139, v131, v134
	v_add_f32_e32 v138, v138, v139
	v_mul_f32_e32 v139, v132, v137
	v_fmac_f32_e32 v139, v133, v136
	v_add_f32_e32 v146, v138, v139
	ds_read_b128 v[138:141], v170 offset:816
	v_fma_f32 v3, v92, v96, -v3
	v_add_f32_e32 v2, v2, v3
	v_mul_f32_e32 v3, v99, v103
	v_fma_f32 v3, v98, v102, -v3
	s_waitcnt lgkmcnt(0)
	v_mul_f32_e32 v147, v138, v143
	v_fmac_f32_e32 v147, v139, v142
	v_add_f32_e32 v146, v146, v147
	v_mul_f32_e32 v147, v140, v145
	v_fmac_f32_e32 v147, v141, v144
	v_add_f32_e32 v150, v146, v147
	ds_read_b128 v[146:149], v170 offset:832
	scratch_load_dwordx4 v[232:235], off, off offset:448
	scratch_load_dwordx4 v[236:239], off, off offset:464
	;; [unrolled: 1-line block ×3, first 2 shown]
	scratch_load_dwordx2 v[250:251], off, off offset:496
	v_add_f32_e32 v2, v2, v3
	v_mul_f32_e32 v3, v101, v105
	v_fma_f32 v3, v100, v104, -v3
	v_add_f32_e32 v2, v2, v3
	v_mul_f32_e32 v3, v107, v111
	v_fma_f32 v3, v106, v110, -v3
	;; [unrolled: 3-line block ×11, first 2 shown]
	v_add_f32_e32 v2, v2, v3
	s_waitcnt lgkmcnt(0)
	v_mul_f32_e32 v3, v147, v173
	v_fma_f32 v3, v146, v172, -v3
	v_mul_f32_e32 v151, v146, v173
	v_add_f32_e32 v2, v2, v3
	v_mul_f32_e32 v3, v149, v175
	v_fmac_f32_e32 v151, v147, v172
	v_fma_f32 v3, v148, v174, -v3
	v_add_f32_e32 v150, v150, v151
	v_mul_f32_e32 v151, v148, v175
	v_add_f32_e32 v2, v2, v3
	v_mul_f32_e32 v3, v177, v181
	v_fmac_f32_e32 v151, v149, v174
	v_fma_f32 v3, v176, v180, -v3
	v_add_f32_e32 v150, v150, v151
	;; [unrolled: 6-line block ×12, first 2 shown]
	v_mul_f32_e32 v151, v216, v221
	v_add_f32_e32 v244, v2, v3
	v_mul_f32_e32 v2, v219, v223
	v_fmac_f32_e32 v151, v217, v220
	v_fma_f32 v246, v218, v222, -v2
	v_mul_f32_e32 v2, v225, v229
	v_add_f32_e32 v245, v150, v151
	v_fma_f32 v248, v224, v228, -v2
	ds_read_b128 v[2:5], v170 offset:960
	ds_read_b128 v[6:9], v170 offset:976
	;; [unrolled: 1-line block ×3, first 2 shown]
	ds_read_b64 v[14:15], v170 offset:1008
	v_pk_add_f32 v[16:17], v[244:245], v[246:247]
	s_waitcnt vmcnt(3) lgkmcnt(3)
	v_pk_mul_f32 v[18:19], v[2:3], v[232:233] op_sel:[1,1] op_sel_hi:[0,1]
	v_pk_add_f32 v[16:17], v[16:17], v[248:249]
	s_nop 0
	v_pk_add_f32 v[16:17], v[16:17], v[20:21]
	v_pk_fma_f32 v[20:21], v[2:3], v[232:233], v[18:19] neg_lo:[0,0,1] neg_hi:[0,0,1]
	v_pk_fma_f32 v[2:3], v[2:3], v[232:233], v[18:19] op_sel_hi:[1,0,1]
	s_nop 0
	v_mov_b32_e32 v21, v3
	v_pk_add_f32 v[2:3], v[16:17], v[20:21]
	v_mov_b32_e32 v16, v235
	v_pk_mul_f32 v[16:17], v[4:5], v[16:17] op_sel:[1,0] op_sel_hi:[0,0]
	v_pk_fma_f32 v[18:19], v[4:5], v[234:235], v[16:17] neg_lo:[0,0,1] neg_hi:[0,0,1]
	v_pk_fma_f32 v[4:5], v[4:5], v[234:235], v[16:17] op_sel_hi:[1,0,1]
	s_nop 0
	v_mov_b32_e32 v19, v5
	s_waitcnt vmcnt(2) lgkmcnt(2)
	v_pk_mul_f32 v[4:5], v[6:7], v[236:237] op_sel:[1,1] op_sel_hi:[0,1]
	v_pk_fma_f32 v[16:17], v[6:7], v[236:237], v[4:5] neg_lo:[0,0,1] neg_hi:[0,0,1]
	v_pk_fma_f32 v[4:5], v[6:7], v[236:237], v[4:5] op_sel_hi:[1,0,1]
	v_pk_add_f32 v[2:3], v[2:3], v[18:19]
	v_mov_b32_e32 v4, v239
	v_mov_b32_e32 v17, v5
	v_pk_mul_f32 v[4:5], v[8:9], v[4:5] op_sel:[1,0] op_sel_hi:[0,0]
	v_pk_fma_f32 v[6:7], v[8:9], v[238:239], v[4:5] neg_lo:[0,0,1] neg_hi:[0,0,1]
	v_pk_fma_f32 v[4:5], v[8:9], v[238:239], v[4:5] op_sel_hi:[1,0,1]
	v_pk_add_f32 v[2:3], v[2:3], v[16:17]
	v_mov_b32_e32 v7, v5
	s_waitcnt vmcnt(1) lgkmcnt(1)
	v_pk_mul_f32 v[4:5], v[10:11], v[240:241] op_sel:[1,1] op_sel_hi:[0,1]
	v_pk_add_f32 v[2:3], v[2:3], v[6:7]
	v_pk_fma_f32 v[6:7], v[10:11], v[240:241], v[4:5] neg_lo:[0,0,1] neg_hi:[0,0,1]
	v_pk_fma_f32 v[4:5], v[10:11], v[240:241], v[4:5] op_sel_hi:[1,0,1]
	s_nop 0
	v_mov_b32_e32 v4, v243
	v_mov_b32_e32 v7, v5
	v_pk_mul_f32 v[4:5], v[12:13], v[4:5] op_sel:[1,0] op_sel_hi:[0,0]
	v_pk_add_f32 v[2:3], v[2:3], v[6:7]
	v_pk_fma_f32 v[6:7], v[12:13], v[242:243], v[4:5] neg_lo:[0,0,1] neg_hi:[0,0,1]
	v_pk_fma_f32 v[4:5], v[12:13], v[242:243], v[4:5] op_sel_hi:[1,0,1]
	s_nop 0
	v_mov_b32_e32 v7, v5
	s_waitcnt vmcnt(0) lgkmcnt(0)
	v_pk_mul_f32 v[4:5], v[14:15], v[250:251] op_sel:[1,1] op_sel_hi:[0,1]
	v_pk_add_f32 v[2:3], v[2:3], v[6:7]
	v_pk_fma_f32 v[6:7], v[14:15], v[250:251], v[4:5] neg_lo:[0,0,1] neg_hi:[0,0,1]
	v_pk_fma_f32 v[4:5], v[14:15], v[250:251], v[4:5] op_sel_hi:[1,0,1]
	s_nop 0
	v_mov_b32_e32 v7, v5
	scratch_load_dwordx2 v[4:5], off, off offset:24
	v_pk_add_f32 v[2:3], v[2:3], v[6:7]
	s_waitcnt vmcnt(0)
	v_pk_add_f32 v[2:3], v[4:5], v[2:3] neg_lo:[0,1] neg_hi:[0,1]
	scratch_store_dwordx2 off, v[2:3], off offset:24
	s_and_saveexec_b64 s[0:1], vcc
	s_cbranch_execz .LBB62_387
; %bb.386:
	scratch_load_dwordx2 v[2:3], off, off offset:16
	v_mov_b32_e32 v171, v170
	scratch_store_dwordx2 off, v[170:171], off offset:16
	s_waitcnt vmcnt(1)
	ds_write_b64 v1, v[2:3]
.LBB62_387:
	s_or_b64 exec, exec, s[0:1]
	s_waitcnt lgkmcnt(0)
	; wave barrier
	scratch_load_dwordx4 v[6:9], off, off offset:24
	scratch_load_dwordx4 v[14:17], off, off offset:40
	;; [unrolled: 1-line block ×10, first 2 shown]
	ds_read2_b64 v[2:5], v170 offset0:67 offset1:68
	ds_read2_b64 v[176:179], v170 offset0:105 offset1:106
	scratch_load_dwordx4 v[86:89], off, off offset:184
	scratch_load_dwordx4 v[94:97], off, off offset:200
	;; [unrolled: 1-line block ×16, first 2 shown]
	v_cmp_lt_u32_e32 vcc, 1, v0
	ds_read2_b64 v[184:187], v170 offset0:107 offset1:108
	ds_read2_b64 v[192:195], v170 offset0:109 offset1:110
	;; [unrolled: 1-line block ×6, first 2 shown]
	s_waitcnt vmcnt(25) lgkmcnt(7)
	v_mul_f32_e32 v10, v2, v7
	v_fmac_f32_e32 v10, v3, v6
	v_mul_f32_e32 v11, v4, v9
	v_add_f32_e32 v10, 0, v10
	v_fmac_f32_e32 v11, v5, v8
	v_add_f32_e32 v18, v10, v11
	ds_read2_b64 v[10:13], v170 offset0:69 offset1:70
	v_mul_f32_e32 v3, v3, v7
	v_fma_f32 v2, v2, v6, -v3
	v_mul_f32_e32 v3, v5, v9
	v_add_f32_e32 v2, 0, v2
	s_waitcnt vmcnt(24) lgkmcnt(0)
	v_mul_f32_e32 v19, v10, v15
	v_fmac_f32_e32 v19, v11, v14
	v_add_f32_e32 v18, v18, v19
	v_mul_f32_e32 v19, v12, v17
	v_fmac_f32_e32 v19, v13, v16
	v_add_f32_e32 v26, v18, v19
	ds_read2_b64 v[18:21], v170 offset0:71 offset1:72
	v_fma_f32 v3, v4, v8, -v3
	v_add_f32_e32 v2, v2, v3
	v_mul_f32_e32 v3, v11, v15
	v_fma_f32 v3, v10, v14, -v3
	s_waitcnt vmcnt(23) lgkmcnt(0)
	v_mul_f32_e32 v27, v18, v23
	v_fmac_f32_e32 v27, v19, v22
	v_add_f32_e32 v26, v26, v27
	v_mul_f32_e32 v27, v20, v25
	v_fmac_f32_e32 v27, v21, v24
	v_add_f32_e32 v34, v26, v27
	ds_read2_b64 v[26:29], v170 offset0:73 offset1:74
	v_add_f32_e32 v2, v2, v3
	v_mul_f32_e32 v3, v13, v17
	v_fma_f32 v3, v12, v16, -v3
	v_add_f32_e32 v2, v2, v3
	s_waitcnt vmcnt(22) lgkmcnt(0)
	v_mul_f32_e32 v35, v26, v31
	v_fmac_f32_e32 v35, v27, v30
	v_add_f32_e32 v34, v34, v35
	v_mul_f32_e32 v35, v28, v33
	v_fmac_f32_e32 v35, v29, v32
	v_add_f32_e32 v42, v34, v35
	ds_read2_b64 v[34:37], v170 offset0:75 offset1:76
	v_mul_f32_e32 v3, v19, v23
	v_fma_f32 v3, v18, v22, -v3
	v_add_f32_e32 v2, v2, v3
	v_mul_f32_e32 v3, v21, v25
	s_waitcnt vmcnt(21) lgkmcnt(0)
	v_mul_f32_e32 v43, v34, v39
	v_fmac_f32_e32 v43, v35, v38
	v_add_f32_e32 v42, v42, v43
	v_mul_f32_e32 v43, v36, v41
	v_fmac_f32_e32 v43, v37, v40
	v_add_f32_e32 v50, v42, v43
	ds_read2_b64 v[42:45], v170 offset0:77 offset1:78
	v_fma_f32 v3, v20, v24, -v3
	v_add_f32_e32 v2, v2, v3
	v_mul_f32_e32 v3, v27, v31
	v_fma_f32 v3, v26, v30, -v3
	s_waitcnt vmcnt(20) lgkmcnt(0)
	v_mul_f32_e32 v51, v42, v47
	v_fmac_f32_e32 v51, v43, v46
	v_add_f32_e32 v50, v50, v51
	v_mul_f32_e32 v51, v44, v49
	v_fmac_f32_e32 v51, v45, v48
	v_add_f32_e32 v58, v50, v51
	ds_read2_b64 v[50:53], v170 offset0:79 offset1:80
	v_add_f32_e32 v2, v2, v3
	v_mul_f32_e32 v3, v29, v33
	v_fma_f32 v3, v28, v32, -v3
	v_add_f32_e32 v2, v2, v3
	s_waitcnt vmcnt(19) lgkmcnt(0)
	v_mul_f32_e32 v59, v50, v55
	v_fmac_f32_e32 v59, v51, v54
	v_add_f32_e32 v58, v58, v59
	v_mul_f32_e32 v59, v52, v57
	v_fmac_f32_e32 v59, v53, v56
	v_add_f32_e32 v66, v58, v59
	ds_read2_b64 v[58:61], v170 offset0:81 offset1:82
	v_mul_f32_e32 v3, v35, v39
	v_fma_f32 v3, v34, v38, -v3
	v_add_f32_e32 v2, v2, v3
	v_mul_f32_e32 v3, v37, v41
	;; [unrolled: 36-line block ×5, first 2 shown]
	s_waitcnt vmcnt(9) lgkmcnt(0)
	v_mul_f32_e32 v139, v130, v135
	v_fmac_f32_e32 v139, v131, v134
	v_add_f32_e32 v138, v138, v139
	v_mul_f32_e32 v139, v132, v137
	v_fmac_f32_e32 v139, v133, v136
	v_add_f32_e32 v146, v138, v139
	ds_read2_b64 v[138:141], v170 offset0:101 offset1:102
	v_fma_f32 v3, v84, v88, -v3
	v_add_f32_e32 v2, v2, v3
	v_mul_f32_e32 v3, v91, v95
	v_fma_f32 v3, v90, v94, -v3
	s_waitcnt vmcnt(8) lgkmcnt(0)
	v_mul_f32_e32 v147, v138, v143
	v_fmac_f32_e32 v147, v139, v142
	v_add_f32_e32 v146, v146, v147
	v_mul_f32_e32 v147, v140, v145
	v_fmac_f32_e32 v147, v141, v144
	v_add_f32_e32 v150, v146, v147
	ds_read2_b64 v[146:149], v170 offset0:103 offset1:104
	scratch_load_dwordx4 v[232:235], off, off offset:440
	scratch_load_dwordx4 v[236:239], off, off offset:456
	;; [unrolled: 1-line block ×4, first 2 shown]
	v_add_f32_e32 v2, v2, v3
	v_mul_f32_e32 v3, v93, v97
	v_fma_f32 v3, v92, v96, -v3
	v_add_f32_e32 v2, v2, v3
	v_mul_f32_e32 v3, v99, v103
	v_fma_f32 v3, v98, v102, -v3
	;; [unrolled: 3-line block ×13, first 2 shown]
	v_add_f32_e32 v2, v2, v3
	s_waitcnt vmcnt(11) lgkmcnt(0)
	v_mul_f32_e32 v3, v147, v173
	v_fma_f32 v3, v146, v172, -v3
	v_add_f32_e32 v2, v2, v3
	v_mul_f32_e32 v3, v149, v175
	v_fma_f32 v3, v148, v174, -v3
	v_mul_f32_e32 v151, v146, v173
	v_add_f32_e32 v2, v2, v3
	s_waitcnt vmcnt(10)
	v_mul_f32_e32 v3, v177, v181
	v_fmac_f32_e32 v151, v147, v172
	v_fma_f32 v3, v176, v180, -v3
	v_add_f32_e32 v150, v150, v151
	v_mul_f32_e32 v151, v148, v175
	v_add_f32_e32 v2, v2, v3
	v_mul_f32_e32 v3, v179, v183
	v_fmac_f32_e32 v151, v149, v174
	v_fma_f32 v3, v178, v182, -v3
	v_add_f32_e32 v150, v150, v151
	v_mul_f32_e32 v151, v176, v181
	v_add_f32_e32 v2, v2, v3
	s_waitcnt vmcnt(9)
	v_mul_f32_e32 v3, v185, v189
	v_fmac_f32_e32 v151, v177, v180
	v_fma_f32 v3, v184, v188, -v3
	v_add_f32_e32 v150, v150, v151
	v_mul_f32_e32 v151, v178, v183
	v_add_f32_e32 v2, v2, v3
	v_mul_f32_e32 v3, v187, v191
	v_fmac_f32_e32 v151, v179, v182
	v_fma_f32 v3, v186, v190, -v3
	v_add_f32_e32 v150, v150, v151
	;; [unrolled: 13-line block ×6, first 2 shown]
	v_mul_f32_e32 v151, v216, v221
	v_add_f32_e32 v248, v2, v3
	s_waitcnt vmcnt(4)
	v_mul_f32_e32 v2, v225, v229
	v_fmac_f32_e32 v151, v217, v220
	v_fma_f32 v250, v224, v228, -v2
	v_mul_f32_e32 v2, v227, v231
	v_add_f32_e32 v150, v150, v151
	v_mul_f32_e32 v151, v218, v223
	v_fma_f32 v252, v226, v230, -v2
	ds_read2_b64 v[2:5], v170 offset0:119 offset1:120
	ds_read2_b64 v[6:9], v170 offset0:121 offset1:122
	ds_read2_b64 v[10:13], v170 offset0:123 offset1:124
	ds_read2_b64 v[14:17], v170 offset0:125 offset1:126
	v_fmac_f32_e32 v151, v219, v222
	v_mul_f32_e32 v251, v224, v229
	v_add_f32_e32 v249, v150, v151
	v_fmac_f32_e32 v251, v225, v228
	v_mul_f32_e32 v253, v226, v231
	s_waitcnt vmcnt(3) lgkmcnt(3)
	v_pk_mul_f32 v[20:21], v[2:3], v[232:233] op_sel:[1,1] op_sel_hi:[0,1]
	v_fmac_f32_e32 v253, v227, v230
	v_pk_add_f32 v[18:19], v[248:249], v[250:251]
	v_pk_fma_f32 v[22:23], v[2:3], v[232:233], v[20:21] neg_lo:[0,0,1] neg_hi:[0,0,1]
	v_pk_fma_f32 v[2:3], v[2:3], v[232:233], v[20:21] op_sel_hi:[1,0,1]
	v_pk_add_f32 v[18:19], v[18:19], v[252:253]
	v_mov_b32_e32 v23, v3
	v_pk_add_f32 v[2:3], v[18:19], v[22:23]
	v_mov_b32_e32 v18, v235
	v_pk_mul_f32 v[18:19], v[4:5], v[18:19] op_sel:[1,0] op_sel_hi:[0,0]
	v_pk_fma_f32 v[20:21], v[4:5], v[234:235], v[18:19] neg_lo:[0,0,1] neg_hi:[0,0,1]
	v_pk_fma_f32 v[4:5], v[4:5], v[234:235], v[18:19] op_sel_hi:[1,0,1]
	s_nop 0
	v_mov_b32_e32 v21, v5
	s_waitcnt vmcnt(2) lgkmcnt(2)
	v_pk_mul_f32 v[4:5], v[6:7], v[236:237] op_sel:[1,1] op_sel_hi:[0,1]
	v_pk_fma_f32 v[18:19], v[6:7], v[236:237], v[4:5] neg_lo:[0,0,1] neg_hi:[0,0,1]
	v_pk_fma_f32 v[4:5], v[6:7], v[236:237], v[4:5] op_sel_hi:[1,0,1]
	v_pk_add_f32 v[2:3], v[2:3], v[20:21]
	v_mov_b32_e32 v4, v239
	v_mov_b32_e32 v19, v5
	v_pk_mul_f32 v[4:5], v[8:9], v[4:5] op_sel:[1,0] op_sel_hi:[0,0]
	v_pk_fma_f32 v[6:7], v[8:9], v[238:239], v[4:5] neg_lo:[0,0,1] neg_hi:[0,0,1]
	v_pk_fma_f32 v[4:5], v[8:9], v[238:239], v[4:5] op_sel_hi:[1,0,1]
	v_pk_add_f32 v[2:3], v[2:3], v[18:19]
	v_mov_b32_e32 v7, v5
	s_waitcnt vmcnt(1) lgkmcnt(1)
	v_pk_mul_f32 v[4:5], v[10:11], v[240:241] op_sel:[1,1] op_sel_hi:[0,1]
	v_pk_add_f32 v[2:3], v[2:3], v[6:7]
	v_pk_fma_f32 v[6:7], v[10:11], v[240:241], v[4:5] neg_lo:[0,0,1] neg_hi:[0,0,1]
	v_pk_fma_f32 v[4:5], v[10:11], v[240:241], v[4:5] op_sel_hi:[1,0,1]
	s_nop 0
	v_mov_b32_e32 v4, v243
	v_mov_b32_e32 v7, v5
	v_pk_mul_f32 v[4:5], v[12:13], v[4:5] op_sel:[1,0] op_sel_hi:[0,0]
	v_pk_add_f32 v[2:3], v[2:3], v[6:7]
	v_pk_fma_f32 v[6:7], v[12:13], v[242:243], v[4:5] neg_lo:[0,0,1] neg_hi:[0,0,1]
	v_pk_fma_f32 v[4:5], v[12:13], v[242:243], v[4:5] op_sel_hi:[1,0,1]
	s_nop 0
	v_mov_b32_e32 v7, v5
	s_waitcnt vmcnt(0) lgkmcnt(0)
	v_pk_mul_f32 v[4:5], v[14:15], v[244:245] op_sel:[1,1] op_sel_hi:[0,1]
	v_pk_add_f32 v[2:3], v[2:3], v[6:7]
	v_pk_fma_f32 v[6:7], v[14:15], v[244:245], v[4:5] neg_lo:[0,0,1] neg_hi:[0,0,1]
	v_pk_fma_f32 v[4:5], v[14:15], v[244:245], v[4:5] op_sel_hi:[1,0,1]
	s_nop 0
	v_mov_b32_e32 v4, v247
	v_mov_b32_e32 v7, v5
	v_pk_mul_f32 v[4:5], v[16:17], v[4:5] op_sel:[1,0] op_sel_hi:[0,0]
	v_pk_add_f32 v[2:3], v[2:3], v[6:7]
	v_pk_fma_f32 v[6:7], v[16:17], v[246:247], v[4:5] neg_lo:[0,0,1] neg_hi:[0,0,1]
	v_pk_fma_f32 v[4:5], v[16:17], v[246:247], v[4:5] op_sel_hi:[1,0,1]
	s_nop 0
	v_mov_b32_e32 v7, v5
	scratch_load_dwordx2 v[4:5], off, off offset:16
	v_pk_add_f32 v[2:3], v[2:3], v[6:7]
	s_waitcnt vmcnt(0)
	v_pk_add_f32 v[2:3], v[4:5], v[2:3] neg_lo:[0,1] neg_hi:[0,1]
	scratch_store_dwordx2 off, v[2:3], off offset:16
	s_and_saveexec_b64 s[0:1], vcc
	s_cbranch_execz .LBB62_389
; %bb.388:
	scratch_load_dwordx2 v[2:3], off, off offset:8
	v_mov_b32_e32 v4, 0
	v_mov_b32_e32 v5, v4
	scratch_store_dwordx2 off, v[4:5], off offset:8
	s_waitcnt vmcnt(1)
	ds_write_b64 v1, v[2:3]
.LBB62_389:
	s_or_b64 exec, exec, s[0:1]
	v_mov_b32_e32 v170, 0
	s_waitcnt lgkmcnt(0)
	; wave barrier
	ds_read_b128 v[14:17], v170 offset:528
	ds_read_b128 v[10:13], v170 offset:544
	;; [unrolled: 1-line block ×4, first 2 shown]
	scratch_load_dwordx4 v[18:21], off, off offset:16
	scratch_load_dwordx4 v[38:41], off, off offset:80
	;; [unrolled: 1-line block ×21, first 2 shown]
	v_cmp_ne_u32_e32 vcc, 0, v0
	scratch_load_dwordx4 v[46:49], off, off offset:96
	scratch_load_dwordx4 v[54:57], off, off offset:112
	;; [unrolled: 1-line block ×3, first 2 shown]
	ds_read_b128 v[176:179], v170 offset:832
	ds_read_b128 v[184:187], v170 offset:848
	;; [unrolled: 1-line block ×8, first 2 shown]
	s_waitcnt vmcnt(23) lgkmcnt(11)
	v_mul_f32_e32 v22, v14, v19
	v_fmac_f32_e32 v22, v15, v18
	v_mul_f32_e32 v23, v16, v21
	v_add_f32_e32 v22, 0, v22
	v_fmac_f32_e32 v23, v17, v20
	v_add_f32_e32 v26, v22, v23
	scratch_load_dwordx4 v[22:25], off, off offset:32
	v_mul_f32_e32 v15, v15, v19
	v_fma_f32 v14, v14, v18, -v15
	v_mul_f32_e32 v15, v17, v21
	v_add_f32_e32 v14, 0, v14
	v_fma_f32 v15, v16, v20, -v15
	v_add_f32_e32 v14, v14, v15
	s_waitcnt vmcnt(5) lgkmcnt(1)
	v_mul_f32_e32 v255, v226, v231
	s_waitcnt vmcnt(4)
	v_mov_b32_e32 v18, v239
	v_fmac_f32_e32 v255, v227, v230
	s_waitcnt lgkmcnt(0)
	v_pk_mul_f32 v[18:19], v[234:235], v[18:19] op_sel:[1,0] op_sel_hi:[0,0]
	v_pk_fma_f32 v[20:21], v[234:235], v[238:239], v[18:19] neg_lo:[0,0,1] neg_hi:[0,0,1]
	v_pk_fma_f32 v[18:19], v[234:235], v[238:239], v[18:19] op_sel_hi:[1,0,1]
	s_waitcnt vmcnt(0)
	v_mul_f32_e32 v27, v10, v23
	v_fmac_f32_e32 v27, v11, v22
	v_add_f32_e32 v26, v26, v27
	v_mul_f32_e32 v27, v12, v25
	v_fmac_f32_e32 v27, v13, v24
	v_add_f32_e32 v30, v26, v27
	scratch_load_dwordx4 v[26:29], off, off offset:48
	v_mul_f32_e32 v11, v11, v23
	v_fma_f32 v10, v10, v22, -v11
	v_mul_f32_e32 v11, v13, v25
	v_add_f32_e32 v10, v14, v10
	v_fma_f32 v11, v12, v24, -v11
	v_add_f32_e32 v10, v10, v11
	v_mov_b32_e32 v21, v19
	s_waitcnt vmcnt(0)
	v_mul_f32_e32 v31, v6, v27
	v_fmac_f32_e32 v31, v7, v26
	v_add_f32_e32 v30, v30, v31
	v_mul_f32_e32 v31, v8, v29
	v_fmac_f32_e32 v31, v9, v28
	v_add_f32_e32 v34, v30, v31
	scratch_load_dwordx4 v[30:33], off, off offset:64
	v_mul_f32_e32 v7, v7, v27
	v_fma_f32 v6, v6, v26, -v7
	v_mul_f32_e32 v7, v9, v29
	v_add_f32_e32 v6, v10, v6
	v_fma_f32 v7, v8, v28, -v7
	v_add_f32_e32 v6, v6, v7
	s_waitcnt vmcnt(0)
	v_mul_f32_e32 v35, v2, v31
	v_fmac_f32_e32 v35, v3, v30
	v_add_f32_e32 v34, v34, v35
	v_mul_f32_e32 v35, v4, v33
	v_fmac_f32_e32 v35, v5, v32
	v_add_f32_e32 v42, v34, v35
	ds_read_b128 v[34:37], v170 offset:592
	v_mul_f32_e32 v3, v3, v31
	v_fma_f32 v2, v2, v30, -v3
	v_mul_f32_e32 v3, v5, v33
	v_add_f32_e32 v2, v6, v2
	s_waitcnt lgkmcnt(0)
	v_mul_f32_e32 v43, v34, v39
	v_fmac_f32_e32 v43, v35, v38
	v_add_f32_e32 v42, v42, v43
	v_mul_f32_e32 v43, v36, v41
	v_fmac_f32_e32 v43, v37, v40
	v_add_f32_e32 v50, v42, v43
	ds_read_b128 v[42:45], v170 offset:608
	v_fma_f32 v3, v4, v32, -v3
	v_add_f32_e32 v2, v2, v3
	v_mul_f32_e32 v3, v35, v39
	v_fma_f32 v3, v34, v38, -v3
	s_waitcnt lgkmcnt(0)
	v_mul_f32_e32 v51, v42, v47
	v_fmac_f32_e32 v51, v43, v46
	v_add_f32_e32 v50, v50, v51
	v_mul_f32_e32 v51, v44, v49
	v_fmac_f32_e32 v51, v45, v48
	v_add_f32_e32 v58, v50, v51
	ds_read_b128 v[50:53], v170 offset:624
	v_add_f32_e32 v2, v2, v3
	v_mul_f32_e32 v3, v37, v41
	v_fma_f32 v3, v36, v40, -v3
	v_add_f32_e32 v2, v2, v3
	s_waitcnt lgkmcnt(0)
	v_mul_f32_e32 v59, v50, v55
	v_fmac_f32_e32 v59, v51, v54
	v_add_f32_e32 v58, v58, v59
	v_mul_f32_e32 v59, v52, v57
	v_fmac_f32_e32 v59, v53, v56
	v_add_f32_e32 v66, v58, v59
	ds_read_b128 v[58:61], v170 offset:640
	v_mul_f32_e32 v3, v43, v47
	v_fma_f32 v3, v42, v46, -v3
	v_add_f32_e32 v2, v2, v3
	v_mul_f32_e32 v3, v45, v49
	s_waitcnt lgkmcnt(0)
	v_mul_f32_e32 v67, v58, v63
	v_fmac_f32_e32 v67, v59, v62
	v_add_f32_e32 v66, v66, v67
	v_mul_f32_e32 v67, v60, v65
	v_fmac_f32_e32 v67, v61, v64
	v_add_f32_e32 v74, v66, v67
	ds_read_b128 v[66:69], v170 offset:656
	v_fma_f32 v3, v44, v48, -v3
	v_add_f32_e32 v2, v2, v3
	v_mul_f32_e32 v3, v51, v55
	v_fma_f32 v3, v50, v54, -v3
	s_waitcnt lgkmcnt(0)
	v_mul_f32_e32 v75, v66, v71
	v_fmac_f32_e32 v75, v67, v70
	v_add_f32_e32 v74, v74, v75
	v_mul_f32_e32 v75, v68, v73
	v_fmac_f32_e32 v75, v69, v72
	v_add_f32_e32 v82, v74, v75
	ds_read_b128 v[74:77], v170 offset:672
	v_add_f32_e32 v2, v2, v3
	v_mul_f32_e32 v3, v53, v57
	v_fma_f32 v3, v52, v56, -v3
	v_add_f32_e32 v2, v2, v3
	s_waitcnt lgkmcnt(0)
	v_mul_f32_e32 v83, v74, v79
	v_fmac_f32_e32 v83, v75, v78
	v_add_f32_e32 v82, v82, v83
	v_mul_f32_e32 v83, v76, v81
	v_fmac_f32_e32 v83, v77, v80
	v_add_f32_e32 v90, v82, v83
	ds_read_b128 v[82:85], v170 offset:688
	v_mul_f32_e32 v3, v59, v63
	v_fma_f32 v3, v58, v62, -v3
	v_add_f32_e32 v2, v2, v3
	v_mul_f32_e32 v3, v61, v65
	;; [unrolled: 36-line block ×4, first 2 shown]
	s_waitcnt lgkmcnt(0)
	v_mul_f32_e32 v139, v130, v135
	v_fmac_f32_e32 v139, v131, v134
	v_add_f32_e32 v138, v138, v139
	v_mul_f32_e32 v139, v132, v137
	v_fmac_f32_e32 v139, v133, v136
	v_add_f32_e32 v146, v138, v139
	ds_read_b128 v[138:141], v170 offset:800
	v_fma_f32 v3, v92, v96, -v3
	v_add_f32_e32 v2, v2, v3
	v_mul_f32_e32 v3, v99, v103
	v_fma_f32 v3, v98, v102, -v3
	s_waitcnt lgkmcnt(0)
	v_mul_f32_e32 v147, v138, v143
	v_fmac_f32_e32 v147, v139, v142
	v_add_f32_e32 v146, v146, v147
	v_mul_f32_e32 v147, v140, v145
	v_fmac_f32_e32 v147, v141, v144
	v_add_f32_e32 v150, v146, v147
	ds_read_b128 v[146:149], v170 offset:816
	scratch_load_dwordx4 v[240:243], off, off offset:448
	scratch_load_dwordx4 v[244:247], off, off offset:464
	;; [unrolled: 1-line block ×3, first 2 shown]
	scratch_load_dwordx2 v[152:153], off, off offset:496
	v_add_f32_e32 v2, v2, v3
	v_mul_f32_e32 v3, v101, v105
	v_fma_f32 v3, v100, v104, -v3
	v_add_f32_e32 v2, v2, v3
	v_mul_f32_e32 v3, v107, v111
	v_fma_f32 v3, v106, v110, -v3
	;; [unrolled: 3-line block ×11, first 2 shown]
	v_add_f32_e32 v2, v2, v3
	s_waitcnt lgkmcnt(0)
	v_mul_f32_e32 v3, v147, v173
	v_fma_f32 v3, v146, v172, -v3
	v_mul_f32_e32 v151, v146, v173
	v_add_f32_e32 v2, v2, v3
	v_mul_f32_e32 v3, v149, v175
	v_fmac_f32_e32 v151, v147, v172
	v_fma_f32 v3, v148, v174, -v3
	v_add_f32_e32 v150, v150, v151
	v_mul_f32_e32 v151, v148, v175
	v_add_f32_e32 v2, v2, v3
	v_mul_f32_e32 v3, v177, v181
	v_fmac_f32_e32 v151, v149, v174
	v_fma_f32 v3, v176, v180, -v3
	v_add_f32_e32 v150, v150, v151
	;; [unrolled: 6-line block ×14, first 2 shown]
	v_mul_f32_e32 v151, v224, v229
	v_add_f32_e32 v252, v2, v3
	v_mul_f32_e32 v2, v227, v231
	v_fmac_f32_e32 v151, v225, v228
	v_fma_f32 v254, v226, v230, -v2
	v_mul_f32_e32 v2, v233, v237
	v_add_f32_e32 v253, v150, v151
	v_mul_f32_e32 v151, v232, v237
	v_fma_f32 v150, v232, v236, -v2
	ds_read_b128 v[2:5], v170 offset:960
	ds_read_b128 v[6:9], v170 offset:976
	;; [unrolled: 1-line block ×3, first 2 shown]
	ds_read_b64 v[14:15], v170 offset:1008
	v_fmac_f32_e32 v151, v233, v236
	v_pk_add_f32 v[16:17], v[252:253], v[254:255]
	s_waitcnt vmcnt(3) lgkmcnt(3)
	v_pk_mul_f32 v[18:19], v[2:3], v[240:241] op_sel:[1,1] op_sel_hi:[0,1]
	v_pk_add_f32 v[16:17], v[16:17], v[150:151]
	s_nop 0
	v_pk_add_f32 v[16:17], v[16:17], v[20:21]
	v_pk_fma_f32 v[20:21], v[2:3], v[240:241], v[18:19] neg_lo:[0,0,1] neg_hi:[0,0,1]
	v_pk_fma_f32 v[2:3], v[2:3], v[240:241], v[18:19] op_sel_hi:[1,0,1]
	s_nop 0
	v_mov_b32_e32 v21, v3
	v_pk_add_f32 v[2:3], v[16:17], v[20:21]
	v_mov_b32_e32 v16, v243
	v_pk_mul_f32 v[16:17], v[4:5], v[16:17] op_sel:[1,0] op_sel_hi:[0,0]
	v_pk_fma_f32 v[18:19], v[4:5], v[242:243], v[16:17] neg_lo:[0,0,1] neg_hi:[0,0,1]
	v_pk_fma_f32 v[4:5], v[4:5], v[242:243], v[16:17] op_sel_hi:[1,0,1]
	s_nop 0
	v_mov_b32_e32 v19, v5
	s_waitcnt vmcnt(2) lgkmcnt(2)
	v_pk_mul_f32 v[4:5], v[6:7], v[244:245] op_sel:[1,1] op_sel_hi:[0,1]
	v_pk_fma_f32 v[16:17], v[6:7], v[244:245], v[4:5] neg_lo:[0,0,1] neg_hi:[0,0,1]
	v_pk_fma_f32 v[4:5], v[6:7], v[244:245], v[4:5] op_sel_hi:[1,0,1]
	v_pk_add_f32 v[2:3], v[2:3], v[18:19]
	v_mov_b32_e32 v4, v247
	v_mov_b32_e32 v17, v5
	v_pk_mul_f32 v[4:5], v[8:9], v[4:5] op_sel:[1,0] op_sel_hi:[0,0]
	v_pk_fma_f32 v[6:7], v[8:9], v[246:247], v[4:5] neg_lo:[0,0,1] neg_hi:[0,0,1]
	v_pk_fma_f32 v[4:5], v[8:9], v[246:247], v[4:5] op_sel_hi:[1,0,1]
	v_pk_add_f32 v[2:3], v[2:3], v[16:17]
	v_mov_b32_e32 v7, v5
	s_waitcnt vmcnt(1) lgkmcnt(1)
	v_pk_mul_f32 v[4:5], v[10:11], v[248:249] op_sel:[1,1] op_sel_hi:[0,1]
	v_pk_add_f32 v[2:3], v[2:3], v[6:7]
	v_pk_fma_f32 v[6:7], v[10:11], v[248:249], v[4:5] neg_lo:[0,0,1] neg_hi:[0,0,1]
	v_pk_fma_f32 v[4:5], v[10:11], v[248:249], v[4:5] op_sel_hi:[1,0,1]
	s_nop 0
	v_mov_b32_e32 v4, v251
	v_mov_b32_e32 v7, v5
	v_pk_mul_f32 v[4:5], v[12:13], v[4:5] op_sel:[1,0] op_sel_hi:[0,0]
	v_pk_add_f32 v[2:3], v[2:3], v[6:7]
	v_pk_fma_f32 v[6:7], v[12:13], v[250:251], v[4:5] neg_lo:[0,0,1] neg_hi:[0,0,1]
	v_pk_fma_f32 v[4:5], v[12:13], v[250:251], v[4:5] op_sel_hi:[1,0,1]
	s_nop 0
	v_mov_b32_e32 v7, v5
	s_waitcnt vmcnt(0) lgkmcnt(0)
	v_pk_mul_f32 v[4:5], v[14:15], v[152:153] op_sel:[1,1] op_sel_hi:[0,1]
	v_pk_add_f32 v[2:3], v[2:3], v[6:7]
	v_pk_fma_f32 v[6:7], v[14:15], v[152:153], v[4:5] neg_lo:[0,0,1] neg_hi:[0,0,1]
	v_pk_fma_f32 v[4:5], v[14:15], v[152:153], v[4:5] op_sel_hi:[1,0,1]
	s_nop 0
	v_mov_b32_e32 v7, v5
	scratch_load_dwordx2 v[4:5], off, off offset:8
	v_pk_add_f32 v[2:3], v[2:3], v[6:7]
	s_waitcnt vmcnt(0)
	v_pk_add_f32 v[2:3], v[4:5], v[2:3] neg_lo:[0,1] neg_hi:[0,1]
	scratch_store_dwordx2 off, v[2:3], off offset:8
	s_and_saveexec_b64 s[0:1], vcc
	s_cbranch_execz .LBB62_391
; %bb.390:
	scratch_load_dwordx2 v[2:3], off, off
	v_mov_b32_e32 v171, v170
	scratch_store_dwordx2 off, v[170:171], off
	s_waitcnt vmcnt(1)
	ds_write_b64 v1, v[2:3]
.LBB62_391:
	s_or_b64 exec, exec, s[0:1]
	s_waitcnt lgkmcnt(0)
	; wave barrier
	scratch_load_dwordx4 v[4:7], off, off offset:8
	scratch_load_dwordx4 v[12:15], off, off offset:24
	;; [unrolled: 1-line block ×10, first 2 shown]
	ds_read2_b64 v[0:3], v170 offset0:65 offset1:66
	ds_read2_b64 v[176:179], v170 offset0:103 offset1:104
	scratch_load_dwordx4 v[84:87], off, off offset:168
	scratch_load_dwordx4 v[92:95], off, off offset:184
	;; [unrolled: 1-line block ×17, first 2 shown]
	s_and_b64 vcc, exec, s[18:19]
	ds_read2_b64 v[184:187], v170 offset0:105 offset1:106
	ds_read2_b64 v[192:195], v170 offset0:107 offset1:108
	;; [unrolled: 1-line block ×7, first 2 shown]
	s_waitcnt vmcnt(26) lgkmcnt(8)
	v_mul_f32_e32 v8, v0, v5
	v_fmac_f32_e32 v8, v1, v4
	v_mul_f32_e32 v9, v2, v7
	v_add_f32_e32 v8, 0, v8
	v_fmac_f32_e32 v9, v3, v6
	v_add_f32_e32 v16, v8, v9
	ds_read2_b64 v[8:11], v170 offset0:67 offset1:68
	v_mul_f32_e32 v1, v1, v5
	v_fma_f32 v0, v0, v4, -v1
	v_mul_f32_e32 v1, v3, v7
	v_add_f32_e32 v0, 0, v0
	s_waitcnt vmcnt(25) lgkmcnt(0)
	v_mul_f32_e32 v17, v8, v13
	v_fmac_f32_e32 v17, v9, v12
	v_add_f32_e32 v16, v16, v17
	v_mul_f32_e32 v17, v10, v15
	v_fmac_f32_e32 v17, v11, v14
	v_add_f32_e32 v24, v16, v17
	ds_read2_b64 v[16:19], v170 offset0:69 offset1:70
	v_fma_f32 v1, v2, v6, -v1
	v_add_f32_e32 v0, v0, v1
	v_mul_f32_e32 v1, v9, v13
	v_fma_f32 v1, v8, v12, -v1
	s_waitcnt vmcnt(24) lgkmcnt(0)
	v_mul_f32_e32 v25, v16, v21
	v_fmac_f32_e32 v25, v17, v20
	v_add_f32_e32 v24, v24, v25
	v_mul_f32_e32 v25, v18, v23
	v_fmac_f32_e32 v25, v19, v22
	v_add_f32_e32 v32, v24, v25
	ds_read2_b64 v[24:27], v170 offset0:71 offset1:72
	v_add_f32_e32 v0, v0, v1
	v_mul_f32_e32 v1, v11, v15
	v_fma_f32 v1, v10, v14, -v1
	v_add_f32_e32 v0, v0, v1
	s_waitcnt vmcnt(23) lgkmcnt(0)
	v_mul_f32_e32 v33, v24, v29
	v_fmac_f32_e32 v33, v25, v28
	v_add_f32_e32 v32, v32, v33
	v_mul_f32_e32 v33, v26, v31
	v_fmac_f32_e32 v33, v27, v30
	v_add_f32_e32 v40, v32, v33
	ds_read2_b64 v[32:35], v170 offset0:73 offset1:74
	v_mul_f32_e32 v1, v17, v21
	v_fma_f32 v1, v16, v20, -v1
	v_add_f32_e32 v0, v0, v1
	v_mul_f32_e32 v1, v19, v23
	s_waitcnt vmcnt(22) lgkmcnt(0)
	v_mul_f32_e32 v41, v32, v37
	v_fmac_f32_e32 v41, v33, v36
	v_add_f32_e32 v40, v40, v41
	v_mul_f32_e32 v41, v34, v39
	v_fmac_f32_e32 v41, v35, v38
	v_add_f32_e32 v48, v40, v41
	ds_read2_b64 v[40:43], v170 offset0:75 offset1:76
	v_fma_f32 v1, v18, v22, -v1
	v_add_f32_e32 v0, v0, v1
	v_mul_f32_e32 v1, v25, v29
	v_fma_f32 v1, v24, v28, -v1
	s_waitcnt vmcnt(21) lgkmcnt(0)
	v_mul_f32_e32 v49, v40, v45
	v_fmac_f32_e32 v49, v41, v44
	v_add_f32_e32 v48, v48, v49
	v_mul_f32_e32 v49, v42, v47
	v_fmac_f32_e32 v49, v43, v46
	v_add_f32_e32 v56, v48, v49
	ds_read2_b64 v[48:51], v170 offset0:77 offset1:78
	v_add_f32_e32 v0, v0, v1
	v_mul_f32_e32 v1, v27, v31
	v_fma_f32 v1, v26, v30, -v1
	v_add_f32_e32 v0, v0, v1
	s_waitcnt vmcnt(20) lgkmcnt(0)
	v_mul_f32_e32 v57, v48, v53
	v_fmac_f32_e32 v57, v49, v52
	v_add_f32_e32 v56, v56, v57
	v_mul_f32_e32 v57, v50, v55
	v_fmac_f32_e32 v57, v51, v54
	v_add_f32_e32 v64, v56, v57
	ds_read2_b64 v[56:59], v170 offset0:79 offset1:80
	v_mul_f32_e32 v1, v33, v37
	v_fma_f32 v1, v32, v36, -v1
	v_add_f32_e32 v0, v0, v1
	v_mul_f32_e32 v1, v35, v39
	;; [unrolled: 36-line block ×5, first 2 shown]
	s_waitcnt vmcnt(10) lgkmcnt(0)
	v_mul_f32_e32 v137, v128, v133
	v_fmac_f32_e32 v137, v129, v132
	v_add_f32_e32 v136, v136, v137
	v_mul_f32_e32 v137, v130, v135
	v_fmac_f32_e32 v137, v131, v134
	v_add_f32_e32 v144, v136, v137
	ds_read2_b64 v[136:139], v170 offset0:99 offset1:100
	v_fma_f32 v1, v82, v86, -v1
	v_add_f32_e32 v0, v0, v1
	v_mul_f32_e32 v1, v89, v93
	v_fma_f32 v1, v88, v92, -v1
	s_waitcnt vmcnt(9) lgkmcnt(0)
	v_mul_f32_e32 v145, v136, v141
	v_fmac_f32_e32 v145, v137, v140
	v_add_f32_e32 v144, v144, v145
	v_mul_f32_e32 v145, v138, v143
	v_fmac_f32_e32 v145, v139, v142
	v_add_f32_e32 v148, v144, v145
	ds_read2_b64 v[144:147], v170 offset0:101 offset1:102
	scratch_load_dwordx4 v[240:243], off, off offset:440
	scratch_load_dwordx4 v[244:247], off, off offset:456
	;; [unrolled: 1-line block ×4, first 2 shown]
	v_add_f32_e32 v0, v0, v1
	v_mul_f32_e32 v1, v91, v95
	v_fma_f32 v1, v90, v94, -v1
	v_add_f32_e32 v0, v0, v1
	v_mul_f32_e32 v1, v97, v101
	v_fma_f32 v1, v96, v100, -v1
	;; [unrolled: 3-line block ×13, first 2 shown]
	s_waitcnt vmcnt(12) lgkmcnt(0)
	v_mul_f32_e32 v149, v144, v173
	v_add_f32_e32 v0, v0, v1
	v_mul_f32_e32 v1, v145, v173
	v_fmac_f32_e32 v149, v145, v172
	v_fma_f32 v1, v144, v172, -v1
	v_add_f32_e32 v148, v148, v149
	v_mul_f32_e32 v149, v146, v175
	v_add_f32_e32 v0, v0, v1
	v_mul_f32_e32 v1, v147, v175
	v_fmac_f32_e32 v149, v147, v174
	v_fma_f32 v1, v146, v174, -v1
	v_add_f32_e32 v148, v148, v149
	s_waitcnt vmcnt(11)
	v_mul_f32_e32 v149, v176, v181
	v_add_f32_e32 v0, v0, v1
	v_mul_f32_e32 v1, v177, v181
	v_fmac_f32_e32 v149, v177, v180
	v_fma_f32 v1, v176, v180, -v1
	v_add_f32_e32 v148, v148, v149
	v_mul_f32_e32 v149, v178, v183
	v_add_f32_e32 v0, v0, v1
	v_mul_f32_e32 v1, v179, v183
	v_fmac_f32_e32 v149, v179, v182
	v_fma_f32 v1, v178, v182, -v1
	v_add_f32_e32 v148, v148, v149
	s_waitcnt vmcnt(10)
	;; [unrolled: 13-line block ×7, first 2 shown]
	v_mul_f32_e32 v149, v224, v229
	v_add_f32_e32 v0, v0, v1
	v_mul_f32_e32 v1, v225, v229
	v_fmac_f32_e32 v149, v225, v228
	v_fma_f32 v1, v224, v228, -v1
	v_add_f32_e32 v148, v148, v149
	v_mul_f32_e32 v149, v226, v231
	v_add_f32_e32 v0, v0, v1
	v_mul_f32_e32 v1, v227, v231
	v_fmac_f32_e32 v149, v227, v230
	v_fma_f32 v1, v226, v230, -v1
	v_add_f32_e32 v149, v148, v149
	v_add_f32_e32 v148, v0, v1
	s_waitcnt vmcnt(4)
	v_mul_f32_e32 v0, v233, v237
	v_fma_f32 v150, v232, v236, -v0
	v_mul_f32_e32 v0, v235, v239
	v_fma_f32 v152, v234, v238, -v0
	ds_read2_b64 v[0:3], v170 offset0:119 offset1:120
	ds_read2_b64 v[4:7], v170 offset0:121 offset1:122
	;; [unrolled: 1-line block ×4, first 2 shown]
	v_mul_f32_e32 v151, v232, v237
	v_fmac_f32_e32 v151, v233, v236
	v_mul_f32_e32 v153, v234, v239
	s_waitcnt vmcnt(3) lgkmcnt(3)
	v_pk_mul_f32 v[18:19], v[0:1], v[240:241] op_sel:[1,1] op_sel_hi:[0,1]
	v_fmac_f32_e32 v153, v235, v238
	v_pk_add_f32 v[16:17], v[148:149], v[150:151]
	v_pk_fma_f32 v[20:21], v[0:1], v[240:241], v[18:19] neg_lo:[0,0,1] neg_hi:[0,0,1]
	v_pk_fma_f32 v[0:1], v[0:1], v[240:241], v[18:19] op_sel_hi:[1,0,1]
	v_pk_add_f32 v[16:17], v[16:17], v[152:153]
	v_mov_b32_e32 v21, v1
	v_pk_add_f32 v[0:1], v[16:17], v[20:21]
	v_mov_b32_e32 v16, v243
	v_pk_mul_f32 v[16:17], v[2:3], v[16:17] op_sel:[1,0] op_sel_hi:[0,0]
	v_pk_fma_f32 v[18:19], v[2:3], v[242:243], v[16:17] neg_lo:[0,0,1] neg_hi:[0,0,1]
	v_pk_fma_f32 v[2:3], v[2:3], v[242:243], v[16:17] op_sel_hi:[1,0,1]
	s_nop 0
	v_mov_b32_e32 v19, v3
	s_waitcnt vmcnt(2) lgkmcnt(2)
	v_pk_mul_f32 v[2:3], v[4:5], v[244:245] op_sel:[1,1] op_sel_hi:[0,1]
	v_pk_fma_f32 v[16:17], v[4:5], v[244:245], v[2:3] neg_lo:[0,0,1] neg_hi:[0,0,1]
	v_pk_fma_f32 v[2:3], v[4:5], v[244:245], v[2:3] op_sel_hi:[1,0,1]
	v_pk_add_f32 v[0:1], v[0:1], v[18:19]
	v_mov_b32_e32 v2, v247
	v_mov_b32_e32 v17, v3
	v_pk_mul_f32 v[2:3], v[6:7], v[2:3] op_sel:[1,0] op_sel_hi:[0,0]
	v_pk_fma_f32 v[4:5], v[6:7], v[246:247], v[2:3] neg_lo:[0,0,1] neg_hi:[0,0,1]
	v_pk_fma_f32 v[2:3], v[6:7], v[246:247], v[2:3] op_sel_hi:[1,0,1]
	v_pk_add_f32 v[0:1], v[0:1], v[16:17]
	v_mov_b32_e32 v5, v3
	s_waitcnt vmcnt(1) lgkmcnt(1)
	v_pk_mul_f32 v[2:3], v[8:9], v[248:249] op_sel:[1,1] op_sel_hi:[0,1]
	v_pk_add_f32 v[0:1], v[0:1], v[4:5]
	v_pk_fma_f32 v[4:5], v[8:9], v[248:249], v[2:3] neg_lo:[0,0,1] neg_hi:[0,0,1]
	v_pk_fma_f32 v[2:3], v[8:9], v[248:249], v[2:3] op_sel_hi:[1,0,1]
	s_nop 0
	v_mov_b32_e32 v2, v251
	v_mov_b32_e32 v5, v3
	v_pk_mul_f32 v[2:3], v[10:11], v[2:3] op_sel:[1,0] op_sel_hi:[0,0]
	v_pk_add_f32 v[0:1], v[0:1], v[4:5]
	v_pk_fma_f32 v[4:5], v[10:11], v[250:251], v[2:3] neg_lo:[0,0,1] neg_hi:[0,0,1]
	v_pk_fma_f32 v[2:3], v[10:11], v[250:251], v[2:3] op_sel_hi:[1,0,1]
	s_nop 0
	v_mov_b32_e32 v5, v3
	s_waitcnt vmcnt(0) lgkmcnt(0)
	v_pk_mul_f32 v[2:3], v[12:13], v[252:253] op_sel:[1,1] op_sel_hi:[0,1]
	v_pk_add_f32 v[0:1], v[0:1], v[4:5]
	v_pk_fma_f32 v[4:5], v[12:13], v[252:253], v[2:3] neg_lo:[0,0,1] neg_hi:[0,0,1]
	v_pk_fma_f32 v[2:3], v[12:13], v[252:253], v[2:3] op_sel_hi:[1,0,1]
	s_nop 0
	v_mov_b32_e32 v2, v255
	v_mov_b32_e32 v5, v3
	v_pk_mul_f32 v[2:3], v[14:15], v[2:3] op_sel:[1,0] op_sel_hi:[0,0]
	v_pk_add_f32 v[0:1], v[0:1], v[4:5]
	v_pk_fma_f32 v[4:5], v[14:15], v[254:255], v[2:3] neg_lo:[0,0,1] neg_hi:[0,0,1]
	v_pk_fma_f32 v[2:3], v[14:15], v[254:255], v[2:3] op_sel_hi:[1,0,1]
	s_nop 0
	v_mov_b32_e32 v5, v3
	scratch_load_dwordx2 v[2:3], off, off
	v_pk_add_f32 v[0:1], v[0:1], v[4:5]
	s_waitcnt vmcnt(0)
	v_pk_add_f32 v[0:1], v[2:3], v[0:1] neg_lo:[0,1] neg_hi:[0,1]
	scratch_store_dwordx2 off, v[0:1], off
	s_cbranch_vccz .LBB62_516
; %bb.392:
	v_mov_b32_e32 v0, 0
	global_load_dword v1, v0, s[16:17] offset:244
	s_waitcnt vmcnt(0)
	v_readfirstlane_b32 s0, v1
	s_add_i32 s0, s0, -1
	s_cmp_lg_u32 s0, 61
	s_cbranch_scc0 .LBB62_394
; %bb.393:
	s_lshl_b32 s0, s0, 3
	s_nop 0
	scratch_load_dwordx2 v[2:3], off, s0
	scratch_load_dwordx2 v[4:5], off, off offset:488
	s_waitcnt vmcnt(1)
	scratch_store_dwordx2 off, v[2:3], off offset:488
	s_waitcnt vmcnt(1)
	scratch_store_dwordx2 off, v[4:5], s0
.LBB62_394:
	global_load_dword v0, v0, s[16:17] offset:240
	s_waitcnt vmcnt(0)
	v_readfirstlane_b32 s0, v0
	s_add_i32 s0, s0, -1
	s_cmp_eq_u32 s0, 60
	s_cbranch_scc1 .LBB62_396
; %bb.395:
	s_lshl_b32 s0, s0, 3
	s_nop 0
	scratch_load_dwordx2 v[0:1], off, s0
	scratch_load_dwordx2 v[2:3], off, off offset:480
	s_waitcnt vmcnt(1)
	scratch_store_dwordx2 off, v[0:1], off offset:480
	s_waitcnt vmcnt(1)
	scratch_store_dwordx2 off, v[2:3], s0
.LBB62_396:
	v_mov_b32_e32 v0, 0
	global_load_dword v1, v0, s[16:17] offset:236
	s_waitcnt vmcnt(0)
	v_readfirstlane_b32 s0, v1
	s_add_i32 s0, s0, -1
	s_cmp_eq_u32 s0, 59
	s_cbranch_scc1 .LBB62_398
; %bb.397:
	s_lshl_b32 s0, s0, 3
	s_nop 0
	scratch_load_dwordx2 v[2:3], off, s0
	scratch_load_dwordx2 v[4:5], off, off offset:472
	s_waitcnt vmcnt(1)
	scratch_store_dwordx2 off, v[2:3], off offset:472
	s_waitcnt vmcnt(1)
	scratch_store_dwordx2 off, v[4:5], s0
.LBB62_398:
	global_load_dword v0, v0, s[16:17] offset:232
	s_waitcnt vmcnt(0)
	v_readfirstlane_b32 s0, v0
	s_add_i32 s0, s0, -1
	s_cmp_eq_u32 s0, 58
	s_cbranch_scc1 .LBB62_400
; %bb.399:
	s_lshl_b32 s0, s0, 3
	s_nop 0
	scratch_load_dwordx2 v[0:1], off, s0
	scratch_load_dwordx2 v[2:3], off, off offset:464
	s_waitcnt vmcnt(1)
	scratch_store_dwordx2 off, v[0:1], off offset:464
	s_waitcnt vmcnt(1)
	scratch_store_dwordx2 off, v[2:3], s0
.LBB62_400:
	v_mov_b32_e32 v0, 0
	global_load_dword v1, v0, s[16:17] offset:228
	s_waitcnt vmcnt(0)
	v_readfirstlane_b32 s0, v1
	s_add_i32 s0, s0, -1
	s_cmp_eq_u32 s0, 57
	s_cbranch_scc1 .LBB62_402
; %bb.401:
	s_lshl_b32 s0, s0, 3
	s_nop 0
	scratch_load_dwordx2 v[2:3], off, s0
	scratch_load_dwordx2 v[4:5], off, off offset:456
	s_waitcnt vmcnt(1)
	scratch_store_dwordx2 off, v[2:3], off offset:456
	s_waitcnt vmcnt(1)
	scratch_store_dwordx2 off, v[4:5], s0
.LBB62_402:
	;; [unrolled: 33-line block ×30, first 2 shown]
	global_load_dword v2, v0, s[16:17]
	s_nop 0
	scratch_load_dwordx2 v[0:1], off, off
	s_waitcnt vmcnt(1)
	v_readfirstlane_b32 s0, v2
	s_add_i32 s0, s0, -1
	s_cmp_eq_u32 s0, 0
	s_cbranch_scc1 .LBB62_516
; %bb.515:
	s_lshl_b32 s0, s0, 3
	s_nop 0
	scratch_load_dwordx2 v[2:3], off, s0
	s_waitcnt vmcnt(0)
	scratch_store_dwordx2 off, v[2:3], off
	scratch_store_dwordx2 off, v[0:1], s0
	scratch_load_dwordx2 v[0:1], off, off
.LBB62_516:
	s_nop 0
	scratch_load_dwordx4 v[2:5], off, off offset:8
	scratch_load_dwordx4 v[6:9], off, off offset:24
	;; [unrolled: 1-line block ×31, first 2 shown]
	v_accvgpr_read_b32 v127, a1
	v_accvgpr_read_b32 v126, a0
	s_waitcnt vmcnt(31)
	global_store_dwordx2 v[126:127], v[0:1], off
	v_accvgpr_read_b32 v0, a2
	v_accvgpr_read_b32 v1, a3
	s_waitcnt vmcnt(31)
	global_store_dwordx2 v[0:1], v[2:3], off
	v_accvgpr_read_b32 v0, a4
	v_accvgpr_read_b32 v1, a5
	global_store_dwordx2 v[0:1], v[4:5], off
	v_accvgpr_read_b32 v0, a6
	v_accvgpr_read_b32 v1, a7
	s_waitcnt vmcnt(32)
	global_store_dwordx2 v[0:1], v[6:7], off
	v_accvgpr_read_b32 v0, a8
	v_accvgpr_read_b32 v1, a9
	;; [unrolled: 7-line block ×27, first 2 shown]
	global_store_dwordx2 v[0:1], v[108:109], off
	s_waitcnt vmcnt(58)
	global_store_dwordx2 v[154:155], v[110:111], off
	global_store_dwordx2 v[156:157], v[112:113], off
	s_waitcnt vmcnt(59)
	global_store_dwordx2 v[158:159], v[114:115], off
	;; [unrolled: 3-line block ×4, first 2 shown]
	global_store_dwordx2 v[168:169], v[124:125], off
	s_endpgm
	.section	.rodata,"a",@progbits
	.p2align	6, 0x0
	.amdhsa_kernel _ZN9rocsolver6v33100L18getri_kernel_smallILi63E19rocblas_complex_numIfEPS3_EEvT1_iilPiilS6_bb
		.amdhsa_group_segment_fixed_size 1016
		.amdhsa_private_segment_fixed_size 512
		.amdhsa_kernarg_size 60
		.amdhsa_user_sgpr_count 2
		.amdhsa_user_sgpr_dispatch_ptr 0
		.amdhsa_user_sgpr_queue_ptr 0
		.amdhsa_user_sgpr_kernarg_segment_ptr 1
		.amdhsa_user_sgpr_dispatch_id 0
		.amdhsa_user_sgpr_kernarg_preload_length 0
		.amdhsa_user_sgpr_kernarg_preload_offset 0
		.amdhsa_user_sgpr_private_segment_size 0
		.amdhsa_uses_dynamic_stack 0
		.amdhsa_enable_private_segment 1
		.amdhsa_system_sgpr_workgroup_id_x 1
		.amdhsa_system_sgpr_workgroup_id_y 0
		.amdhsa_system_sgpr_workgroup_id_z 0
		.amdhsa_system_sgpr_workgroup_info 0
		.amdhsa_system_vgpr_workitem_id 0
		.amdhsa_next_free_vgpr 366
		.amdhsa_next_free_sgpr 20
		.amdhsa_accum_offset 256
		.amdhsa_reserve_vcc 1
		.amdhsa_float_round_mode_32 0
		.amdhsa_float_round_mode_16_64 0
		.amdhsa_float_denorm_mode_32 3
		.amdhsa_float_denorm_mode_16_64 3
		.amdhsa_dx10_clamp 1
		.amdhsa_ieee_mode 1
		.amdhsa_fp16_overflow 0
		.amdhsa_tg_split 0
		.amdhsa_exception_fp_ieee_invalid_op 0
		.amdhsa_exception_fp_denorm_src 0
		.amdhsa_exception_fp_ieee_div_zero 0
		.amdhsa_exception_fp_ieee_overflow 0
		.amdhsa_exception_fp_ieee_underflow 0
		.amdhsa_exception_fp_ieee_inexact 0
		.amdhsa_exception_int_div_zero 0
	.end_amdhsa_kernel
	.section	.text._ZN9rocsolver6v33100L18getri_kernel_smallILi63E19rocblas_complex_numIfEPS3_EEvT1_iilPiilS6_bb,"axG",@progbits,_ZN9rocsolver6v33100L18getri_kernel_smallILi63E19rocblas_complex_numIfEPS3_EEvT1_iilPiilS6_bb,comdat
.Lfunc_end62:
	.size	_ZN9rocsolver6v33100L18getri_kernel_smallILi63E19rocblas_complex_numIfEPS3_EEvT1_iilPiilS6_bb, .Lfunc_end62-_ZN9rocsolver6v33100L18getri_kernel_smallILi63E19rocblas_complex_numIfEPS3_EEvT1_iilPiilS6_bb
                                        ; -- End function
	.set _ZN9rocsolver6v33100L18getri_kernel_smallILi63E19rocblas_complex_numIfEPS3_EEvT1_iilPiilS6_bb.num_vgpr, 256
	.set _ZN9rocsolver6v33100L18getri_kernel_smallILi63E19rocblas_complex_numIfEPS3_EEvT1_iilPiilS6_bb.num_agpr, 110
	.set _ZN9rocsolver6v33100L18getri_kernel_smallILi63E19rocblas_complex_numIfEPS3_EEvT1_iilPiilS6_bb.numbered_sgpr, 20
	.set _ZN9rocsolver6v33100L18getri_kernel_smallILi63E19rocblas_complex_numIfEPS3_EEvT1_iilPiilS6_bb.num_named_barrier, 0
	.set _ZN9rocsolver6v33100L18getri_kernel_smallILi63E19rocblas_complex_numIfEPS3_EEvT1_iilPiilS6_bb.private_seg_size, 512
	.set _ZN9rocsolver6v33100L18getri_kernel_smallILi63E19rocblas_complex_numIfEPS3_EEvT1_iilPiilS6_bb.uses_vcc, 1
	.set _ZN9rocsolver6v33100L18getri_kernel_smallILi63E19rocblas_complex_numIfEPS3_EEvT1_iilPiilS6_bb.uses_flat_scratch, 0
	.set _ZN9rocsolver6v33100L18getri_kernel_smallILi63E19rocblas_complex_numIfEPS3_EEvT1_iilPiilS6_bb.has_dyn_sized_stack, 0
	.set _ZN9rocsolver6v33100L18getri_kernel_smallILi63E19rocblas_complex_numIfEPS3_EEvT1_iilPiilS6_bb.has_recursion, 0
	.set _ZN9rocsolver6v33100L18getri_kernel_smallILi63E19rocblas_complex_numIfEPS3_EEvT1_iilPiilS6_bb.has_indirect_call, 0
	.section	.AMDGPU.csdata,"",@progbits
; Kernel info:
; codeLenInByte = 109012
; TotalNumSgprs: 26
; NumVgprs: 256
; NumAgprs: 110
; TotalNumVgprs: 366
; ScratchSize: 512
; MemoryBound: 0
; FloatMode: 240
; IeeeMode: 1
; LDSByteSize: 1016 bytes/workgroup (compile time only)
; SGPRBlocks: 3
; VGPRBlocks: 45
; NumSGPRsForWavesPerEU: 26
; NumVGPRsForWavesPerEU: 366
; AccumOffset: 256
; Occupancy: 1
; WaveLimiterHint : 1
; COMPUTE_PGM_RSRC2:SCRATCH_EN: 1
; COMPUTE_PGM_RSRC2:USER_SGPR: 2
; COMPUTE_PGM_RSRC2:TRAP_HANDLER: 0
; COMPUTE_PGM_RSRC2:TGID_X_EN: 1
; COMPUTE_PGM_RSRC2:TGID_Y_EN: 0
; COMPUTE_PGM_RSRC2:TGID_Z_EN: 0
; COMPUTE_PGM_RSRC2:TIDIG_COMP_CNT: 0
; COMPUTE_PGM_RSRC3_GFX90A:ACCUM_OFFSET: 63
; COMPUTE_PGM_RSRC3_GFX90A:TG_SPLIT: 0
	.section	.text._ZN9rocsolver6v33100L18getri_kernel_smallILi64E19rocblas_complex_numIfEPS3_EEvT1_iilPiilS6_bb,"axG",@progbits,_ZN9rocsolver6v33100L18getri_kernel_smallILi64E19rocblas_complex_numIfEPS3_EEvT1_iilPiilS6_bb,comdat
	.globl	_ZN9rocsolver6v33100L18getri_kernel_smallILi64E19rocblas_complex_numIfEPS3_EEvT1_iilPiilS6_bb ; -- Begin function _ZN9rocsolver6v33100L18getri_kernel_smallILi64E19rocblas_complex_numIfEPS3_EEvT1_iilPiilS6_bb
	.p2align	8
	.type	_ZN9rocsolver6v33100L18getri_kernel_smallILi64E19rocblas_complex_numIfEPS3_EEvT1_iilPiilS6_bb,@function
_ZN9rocsolver6v33100L18getri_kernel_smallILi64E19rocblas_complex_numIfEPS3_EEvT1_iilPiilS6_bb: ; @_ZN9rocsolver6v33100L18getri_kernel_smallILi64E19rocblas_complex_numIfEPS3_EEvT1_iilPiilS6_bb
; %bb.0:
	v_cmp_gt_u32_e32 vcc, 64, v0
	s_and_saveexec_b64 s[4:5], vcc
	s_cbranch_execz .LBB63_270
; %bb.1:
	s_load_dword s8, s[0:1], 0x38
	s_load_dwordx4 s[12:15], s[0:1], 0x10
	s_load_dwordx4 s[4:7], s[0:1], 0x28
                                        ; implicit-def: $sgpr16_sgpr17
	s_waitcnt lgkmcnt(0)
	s_bitcmp1_b32 s8, 8
	s_cselect_b64 s[18:19], -1, 0
	s_ashr_i32 s3, s2, 31
	s_bfe_u32 s8, s8, 0x10008
	s_cmp_eq_u32 s8, 0
	s_cbranch_scc1 .LBB63_3
; %bb.2:
	s_load_dword s8, s[0:1], 0x20
	s_mul_i32 s9, s4, s3
	s_mul_hi_u32 s10, s4, s2
	s_mul_i32 s5, s5, s2
	s_add_i32 s10, s10, s9
	s_add_i32 s5, s10, s5
	s_mul_i32 s4, s4, s2
	s_waitcnt lgkmcnt(0)
	s_ashr_i32 s9, s8, 31
	s_lshl_b64 s[4:5], s[4:5], 2
	s_add_u32 s10, s14, s4
	s_addc_u32 s11, s15, s5
	s_lshl_b64 s[4:5], s[8:9], 2
	s_add_u32 s16, s10, s4
	s_addc_u32 s17, s11, s5
.LBB63_3:
	s_load_dwordx4 s[8:11], s[0:1], 0x0
	s_load_dword s14, s[0:1], 0x38
	s_mul_i32 s4, s12, s3
	s_mul_hi_u32 s5, s12, s2
	s_add_i32 s4, s5, s4
	s_mul_i32 s5, s13, s2
	s_add_i32 s5, s4, s5
	s_mul_i32 s4, s12, s2
	s_waitcnt lgkmcnt(0)
	s_ashr_i32 s1, s10, 31
	s_lshl_b64 s[4:5], s[4:5], 3
	s_mov_b32 s0, s10
	s_add_u32 s4, s8, s4
	s_addc_u32 s5, s9, s5
	s_lshl_b64 s[0:1], s[0:1], 3
	s_add_u32 s0, s4, s0
	s_addc_u32 s1, s5, s1
	v_lshlrev_b32_e32 v2, 3, v0
	v_mov_b32_e32 v3, 0
	v_lshl_add_u64 v[6:7], s[0:1], 0, v[2:3]
	s_ashr_i32 s5, s11, 31
	s_mov_b32 s4, s11
	v_accvgpr_write_b32 a0, v6
	v_accvgpr_write_b32 a1, v7
	v_lshl_add_u64 v[6:7], s[4:5], 3, v[6:7]
	v_accvgpr_write_b32 a2, v6
	global_load_dwordx2 v[4:5], v2, s[0:1]
	v_accvgpr_write_b32 a3, v7
	global_load_dwordx2 v[6:7], v[6:7], off
	s_add_i32 s4, s11, s11
	s_bitcmp0_b32 s14, 0
	s_waitcnt vmcnt(0)
	scratch_store_dwordx4 off, v[4:7], off
	s_nop 1
	v_add_u32_e32 v4, s4, v0
	v_ashrrev_i32_e32 v5, 31, v4
	v_lshl_add_u64 v[6:7], v[4:5], 3, s[0:1]
	v_add_u32_e32 v4, s11, v4
	v_ashrrev_i32_e32 v5, 31, v4
	v_lshl_add_u64 v[8:9], v[4:5], 3, s[0:1]
	v_accvgpr_write_b32 a4, v6
	v_accvgpr_write_b32 a6, v8
	;; [unrolled: 1-line block ×3, first 2 shown]
	global_load_dwordx2 v[6:7], v[6:7], off
	v_accvgpr_write_b32 a7, v9
	global_load_dwordx2 v[8:9], v[8:9], off
	v_add_u32_e32 v4, s11, v4
	v_ashrrev_i32_e32 v5, 31, v4
	s_mov_b64 s[4:5], -1
	s_waitcnt vmcnt(0)
	scratch_store_dwordx4 off, v[6:9], off offset:16
	s_nop 1
	v_lshl_add_u64 v[6:7], v[4:5], 3, s[0:1]
	v_add_u32_e32 v4, s11, v4
	v_ashrrev_i32_e32 v5, 31, v4
	v_lshl_add_u64 v[8:9], v[4:5], 3, s[0:1]
	v_accvgpr_write_b32 a9, v7
	v_accvgpr_write_b32 a11, v9
	v_accvgpr_write_b32 a8, v6
	global_load_dwordx2 v[6:7], v[6:7], off
	v_accvgpr_write_b32 a10, v8
	global_load_dwordx2 v[8:9], v[8:9], off
	v_add_u32_e32 v4, s11, v4
	v_ashrrev_i32_e32 v5, 31, v4
	s_waitcnt vmcnt(0)
	scratch_store_dwordx4 off, v[6:9], off offset:32
	s_nop 1
	v_lshl_add_u64 v[6:7], v[4:5], 3, s[0:1]
	v_add_u32_e32 v4, s11, v4
	v_ashrrev_i32_e32 v5, 31, v4
	v_lshl_add_u64 v[8:9], v[4:5], 3, s[0:1]
	v_accvgpr_write_b32 a13, v7
	v_accvgpr_write_b32 a15, v9
	v_accvgpr_write_b32 a12, v6
	global_load_dwordx2 v[6:7], v[6:7], off
	v_accvgpr_write_b32 a14, v8
	global_load_dwordx2 v[8:9], v[8:9], off
	v_add_u32_e32 v4, s11, v4
	v_ashrrev_i32_e32 v5, 31, v4
	;; [unrolled: 15-line block ×27, first 2 shown]
	v_lshl_add_u64 v[172:173], v[4:5], 3, s[0:1]
	v_add_u32_e32 v4, s11, v4
	v_ashrrev_i32_e32 v5, 31, v4
	v_lshl_add_u64 v[174:175], v[4:5], 3, s[0:1]
	v_add_u32_e32 v4, s11, v4
	v_ashrrev_i32_e32 v5, 31, v4
	;; [unrolled: 3-line block ×5, first 2 shown]
	v_lshl_add_u64 v[182:183], v[4:5], 3, s[0:1]
	s_waitcnt vmcnt(0)
	scratch_store_dwordx4 off, v[6:9], off offset:448
	global_load_dwordx2 v[6:7], v[172:173], off
	s_nop 0
	global_load_dwordx2 v[8:9], v[174:175], off
	s_waitcnt vmcnt(0)
	scratch_store_dwordx4 off, v[6:9], off offset:464
	global_load_dwordx2 v[6:7], v[176:177], off
	s_nop 0
	global_load_dwordx2 v[8:9], v[178:179], off
	;; [unrolled: 5-line block ×3, first 2 shown]
	s_waitcnt vmcnt(0)
	scratch_store_dwordx4 off, v[6:9], off offset:496
	s_cbranch_scc1 .LBB63_268
; %bb.4:
	v_cmp_eq_u32_e64 s[0:1], 0, v0
	s_and_saveexec_b64 s[4:5], s[0:1]
; %bb.5:
	v_mov_b32_e32 v1, 0
	ds_write_b32 v1, v1 offset:1024
; %bb.6:
	s_or_b64 exec, exec, s[4:5]
	s_waitcnt lgkmcnt(0)
	; wave barrier
	scratch_load_dwordx2 v[4:5], v2, off
	s_waitcnt vmcnt(0)
	v_cmp_eq_f32_e32 vcc, 0, v4
	v_cmp_eq_f32_e64 s[4:5], 0, v5
	s_and_b64 s[4:5], vcc, s[4:5]
	s_and_saveexec_b64 s[8:9], s[4:5]
	s_cbranch_execz .LBB63_10
; %bb.7:
	v_mov_b32_e32 v1, 0
	ds_read_b32 v4, v1 offset:1024
	v_add_u32_e32 v3, 1, v0
	s_waitcnt lgkmcnt(0)
	v_readfirstlane_b32 s4, v4
	s_cmp_eq_u32 s4, 0
	s_cselect_b64 s[10:11], -1, 0
	v_cmp_gt_i32_e32 vcc, s4, v3
	s_or_b64 s[10:11], s[10:11], vcc
	s_and_b64 exec, exec, s[10:11]
	s_cbranch_execz .LBB63_10
; %bb.8:
	s_mov_b64 s[10:11], 0
	v_mov_b32_e32 v4, s4
.LBB63_9:                               ; =>This Inner Loop Header: Depth=1
	ds_cmpst_rtn_b32 v4, v1, v4, v3 offset:1024
	s_waitcnt lgkmcnt(0)
	v_cmp_ne_u32_e32 vcc, 0, v4
	v_cmp_le_i32_e64 s[4:5], v4, v3
	s_and_b64 s[4:5], vcc, s[4:5]
	s_and_b64 s[4:5], exec, s[4:5]
	s_or_b64 s[10:11], s[4:5], s[10:11]
	s_andn2_b64 exec, exec, s[10:11]
	s_cbranch_execnz .LBB63_9
.LBB63_10:
	s_or_b64 exec, exec, s[8:9]
	v_mov_b32_e32 v3, 0
	; wave barrier
	ds_read_b32 v1, v3 offset:1024
	s_and_saveexec_b64 s[4:5], s[0:1]
	s_cbranch_execz .LBB63_12
; %bb.11:
	s_lshl_b64 s[8:9], s[2:3], 2
	s_add_u32 s8, s6, s8
	s_addc_u32 s9, s7, s9
	s_waitcnt lgkmcnt(0)
	global_store_dword v3, v1, s[8:9]
.LBB63_12:
	s_or_b64 exec, exec, s[4:5]
	s_waitcnt lgkmcnt(0)
	v_cmp_ne_u32_e32 vcc, 0, v1
	s_mov_b64 s[4:5], 0
	s_cbranch_vccnz .LBB63_268
; %bb.13:
	v_mov_b32_e32 v3, v2
	scratch_load_dwordx2 v[4:5], v3, off
                                        ; implicit-def: $vgpr7
                                        ; implicit-def: $vgpr8
	s_waitcnt vmcnt(0)
	v_cmp_ngt_f32_e64 s[4:5], |v4|, |v5|
	s_and_saveexec_b64 s[8:9], s[4:5]
	s_xor_b64 s[4:5], exec, s[8:9]
	s_cbranch_execz .LBB63_15
; %bb.14:
	v_div_scale_f32 v1, s[8:9], v5, v5, v4
	v_rcp_f32_e32 v6, v1
	v_div_scale_f32 v7, vcc, v4, v5, v4
	v_fma_f32 v8, -v1, v6, 1.0
	v_fmac_f32_e32 v6, v8, v6
	v_mul_f32_e32 v8, v7, v6
	v_fma_f32 v9, -v1, v8, v7
	v_fmac_f32_e32 v8, v9, v6
	v_fma_f32 v1, -v1, v8, v7
	v_div_fmas_f32 v1, v1, v6, v8
	v_div_fixup_f32 v1, v1, v5, v4
	v_fmac_f32_e32 v5, v4, v1
	v_div_scale_f32 v4, s[8:9], v5, v5, -1.0
	v_rcp_f32_e32 v6, v4
	s_nop 0
	v_fma_f32 v7, -v4, v6, 1.0
	v_fmac_f32_e32 v6, v7, v6
	v_div_scale_f32 v7, vcc, -1.0, v5, -1.0
	v_mul_f32_e32 v8, v7, v6
	v_fma_f32 v9, -v4, v8, v7
	v_fmac_f32_e32 v8, v9, v6
	v_fma_f32 v4, -v4, v8, v7
	v_div_fmas_f32 v4, v4, v6, v8
	v_div_fixup_f32 v7, v4, v5, -1.0
	v_mul_f32_e32 v8, v1, v7
	v_xor_b32_e32 v6, 0x80000000, v8
                                        ; implicit-def: $vgpr4_vgpr5
.LBB63_15:
	s_andn2_saveexec_b64 s[4:5], s[4:5]
	s_cbranch_execz .LBB63_17
; %bb.16:
	v_div_scale_f32 v1, s[8:9], v4, v4, v5
	v_rcp_f32_e32 v6, v1
	v_div_scale_f32 v7, vcc, v5, v4, v5
	v_fma_f32 v8, -v1, v6, 1.0
	v_fmac_f32_e32 v6, v8, v6
	v_mul_f32_e32 v8, v7, v6
	v_fma_f32 v9, -v1, v8, v7
	v_fmac_f32_e32 v8, v9, v6
	v_fma_f32 v1, -v1, v8, v7
	v_div_fmas_f32 v1, v1, v6, v8
	v_div_fixup_f32 v1, v1, v4, v5
	v_fmac_f32_e32 v4, v5, v1
	v_div_scale_f32 v5, s[8:9], v4, v4, 1.0
	v_rcp_f32_e32 v6, v5
	s_nop 0
	v_fma_f32 v7, -v5, v6, 1.0
	v_fmac_f32_e32 v6, v7, v6
	v_div_scale_f32 v7, vcc, 1.0, v4, 1.0
	v_mul_f32_e32 v8, v7, v6
	v_fma_f32 v9, -v5, v8, v7
	v_fmac_f32_e32 v8, v9, v6
	v_fma_f32 v5, -v5, v8, v7
	v_div_fmas_f32 v5, v5, v6, v8
	v_div_fixup_f32 v6, v5, v4, 1.0
	v_xor_b32_e32 v8, 0x80000000, v6
	v_mul_f32_e64 v7, v1, -v6
.LBB63_17:
	s_or_b64 exec, exec, s[4:5]
	scratch_store_dwordx2 v3, v[6:7], off
	scratch_load_dwordx2 v[4:5], off, off offset:8
	v_xor_b32_e32 v9, 0x80000000, v7
	v_or_b32_e32 v1, 0x200, v2
	s_waitcnt vmcnt(0)
	ds_write2st64_b64 v2, v[8:9], v[4:5] offset1:1
	s_waitcnt lgkmcnt(0)
	; wave barrier
	s_and_saveexec_b64 s[4:5], s[0:1]
	s_cbranch_execz .LBB63_19
; %bb.18:
	scratch_load_dwordx2 v[4:5], v3, off
	ds_read_b64 v[6:7], v1
	v_mov_b32_e32 v8, 0
	ds_read_b64 v[8:9], v8 offset:8
	s_waitcnt vmcnt(0) lgkmcnt(1)
	v_pk_mul_f32 v[10:11], v[6:7], v[4:5] op_sel:[1,1] op_sel_hi:[0,1]
	v_pk_fma_f32 v[12:13], v[6:7], v[4:5], v[10:11] neg_lo:[0,0,1] neg_hi:[0,0,1]
	v_pk_fma_f32 v[4:5], v[6:7], v[4:5], v[10:11] op_sel_hi:[1,0,1]
	s_nop 0
	v_mov_b32_e32 v13, v5
	v_pk_add_f32 v[4:5], v[12:13], 0 op_sel_hi:[1,0]
	s_waitcnt lgkmcnt(0)
	v_pk_mul_f32 v[6:7], v[4:5], v[8:9] op_sel:[1,1] op_sel_hi:[0,1]
	v_pk_fma_f32 v[10:11], v[4:5], v[8:9], v[6:7] neg_lo:[0,0,1] neg_hi:[0,0,1]
	v_pk_fma_f32 v[4:5], v[4:5], v[8:9], v[6:7] op_sel_hi:[1,0,1]
	s_nop 0
	v_mov_b32_e32 v11, v5
	scratch_store_dwordx2 off, v[10:11], off offset:8
.LBB63_19:
	s_or_b64 exec, exec, s[4:5]
	; wave barrier
	scratch_load_dwordx2 v[4:5], off, off offset:16
	v_cmp_gt_u32_e32 vcc, 2, v0
	s_waitcnt vmcnt(0)
	ds_write_b64 v1, v[4:5]
	s_waitcnt lgkmcnt(0)
	; wave barrier
	s_and_saveexec_b64 s[4:5], vcc
	s_cbranch_execz .LBB63_23
; %bb.20:
	scratch_load_dwordx2 v[4:5], v3, off
	ds_read_b64 v[6:7], v1
	s_waitcnt vmcnt(0) lgkmcnt(0)
	v_pk_mul_f32 v[8:9], v[6:7], v[4:5] op_sel:[1,1] op_sel_hi:[0,1]
	v_pk_fma_f32 v[10:11], v[6:7], v[4:5], v[8:9] neg_lo:[0,0,1] neg_hi:[0,0,1]
	v_pk_fma_f32 v[4:5], v[6:7], v[4:5], v[8:9] op_sel_hi:[1,0,1]
	s_nop 0
	v_mov_b32_e32 v11, v5
	v_pk_add_f32 v[4:5], v[10:11], 0 op_sel_hi:[1,0]
	s_and_saveexec_b64 s[8:9], s[0:1]
	s_cbranch_execz .LBB63_22
; %bb.21:
	scratch_load_dwordx2 v[6:7], off, off offset:8
	v_mov_b32_e32 v3, 0
	ds_read_b64 v[8:9], v3 offset:520
	s_waitcnt vmcnt(0) lgkmcnt(0)
	v_pk_mul_f32 v[10:11], v[8:9], v[6:7] op_sel:[1,1] op_sel_hi:[0,1]
	v_pk_fma_f32 v[12:13], v[8:9], v[6:7], v[10:11] neg_lo:[0,0,1] neg_hi:[0,0,1]
	v_pk_fma_f32 v[6:7], v[8:9], v[6:7], v[10:11] op_sel_hi:[1,0,1]
	s_nop 0
	v_mov_b32_e32 v13, v7
	v_pk_add_f32 v[4:5], v[4:5], v[12:13]
.LBB63_22:
	s_or_b64 exec, exec, s[8:9]
	v_mov_b32_e32 v3, 0
	ds_read_b64 v[6:7], v3 offset:16
	s_waitcnt lgkmcnt(0)
	v_pk_mul_f32 v[8:9], v[4:5], v[6:7] op_sel:[1,1] op_sel_hi:[0,1]
	v_pk_fma_f32 v[10:11], v[4:5], v[6:7], v[8:9] neg_lo:[0,0,1] neg_hi:[0,0,1]
	v_pk_fma_f32 v[4:5], v[4:5], v[6:7], v[8:9] op_sel_hi:[1,0,1]
	s_nop 0
	v_mov_b32_e32 v11, v5
	scratch_store_dwordx2 off, v[10:11], off offset:16
.LBB63_23:
	s_or_b64 exec, exec, s[4:5]
	; wave barrier
	scratch_load_dwordx2 v[4:5], off, off offset:24
	v_cmp_gt_u32_e32 vcc, 3, v0
	v_add_u32_e32 v6, -1, v0
	s_waitcnt vmcnt(0)
	ds_write_b64 v1, v[4:5]
	s_waitcnt lgkmcnt(0)
	; wave barrier
	s_and_saveexec_b64 s[0:1], vcc
	s_cbranch_execz .LBB63_27
; %bb.24:
	v_mov_b32_e32 v4, 0
	v_add_u32_e32 v3, -1, v0
	v_or_b32_e32 v7, 0x200, v2
	v_mov_b32_e32 v8, v2
	s_mov_b64 s[4:5], 0
	v_mov_b32_e32 v5, v4
.LBB63_25:                              ; =>This Inner Loop Header: Depth=1
	scratch_load_dwordx2 v[10:11], v8, off
	ds_read_b64 v[12:13], v7
	v_add_u32_e32 v3, 1, v3
	v_cmp_lt_u32_e32 vcc, 1, v3
	v_add_u32_e32 v7, 8, v7
	v_add_u32_e32 v8, 8, v8
	s_or_b64 s[4:5], vcc, s[4:5]
	s_waitcnt vmcnt(0) lgkmcnt(0)
	v_pk_mul_f32 v[14:15], v[12:13], v[10:11] op_sel:[1,1] op_sel_hi:[0,1]
	v_pk_fma_f32 v[16:17], v[12:13], v[10:11], v[14:15] neg_lo:[0,0,1] neg_hi:[0,0,1]
	v_pk_fma_f32 v[10:11], v[12:13], v[10:11], v[14:15] op_sel_hi:[1,0,1]
	s_nop 0
	v_mov_b32_e32 v17, v11
	v_pk_add_f32 v[4:5], v[4:5], v[16:17]
	s_andn2_b64 exec, exec, s[4:5]
	s_cbranch_execnz .LBB63_25
; %bb.26:
	s_or_b64 exec, exec, s[4:5]
	v_mov_b32_e32 v3, 0
	ds_read_b64 v[8:9], v3 offset:24
	s_waitcnt lgkmcnt(0)
	v_pk_mul_f32 v[10:11], v[4:5], v[8:9] op_sel:[1,1] op_sel_hi:[0,1]
	v_pk_fma_f32 v[12:13], v[4:5], v[8:9], v[10:11] neg_lo:[0,0,1] neg_hi:[0,0,1]
	v_pk_fma_f32 v[4:5], v[4:5], v[8:9], v[10:11] op_sel_hi:[1,0,1]
	s_nop 0
	v_mov_b32_e32 v13, v5
	scratch_store_dwordx2 off, v[12:13], off offset:24
.LBB63_27:
	s_or_b64 exec, exec, s[0:1]
	; wave barrier
	scratch_load_dwordx2 v[4:5], off, off offset:32
	v_cmp_gt_u32_e32 vcc, 4, v0
	s_waitcnt vmcnt(0)
	ds_write_b64 v1, v[4:5]
	s_waitcnt lgkmcnt(0)
	; wave barrier
	s_and_saveexec_b64 s[0:1], vcc
	s_cbranch_execz .LBB63_31
; %bb.28:
	v_mov_b32_e32 v4, 0
	v_add_u32_e32 v3, -1, v0
	v_or_b32_e32 v7, 0x200, v2
	v_mov_b32_e32 v8, v2
	s_mov_b64 s[4:5], 0
	v_mov_b32_e32 v5, v4
.LBB63_29:                              ; =>This Inner Loop Header: Depth=1
	scratch_load_dwordx2 v[10:11], v8, off
	ds_read_b64 v[12:13], v7
	v_add_u32_e32 v3, 1, v3
	v_cmp_lt_u32_e32 vcc, 2, v3
	v_add_u32_e32 v7, 8, v7
	v_add_u32_e32 v8, 8, v8
	s_or_b64 s[4:5], vcc, s[4:5]
	s_waitcnt vmcnt(0) lgkmcnt(0)
	v_pk_mul_f32 v[14:15], v[12:13], v[10:11] op_sel:[1,1] op_sel_hi:[0,1]
	v_pk_fma_f32 v[16:17], v[12:13], v[10:11], v[14:15] neg_lo:[0,0,1] neg_hi:[0,0,1]
	v_pk_fma_f32 v[10:11], v[12:13], v[10:11], v[14:15] op_sel_hi:[1,0,1]
	s_nop 0
	v_mov_b32_e32 v17, v11
	v_pk_add_f32 v[4:5], v[4:5], v[16:17]
	s_andn2_b64 exec, exec, s[4:5]
	s_cbranch_execnz .LBB63_29
; %bb.30:
	s_or_b64 exec, exec, s[4:5]
	v_mov_b32_e32 v3, 0
	ds_read_b64 v[8:9], v3 offset:32
	s_waitcnt lgkmcnt(0)
	v_pk_mul_f32 v[10:11], v[4:5], v[8:9] op_sel:[1,1] op_sel_hi:[0,1]
	v_pk_fma_f32 v[12:13], v[4:5], v[8:9], v[10:11] neg_lo:[0,0,1] neg_hi:[0,0,1]
	v_pk_fma_f32 v[4:5], v[4:5], v[8:9], v[10:11] op_sel_hi:[1,0,1]
	s_nop 0
	v_mov_b32_e32 v13, v5
	scratch_store_dwordx2 off, v[12:13], off offset:32
.LBB63_31:
	s_or_b64 exec, exec, s[0:1]
	; wave barrier
	scratch_load_dwordx2 v[4:5], off, off offset:40
	v_cmp_gt_u32_e32 vcc, 5, v0
	;; [unrolled: 46-line block ×19, first 2 shown]
	s_waitcnt vmcnt(0)
	ds_write_b64 v1, v[4:5]
	s_waitcnt lgkmcnt(0)
	; wave barrier
	s_and_saveexec_b64 s[0:1], vcc
	s_cbranch_execz .LBB63_103
; %bb.100:
	v_mov_b32_e32 v4, 0
	v_add_u32_e32 v3, -1, v0
	v_or_b32_e32 v7, 0x200, v2
	v_mov_b32_e32 v8, v2
	s_mov_b64 s[4:5], 0
	v_mov_b32_e32 v5, v4
.LBB63_101:                             ; =>This Inner Loop Header: Depth=1
	scratch_load_dwordx2 v[10:11], v8, off
	ds_read_b64 v[12:13], v7
	v_add_u32_e32 v3, 1, v3
	v_cmp_lt_u32_e32 vcc, 20, v3
	v_add_u32_e32 v7, 8, v7
	v_add_u32_e32 v8, 8, v8
	s_or_b64 s[4:5], vcc, s[4:5]
	s_waitcnt vmcnt(0) lgkmcnt(0)
	v_pk_mul_f32 v[14:15], v[12:13], v[10:11] op_sel:[1,1] op_sel_hi:[0,1]
	v_pk_fma_f32 v[16:17], v[12:13], v[10:11], v[14:15] neg_lo:[0,0,1] neg_hi:[0,0,1]
	v_pk_fma_f32 v[10:11], v[12:13], v[10:11], v[14:15] op_sel_hi:[1,0,1]
	s_nop 0
	v_mov_b32_e32 v17, v11
	v_pk_add_f32 v[4:5], v[4:5], v[16:17]
	s_andn2_b64 exec, exec, s[4:5]
	s_cbranch_execnz .LBB63_101
; %bb.102:
	s_or_b64 exec, exec, s[4:5]
	v_mov_b32_e32 v3, 0
	ds_read_b64 v[8:9], v3 offset:176
	s_waitcnt lgkmcnt(0)
	v_pk_mul_f32 v[10:11], v[4:5], v[8:9] op_sel:[1,1] op_sel_hi:[0,1]
	v_pk_fma_f32 v[12:13], v[4:5], v[8:9], v[10:11] neg_lo:[0,0,1] neg_hi:[0,0,1]
	v_pk_fma_f32 v[4:5], v[4:5], v[8:9], v[10:11] op_sel_hi:[1,0,1]
	s_nop 0
	v_mov_b32_e32 v13, v5
	scratch_store_dwordx2 off, v[12:13], off offset:176
.LBB63_103:
	s_or_b64 exec, exec, s[0:1]
	; wave barrier
	scratch_load_dwordx2 v[4:5], off, off offset:184
	v_cmp_gt_u32_e32 vcc, 23, v0
	s_waitcnt vmcnt(0)
	ds_write_b64 v1, v[4:5]
	s_waitcnt lgkmcnt(0)
	; wave barrier
	s_and_saveexec_b64 s[0:1], vcc
	s_cbranch_execz .LBB63_107
; %bb.104:
	v_mov_b32_e32 v4, 0
	v_add_u32_e32 v3, -1, v0
	v_or_b32_e32 v7, 0x200, v2
	v_mov_b32_e32 v8, v2
	s_mov_b64 s[4:5], 0
	v_mov_b32_e32 v5, v4
.LBB63_105:                             ; =>This Inner Loop Header: Depth=1
	scratch_load_dwordx2 v[10:11], v8, off
	ds_read_b64 v[12:13], v7
	v_add_u32_e32 v3, 1, v3
	v_cmp_lt_u32_e32 vcc, 21, v3
	v_add_u32_e32 v7, 8, v7
	v_add_u32_e32 v8, 8, v8
	s_or_b64 s[4:5], vcc, s[4:5]
	s_waitcnt vmcnt(0) lgkmcnt(0)
	v_pk_mul_f32 v[14:15], v[12:13], v[10:11] op_sel:[1,1] op_sel_hi:[0,1]
	v_pk_fma_f32 v[16:17], v[12:13], v[10:11], v[14:15] neg_lo:[0,0,1] neg_hi:[0,0,1]
	v_pk_fma_f32 v[10:11], v[12:13], v[10:11], v[14:15] op_sel_hi:[1,0,1]
	s_nop 0
	v_mov_b32_e32 v17, v11
	v_pk_add_f32 v[4:5], v[4:5], v[16:17]
	s_andn2_b64 exec, exec, s[4:5]
	s_cbranch_execnz .LBB63_105
; %bb.106:
	s_or_b64 exec, exec, s[4:5]
	v_mov_b32_e32 v3, 0
	ds_read_b64 v[8:9], v3 offset:184
	s_waitcnt lgkmcnt(0)
	v_pk_mul_f32 v[10:11], v[4:5], v[8:9] op_sel:[1,1] op_sel_hi:[0,1]
	v_pk_fma_f32 v[12:13], v[4:5], v[8:9], v[10:11] neg_lo:[0,0,1] neg_hi:[0,0,1]
	v_pk_fma_f32 v[4:5], v[4:5], v[8:9], v[10:11] op_sel_hi:[1,0,1]
	s_nop 0
	v_mov_b32_e32 v13, v5
	scratch_store_dwordx2 off, v[12:13], off offset:184
.LBB63_107:
	s_or_b64 exec, exec, s[0:1]
	; wave barrier
	scratch_load_dwordx2 v[4:5], off, off offset:192
	v_cmp_gt_u32_e32 vcc, 24, v0
	;; [unrolled: 46-line block ×40, first 2 shown]
	s_waitcnt vmcnt(0)
	ds_write_b64 v1, v[4:5]
	s_waitcnt lgkmcnt(0)
	; wave barrier
	s_and_saveexec_b64 s[0:1], vcc
	s_cbranch_execz .LBB63_263
; %bb.260:
	v_mov_b32_e32 v4, 0
	v_add_u32_e32 v3, -1, v0
	v_or_b32_e32 v7, 0x200, v2
	v_mov_b32_e32 v8, v2
	s_mov_b64 s[4:5], 0
	v_mov_b32_e32 v5, v4
.LBB63_261:                             ; =>This Inner Loop Header: Depth=1
	scratch_load_dwordx2 v[10:11], v8, off
	ds_read_b64 v[12:13], v7
	v_add_u32_e32 v3, 1, v3
	v_cmp_lt_u32_e32 vcc, 60, v3
	v_add_u32_e32 v7, 8, v7
	v_add_u32_e32 v8, 8, v8
	s_or_b64 s[4:5], vcc, s[4:5]
	s_waitcnt vmcnt(0) lgkmcnt(0)
	v_pk_mul_f32 v[14:15], v[12:13], v[10:11] op_sel:[1,1] op_sel_hi:[0,1]
	v_pk_fma_f32 v[16:17], v[12:13], v[10:11], v[14:15] neg_lo:[0,0,1] neg_hi:[0,0,1]
	v_pk_fma_f32 v[10:11], v[12:13], v[10:11], v[14:15] op_sel_hi:[1,0,1]
	s_nop 0
	v_mov_b32_e32 v17, v11
	v_pk_add_f32 v[4:5], v[4:5], v[16:17]
	s_andn2_b64 exec, exec, s[4:5]
	s_cbranch_execnz .LBB63_261
; %bb.262:
	s_or_b64 exec, exec, s[4:5]
	v_mov_b32_e32 v3, 0
	ds_read_b64 v[8:9], v3 offset:496
	s_waitcnt lgkmcnt(0)
	v_pk_mul_f32 v[10:11], v[4:5], v[8:9] op_sel:[1,1] op_sel_hi:[0,1]
	v_pk_fma_f32 v[12:13], v[4:5], v[8:9], v[10:11] neg_lo:[0,0,1] neg_hi:[0,0,1]
	v_pk_fma_f32 v[4:5], v[4:5], v[8:9], v[10:11] op_sel_hi:[1,0,1]
	s_nop 0
	v_mov_b32_e32 v13, v5
	scratch_store_dwordx2 off, v[12:13], off offset:496
.LBB63_263:
	s_or_b64 exec, exec, s[0:1]
	; wave barrier
	scratch_load_dwordx2 v[4:5], off, off offset:504
	v_cmp_ne_u32_e32 vcc, 63, v0
	s_waitcnt vmcnt(0)
	ds_write_b64 v1, v[4:5]
	s_waitcnt lgkmcnt(0)
	; wave barrier
	s_and_saveexec_b64 s[0:1], vcc
	s_cbranch_execz .LBB63_267
; %bb.264:
	v_or_b32_e32 v1, 0x200, v2
	v_mov_b32_e32 v4, v2
	v_mov_b32_e32 v2, 0
	s_mov_b64 s[4:5], 0
	v_mov_b32_e32 v3, v2
.LBB63_265:                             ; =>This Inner Loop Header: Depth=1
	scratch_load_dwordx2 v[8:9], v4, off
	ds_read_b64 v[10:11], v1
	v_add_u32_e32 v6, 1, v6
	v_cmp_lt_u32_e32 vcc, 61, v6
	v_add_u32_e32 v1, 8, v1
	v_add_u32_e32 v4, 8, v4
	s_or_b64 s[4:5], vcc, s[4:5]
	s_waitcnt vmcnt(0) lgkmcnt(0)
	v_pk_mul_f32 v[12:13], v[10:11], v[8:9] op_sel:[1,1] op_sel_hi:[0,1]
	v_pk_fma_f32 v[14:15], v[10:11], v[8:9], v[12:13] neg_lo:[0,0,1] neg_hi:[0,0,1]
	v_pk_fma_f32 v[8:9], v[10:11], v[8:9], v[12:13] op_sel_hi:[1,0,1]
	s_nop 0
	v_mov_b32_e32 v15, v9
	v_pk_add_f32 v[2:3], v[2:3], v[14:15]
	s_andn2_b64 exec, exec, s[4:5]
	s_cbranch_execnz .LBB63_265
; %bb.266:
	s_or_b64 exec, exec, s[4:5]
	v_mov_b32_e32 v1, 0
	ds_read_b64 v[4:5], v1 offset:504
	s_waitcnt lgkmcnt(0)
	v_pk_mul_f32 v[6:7], v[2:3], v[4:5] op_sel:[1,1] op_sel_hi:[0,1]
	v_pk_fma_f32 v[8:9], v[2:3], v[4:5], v[6:7] neg_lo:[0,0,1] neg_hi:[0,0,1]
	v_pk_fma_f32 v[2:3], v[2:3], v[4:5], v[6:7] op_sel_hi:[1,0,1]
	s_nop 0
	v_mov_b32_e32 v9, v3
	scratch_store_dwordx2 off, v[8:9], off offset:504
.LBB63_267:
	s_or_b64 exec, exec, s[0:1]
	s_mov_b64 s[4:5], -1
	; wave barrier
.LBB63_268:
	s_and_b64 vcc, exec, s[4:5]
	s_cbranch_vccz .LBB63_270
; %bb.269:
	s_lshl_b64 s[0:1], s[2:3], 2
	s_add_u32 s0, s6, s0
	s_addc_u32 s1, s7, s1
	v_mov_b32_e32 v1, 0
	global_load_dword v1, v1, s[0:1]
	s_waitcnt vmcnt(0)
	v_cmp_ne_u32_e32 vcc, 0, v1
	s_cbranch_vccz .LBB63_271
.LBB63_270:
	s_endpgm
.LBB63_271:
	v_mov_b32_e32 v1, 0x200
	v_lshl_or_b32 v1, v0, 3, v1
	v_cmp_eq_u32_e32 vcc, 63, v0
	s_and_saveexec_b64 s[0:1], vcc
	s_cbranch_execz .LBB63_273
; %bb.272:
	scratch_load_dwordx2 v[2:3], off, off offset:496
	v_mov_b32_e32 v4, 0
	v_mov_b32_e32 v5, v4
	scratch_store_dwordx2 off, v[4:5], off offset:496
	s_waitcnt vmcnt(1)
	ds_write_b64 v1, v[2:3]
.LBB63_273:
	s_or_b64 exec, exec, s[0:1]
	s_waitcnt lgkmcnt(0)
	; wave barrier
	scratch_load_dwordx2 v[4:5], off, off offset:504
	scratch_load_dwordx2 v[6:7], off, off offset:496
	v_mov_b32_e32 v2, 0
	ds_read_b64 v[8:9], v2 offset:1016
	v_cmp_lt_u32_e32 vcc, 61, v0
	s_waitcnt vmcnt(1) lgkmcnt(0)
	v_pk_mul_f32 v[10:11], v[8:9], v[4:5] op_sel:[1,1] op_sel_hi:[0,1]
	v_pk_fma_f32 v[12:13], v[8:9], v[4:5], v[10:11] neg_lo:[0,0,1] neg_hi:[0,0,1]
	v_pk_fma_f32 v[4:5], v[8:9], v[4:5], v[10:11] op_sel_hi:[1,0,1]
	s_nop 0
	v_mov_b32_e32 v13, v5
	v_pk_add_f32 v[4:5], v[12:13], 0 op_sel_hi:[1,0]
	s_waitcnt vmcnt(0)
	v_pk_add_f32 v[4:5], v[6:7], v[4:5] neg_lo:[0,1] neg_hi:[0,1]
	scratch_store_dwordx2 off, v[4:5], off offset:496
	s_and_saveexec_b64 s[0:1], vcc
	s_cbranch_execz .LBB63_275
; %bb.274:
	scratch_load_dwordx2 v[4:5], off, off offset:488
	v_mov_b32_e32 v3, v2
	scratch_store_dwordx2 off, v[2:3], off offset:488
	s_waitcnt vmcnt(1)
	ds_write_b64 v1, v[4:5]
.LBB63_275:
	s_or_b64 exec, exec, s[0:1]
	s_waitcnt lgkmcnt(0)
	; wave barrier
	scratch_load_dwordx4 v[4:7], off, off offset:496
	scratch_load_dwordx2 v[12:13], off, off offset:488
	ds_read_b128 v[8:11], v2 offset:1008
	v_cmp_lt_u32_e32 vcc, 60, v0
	s_waitcnt vmcnt(1) lgkmcnt(0)
	v_pk_mul_f32 v[2:3], v[8:9], v[4:5] op_sel:[1,1] op_sel_hi:[0,1]
	v_mov_b32_e32 v14, v7
	v_pk_fma_f32 v[16:17], v[8:9], v[4:5], v[2:3] neg_lo:[0,0,1] neg_hi:[0,0,1]
	v_pk_fma_f32 v[2:3], v[8:9], v[4:5], v[2:3] op_sel_hi:[1,0,1]
	v_pk_mul_f32 v[4:5], v[10:11], v[14:15] op_sel:[1,0] op_sel_hi:[0,0]
	v_mov_b32_e32 v17, v3
	v_pk_fma_f32 v[2:3], v[10:11], v[6:7], v[4:5] neg_lo:[0,0,1] neg_hi:[0,0,1]
	v_pk_fma_f32 v[4:5], v[10:11], v[6:7], v[4:5] op_sel_hi:[1,0,1]
	v_pk_add_f32 v[6:7], v[16:17], 0 op_sel_hi:[1,0]
	v_mov_b32_e32 v3, v5
	v_pk_add_f32 v[2:3], v[6:7], v[2:3]
	s_waitcnt vmcnt(0)
	v_pk_add_f32 v[2:3], v[12:13], v[2:3] neg_lo:[0,1] neg_hi:[0,1]
	scratch_store_dwordx2 off, v[2:3], off offset:488
	s_and_saveexec_b64 s[0:1], vcc
	s_cbranch_execz .LBB63_277
; %bb.276:
	scratch_load_dwordx2 v[2:3], off, off offset:480
	v_mov_b32_e32 v4, 0
	v_mov_b32_e32 v5, v4
	scratch_store_dwordx2 off, v[4:5], off offset:480
	s_waitcnt vmcnt(1)
	ds_write_b64 v1, v[2:3]
.LBB63_277:
	s_or_b64 exec, exec, s[0:1]
	s_waitcnt lgkmcnt(0)
	; wave barrier
	scratch_load_dwordx4 v[4:7], off, off offset:488
	scratch_load_dwordx2 v[12:13], off, off offset:504
	scratch_load_dwordx2 v[14:15], off, off offset:480
	v_mov_b32_e32 v2, 0
	ds_read2_b64 v[8:11], v2 offset0:125 offset1:126
	ds_read_b64 v[16:17], v2 offset:1016
	v_cmp_lt_u32_e32 vcc, 59, v0
	s_waitcnt vmcnt(2) lgkmcnt(1)
	v_pk_mul_f32 v[18:19], v[8:9], v[4:5] op_sel:[1,1] op_sel_hi:[0,1]
	v_mov_b32_e32 v20, v7
	v_pk_fma_f32 v[24:25], v[8:9], v[4:5], v[18:19] neg_lo:[0,0,1] neg_hi:[0,0,1]
	v_pk_fma_f32 v[4:5], v[8:9], v[4:5], v[18:19] op_sel_hi:[1,0,1]
	v_pk_mul_f32 v[8:9], v[10:11], v[20:21] op_sel:[1,0] op_sel_hi:[0,0]
	s_waitcnt vmcnt(1) lgkmcnt(0)
	v_pk_mul_f32 v[22:23], v[16:17], v[12:13] op_sel:[1,1] op_sel_hi:[0,1]
	v_mov_b32_e32 v25, v5
	v_pk_fma_f32 v[4:5], v[10:11], v[6:7], v[8:9] neg_lo:[0,0,1] neg_hi:[0,0,1]
	v_pk_fma_f32 v[6:7], v[10:11], v[6:7], v[8:9] op_sel_hi:[1,0,1]
	v_pk_fma_f32 v[18:19], v[16:17], v[12:13], v[22:23] neg_lo:[0,0,1] neg_hi:[0,0,1]
	v_pk_fma_f32 v[12:13], v[16:17], v[12:13], v[22:23] op_sel_hi:[1,0,1]
	v_pk_add_f32 v[8:9], v[24:25], 0 op_sel_hi:[1,0]
	v_mov_b32_e32 v5, v7
	v_mov_b32_e32 v19, v13
	v_pk_add_f32 v[4:5], v[8:9], v[4:5]
	s_nop 0
	v_pk_add_f32 v[4:5], v[4:5], v[18:19]
	s_waitcnt vmcnt(0)
	v_pk_add_f32 v[4:5], v[14:15], v[4:5] neg_lo:[0,1] neg_hi:[0,1]
	scratch_store_dwordx2 off, v[4:5], off offset:480
	s_and_saveexec_b64 s[0:1], vcc
	s_cbranch_execz .LBB63_279
; %bb.278:
	scratch_load_dwordx2 v[4:5], off, off offset:472
	v_mov_b32_e32 v3, v2
	scratch_store_dwordx2 off, v[2:3], off offset:472
	s_waitcnt vmcnt(1)
	ds_write_b64 v1, v[4:5]
.LBB63_279:
	s_or_b64 exec, exec, s[0:1]
	s_waitcnt lgkmcnt(0)
	; wave barrier
	scratch_load_dwordx4 v[4:7], off, off offset:480
	scratch_load_dwordx4 v[8:11], off, off offset:496
	scratch_load_dwordx2 v[20:21], off, off offset:472
	ds_read_b128 v[12:15], v2 offset:992
	ds_read_b128 v[16:19], v2 offset:1008
	v_cmp_lt_u32_e32 vcc, 58, v0
	s_waitcnt vmcnt(2) lgkmcnt(1)
	v_pk_mul_f32 v[2:3], v[12:13], v[4:5] op_sel:[1,1] op_sel_hi:[0,1]
	v_mov_b32_e32 v22, v7
	s_waitcnt vmcnt(1) lgkmcnt(0)
	v_pk_mul_f32 v[24:25], v[16:17], v[8:9] op_sel:[1,1] op_sel_hi:[0,1]
	v_mov_b32_e32 v26, v11
	v_pk_fma_f32 v[28:29], v[12:13], v[4:5], v[2:3] neg_lo:[0,0,1] neg_hi:[0,0,1]
	v_pk_fma_f32 v[2:3], v[12:13], v[4:5], v[2:3] op_sel_hi:[1,0,1]
	v_pk_mul_f32 v[4:5], v[14:15], v[22:23] op_sel:[1,0] op_sel_hi:[0,0]
	v_pk_fma_f32 v[12:13], v[16:17], v[8:9], v[24:25] neg_lo:[0,0,1] neg_hi:[0,0,1]
	v_pk_fma_f32 v[8:9], v[16:17], v[8:9], v[24:25] op_sel_hi:[1,0,1]
	v_pk_mul_f32 v[16:17], v[18:19], v[26:27] op_sel:[1,0] op_sel_hi:[0,0]
	v_mov_b32_e32 v29, v3
	v_pk_fma_f32 v[2:3], v[14:15], v[6:7], v[4:5] neg_lo:[0,0,1] neg_hi:[0,0,1]
	v_pk_fma_f32 v[4:5], v[14:15], v[6:7], v[4:5] op_sel_hi:[1,0,1]
	v_mov_b32_e32 v13, v9
	v_pk_fma_f32 v[6:7], v[18:19], v[10:11], v[16:17] neg_lo:[0,0,1] neg_hi:[0,0,1]
	v_pk_fma_f32 v[8:9], v[18:19], v[10:11], v[16:17] op_sel_hi:[1,0,1]
	v_pk_add_f32 v[10:11], v[28:29], 0 op_sel_hi:[1,0]
	v_mov_b32_e32 v3, v5
	v_pk_add_f32 v[2:3], v[10:11], v[2:3]
	v_mov_b32_e32 v7, v9
	v_pk_add_f32 v[2:3], v[2:3], v[12:13]
	s_nop 0
	v_pk_add_f32 v[2:3], v[2:3], v[6:7]
	s_waitcnt vmcnt(0)
	v_pk_add_f32 v[2:3], v[20:21], v[2:3] neg_lo:[0,1] neg_hi:[0,1]
	scratch_store_dwordx2 off, v[2:3], off offset:472
	s_and_saveexec_b64 s[0:1], vcc
	s_cbranch_execz .LBB63_281
; %bb.280:
	scratch_load_dwordx2 v[2:3], off, off offset:464
	v_mov_b32_e32 v4, 0
	v_mov_b32_e32 v5, v4
	scratch_store_dwordx2 off, v[4:5], off offset:464
	s_waitcnt vmcnt(1)
	ds_write_b64 v1, v[2:3]
.LBB63_281:
	s_or_b64 exec, exec, s[0:1]
	s_waitcnt lgkmcnt(0)
	; wave barrier
	scratch_load_dwordx4 v[4:7], off, off offset:472
	scratch_load_dwordx4 v[8:11], off, off offset:488
	scratch_load_dwordx2 v[20:21], off, off offset:504
	scratch_load_dwordx2 v[22:23], off, off offset:464
	v_mov_b32_e32 v2, 0
	ds_read2_b64 v[12:15], v2 offset0:123 offset1:124
	ds_read2_b64 v[16:19], v2 offset0:125 offset1:126
	ds_read_b64 v[24:25], v2 offset:1016
	v_cmp_lt_u32_e32 vcc, 57, v0
	s_waitcnt vmcnt(3) lgkmcnt(2)
	v_pk_mul_f32 v[26:27], v[12:13], v[4:5] op_sel:[1,1] op_sel_hi:[0,1]
	v_mov_b32_e32 v28, v7
	v_pk_fma_f32 v[36:37], v[12:13], v[4:5], v[26:27] neg_lo:[0,0,1] neg_hi:[0,0,1]
	v_pk_fma_f32 v[4:5], v[12:13], v[4:5], v[26:27] op_sel_hi:[1,0,1]
	v_pk_mul_f32 v[12:13], v[14:15], v[28:29] op_sel:[1,0] op_sel_hi:[0,0]
	s_waitcnt vmcnt(2) lgkmcnt(1)
	v_pk_mul_f32 v[30:31], v[16:17], v[8:9] op_sel:[1,1] op_sel_hi:[0,1]
	v_mov_b32_e32 v32, v11
	v_mov_b32_e32 v37, v5
	v_pk_fma_f32 v[4:5], v[14:15], v[6:7], v[12:13] neg_lo:[0,0,1] neg_hi:[0,0,1]
	v_pk_fma_f32 v[6:7], v[14:15], v[6:7], v[12:13] op_sel_hi:[1,0,1]
	v_pk_fma_f32 v[26:27], v[16:17], v[8:9], v[30:31] neg_lo:[0,0,1] neg_hi:[0,0,1]
	v_pk_fma_f32 v[8:9], v[16:17], v[8:9], v[30:31] op_sel_hi:[1,0,1]
	v_pk_mul_f32 v[16:17], v[18:19], v[32:33] op_sel:[1,0] op_sel_hi:[0,0]
	v_pk_add_f32 v[12:13], v[36:37], 0 op_sel_hi:[1,0]
	v_mov_b32_e32 v5, v7
	s_waitcnt vmcnt(1) lgkmcnt(0)
	v_pk_mul_f32 v[34:35], v[24:25], v[20:21] op_sel:[1,1] op_sel_hi:[0,1]
	v_mov_b32_e32 v27, v9
	v_pk_fma_f32 v[8:9], v[18:19], v[10:11], v[16:17] neg_lo:[0,0,1] neg_hi:[0,0,1]
	v_pk_fma_f32 v[10:11], v[18:19], v[10:11], v[16:17] op_sel_hi:[1,0,1]
	v_pk_add_f32 v[4:5], v[12:13], v[4:5]
	v_pk_fma_f32 v[28:29], v[24:25], v[20:21], v[34:35] neg_lo:[0,0,1] neg_hi:[0,0,1]
	v_pk_fma_f32 v[20:21], v[24:25], v[20:21], v[34:35] op_sel_hi:[1,0,1]
	v_mov_b32_e32 v9, v11
	v_pk_add_f32 v[4:5], v[4:5], v[26:27]
	v_mov_b32_e32 v29, v21
	v_pk_add_f32 v[4:5], v[4:5], v[8:9]
	s_nop 0
	v_pk_add_f32 v[4:5], v[4:5], v[28:29]
	s_waitcnt vmcnt(0)
	v_pk_add_f32 v[4:5], v[22:23], v[4:5] neg_lo:[0,1] neg_hi:[0,1]
	scratch_store_dwordx2 off, v[4:5], off offset:464
	s_and_saveexec_b64 s[0:1], vcc
	s_cbranch_execz .LBB63_283
; %bb.282:
	scratch_load_dwordx2 v[4:5], off, off offset:456
	v_mov_b32_e32 v3, v2
	scratch_store_dwordx2 off, v[2:3], off offset:456
	s_waitcnt vmcnt(1)
	ds_write_b64 v1, v[4:5]
.LBB63_283:
	s_or_b64 exec, exec, s[0:1]
	s_waitcnt lgkmcnt(0)
	; wave barrier
	scratch_load_dwordx4 v[4:7], off, off offset:464
	scratch_load_dwordx4 v[8:11], off, off offset:480
	;; [unrolled: 1-line block ×3, first 2 shown]
	scratch_load_dwordx2 v[28:29], off, off offset:456
	ds_read_b128 v[16:19], v2 offset:976
	ds_read_b128 v[20:23], v2 offset:992
	;; [unrolled: 1-line block ×3, first 2 shown]
	v_cmp_lt_u32_e32 vcc, 56, v0
	s_waitcnt vmcnt(3) lgkmcnt(2)
	v_pk_mul_f32 v[2:3], v[16:17], v[4:5] op_sel:[1,1] op_sel_hi:[0,1]
	v_mov_b32_e32 v30, v7
	s_waitcnt vmcnt(2) lgkmcnt(1)
	v_pk_mul_f32 v[32:33], v[20:21], v[8:9] op_sel:[1,1] op_sel_hi:[0,1]
	v_mov_b32_e32 v34, v11
	;; [unrolled: 3-line block ×3, first 2 shown]
	v_pk_fma_f32 v[40:41], v[16:17], v[4:5], v[2:3] neg_lo:[0,0,1] neg_hi:[0,0,1]
	v_pk_fma_f32 v[2:3], v[16:17], v[4:5], v[2:3] op_sel_hi:[1,0,1]
	v_pk_mul_f32 v[4:5], v[18:19], v[30:31] op_sel:[1,0] op_sel_hi:[0,0]
	v_pk_fma_f32 v[16:17], v[20:21], v[8:9], v[32:33] neg_lo:[0,0,1] neg_hi:[0,0,1]
	v_pk_fma_f32 v[8:9], v[20:21], v[8:9], v[32:33] op_sel_hi:[1,0,1]
	v_pk_mul_f32 v[20:21], v[22:23], v[34:35] op_sel:[1,0] op_sel_hi:[0,0]
	;; [unrolled: 3-line block ×3, first 2 shown]
	v_mov_b32_e32 v41, v3
	v_pk_fma_f32 v[2:3], v[18:19], v[6:7], v[4:5] neg_lo:[0,0,1] neg_hi:[0,0,1]
	v_pk_fma_f32 v[4:5], v[18:19], v[6:7], v[4:5] op_sel_hi:[1,0,1]
	v_mov_b32_e32 v17, v9
	v_pk_fma_f32 v[6:7], v[22:23], v[10:11], v[20:21] neg_lo:[0,0,1] neg_hi:[0,0,1]
	v_pk_fma_f32 v[8:9], v[22:23], v[10:11], v[20:21] op_sel_hi:[1,0,1]
	;; [unrolled: 3-line block ×3, first 2 shown]
	v_pk_add_f32 v[14:15], v[40:41], 0 op_sel_hi:[1,0]
	v_mov_b32_e32 v3, v5
	v_pk_add_f32 v[2:3], v[14:15], v[2:3]
	v_mov_b32_e32 v7, v9
	v_pk_add_f32 v[2:3], v[2:3], v[16:17]
	;; [unrolled: 2-line block ×3, first 2 shown]
	s_nop 0
	v_pk_add_f32 v[2:3], v[2:3], v[30:31]
	s_nop 0
	v_pk_add_f32 v[2:3], v[2:3], v[10:11]
	s_waitcnt vmcnt(0)
	v_pk_add_f32 v[2:3], v[28:29], v[2:3] neg_lo:[0,1] neg_hi:[0,1]
	scratch_store_dwordx2 off, v[2:3], off offset:456
	s_and_saveexec_b64 s[0:1], vcc
	s_cbranch_execz .LBB63_285
; %bb.284:
	scratch_load_dwordx2 v[2:3], off, off offset:448
	v_mov_b32_e32 v4, 0
	v_mov_b32_e32 v5, v4
	scratch_store_dwordx2 off, v[4:5], off offset:448
	s_waitcnt vmcnt(1)
	ds_write_b64 v1, v[2:3]
.LBB63_285:
	s_or_b64 exec, exec, s[0:1]
	s_waitcnt lgkmcnt(0)
	; wave barrier
	scratch_load_dwordx4 v[4:7], off, off offset:456
	scratch_load_dwordx4 v[8:11], off, off offset:472
	;; [unrolled: 1-line block ×3, first 2 shown]
	scratch_load_dwordx2 v[28:29], off, off offset:504
	v_mov_b32_e32 v2, 0
	ds_read2_b64 v[16:19], v2 offset0:121 offset1:122
	ds_read2_b64 v[20:23], v2 offset0:123 offset1:124
	;; [unrolled: 1-line block ×3, first 2 shown]
	ds_read_b64 v[30:31], v2 offset:1016
	v_cmp_lt_u32_e32 vcc, 55, v0
	s_waitcnt vmcnt(3) lgkmcnt(3)
	v_pk_mul_f32 v[32:33], v[16:17], v[4:5] op_sel:[1,1] op_sel_hi:[0,1]
	v_pk_fma_f32 v[34:35], v[16:17], v[4:5], v[32:33] neg_lo:[0,0,1] neg_hi:[0,0,1]
	v_pk_fma_f32 v[4:5], v[16:17], v[4:5], v[32:33] op_sel_hi:[1,0,1]
	v_mov_b32_e32 v16, v7
	v_pk_mul_f32 v[16:17], v[18:19], v[16:17] op_sel:[1,0] op_sel_hi:[0,0]
	v_pk_fma_f32 v[32:33], v[18:19], v[6:7], v[16:17] neg_lo:[0,0,1] neg_hi:[0,0,1]
	v_pk_fma_f32 v[6:7], v[18:19], v[6:7], v[16:17] op_sel_hi:[1,0,1]
	v_mov_b32_e32 v35, v5
	v_mov_b32_e32 v33, v7
	s_waitcnt vmcnt(2) lgkmcnt(2)
	v_pk_mul_f32 v[6:7], v[20:21], v[8:9] op_sel:[1,1] op_sel_hi:[0,1]
	v_pk_fma_f32 v[16:17], v[20:21], v[8:9], v[6:7] neg_lo:[0,0,1] neg_hi:[0,0,1]
	v_pk_fma_f32 v[6:7], v[20:21], v[8:9], v[6:7] op_sel_hi:[1,0,1]
	v_pk_add_f32 v[4:5], v[34:35], 0 op_sel_hi:[1,0]
	v_mov_b32_e32 v6, v11
	v_mov_b32_e32 v17, v7
	v_pk_mul_f32 v[6:7], v[22:23], v[6:7] op_sel:[1,0] op_sel_hi:[0,0]
	v_pk_add_f32 v[4:5], v[4:5], v[32:33]
	v_pk_fma_f32 v[8:9], v[22:23], v[10:11], v[6:7] neg_lo:[0,0,1] neg_hi:[0,0,1]
	v_pk_fma_f32 v[6:7], v[22:23], v[10:11], v[6:7] op_sel_hi:[1,0,1]
	v_pk_add_f32 v[4:5], v[4:5], v[16:17]
	v_mov_b32_e32 v9, v7
	s_waitcnt vmcnt(1) lgkmcnt(1)
	v_pk_mul_f32 v[6:7], v[24:25], v[12:13] op_sel:[1,1] op_sel_hi:[0,1]
	v_pk_add_f32 v[4:5], v[4:5], v[8:9]
	v_pk_fma_f32 v[8:9], v[24:25], v[12:13], v[6:7] neg_lo:[0,0,1] neg_hi:[0,0,1]
	v_pk_fma_f32 v[6:7], v[24:25], v[12:13], v[6:7] op_sel_hi:[1,0,1]
	s_nop 0
	v_mov_b32_e32 v6, v15
	v_mov_b32_e32 v9, v7
	v_pk_mul_f32 v[6:7], v[26:27], v[6:7] op_sel:[1,0] op_sel_hi:[0,0]
	v_pk_add_f32 v[4:5], v[4:5], v[8:9]
	v_pk_fma_f32 v[8:9], v[26:27], v[14:15], v[6:7] neg_lo:[0,0,1] neg_hi:[0,0,1]
	v_pk_fma_f32 v[6:7], v[26:27], v[14:15], v[6:7] op_sel_hi:[1,0,1]
	s_nop 0
	v_mov_b32_e32 v9, v7
	s_waitcnt vmcnt(0) lgkmcnt(0)
	v_pk_mul_f32 v[6:7], v[30:31], v[28:29] op_sel:[1,1] op_sel_hi:[0,1]
	v_pk_add_f32 v[4:5], v[4:5], v[8:9]
	v_pk_fma_f32 v[8:9], v[30:31], v[28:29], v[6:7] neg_lo:[0,0,1] neg_hi:[0,0,1]
	v_pk_fma_f32 v[6:7], v[30:31], v[28:29], v[6:7] op_sel_hi:[1,0,1]
	s_nop 0
	v_mov_b32_e32 v9, v7
	scratch_load_dwordx2 v[6:7], off, off offset:448
	v_pk_add_f32 v[4:5], v[4:5], v[8:9]
	s_waitcnt vmcnt(0)
	v_pk_add_f32 v[4:5], v[6:7], v[4:5] neg_lo:[0,1] neg_hi:[0,1]
	scratch_store_dwordx2 off, v[4:5], off offset:448
	s_and_saveexec_b64 s[0:1], vcc
	s_cbranch_execz .LBB63_287
; %bb.286:
	scratch_load_dwordx2 v[4:5], off, off offset:440
	v_mov_b32_e32 v3, v2
	scratch_store_dwordx2 off, v[2:3], off offset:440
	s_waitcnt vmcnt(1)
	ds_write_b64 v1, v[4:5]
.LBB63_287:
	s_or_b64 exec, exec, s[0:1]
	s_waitcnt lgkmcnt(0)
	; wave barrier
	scratch_load_dwordx4 v[4:7], off, off offset:448
	scratch_load_dwordx4 v[8:11], off, off offset:464
	;; [unrolled: 1-line block ×4, first 2 shown]
	ds_read_b128 v[20:23], v2 offset:960
	ds_read_b128 v[24:27], v2 offset:976
	;; [unrolled: 1-line block ×4, first 2 shown]
	v_cmp_lt_u32_e32 vcc, 54, v0
	s_waitcnt vmcnt(3) lgkmcnt(3)
	v_pk_mul_f32 v[2:3], v[20:21], v[4:5] op_sel:[1,1] op_sel_hi:[0,1]
	v_pk_fma_f32 v[36:37], v[20:21], v[4:5], v[2:3] neg_lo:[0,0,1] neg_hi:[0,0,1]
	v_pk_fma_f32 v[2:3], v[20:21], v[4:5], v[2:3] op_sel_hi:[1,0,1]
	v_mov_b32_e32 v4, v7
	v_pk_mul_f32 v[4:5], v[22:23], v[4:5] op_sel:[1,0] op_sel_hi:[0,0]
	v_pk_fma_f32 v[20:21], v[22:23], v[6:7], v[4:5] neg_lo:[0,0,1] neg_hi:[0,0,1]
	v_pk_fma_f32 v[4:5], v[22:23], v[6:7], v[4:5] op_sel_hi:[1,0,1]
	v_mov_b32_e32 v37, v3
	v_mov_b32_e32 v21, v5
	s_waitcnt vmcnt(2) lgkmcnt(2)
	v_pk_mul_f32 v[4:5], v[24:25], v[8:9] op_sel:[1,1] op_sel_hi:[0,1]
	v_pk_fma_f32 v[6:7], v[24:25], v[8:9], v[4:5] neg_lo:[0,0,1] neg_hi:[0,0,1]
	v_pk_fma_f32 v[4:5], v[24:25], v[8:9], v[4:5] op_sel_hi:[1,0,1]
	v_pk_add_f32 v[2:3], v[36:37], 0 op_sel_hi:[1,0]
	v_mov_b32_e32 v4, v11
	v_pk_add_f32 v[2:3], v[2:3], v[20:21]
	v_mov_b32_e32 v7, v5
	v_pk_mul_f32 v[4:5], v[26:27], v[4:5] op_sel:[1,0] op_sel_hi:[0,0]
	v_pk_add_f32 v[2:3], v[2:3], v[6:7]
	v_pk_fma_f32 v[6:7], v[26:27], v[10:11], v[4:5] neg_lo:[0,0,1] neg_hi:[0,0,1]
	v_pk_fma_f32 v[4:5], v[26:27], v[10:11], v[4:5] op_sel_hi:[1,0,1]
	s_nop 0
	v_mov_b32_e32 v7, v5
	s_waitcnt vmcnt(1) lgkmcnt(1)
	v_pk_mul_f32 v[4:5], v[28:29], v[12:13] op_sel:[1,1] op_sel_hi:[0,1]
	v_pk_add_f32 v[2:3], v[2:3], v[6:7]
	v_pk_fma_f32 v[6:7], v[28:29], v[12:13], v[4:5] neg_lo:[0,0,1] neg_hi:[0,0,1]
	v_pk_fma_f32 v[4:5], v[28:29], v[12:13], v[4:5] op_sel_hi:[1,0,1]
	s_nop 0
	v_mov_b32_e32 v4, v15
	v_mov_b32_e32 v7, v5
	v_pk_mul_f32 v[4:5], v[30:31], v[4:5] op_sel:[1,0] op_sel_hi:[0,0]
	v_pk_add_f32 v[2:3], v[2:3], v[6:7]
	v_pk_fma_f32 v[6:7], v[30:31], v[14:15], v[4:5] neg_lo:[0,0,1] neg_hi:[0,0,1]
	v_pk_fma_f32 v[4:5], v[30:31], v[14:15], v[4:5] op_sel_hi:[1,0,1]
	s_nop 0
	v_mov_b32_e32 v7, v5
	s_waitcnt vmcnt(0) lgkmcnt(0)
	v_pk_mul_f32 v[4:5], v[32:33], v[16:17] op_sel:[1,1] op_sel_hi:[0,1]
	v_pk_add_f32 v[2:3], v[2:3], v[6:7]
	v_pk_fma_f32 v[6:7], v[32:33], v[16:17], v[4:5] neg_lo:[0,0,1] neg_hi:[0,0,1]
	v_pk_fma_f32 v[4:5], v[32:33], v[16:17], v[4:5] op_sel_hi:[1,0,1]
	s_nop 0
	v_mov_b32_e32 v4, v19
	v_mov_b32_e32 v7, v5
	v_pk_mul_f32 v[4:5], v[34:35], v[4:5] op_sel:[1,0] op_sel_hi:[0,0]
	v_pk_add_f32 v[2:3], v[2:3], v[6:7]
	v_pk_fma_f32 v[6:7], v[34:35], v[18:19], v[4:5] neg_lo:[0,0,1] neg_hi:[0,0,1]
	v_pk_fma_f32 v[4:5], v[34:35], v[18:19], v[4:5] op_sel_hi:[1,0,1]
	s_nop 0
	v_mov_b32_e32 v7, v5
	scratch_load_dwordx2 v[4:5], off, off offset:440
	v_pk_add_f32 v[2:3], v[2:3], v[6:7]
	s_waitcnt vmcnt(0)
	v_pk_add_f32 v[2:3], v[4:5], v[2:3] neg_lo:[0,1] neg_hi:[0,1]
	scratch_store_dwordx2 off, v[2:3], off offset:440
	s_and_saveexec_b64 s[0:1], vcc
	s_cbranch_execz .LBB63_289
; %bb.288:
	scratch_load_dwordx2 v[2:3], off, off offset:432
	v_mov_b32_e32 v4, 0
	v_mov_b32_e32 v5, v4
	scratch_store_dwordx2 off, v[4:5], off offset:432
	s_waitcnt vmcnt(1)
	ds_write_b64 v1, v[2:3]
.LBB63_289:
	s_or_b64 exec, exec, s[0:1]
	s_waitcnt lgkmcnt(0)
	; wave barrier
	scratch_load_dwordx4 v[4:7], off, off offset:440
	scratch_load_dwordx4 v[8:11], off, off offset:456
	;; [unrolled: 1-line block ×4, first 2 shown]
	scratch_load_dwordx2 v[36:37], off, off offset:504
	scratch_load_dwordx2 v[38:39], off, off offset:432
	v_mov_b32_e32 v2, 0
	ds_read2_b64 v[20:23], v2 offset0:119 offset1:120
	ds_read2_b64 v[24:27], v2 offset0:121 offset1:122
	;; [unrolled: 1-line block ×4, first 2 shown]
	ds_read_b64 v[40:41], v2 offset:1016
	v_cmp_lt_u32_e32 vcc, 53, v0
	s_waitcnt vmcnt(5) lgkmcnt(4)
	v_mul_f32_e32 v43, v20, v5
	v_mul_f32_e32 v3, v21, v5
	v_mov_b32_e32 v44, v7
	s_waitcnt vmcnt(4) lgkmcnt(3)
	v_pk_mul_f32 v[46:47], v[24:25], v[8:9] op_sel:[1,1] op_sel_hi:[0,1]
	v_mov_b32_e32 v48, v11
	s_waitcnt vmcnt(1) lgkmcnt(0)
	v_pk_mul_f32 v[58:59], v[40:41], v[36:37] op_sel:[1,1] op_sel_hi:[0,1]
	v_fmac_f32_e32 v43, v21, v4
	v_fma_f32 v42, v20, v4, -v3
	v_pk_mul_f32 v[4:5], v[22:23], v[44:45] op_sel:[1,0] op_sel_hi:[0,0]
	v_pk_fma_f32 v[20:21], v[24:25], v[8:9], v[46:47] neg_lo:[0,0,1] neg_hi:[0,0,1]
	v_pk_fma_f32 v[8:9], v[24:25], v[8:9], v[46:47] op_sel_hi:[1,0,1]
	v_pk_mul_f32 v[24:25], v[26:27], v[48:49] op_sel:[1,0] op_sel_hi:[0,0]
	v_pk_fma_f32 v[48:49], v[40:41], v[36:37], v[58:59] neg_lo:[0,0,1] neg_hi:[0,0,1]
	v_pk_fma_f32 v[36:37], v[40:41], v[36:37], v[58:59] op_sel_hi:[1,0,1]
	v_pk_add_f32 v[40:41], v[42:43], 0 op_sel_hi:[1,0]
	v_pk_fma_f32 v[42:43], v[22:23], v[6:7], v[4:5] neg_lo:[0,0,1] neg_hi:[0,0,1]
	v_pk_fma_f32 v[4:5], v[22:23], v[6:7], v[4:5] op_sel_hi:[1,0,1]
	v_pk_mul_f32 v[50:51], v[28:29], v[12:13] op_sel:[1,1] op_sel_hi:[0,1]
	v_mov_b32_e32 v43, v5
	v_mov_b32_e32 v52, v15
	v_mov_b32_e32 v21, v9
	v_pk_fma_f32 v[6:7], v[26:27], v[10:11], v[24:25] neg_lo:[0,0,1] neg_hi:[0,0,1]
	v_pk_fma_f32 v[8:9], v[26:27], v[10:11], v[24:25] op_sel_hi:[1,0,1]
	v_pk_add_f32 v[4:5], v[40:41], v[42:43]
	v_pk_fma_f32 v[44:45], v[28:29], v[12:13], v[50:51] neg_lo:[0,0,1] neg_hi:[0,0,1]
	v_pk_fma_f32 v[12:13], v[28:29], v[12:13], v[50:51] op_sel_hi:[1,0,1]
	v_pk_mul_f32 v[28:29], v[30:31], v[52:53] op_sel:[1,0] op_sel_hi:[0,0]
	v_mov_b32_e32 v7, v9
	v_pk_add_f32 v[4:5], v[4:5], v[20:21]
	v_pk_mul_f32 v[54:55], v[32:33], v[16:17] op_sel:[1,1] op_sel_hi:[0,1]
	v_mov_b32_e32 v56, v19
	v_mov_b32_e32 v45, v13
	v_pk_fma_f32 v[10:11], v[30:31], v[14:15], v[28:29] neg_lo:[0,0,1] neg_hi:[0,0,1]
	v_pk_fma_f32 v[12:13], v[30:31], v[14:15], v[28:29] op_sel_hi:[1,0,1]
	v_pk_add_f32 v[4:5], v[4:5], v[6:7]
	v_pk_fma_f32 v[46:47], v[32:33], v[16:17], v[54:55] neg_lo:[0,0,1] neg_hi:[0,0,1]
	v_pk_fma_f32 v[16:17], v[32:33], v[16:17], v[54:55] op_sel_hi:[1,0,1]
	v_pk_mul_f32 v[32:33], v[34:35], v[56:57] op_sel:[1,0] op_sel_hi:[0,0]
	v_mov_b32_e32 v11, v13
	v_pk_add_f32 v[4:5], v[4:5], v[44:45]
	v_mov_b32_e32 v47, v17
	v_pk_fma_f32 v[14:15], v[34:35], v[18:19], v[32:33] neg_lo:[0,0,1] neg_hi:[0,0,1]
	v_pk_fma_f32 v[16:17], v[34:35], v[18:19], v[32:33] op_sel_hi:[1,0,1]
	v_pk_add_f32 v[4:5], v[4:5], v[10:11]
	v_mov_b32_e32 v15, v17
	v_pk_add_f32 v[4:5], v[4:5], v[46:47]
	v_mov_b32_e32 v49, v37
	v_pk_add_f32 v[4:5], v[4:5], v[14:15]
	s_nop 0
	v_pk_add_f32 v[4:5], v[4:5], v[48:49]
	s_waitcnt vmcnt(0)
	v_pk_add_f32 v[4:5], v[38:39], v[4:5] neg_lo:[0,1] neg_hi:[0,1]
	scratch_store_dwordx2 off, v[4:5], off offset:432
	s_and_saveexec_b64 s[0:1], vcc
	s_cbranch_execz .LBB63_291
; %bb.290:
	scratch_load_dwordx2 v[4:5], off, off offset:424
	v_mov_b32_e32 v3, v2
	scratch_store_dwordx2 off, v[2:3], off offset:424
	s_waitcnt vmcnt(1)
	ds_write_b64 v1, v[4:5]
.LBB63_291:
	s_or_b64 exec, exec, s[0:1]
	s_waitcnt lgkmcnt(0)
	; wave barrier
	scratch_load_dwordx4 v[4:7], off, off offset:432
	scratch_load_dwordx4 v[8:11], off, off offset:448
	;; [unrolled: 1-line block ×5, first 2 shown]
	scratch_load_dwordx2 v[44:45], off, off offset:424
	ds_read_b128 v[24:27], v2 offset:944
	ds_read_b128 v[28:31], v2 offset:960
	;; [unrolled: 1-line block ×5, first 2 shown]
	v_cmp_lt_u32_e32 vcc, 52, v0
	s_waitcnt vmcnt(5) lgkmcnt(4)
	v_mul_f32_e32 v3, v24, v5
	v_mul_f32_e32 v2, v25, v5
	;; [unrolled: 1-line block ×4, first 2 shown]
	s_waitcnt vmcnt(4) lgkmcnt(3)
	v_pk_mul_f32 v[48:49], v[28:29], v[8:9] op_sel:[1,1] op_sel_hi:[0,1]
	v_mov_b32_e32 v50, v11
	v_fmac_f32_e32 v3, v25, v4
	v_fma_f32 v2, v24, v4, -v2
	v_fmac_f32_e32 v47, v27, v6
	v_fma_f32 v46, v26, v6, -v5
	v_pk_fma_f32 v[4:5], v[28:29], v[8:9], v[48:49] neg_lo:[0,0,1] neg_hi:[0,0,1]
	v_pk_fma_f32 v[6:7], v[28:29], v[8:9], v[48:49] op_sel_hi:[1,0,1]
	v_pk_mul_f32 v[8:9], v[30:31], v[50:51] op_sel:[1,0] op_sel_hi:[0,0]
	v_pk_add_f32 v[2:3], v[2:3], 0 op_sel_hi:[1,0]
	s_waitcnt vmcnt(3) lgkmcnt(2)
	v_pk_mul_f32 v[52:53], v[32:33], v[12:13] op_sel:[1,1] op_sel_hi:[0,1]
	v_mov_b32_e32 v54, v15
	v_mov_b32_e32 v5, v7
	v_pk_fma_f32 v[6:7], v[30:31], v[10:11], v[8:9] neg_lo:[0,0,1] neg_hi:[0,0,1]
	v_pk_fma_f32 v[8:9], v[30:31], v[10:11], v[8:9] op_sel_hi:[1,0,1]
	v_pk_add_f32 v[2:3], v[2:3], v[46:47]
	v_pk_fma_f32 v[24:25], v[32:33], v[12:13], v[52:53] neg_lo:[0,0,1] neg_hi:[0,0,1]
	v_pk_fma_f32 v[12:13], v[32:33], v[12:13], v[52:53] op_sel_hi:[1,0,1]
	v_pk_mul_f32 v[26:27], v[34:35], v[54:55] op_sel:[1,0] op_sel_hi:[0,0]
	v_mov_b32_e32 v7, v9
	v_pk_add_f32 v[2:3], v[2:3], v[4:5]
	s_waitcnt vmcnt(2) lgkmcnt(1)
	v_pk_mul_f32 v[56:57], v[36:37], v[16:17] op_sel:[1,1] op_sel_hi:[0,1]
	v_mov_b32_e32 v58, v19
	v_mov_b32_e32 v25, v13
	v_pk_fma_f32 v[10:11], v[34:35], v[14:15], v[26:27] neg_lo:[0,0,1] neg_hi:[0,0,1]
	v_pk_fma_f32 v[12:13], v[34:35], v[14:15], v[26:27] op_sel_hi:[1,0,1]
	v_pk_add_f32 v[2:3], v[2:3], v[6:7]
	v_pk_fma_f32 v[28:29], v[36:37], v[16:17], v[56:57] neg_lo:[0,0,1] neg_hi:[0,0,1]
	v_pk_fma_f32 v[16:17], v[36:37], v[16:17], v[56:57] op_sel_hi:[1,0,1]
	v_pk_mul_f32 v[32:33], v[38:39], v[58:59] op_sel:[1,0] op_sel_hi:[0,0]
	v_mov_b32_e32 v11, v13
	v_pk_add_f32 v[2:3], v[2:3], v[24:25]
	;; [unrolled: 12-line block ×3, first 2 shown]
	v_mov_b32_e32 v37, v21
	v_pk_fma_f32 v[18:19], v[42:43], v[22:23], v[40:41] neg_lo:[0,0,1] neg_hi:[0,0,1]
	v_pk_fma_f32 v[20:21], v[42:43], v[22:23], v[40:41] op_sel_hi:[1,0,1]
	v_pk_add_f32 v[2:3], v[2:3], v[14:15]
	v_mov_b32_e32 v19, v21
	v_pk_add_f32 v[2:3], v[2:3], v[36:37]
	s_nop 0
	v_pk_add_f32 v[2:3], v[2:3], v[18:19]
	s_waitcnt vmcnt(0)
	v_pk_add_f32 v[2:3], v[44:45], v[2:3] neg_lo:[0,1] neg_hi:[0,1]
	scratch_store_dwordx2 off, v[2:3], off offset:424
	s_and_saveexec_b64 s[0:1], vcc
	s_cbranch_execz .LBB63_293
; %bb.292:
	scratch_load_dwordx2 v[2:3], off, off offset:416
	v_mov_b32_e32 v4, 0
	v_mov_b32_e32 v5, v4
	scratch_store_dwordx2 off, v[4:5], off offset:416
	s_waitcnt vmcnt(1)
	ds_write_b64 v1, v[2:3]
.LBB63_293:
	s_or_b64 exec, exec, s[0:1]
	s_waitcnt lgkmcnt(0)
	; wave barrier
	scratch_load_dwordx4 v[4:7], off, off offset:424
	scratch_load_dwordx4 v[8:11], off, off offset:440
	;; [unrolled: 1-line block ×5, first 2 shown]
	scratch_load_dwordx2 v[44:45], off, off offset:504
	scratch_load_dwordx2 v[46:47], off, off offset:416
	v_mov_b32_e32 v2, 0
	ds_read2_b64 v[24:27], v2 offset0:117 offset1:118
	ds_read2_b64 v[28:31], v2 offset0:119 offset1:120
	ds_read2_b64 v[32:35], v2 offset0:121 offset1:122
	ds_read2_b64 v[36:39], v2 offset0:123 offset1:124
	ds_read2_b64 v[40:43], v2 offset0:125 offset1:126
	ds_read_b64 v[48:49], v2 offset:1016
	v_cmp_lt_u32_e32 vcc, 51, v0
	s_waitcnt vmcnt(6) lgkmcnt(5)
	v_mul_f32_e32 v3, v24, v5
	v_mul_f32_e32 v5, v25, v5
	;; [unrolled: 1-line block ×3, first 2 shown]
	s_waitcnt vmcnt(5) lgkmcnt(4)
	v_mul_f32_e32 v53, v28, v9
	v_mul_f32_e32 v7, v27, v7
	;; [unrolled: 1-line block ×3, first 2 shown]
	v_mov_b32_e32 v54, v11
	s_waitcnt vmcnt(3) lgkmcnt(2)
	v_pk_mul_f32 v[60:61], v[36:37], v[16:17] op_sel:[1,1] op_sel_hi:[0,1]
	s_waitcnt vmcnt(2) lgkmcnt(1)
	v_pk_mul_f32 v[64:65], v[40:41], v[20:21] op_sel:[1,1] op_sel_hi:[0,1]
	;; [unrolled: 2-line block ×3, first 2 shown]
	v_fmac_f32_e32 v3, v25, v4
	v_fma_f32 v55, v24, v4, -v5
	v_fmac_f32_e32 v51, v27, v6
	v_fmac_f32_e32 v53, v29, v8
	v_fma_f32 v50, v26, v6, -v7
	v_fma_f32 v52, v28, v8, -v9
	v_pk_mul_f32 v[4:5], v[30:31], v[54:55] op_sel:[1,0] op_sel_hi:[0,0]
	v_pk_fma_f32 v[24:25], v[36:37], v[16:17], v[60:61] neg_lo:[0,0,1] neg_hi:[0,0,1]
	v_pk_fma_f32 v[16:17], v[36:37], v[16:17], v[60:61] op_sel_hi:[1,0,1]
	v_pk_fma_f32 v[28:29], v[40:41], v[20:21], v[64:65] neg_lo:[0,0,1] neg_hi:[0,0,1]
	v_pk_fma_f32 v[20:21], v[40:41], v[20:21], v[64:65] op_sel_hi:[1,0,1]
	;; [unrolled: 2-line block ×3, first 2 shown]
	v_add_f32_e32 v45, 0, v3
	v_add_f32_e32 v44, 0, v55
	v_pk_mul_f32 v[56:57], v[32:33], v[12:13] op_sel:[1,1] op_sel_hi:[0,1]
	v_mov_b32_e32 v58, v15
	v_pk_fma_f32 v[48:49], v[30:31], v[10:11], v[4:5] neg_lo:[0,0,1] neg_hi:[0,0,1]
	v_pk_fma_f32 v[4:5], v[30:31], v[10:11], v[4:5] op_sel_hi:[1,0,1]
	v_mov_b32_e32 v29, v21
	v_pk_add_f32 v[20:21], v[44:45], v[50:51]
	v_pk_fma_f32 v[6:7], v[32:33], v[12:13], v[56:57] neg_lo:[0,0,1] neg_hi:[0,0,1]
	v_pk_fma_f32 v[8:9], v[32:33], v[12:13], v[56:57] op_sel_hi:[1,0,1]
	v_pk_mul_f32 v[12:13], v[34:35], v[58:59] op_sel:[1,0] op_sel_hi:[0,0]
	v_mov_b32_e32 v49, v5
	v_pk_add_f32 v[4:5], v[20:21], v[52:53]
	v_mov_b32_e32 v62, v19
	v_mov_b32_e32 v7, v9
	v_pk_fma_f32 v[8:9], v[34:35], v[14:15], v[12:13] neg_lo:[0,0,1] neg_hi:[0,0,1]
	v_pk_fma_f32 v[10:11], v[34:35], v[14:15], v[12:13] op_sel_hi:[1,0,1]
	v_pk_add_f32 v[4:5], v[4:5], v[48:49]
	v_pk_mul_f32 v[26:27], v[38:39], v[62:63] op_sel:[1,0] op_sel_hi:[0,0]
	v_mov_b32_e32 v9, v11
	v_pk_add_f32 v[4:5], v[4:5], v[6:7]
	v_mov_b32_e32 v66, v23
	v_mov_b32_e32 v25, v17
	v_pk_fma_f32 v[12:13], v[38:39], v[18:19], v[26:27] neg_lo:[0,0,1] neg_hi:[0,0,1]
	v_pk_fma_f32 v[14:15], v[38:39], v[18:19], v[26:27] op_sel_hi:[1,0,1]
	v_pk_add_f32 v[4:5], v[4:5], v[8:9]
	v_pk_mul_f32 v[32:33], v[42:43], v[66:67] op_sel:[1,0] op_sel_hi:[0,0]
	v_mov_b32_e32 v13, v15
	v_pk_add_f32 v[4:5], v[4:5], v[24:25]
	v_pk_fma_f32 v[16:17], v[42:43], v[22:23], v[32:33] neg_lo:[0,0,1] neg_hi:[0,0,1]
	v_pk_fma_f32 v[18:19], v[42:43], v[22:23], v[32:33] op_sel_hi:[1,0,1]
	v_pk_add_f32 v[4:5], v[4:5], v[12:13]
	v_mov_b32_e32 v17, v19
	v_pk_add_f32 v[4:5], v[4:5], v[28:29]
	v_mov_b32_e32 v37, v41
	v_pk_add_f32 v[4:5], v[4:5], v[16:17]
	s_nop 0
	v_pk_add_f32 v[4:5], v[4:5], v[36:37]
	s_waitcnt vmcnt(0)
	v_pk_add_f32 v[4:5], v[46:47], v[4:5] neg_lo:[0,1] neg_hi:[0,1]
	scratch_store_dwordx2 off, v[4:5], off offset:416
	s_and_saveexec_b64 s[0:1], vcc
	s_cbranch_execz .LBB63_295
; %bb.294:
	scratch_load_dwordx2 v[4:5], off, off offset:408
	v_mov_b32_e32 v3, v2
	scratch_store_dwordx2 off, v[2:3], off offset:408
	s_waitcnt vmcnt(1)
	ds_write_b64 v1, v[4:5]
.LBB63_295:
	s_or_b64 exec, exec, s[0:1]
	s_waitcnt lgkmcnt(0)
	; wave barrier
	scratch_load_dwordx4 v[4:7], off, off offset:416
	scratch_load_dwordx4 v[8:11], off, off offset:432
	;; [unrolled: 1-line block ×6, first 2 shown]
	scratch_load_dwordx2 v[52:53], off, off offset:408
	ds_read_b128 v[28:31], v2 offset:928
	ds_read_b128 v[32:35], v2 offset:944
	;; [unrolled: 1-line block ×6, first 2 shown]
	v_cmp_lt_u32_e32 vcc, 50, v0
	s_waitcnt vmcnt(6) lgkmcnt(5)
	v_mul_f32_e32 v59, v28, v5
	v_mul_f32_e32 v63, v30, v7
	s_waitcnt vmcnt(5) lgkmcnt(4)
	v_mul_f32_e32 v3, v32, v9
	v_mul_f32_e32 v2, v29, v5
	;; [unrolled: 1-line block ×4, first 2 shown]
	s_waitcnt vmcnt(1) lgkmcnt(0)
	v_pk_mul_f32 v[68:69], v[48:49], v[24:25] op_sel:[1,1] op_sel_hi:[0,1]
	v_pk_mul_f32 v[56:57], v[36:37], v[12:13] op_sel:[1,1] op_sel_hi:[0,1]
	v_fmac_f32_e32 v59, v29, v4
	v_fmac_f32_e32 v3, v33, v8
	v_fma_f32 v67, v28, v4, -v2
	v_fma_f32 v2, v32, v8, -v7
	v_pk_fma_f32 v[32:33], v[48:49], v[24:25], v[68:69] neg_lo:[0,0,1] neg_hi:[0,0,1]
	v_pk_fma_f32 v[24:25], v[48:49], v[24:25], v[68:69] op_sel_hi:[1,0,1]
	v_fmac_f32_e32 v63, v31, v6
	v_fma_f32 v71, v30, v6, -v5
	v_pk_fma_f32 v[4:5], v[36:37], v[12:13], v[56:57] neg_lo:[0,0,1] neg_hi:[0,0,1]
	v_pk_fma_f32 v[6:7], v[36:37], v[12:13], v[56:57] op_sel_hi:[1,0,1]
	v_add_f32_e32 v24, 0, v59
	v_add_f32_e32 v36, 0, v67
	v_mul_f32_e32 v55, v34, v11
	v_mul_f32_e32 v9, v35, v11
	v_mov_b32_e32 v58, v15
	v_mov_b32_e32 v33, v25
	v_add_f32_e32 v25, v24, v63
	v_add_f32_e32 v24, v36, v71
	v_fmac_f32_e32 v55, v35, v10
	v_fma_f32 v54, v34, v10, -v9
	v_pk_mul_f32 v[8:9], v[38:39], v[58:59] op_sel:[1,0] op_sel_hi:[0,0]
	v_pk_add_f32 v[2:3], v[24:25], v[2:3]
	v_pk_mul_f32 v[60:61], v[40:41], v[16:17] op_sel:[1,1] op_sel_hi:[0,1]
	v_mov_b32_e32 v62, v19
	v_mov_b32_e32 v5, v7
	v_pk_fma_f32 v[6:7], v[38:39], v[14:15], v[8:9] neg_lo:[0,0,1] neg_hi:[0,0,1]
	v_pk_fma_f32 v[8:9], v[38:39], v[14:15], v[8:9] op_sel_hi:[1,0,1]
	v_pk_add_f32 v[2:3], v[2:3], v[54:55]
	v_pk_fma_f32 v[10:11], v[40:41], v[16:17], v[60:61] neg_lo:[0,0,1] neg_hi:[0,0,1]
	v_pk_fma_f32 v[12:13], v[40:41], v[16:17], v[60:61] op_sel_hi:[1,0,1]
	v_pk_mul_f32 v[16:17], v[42:43], v[62:63] op_sel:[1,0] op_sel_hi:[0,0]
	v_mov_b32_e32 v7, v9
	v_pk_add_f32 v[2:3], v[2:3], v[4:5]
	v_pk_mul_f32 v[64:65], v[44:45], v[20:21] op_sel:[1,1] op_sel_hi:[0,1]
	v_mov_b32_e32 v66, v23
	v_mov_b32_e32 v11, v13
	v_pk_fma_f32 v[12:13], v[42:43], v[18:19], v[16:17] neg_lo:[0,0,1] neg_hi:[0,0,1]
	v_pk_fma_f32 v[14:15], v[42:43], v[18:19], v[16:17] op_sel_hi:[1,0,1]
	v_pk_add_f32 v[2:3], v[2:3], v[6:7]
	v_pk_fma_f32 v[28:29], v[44:45], v[20:21], v[64:65] neg_lo:[0,0,1] neg_hi:[0,0,1]
	v_pk_fma_f32 v[20:21], v[44:45], v[20:21], v[64:65] op_sel_hi:[1,0,1]
	v_pk_mul_f32 v[30:31], v[46:47], v[66:67] op_sel:[1,0] op_sel_hi:[0,0]
	v_mov_b32_e32 v13, v15
	v_pk_add_f32 v[2:3], v[2:3], v[10:11]
	v_mov_b32_e32 v70, v27
	v_mov_b32_e32 v29, v21
	v_pk_fma_f32 v[16:17], v[46:47], v[22:23], v[30:31] neg_lo:[0,0,1] neg_hi:[0,0,1]
	v_pk_fma_f32 v[18:19], v[46:47], v[22:23], v[30:31] op_sel_hi:[1,0,1]
	v_pk_add_f32 v[2:3], v[2:3], v[12:13]
	v_pk_mul_f32 v[34:35], v[50:51], v[70:71] op_sel:[1,0] op_sel_hi:[0,0]
	v_mov_b32_e32 v17, v19
	v_pk_add_f32 v[2:3], v[2:3], v[28:29]
	v_pk_fma_f32 v[20:21], v[50:51], v[26:27], v[34:35] neg_lo:[0,0,1] neg_hi:[0,0,1]
	v_pk_fma_f32 v[22:23], v[50:51], v[26:27], v[34:35] op_sel_hi:[1,0,1]
	v_pk_add_f32 v[2:3], v[2:3], v[16:17]
	v_mov_b32_e32 v21, v23
	v_pk_add_f32 v[2:3], v[2:3], v[32:33]
	s_nop 0
	v_pk_add_f32 v[2:3], v[2:3], v[20:21]
	s_waitcnt vmcnt(0)
	v_pk_add_f32 v[2:3], v[52:53], v[2:3] neg_lo:[0,1] neg_hi:[0,1]
	scratch_store_dwordx2 off, v[2:3], off offset:408
	s_and_saveexec_b64 s[0:1], vcc
	s_cbranch_execz .LBB63_297
; %bb.296:
	scratch_load_dwordx2 v[2:3], off, off offset:400
	v_mov_b32_e32 v4, 0
	v_mov_b32_e32 v5, v4
	scratch_store_dwordx2 off, v[4:5], off offset:400
	s_waitcnt vmcnt(1)
	ds_write_b64 v1, v[2:3]
.LBB63_297:
	s_or_b64 exec, exec, s[0:1]
	s_waitcnt lgkmcnt(0)
	; wave barrier
	scratch_load_dwordx4 v[4:7], off, off offset:408
	scratch_load_dwordx4 v[8:11], off, off offset:424
	;; [unrolled: 1-line block ×6, first 2 shown]
	scratch_load_dwordx2 v[52:53], off, off offset:504
	scratch_load_dwordx2 v[54:55], off, off offset:400
	v_mov_b32_e32 v2, 0
	ds_read2_b64 v[28:31], v2 offset0:115 offset1:116
	ds_read2_b64 v[32:35], v2 offset0:117 offset1:118
	;; [unrolled: 1-line block ×6, first 2 shown]
	ds_read_b64 v[56:57], v2 offset:1016
	v_cmp_lt_u32_e32 vcc, 49, v0
	s_waitcnt vmcnt(7) lgkmcnt(6)
	v_mul_f32_e32 v63, v30, v7
	v_mul_f32_e32 v3, v28, v5
	s_waitcnt vmcnt(5) lgkmcnt(4)
	v_mul_f32_e32 v61, v36, v13
	v_mul_f32_e32 v5, v29, v5
	v_mov_b32_e32 v62, v15
	s_waitcnt vmcnt(2) lgkmcnt(1)
	v_pk_mul_f32 v[72:73], v[48:49], v[24:25] op_sel:[1,1] op_sel_hi:[0,1]
	v_fmac_f32_e32 v63, v31, v6
	v_mul_f32_e32 v7, v31, v7
	v_mul_f32_e32 v13, v37, v13
	v_fmac_f32_e32 v3, v29, v4
	v_fmac_f32_e32 v61, v37, v12
	v_fma_f32 v37, v28, v4, -v5
	v_pk_mul_f32 v[4:5], v[38:39], v[62:63] op_sel:[1,0] op_sel_hi:[0,0]
	v_pk_fma_f32 v[28:29], v[48:49], v[24:25], v[72:73] neg_lo:[0,0,1] neg_hi:[0,0,1]
	v_pk_fma_f32 v[24:25], v[48:49], v[24:25], v[72:73] op_sel_hi:[1,0,1]
	v_mul_f32_e32 v67, v32, v9
	v_mul_f32_e32 v9, v33, v9
	v_fma_f32 v71, v30, v6, -v7
	v_fma_f32 v60, v36, v12, -v13
	v_add_f32_e32 v3, 0, v3
	v_add_f32_e32 v24, 0, v37
	v_pk_fma_f32 v[36:37], v[38:39], v[14:15], v[4:5] neg_lo:[0,0,1] neg_hi:[0,0,1]
	v_pk_fma_f32 v[4:5], v[38:39], v[14:15], v[4:5] op_sel_hi:[1,0,1]
	v_mul_f32_e32 v59, v34, v11
	v_mul_f32_e32 v11, v35, v11
	v_fmac_f32_e32 v67, v33, v8
	v_fma_f32 v75, v32, v8, -v9
	v_add_f32_e32 v3, v3, v63
	v_add_f32_e32 v4, v24, v71
	v_fmac_f32_e32 v59, v35, v10
	v_fma_f32 v58, v34, v10, -v11
	v_mov_b32_e32 v37, v5
	v_add_f32_e32 v5, v3, v67
	v_add_f32_e32 v4, v4, v75
	v_pk_mul_f32 v[64:65], v[40:41], v[16:17] op_sel:[1,1] op_sel_hi:[0,1]
	v_mov_b32_e32 v66, v19
	v_pk_add_f32 v[4:5], v[4:5], v[58:59]
	v_pk_fma_f32 v[6:7], v[40:41], v[16:17], v[64:65] neg_lo:[0,0,1] neg_hi:[0,0,1]
	v_pk_fma_f32 v[8:9], v[40:41], v[16:17], v[64:65] op_sel_hi:[1,0,1]
	v_pk_mul_f32 v[10:11], v[42:43], v[66:67] op_sel:[1,0] op_sel_hi:[0,0]
	v_pk_add_f32 v[4:5], v[4:5], v[60:61]
	v_pk_mul_f32 v[68:69], v[44:45], v[20:21] op_sel:[1,1] op_sel_hi:[0,1]
	v_mov_b32_e32 v70, v23
	v_mov_b32_e32 v7, v9
	v_pk_fma_f32 v[8:9], v[42:43], v[18:19], v[10:11] neg_lo:[0,0,1] neg_hi:[0,0,1]
	v_pk_fma_f32 v[10:11], v[42:43], v[18:19], v[10:11] op_sel_hi:[1,0,1]
	v_pk_add_f32 v[4:5], v[4:5], v[36:37]
	v_pk_fma_f32 v[12:13], v[44:45], v[20:21], v[68:69] neg_lo:[0,0,1] neg_hi:[0,0,1]
	v_pk_fma_f32 v[16:17], v[44:45], v[20:21], v[68:69] op_sel_hi:[1,0,1]
	v_pk_mul_f32 v[20:21], v[46:47], v[70:71] op_sel:[1,0] op_sel_hi:[0,0]
	v_mov_b32_e32 v9, v11
	v_pk_add_f32 v[4:5], v[4:5], v[6:7]
	v_mov_b32_e32 v74, v27
	v_mov_b32_e32 v13, v17
	v_pk_fma_f32 v[14:15], v[46:47], v[22:23], v[20:21] neg_lo:[0,0,1] neg_hi:[0,0,1]
	v_pk_fma_f32 v[16:17], v[46:47], v[22:23], v[20:21] op_sel_hi:[1,0,1]
	v_pk_add_f32 v[4:5], v[4:5], v[8:9]
	v_pk_mul_f32 v[30:31], v[50:51], v[74:75] op_sel:[1,0] op_sel_hi:[0,0]
	v_mov_b32_e32 v15, v17
	v_pk_add_f32 v[4:5], v[4:5], v[12:13]
	s_waitcnt vmcnt(1) lgkmcnt(0)
	v_pk_mul_f32 v[76:77], v[56:57], v[52:53] op_sel:[1,1] op_sel_hi:[0,1]
	v_mov_b32_e32 v29, v25
	v_pk_fma_f32 v[18:19], v[50:51], v[26:27], v[30:31] neg_lo:[0,0,1] neg_hi:[0,0,1]
	v_pk_fma_f32 v[20:21], v[50:51], v[26:27], v[30:31] op_sel_hi:[1,0,1]
	v_pk_add_f32 v[4:5], v[4:5], v[14:15]
	v_pk_fma_f32 v[32:33], v[56:57], v[52:53], v[76:77] neg_lo:[0,0,1] neg_hi:[0,0,1]
	v_pk_fma_f32 v[34:35], v[56:57], v[52:53], v[76:77] op_sel_hi:[1,0,1]
	v_mov_b32_e32 v19, v21
	v_pk_add_f32 v[4:5], v[4:5], v[28:29]
	v_mov_b32_e32 v33, v35
	v_pk_add_f32 v[4:5], v[4:5], v[18:19]
	s_nop 0
	v_pk_add_f32 v[4:5], v[4:5], v[32:33]
	s_waitcnt vmcnt(0)
	v_pk_add_f32 v[4:5], v[54:55], v[4:5] neg_lo:[0,1] neg_hi:[0,1]
	scratch_store_dwordx2 off, v[4:5], off offset:400
	s_and_saveexec_b64 s[0:1], vcc
	s_cbranch_execz .LBB63_299
; %bb.298:
	scratch_load_dwordx2 v[4:5], off, off offset:392
	v_mov_b32_e32 v3, v2
	scratch_store_dwordx2 off, v[2:3], off offset:392
	s_waitcnt vmcnt(1)
	ds_write_b64 v1, v[4:5]
.LBB63_299:
	s_or_b64 exec, exec, s[0:1]
	s_waitcnt lgkmcnt(0)
	; wave barrier
	scratch_load_dwordx4 v[4:7], off, off offset:400
	scratch_load_dwordx4 v[8:11], off, off offset:416
	scratch_load_dwordx4 v[12:15], off, off offset:432
	scratch_load_dwordx4 v[16:19], off, off offset:448
	scratch_load_dwordx4 v[20:23], off, off offset:464
	scratch_load_dwordx4 v[24:27], off, off offset:480
	scratch_load_dwordx4 v[28:31], off, off offset:496
	ds_read_b128 v[32:35], v2 offset:912
	ds_read_b128 v[36:39], v2 offset:928
	;; [unrolled: 1-line block ×6, first 2 shown]
	scratch_load_dwordx2 v[60:61], off, off offset:392
	ds_read_b128 v[56:59], v2 offset:1008
	v_cmp_lt_u32_e32 vcc, 48, v0
	s_waitcnt vmcnt(7) lgkmcnt(6)
	v_mul_f32_e32 v67, v32, v5
	v_mul_f32_e32 v71, v34, v7
	s_waitcnt vmcnt(6) lgkmcnt(5)
	v_mul_f32_e32 v75, v36, v9
	v_mul_f32_e32 v79, v38, v11
	;; [unrolled: 3-line block ×3, first 2 shown]
	v_mul_f32_e32 v2, v33, v5
	v_mul_f32_e32 v5, v35, v7
	;; [unrolled: 1-line block ×6, first 2 shown]
	s_waitcnt vmcnt(4) lgkmcnt(3)
	v_pk_mul_f32 v[64:65], v[44:45], v[16:17] op_sel:[1,1] op_sel_hi:[0,1]
	v_mov_b32_e32 v66, v19
	s_waitcnt vmcnt(3) lgkmcnt(2)
	v_pk_mul_f32 v[68:69], v[48:49], v[20:21] op_sel:[1,1] op_sel_hi:[0,1]
	v_mov_b32_e32 v70, v23
	s_waitcnt vmcnt(1) lgkmcnt(0)
	v_pk_mul_f32 v[76:77], v[56:57], v[28:29] op_sel:[1,1] op_sel_hi:[0,1]
	v_fmac_f32_e32 v67, v33, v4
	v_fmac_f32_e32 v71, v35, v6
	;; [unrolled: 1-line block ×6, first 2 shown]
	v_fma_f32 v37, v32, v4, -v2
	v_fma_f32 v39, v34, v6, -v5
	;; [unrolled: 1-line block ×6, first 2 shown]
	v_pk_fma_f32 v[4:5], v[44:45], v[16:17], v[64:65] neg_lo:[0,0,1] neg_hi:[0,0,1]
	v_pk_fma_f32 v[6:7], v[44:45], v[16:17], v[64:65] op_sel_hi:[1,0,1]
	v_pk_mul_f32 v[8:9], v[46:47], v[66:67] op_sel:[1,0] op_sel_hi:[0,0]
	v_pk_fma_f32 v[10:11], v[48:49], v[20:21], v[68:69] neg_lo:[0,0,1] neg_hi:[0,0,1]
	v_pk_fma_f32 v[12:13], v[48:49], v[20:21], v[68:69] op_sel_hi:[1,0,1]
	v_pk_mul_f32 v[14:15], v[50:51], v[70:71] op_sel:[1,0] op_sel_hi:[0,0]
	v_pk_fma_f32 v[32:33], v[56:57], v[28:29], v[76:77] neg_lo:[0,0,1] neg_hi:[0,0,1]
	v_pk_fma_f32 v[28:29], v[56:57], v[28:29], v[76:77] op_sel_hi:[1,0,1]
	v_add_f32_e32 v37, 0, v37
	v_add_f32_e32 v28, 0, v67
	v_mov_b32_e32 v5, v7
	v_pk_fma_f32 v[6:7], v[46:47], v[18:19], v[8:9] neg_lo:[0,0,1] neg_hi:[0,0,1]
	v_pk_fma_f32 v[8:9], v[46:47], v[18:19], v[8:9] op_sel_hi:[1,0,1]
	v_mov_b32_e32 v11, v13
	v_pk_fma_f32 v[12:13], v[50:51], v[22:23], v[14:15] neg_lo:[0,0,1] neg_hi:[0,0,1]
	v_pk_fma_f32 v[14:15], v[50:51], v[22:23], v[14:15] op_sel_hi:[1,0,1]
	v_add_f32_e32 v8, v28, v71
	v_add_f32_e32 v14, v37, v39
	;; [unrolled: 1-line block ×4, first 2 shown]
	v_mov_b32_e32 v7, v9
	v_add_f32_e32 v9, v8, v79
	v_add_f32_e32 v8, v14, v38
	v_pk_add_f32 v[2:3], v[8:9], v[2:3]
	v_pk_mul_f32 v[72:73], v[52:53], v[24:25] op_sel:[1,1] op_sel_hi:[0,1]
	v_pk_add_f32 v[2:3], v[2:3], v[62:63]
	v_mov_b32_e32 v74, v27
	v_pk_add_f32 v[2:3], v[2:3], v[4:5]
	v_pk_fma_f32 v[16:17], v[52:53], v[24:25], v[72:73] neg_lo:[0,0,1] neg_hi:[0,0,1]
	v_pk_add_f32 v[2:3], v[2:3], v[6:7]
	v_pk_fma_f32 v[20:21], v[52:53], v[24:25], v[72:73] op_sel_hi:[1,0,1]
	v_pk_mul_f32 v[24:25], v[54:55], v[74:75] op_sel:[1,0] op_sel_hi:[0,0]
	v_mov_b32_e32 v13, v15
	v_pk_add_f32 v[2:3], v[2:3], v[10:11]
	v_mov_b32_e32 v78, v31
	v_mov_b32_e32 v17, v21
	v_pk_fma_f32 v[18:19], v[54:55], v[26:27], v[24:25] neg_lo:[0,0,1] neg_hi:[0,0,1]
	v_pk_fma_f32 v[20:21], v[54:55], v[26:27], v[24:25] op_sel_hi:[1,0,1]
	v_pk_add_f32 v[2:3], v[2:3], v[12:13]
	v_pk_mul_f32 v[34:35], v[58:59], v[78:79] op_sel:[1,0] op_sel_hi:[0,0]
	v_mov_b32_e32 v19, v21
	v_pk_add_f32 v[2:3], v[2:3], v[16:17]
	v_mov_b32_e32 v33, v29
	v_pk_fma_f32 v[22:23], v[58:59], v[30:31], v[34:35] neg_lo:[0,0,1] neg_hi:[0,0,1]
	v_pk_fma_f32 v[24:25], v[58:59], v[30:31], v[34:35] op_sel_hi:[1,0,1]
	v_pk_add_f32 v[2:3], v[2:3], v[18:19]
	v_mov_b32_e32 v23, v25
	v_pk_add_f32 v[2:3], v[2:3], v[32:33]
	s_nop 0
	v_pk_add_f32 v[2:3], v[2:3], v[22:23]
	s_waitcnt vmcnt(0)
	v_pk_add_f32 v[2:3], v[60:61], v[2:3] neg_lo:[0,1] neg_hi:[0,1]
	scratch_store_dwordx2 off, v[2:3], off offset:392
	s_and_saveexec_b64 s[0:1], vcc
	s_cbranch_execz .LBB63_301
; %bb.300:
	scratch_load_dwordx2 v[2:3], off, off offset:384
	v_mov_b32_e32 v4, 0
	v_mov_b32_e32 v5, v4
	scratch_store_dwordx2 off, v[4:5], off offset:384
	s_waitcnt vmcnt(1)
	ds_write_b64 v1, v[2:3]
.LBB63_301:
	s_or_b64 exec, exec, s[0:1]
	s_waitcnt lgkmcnt(0)
	; wave barrier
	scratch_load_dwordx4 v[4:7], off, off offset:392
	scratch_load_dwordx4 v[8:11], off, off offset:408
	;; [unrolled: 1-line block ×7, first 2 shown]
	scratch_load_dwordx2 v[60:61], off, off offset:504
	scratch_load_dwordx2 v[62:63], off, off offset:384
	v_mov_b32_e32 v2, 0
	ds_read2_b64 v[32:35], v2 offset0:113 offset1:114
	ds_read2_b64 v[36:39], v2 offset0:115 offset1:116
	;; [unrolled: 1-line block ×7, first 2 shown]
	ds_read_b64 v[64:65], v2 offset:1016
	v_cmp_lt_u32_e32 vcc, 47, v0
	s_waitcnt vmcnt(8) lgkmcnt(7)
	v_mul_f32_e32 v71, v34, v7
	v_mul_f32_e32 v3, v32, v5
	s_waitcnt vmcnt(7) lgkmcnt(6)
	v_mul_f32_e32 v75, v36, v9
	s_waitcnt vmcnt(6) lgkmcnt(5)
	v_mul_f32_e32 v83, v40, v13
	v_mul_f32_e32 v67, v42, v15
	v_mul_f32_e32 v5, v33, v5
	v_mul_f32_e32 v13, v41, v13
	v_mul_f32_e32 v15, v43, v15
	s_waitcnt vmcnt(5)
	v_mov_b32_e32 v70, v19
	s_waitcnt vmcnt(3) lgkmcnt(2)
	v_pk_mul_f32 v[76:77], v[52:53], v[24:25] op_sel:[1,1] op_sel_hi:[0,1]
	s_waitcnt vmcnt(2) lgkmcnt(1)
	v_pk_mul_f32 v[80:81], v[56:57], v[28:29] op_sel:[1,1] op_sel_hi:[0,1]
	v_fmac_f32_e32 v71, v35, v6
	v_mul_f32_e32 v7, v35, v7
	v_mul_f32_e32 v9, v37, v9
	v_fmac_f32_e32 v3, v33, v4
	v_fmac_f32_e32 v75, v37, v8
	v_fmac_f32_e32 v83, v41, v12
	v_fmac_f32_e32 v67, v43, v14
	v_fma_f32 v32, v32, v4, -v5
	v_fma_f32 v37, v40, v12, -v13
	;; [unrolled: 1-line block ×3, first 2 shown]
	v_pk_mul_f32 v[4:5], v[46:47], v[70:71] op_sel:[1,0] op_sel_hi:[0,0]
	v_pk_fma_f32 v[12:13], v[52:53], v[24:25], v[76:77] neg_lo:[0,0,1] neg_hi:[0,0,1]
	v_pk_fma_f32 v[14:15], v[52:53], v[24:25], v[76:77] op_sel_hi:[1,0,1]
	v_pk_fma_f32 v[24:25], v[56:57], v[28:29], v[80:81] op_sel_hi:[1,0,1]
	v_fma_f32 v34, v34, v6, -v7
	v_add_f32_e32 v3, 0, v3
	v_add_f32_e32 v24, 0, v32
	v_pk_fma_f32 v[32:33], v[46:47], v[18:19], v[4:5] neg_lo:[0,0,1] neg_hi:[0,0,1]
	v_pk_fma_f32 v[4:5], v[46:47], v[18:19], v[4:5] op_sel_hi:[1,0,1]
	v_mul_f32_e32 v79, v38, v11
	v_mul_f32_e32 v11, v39, v11
	v_fma_f32 v35, v36, v8, -v9
	v_add_f32_e32 v3, v3, v71
	v_add_f32_e32 v4, v24, v34
	v_fmac_f32_e32 v79, v39, v10
	v_fma_f32 v36, v38, v10, -v11
	v_add_f32_e32 v3, v3, v75
	v_add_f32_e32 v4, v4, v35
	;; [unrolled: 1-line block ×4, first 2 shown]
	v_mul_f32_e32 v69, v44, v17
	v_mul_f32_e32 v17, v45, v17
	v_mov_b32_e32 v33, v5
	v_add_f32_e32 v5, v3, v83
	v_add_f32_e32 v4, v4, v37
	v_pk_mul_f32 v[72:73], v[48:49], v[20:21] op_sel:[1,1] op_sel_hi:[0,1]
	v_mov_b32_e32 v74, v23
	v_fmac_f32_e32 v69, v45, v16
	v_fma_f32 v68, v44, v16, -v17
	v_pk_add_f32 v[4:5], v[4:5], v[66:67]
	v_pk_fma_f32 v[6:7], v[48:49], v[20:21], v[72:73] neg_lo:[0,0,1] neg_hi:[0,0,1]
	v_pk_fma_f32 v[8:9], v[48:49], v[20:21], v[72:73] op_sel_hi:[1,0,1]
	v_pk_mul_f32 v[10:11], v[50:51], v[74:75] op_sel:[1,0] op_sel_hi:[0,0]
	v_pk_add_f32 v[4:5], v[4:5], v[68:69]
	v_mov_b32_e32 v78, v27
	v_mov_b32_e32 v7, v9
	v_pk_fma_f32 v[8:9], v[50:51], v[22:23], v[10:11] neg_lo:[0,0,1] neg_hi:[0,0,1]
	v_pk_fma_f32 v[10:11], v[50:51], v[22:23], v[10:11] op_sel_hi:[1,0,1]
	v_pk_add_f32 v[4:5], v[4:5], v[32:33]
	v_pk_mul_f32 v[16:17], v[54:55], v[78:79] op_sel:[1,0] op_sel_hi:[0,0]
	v_mov_b32_e32 v9, v11
	v_pk_add_f32 v[4:5], v[4:5], v[6:7]
	v_mov_b32_e32 v82, v31
	v_mov_b32_e32 v13, v15
	v_pk_fma_f32 v[14:15], v[54:55], v[26:27], v[16:17] neg_lo:[0,0,1] neg_hi:[0,0,1]
	v_pk_fma_f32 v[16:17], v[54:55], v[26:27], v[16:17] op_sel_hi:[1,0,1]
	v_pk_add_f32 v[4:5], v[4:5], v[8:9]
	v_pk_fma_f32 v[20:21], v[56:57], v[28:29], v[80:81] neg_lo:[0,0,1] neg_hi:[0,0,1]
	v_pk_mul_f32 v[28:29], v[58:59], v[82:83] op_sel:[1,0] op_sel_hi:[0,0]
	v_mov_b32_e32 v15, v17
	v_pk_add_f32 v[4:5], v[4:5], v[12:13]
	v_mov_b32_e32 v21, v25
	v_pk_add_f32 v[4:5], v[4:5], v[14:15]
	v_pk_fma_f32 v[6:7], v[58:59], v[30:31], v[28:29] neg_lo:[0,0,1] neg_hi:[0,0,1]
	v_pk_fma_f32 v[8:9], v[58:59], v[30:31], v[28:29] op_sel_hi:[1,0,1]
	v_pk_add_f32 v[4:5], v[4:5], v[20:21]
	v_mov_b32_e32 v7, v9
	v_pk_add_f32 v[4:5], v[4:5], v[6:7]
	s_waitcnt vmcnt(1) lgkmcnt(0)
	v_pk_mul_f32 v[6:7], v[64:65], v[60:61] op_sel:[1,1] op_sel_hi:[0,1]
	v_pk_fma_f32 v[8:9], v[64:65], v[60:61], v[6:7] neg_lo:[0,0,1] neg_hi:[0,0,1]
	v_pk_fma_f32 v[6:7], v[64:65], v[60:61], v[6:7] op_sel_hi:[1,0,1]
	s_nop 0
	v_mov_b32_e32 v9, v7
	v_pk_add_f32 v[4:5], v[4:5], v[8:9]
	s_waitcnt vmcnt(0)
	v_pk_add_f32 v[4:5], v[62:63], v[4:5] neg_lo:[0,1] neg_hi:[0,1]
	scratch_store_dwordx2 off, v[4:5], off offset:384
	s_and_saveexec_b64 s[0:1], vcc
	s_cbranch_execz .LBB63_303
; %bb.302:
	scratch_load_dwordx2 v[4:5], off, off offset:376
	v_mov_b32_e32 v3, v2
	scratch_store_dwordx2 off, v[2:3], off offset:376
	s_waitcnt vmcnt(1)
	ds_write_b64 v1, v[4:5]
.LBB63_303:
	s_or_b64 exec, exec, s[0:1]
	s_waitcnt lgkmcnt(0)
	; wave barrier
	scratch_load_dwordx4 v[4:7], off, off offset:384
	scratch_load_dwordx4 v[8:11], off, off offset:400
	;; [unrolled: 1-line block ×7, first 2 shown]
	ds_read_b128 v[32:35], v2 offset:896
	ds_read_b128 v[36:39], v2 offset:912
	;; [unrolled: 1-line block ×4, first 2 shown]
	scratch_load_dwordx4 v[48:51], off, off offset:496
	ds_read_b128 v[52:55], v2 offset:960
	ds_read_b128 v[56:59], v2 offset:976
	ds_read_b128 v[60:63], v2 offset:992
	ds_read_b128 v[64:67], v2 offset:1008
	scratch_load_dwordx2 v[2:3], off, off offset:376
	v_cmp_lt_u32_e32 vcc, 46, v0
	s_waitcnt vmcnt(8) lgkmcnt(7)
	v_mul_f32_e32 v75, v32, v5
	v_mul_f32_e32 v79, v34, v7
	s_waitcnt vmcnt(7) lgkmcnt(6)
	v_mul_f32_e32 v83, v36, v9
	v_mul_f32_e32 v84, v38, v11
	;; [unrolled: 3-line block ×3, first 2 shown]
	v_mul_f32_e32 v5, v33, v5
	v_mul_f32_e32 v7, v35, v7
	;; [unrolled: 1-line block ×6, first 2 shown]
	s_waitcnt vmcnt(4) lgkmcnt(3)
	v_pk_mul_f32 v[72:73], v[52:53], v[20:21] op_sel:[1,1] op_sel_hi:[0,1]
	v_mov_b32_e32 v74, v23
	s_waitcnt vmcnt(3) lgkmcnt(2)
	v_pk_mul_f32 v[76:77], v[56:57], v[24:25] op_sel:[1,1] op_sel_hi:[0,1]
	v_mov_b32_e32 v78, v27
	v_fmac_f32_e32 v75, v33, v4
	v_fmac_f32_e32 v79, v35, v6
	;; [unrolled: 1-line block ×6, first 2 shown]
	v_fma_f32 v32, v32, v4, -v5
	v_fma_f32 v33, v34, v6, -v7
	;; [unrolled: 1-line block ×6, first 2 shown]
	v_pk_fma_f32 v[4:5], v[52:53], v[20:21], v[72:73] neg_lo:[0,0,1] neg_hi:[0,0,1]
	v_pk_fma_f32 v[6:7], v[52:53], v[20:21], v[72:73] op_sel_hi:[1,0,1]
	v_pk_mul_f32 v[8:9], v[54:55], v[74:75] op_sel:[1,0] op_sel_hi:[0,0]
	v_pk_fma_f32 v[10:11], v[56:57], v[24:25], v[76:77] neg_lo:[0,0,1] neg_hi:[0,0,1]
	v_pk_fma_f32 v[12:13], v[56:57], v[24:25], v[76:77] op_sel_hi:[1,0,1]
	v_pk_mul_f32 v[14:15], v[58:59], v[78:79] op_sel:[1,0] op_sel_hi:[0,0]
	v_add_f32_e32 v24, 0, v75
	v_add_f32_e32 v25, 0, v32
	v_mov_b32_e32 v5, v7
	v_pk_fma_f32 v[6:7], v[54:55], v[22:23], v[8:9] neg_lo:[0,0,1] neg_hi:[0,0,1]
	v_pk_fma_f32 v[8:9], v[54:55], v[22:23], v[8:9] op_sel_hi:[1,0,1]
	v_mov_b32_e32 v11, v13
	v_pk_fma_f32 v[12:13], v[58:59], v[26:27], v[14:15] neg_lo:[0,0,1] neg_hi:[0,0,1]
	v_pk_fma_f32 v[14:15], v[58:59], v[26:27], v[14:15] op_sel_hi:[1,0,1]
	v_add_f32_e32 v8, v24, v79
	v_add_f32_e32 v14, v25, v33
	v_mov_b32_e32 v7, v9
	v_add_f32_e32 v8, v8, v83
	v_add_f32_e32 v9, v14, v34
	;; [unrolled: 1-line block ×4, first 2 shown]
	v_mul_f32_e32 v69, v44, v17
	v_mul_f32_e32 v17, v45, v17
	v_add_f32_e32 v8, v8, v85
	v_add_f32_e32 v14, v9, v36
	v_mul_f32_e32 v71, v46, v19
	v_mul_f32_e32 v19, v47, v19
	v_fmac_f32_e32 v69, v45, v16
	v_fma_f32 v68, v44, v16, -v17
	v_add_f32_e32 v9, v8, v86
	v_add_f32_e32 v8, v14, v37
	v_fmac_f32_e32 v71, v47, v18
	v_fma_f32 v70, v46, v18, -v19
	v_pk_add_f32 v[8:9], v[8:9], v[68:69]
	s_waitcnt vmcnt(2) lgkmcnt(1)
	v_pk_mul_f32 v[80:81], v[60:61], v[28:29] op_sel:[1,1] op_sel_hi:[0,1]
	v_mov_b32_e32 v82, v31
	v_pk_add_f32 v[8:9], v[8:9], v[70:71]
	v_pk_fma_f32 v[16:17], v[60:61], v[28:29], v[80:81] neg_lo:[0,0,1] neg_hi:[0,0,1]
	v_pk_fma_f32 v[18:19], v[60:61], v[28:29], v[80:81] op_sel_hi:[1,0,1]
	v_pk_mul_f32 v[20:21], v[62:63], v[82:83] op_sel:[1,0] op_sel_hi:[0,0]
	v_pk_add_f32 v[4:5], v[8:9], v[4:5]
	v_mov_b32_e32 v17, v19
	v_pk_fma_f32 v[18:19], v[62:63], v[30:31], v[20:21] neg_lo:[0,0,1] neg_hi:[0,0,1]
	v_pk_add_f32 v[4:5], v[4:5], v[6:7]
	v_pk_fma_f32 v[6:7], v[62:63], v[30:31], v[20:21] op_sel_hi:[1,0,1]
	v_mov_b32_e32 v13, v15
	v_pk_add_f32 v[4:5], v[4:5], v[10:11]
	v_mov_b32_e32 v19, v7
	s_waitcnt vmcnt(1) lgkmcnt(0)
	v_pk_mul_f32 v[6:7], v[64:65], v[48:49] op_sel:[1,1] op_sel_hi:[0,1]
	v_pk_add_f32 v[4:5], v[4:5], v[12:13]
	v_pk_fma_f32 v[8:9], v[64:65], v[48:49], v[6:7] neg_lo:[0,0,1] neg_hi:[0,0,1]
	v_pk_fma_f32 v[6:7], v[64:65], v[48:49], v[6:7] op_sel_hi:[1,0,1]
	v_pk_add_f32 v[4:5], v[4:5], v[16:17]
	v_mov_b32_e32 v6, v51
	v_pk_add_f32 v[4:5], v[4:5], v[18:19]
	v_mov_b32_e32 v9, v7
	v_pk_mul_f32 v[6:7], v[66:67], v[6:7] op_sel:[1,0] op_sel_hi:[0,0]
	v_pk_add_f32 v[4:5], v[4:5], v[8:9]
	v_pk_fma_f32 v[8:9], v[66:67], v[50:51], v[6:7] neg_lo:[0,0,1] neg_hi:[0,0,1]
	v_pk_fma_f32 v[6:7], v[66:67], v[50:51], v[6:7] op_sel_hi:[1,0,1]
	s_nop 0
	v_mov_b32_e32 v9, v7
	v_pk_add_f32 v[4:5], v[4:5], v[8:9]
	s_waitcnt vmcnt(0)
	v_pk_add_f32 v[2:3], v[2:3], v[4:5] neg_lo:[0,1] neg_hi:[0,1]
	scratch_store_dwordx2 off, v[2:3], off offset:376
	s_and_saveexec_b64 s[0:1], vcc
	s_cbranch_execz .LBB63_305
; %bb.304:
	scratch_load_dwordx2 v[2:3], off, off offset:368
	v_mov_b32_e32 v4, 0
	v_mov_b32_e32 v5, v4
	scratch_store_dwordx2 off, v[4:5], off offset:368
	s_waitcnt vmcnt(1)
	ds_write_b64 v1, v[2:3]
.LBB63_305:
	s_or_b64 exec, exec, s[0:1]
	s_waitcnt lgkmcnt(0)
	; wave barrier
	scratch_load_dwordx4 v[4:7], off, off offset:376
	scratch_load_dwordx4 v[8:11], off, off offset:392
	;; [unrolled: 1-line block ×8, first 2 shown]
	scratch_load_dwordx2 v[68:69], off, off offset:504
	scratch_load_dwordx2 v[70:71], off, off offset:368
	v_mov_b32_e32 v2, 0
	ds_read2_b64 v[36:39], v2 offset0:111 offset1:112
	ds_read2_b64 v[40:43], v2 offset0:113 offset1:114
	;; [unrolled: 1-line block ×8, first 2 shown]
	ds_read_b64 v[72:73], v2 offset:1016
	v_cmp_lt_u32_e32 vcc, 45, v0
	s_waitcnt vmcnt(9) lgkmcnt(8)
	v_mul_f32_e32 v79, v38, v7
	v_mul_f32_e32 v3, v36, v5
	s_waitcnt vmcnt(8) lgkmcnt(7)
	v_mul_f32_e32 v83, v40, v9
	s_waitcnt vmcnt(7) lgkmcnt(6)
	v_mul_f32_e32 v87, v44, v13
	v_mul_f32_e32 v5, v37, v5
	v_mul_f32_e32 v7, v39, v7
	v_mul_f32_e32 v9, v41, v9
	v_mul_f32_e32 v13, v45, v13
	s_waitcnt vmcnt(5)
	v_mov_b32_e32 v78, v23
	s_waitcnt vmcnt(3) lgkmcnt(2)
	v_pk_mul_f32 v[84:85], v[60:61], v[28:29] op_sel:[1,1] op_sel_hi:[0,1]
	v_fmac_f32_e32 v79, v39, v6
	v_mul_f32_e32 v86, v42, v11
	v_mul_f32_e32 v89, v48, v17
	;; [unrolled: 1-line block ×4, first 2 shown]
	v_fmac_f32_e32 v3, v37, v4
	v_fmac_f32_e32 v87, v45, v12
	v_fma_f32 v36, v36, v4, -v5
	v_fma_f32 v37, v38, v6, -v7
	;; [unrolled: 1-line block ×4, first 2 shown]
	v_pk_mul_f32 v[4:5], v[54:55], v[78:79] op_sel:[1,0] op_sel_hi:[0,0]
	v_pk_fma_f32 v[12:13], v[60:61], v[28:29], v[84:85] neg_lo:[0,0,1] neg_hi:[0,0,1]
	v_fmac_f32_e32 v89, v49, v16
	v_fma_f32 v39, v42, v10, -v11
	v_fma_f32 v42, v48, v16, -v17
	v_add_f32_e32 v3, 0, v3
	v_add_f32_e32 v13, 0, v36
	v_pk_fma_f32 v[16:17], v[54:55], v[22:23], v[4:5] neg_lo:[0,0,1] neg_hi:[0,0,1]
	v_pk_fma_f32 v[4:5], v[54:55], v[22:23], v[4:5] op_sel_hi:[1,0,1]
	v_fmac_f32_e32 v83, v41, v8
	v_add_f32_e32 v3, v3, v79
	v_add_f32_e32 v4, v13, v37
	v_fmac_f32_e32 v86, v43, v10
	v_add_f32_e32 v3, v3, v83
	v_add_f32_e32 v4, v4, v38
	v_mul_f32_e32 v88, v46, v15
	v_mul_f32_e32 v15, v47, v15
	v_add_f32_e32 v3, v3, v86
	v_add_f32_e32 v4, v4, v39
	v_fmac_f32_e32 v88, v47, v14
	v_fma_f32 v41, v46, v14, -v15
	v_add_f32_e32 v3, v3, v87
	v_add_f32_e32 v4, v4, v40
	v_mul_f32_e32 v75, v50, v19
	v_mul_f32_e32 v19, v51, v19
	v_add_f32_e32 v3, v3, v88
	v_add_f32_e32 v4, v4, v41
	v_mul_f32_e32 v77, v52, v21
	v_mul_f32_e32 v21, v53, v21
	v_fmac_f32_e32 v75, v51, v18
	v_fma_f32 v74, v50, v18, -v19
	v_mov_b32_e32 v17, v5
	v_add_f32_e32 v5, v3, v89
	v_add_f32_e32 v4, v4, v42
	v_pk_mul_f32 v[80:81], v[56:57], v[24:25] op_sel:[1,1] op_sel_hi:[0,1]
	v_fmac_f32_e32 v77, v53, v20
	v_fma_f32 v76, v52, v20, -v21
	v_pk_add_f32 v[4:5], v[4:5], v[74:75]
	v_mov_b32_e32 v82, v27
	v_pk_fma_f32 v[6:7], v[56:57], v[24:25], v[80:81] neg_lo:[0,0,1] neg_hi:[0,0,1]
	v_pk_fma_f32 v[8:9], v[56:57], v[24:25], v[80:81] op_sel_hi:[1,0,1]
	v_pk_add_f32 v[4:5], v[4:5], v[76:77]
	v_pk_mul_f32 v[10:11], v[58:59], v[82:83] op_sel:[1,0] op_sel_hi:[0,0]
	v_mov_b32_e32 v7, v9
	v_pk_add_f32 v[4:5], v[4:5], v[16:17]
	v_pk_fma_f32 v[8:9], v[58:59], v[26:27], v[10:11] neg_lo:[0,0,1] neg_hi:[0,0,1]
	v_pk_fma_f32 v[10:11], v[58:59], v[26:27], v[10:11] op_sel_hi:[1,0,1]
	v_pk_add_f32 v[4:5], v[4:5], v[6:7]
	v_mov_b32_e32 v6, v31
	v_pk_fma_f32 v[14:15], v[60:61], v[28:29], v[84:85] op_sel_hi:[1,0,1]
	v_mov_b32_e32 v9, v11
	v_pk_mul_f32 v[6:7], v[62:63], v[6:7] op_sel:[1,0] op_sel_hi:[0,0]
	v_pk_add_f32 v[4:5], v[4:5], v[8:9]
	v_mov_b32_e32 v13, v15
	v_pk_fma_f32 v[8:9], v[62:63], v[30:31], v[6:7] neg_lo:[0,0,1] neg_hi:[0,0,1]
	v_pk_fma_f32 v[6:7], v[62:63], v[30:31], v[6:7] op_sel_hi:[1,0,1]
	v_pk_add_f32 v[4:5], v[4:5], v[12:13]
	v_mov_b32_e32 v9, v7
	s_waitcnt vmcnt(2) lgkmcnt(1)
	v_pk_mul_f32 v[6:7], v[64:65], v[32:33] op_sel:[1,1] op_sel_hi:[0,1]
	v_pk_add_f32 v[4:5], v[4:5], v[8:9]
	v_pk_fma_f32 v[8:9], v[64:65], v[32:33], v[6:7] neg_lo:[0,0,1] neg_hi:[0,0,1]
	v_pk_fma_f32 v[6:7], v[64:65], v[32:33], v[6:7] op_sel_hi:[1,0,1]
	s_nop 0
	v_mov_b32_e32 v6, v35
	v_mov_b32_e32 v9, v7
	v_pk_mul_f32 v[6:7], v[66:67], v[6:7] op_sel:[1,0] op_sel_hi:[0,0]
	v_pk_add_f32 v[4:5], v[4:5], v[8:9]
	v_pk_fma_f32 v[8:9], v[66:67], v[34:35], v[6:7] neg_lo:[0,0,1] neg_hi:[0,0,1]
	v_pk_fma_f32 v[6:7], v[66:67], v[34:35], v[6:7] op_sel_hi:[1,0,1]
	s_nop 0
	v_mov_b32_e32 v9, v7
	s_waitcnt vmcnt(1) lgkmcnt(0)
	v_pk_mul_f32 v[6:7], v[72:73], v[68:69] op_sel:[1,1] op_sel_hi:[0,1]
	v_pk_add_f32 v[4:5], v[4:5], v[8:9]
	v_pk_fma_f32 v[8:9], v[72:73], v[68:69], v[6:7] neg_lo:[0,0,1] neg_hi:[0,0,1]
	v_pk_fma_f32 v[6:7], v[72:73], v[68:69], v[6:7] op_sel_hi:[1,0,1]
	s_nop 0
	v_mov_b32_e32 v9, v7
	v_pk_add_f32 v[4:5], v[4:5], v[8:9]
	s_waitcnt vmcnt(0)
	v_pk_add_f32 v[4:5], v[70:71], v[4:5] neg_lo:[0,1] neg_hi:[0,1]
	scratch_store_dwordx2 off, v[4:5], off offset:368
	s_and_saveexec_b64 s[0:1], vcc
	s_cbranch_execz .LBB63_307
; %bb.306:
	scratch_load_dwordx2 v[4:5], off, off offset:360
	v_mov_b32_e32 v3, v2
	scratch_store_dwordx2 off, v[2:3], off offset:360
	s_waitcnt vmcnt(1)
	ds_write_b64 v1, v[4:5]
.LBB63_307:
	s_or_b64 exec, exec, s[0:1]
	s_waitcnt lgkmcnt(0)
	; wave barrier
	scratch_load_dwordx4 v[4:7], off, off offset:368
	scratch_load_dwordx4 v[8:11], off, off offset:384
	;; [unrolled: 1-line block ×7, first 2 shown]
	ds_read_b128 v[32:35], v2 offset:880
	ds_read_b128 v[36:39], v2 offset:896
	;; [unrolled: 1-line block ×4, first 2 shown]
	scratch_load_dwordx4 v[48:51], off, off offset:480
	scratch_load_dwordx4 v[52:55], off, off offset:496
	ds_read_b128 v[56:59], v2 offset:944
	ds_read_b128 v[60:63], v2 offset:960
	;; [unrolled: 1-line block ×5, first 2 shown]
	scratch_load_dwordx2 v[2:3], off, off offset:360
	v_cmp_lt_u32_e32 vcc, 44, v0
	s_waitcnt vmcnt(9) lgkmcnt(8)
	v_mul_f32_e32 v83, v32, v5
	v_mul_f32_e32 v86, v34, v7
	s_waitcnt vmcnt(8) lgkmcnt(7)
	v_mul_f32_e32 v87, v36, v9
	s_waitcnt vmcnt(7) lgkmcnt(6)
	v_mul_f32_e32 v89, v40, v13
	v_mul_f32_e32 v5, v33, v5
	;; [unrolled: 1-line block ×5, first 2 shown]
	s_waitcnt vmcnt(4) lgkmcnt(3)
	v_pk_mul_f32 v[80:81], v[60:61], v[24:25] op_sel:[1,1] op_sel_hi:[0,1]
	v_mov_b32_e32 v82, v27
	s_waitcnt vmcnt(3) lgkmcnt(2)
	v_pk_mul_f32 v[84:85], v[64:65], v[28:29] op_sel:[1,1] op_sel_hi:[0,1]
	v_fmac_f32_e32 v83, v33, v4
	v_mul_f32_e32 v90, v42, v15
	v_mul_f32_e32 v91, v44, v17
	;; [unrolled: 1-line block ×4, first 2 shown]
	v_fmac_f32_e32 v86, v35, v6
	v_fmac_f32_e32 v87, v37, v8
	;; [unrolled: 1-line block ×3, first 2 shown]
	v_fma_f32 v32, v32, v4, -v5
	v_fma_f32 v33, v34, v6, -v7
	;; [unrolled: 1-line block ×4, first 2 shown]
	v_pk_fma_f32 v[4:5], v[60:61], v[24:25], v[80:81] neg_lo:[0,0,1] neg_hi:[0,0,1]
	v_pk_fma_f32 v[6:7], v[60:61], v[24:25], v[80:81] op_sel_hi:[1,0,1]
	v_pk_mul_f32 v[8:9], v[62:63], v[82:83] op_sel:[1,0] op_sel_hi:[0,0]
	v_pk_fma_f32 v[12:13], v[64:65], v[28:29], v[84:85] op_sel_hi:[1,0,1]
	v_fmac_f32_e32 v90, v43, v14
	v_fma_f32 v14, v42, v14, -v15
	v_fma_f32 v15, v44, v16, -v17
	v_add_f32_e32 v12, 0, v83
	v_add_f32_e32 v17, 0, v32
	v_mov_b32_e32 v5, v7
	v_pk_fma_f32 v[6:7], v[62:63], v[26:27], v[8:9] neg_lo:[0,0,1] neg_hi:[0,0,1]
	v_pk_fma_f32 v[8:9], v[62:63], v[26:27], v[8:9] op_sel_hi:[1,0,1]
	v_mul_f32_e32 v88, v38, v11
	v_mul_f32_e32 v11, v39, v11
	v_add_f32_e32 v8, v12, v86
	v_add_f32_e32 v12, v17, v33
	v_fmac_f32_e32 v88, v39, v10
	v_fma_f32 v35, v38, v10, -v11
	v_mov_b32_e32 v7, v9
	v_add_f32_e32 v8, v8, v87
	v_add_f32_e32 v9, v12, v34
	v_add_f32_e32 v8, v8, v88
	v_add_f32_e32 v9, v9, v35
	v_add_f32_e32 v8, v8, v89
	v_add_f32_e32 v9, v9, v36
	v_mul_f32_e32 v92, v46, v19
	v_mul_f32_e32 v19, v47, v19
	v_fmac_f32_e32 v91, v45, v16
	v_add_f32_e32 v8, v8, v90
	v_add_f32_e32 v9, v9, v14
	v_mul_f32_e32 v77, v56, v21
	v_mul_f32_e32 v21, v57, v21
	v_fmac_f32_e32 v92, v47, v18
	v_fma_f32 v16, v46, v18, -v19
	v_add_f32_e32 v8, v8, v91
	v_add_f32_e32 v12, v9, v15
	v_mul_f32_e32 v79, v58, v23
	v_mul_f32_e32 v23, v59, v23
	v_fmac_f32_e32 v77, v57, v20
	v_fma_f32 v76, v56, v20, -v21
	v_add_f32_e32 v9, v8, v92
	v_add_f32_e32 v8, v12, v16
	v_fmac_f32_e32 v79, v59, v22
	v_fma_f32 v78, v58, v22, -v23
	v_pk_add_f32 v[8:9], v[8:9], v[76:77]
	v_pk_fma_f32 v[10:11], v[64:65], v[28:29], v[84:85] neg_lo:[0,0,1] neg_hi:[0,0,1]
	v_pk_add_f32 v[8:9], v[8:9], v[78:79]
	v_mov_b32_e32 v11, v13
	v_pk_add_f32 v[4:5], v[8:9], v[4:5]
	s_nop 0
	v_pk_add_f32 v[4:5], v[4:5], v[6:7]
	v_mov_b32_e32 v6, v31
	v_pk_mul_f32 v[6:7], v[66:67], v[6:7] op_sel:[1,0] op_sel_hi:[0,0]
	v_pk_fma_f32 v[8:9], v[66:67], v[30:31], v[6:7] neg_lo:[0,0,1] neg_hi:[0,0,1]
	v_pk_fma_f32 v[6:7], v[66:67], v[30:31], v[6:7] op_sel_hi:[1,0,1]
	v_pk_add_f32 v[4:5], v[4:5], v[10:11]
	v_mov_b32_e32 v9, v7
	s_waitcnt vmcnt(2) lgkmcnt(1)
	v_pk_mul_f32 v[6:7], v[68:69], v[48:49] op_sel:[1,1] op_sel_hi:[0,1]
	v_pk_add_f32 v[4:5], v[4:5], v[8:9]
	v_pk_fma_f32 v[8:9], v[68:69], v[48:49], v[6:7] neg_lo:[0,0,1] neg_hi:[0,0,1]
	v_pk_fma_f32 v[6:7], v[68:69], v[48:49], v[6:7] op_sel_hi:[1,0,1]
	s_nop 0
	v_mov_b32_e32 v6, v51
	v_mov_b32_e32 v9, v7
	v_pk_mul_f32 v[6:7], v[70:71], v[6:7] op_sel:[1,0] op_sel_hi:[0,0]
	v_pk_add_f32 v[4:5], v[4:5], v[8:9]
	v_pk_fma_f32 v[8:9], v[70:71], v[50:51], v[6:7] neg_lo:[0,0,1] neg_hi:[0,0,1]
	v_pk_fma_f32 v[6:7], v[70:71], v[50:51], v[6:7] op_sel_hi:[1,0,1]
	s_nop 0
	v_mov_b32_e32 v9, v7
	s_waitcnt vmcnt(1) lgkmcnt(0)
	v_pk_mul_f32 v[6:7], v[72:73], v[52:53] op_sel:[1,1] op_sel_hi:[0,1]
	v_pk_add_f32 v[4:5], v[4:5], v[8:9]
	v_pk_fma_f32 v[8:9], v[72:73], v[52:53], v[6:7] neg_lo:[0,0,1] neg_hi:[0,0,1]
	v_pk_fma_f32 v[6:7], v[72:73], v[52:53], v[6:7] op_sel_hi:[1,0,1]
	s_nop 0
	v_mov_b32_e32 v6, v55
	v_mov_b32_e32 v9, v7
	v_pk_mul_f32 v[6:7], v[74:75], v[6:7] op_sel:[1,0] op_sel_hi:[0,0]
	v_pk_add_f32 v[4:5], v[4:5], v[8:9]
	v_pk_fma_f32 v[8:9], v[74:75], v[54:55], v[6:7] neg_lo:[0,0,1] neg_hi:[0,0,1]
	v_pk_fma_f32 v[6:7], v[74:75], v[54:55], v[6:7] op_sel_hi:[1,0,1]
	s_nop 0
	v_mov_b32_e32 v9, v7
	v_pk_add_f32 v[4:5], v[4:5], v[8:9]
	s_waitcnt vmcnt(0)
	v_pk_add_f32 v[2:3], v[2:3], v[4:5] neg_lo:[0,1] neg_hi:[0,1]
	scratch_store_dwordx2 off, v[2:3], off offset:360
	s_and_saveexec_b64 s[0:1], vcc
	s_cbranch_execz .LBB63_309
; %bb.308:
	scratch_load_dwordx2 v[2:3], off, off offset:352
	v_mov_b32_e32 v4, 0
	v_mov_b32_e32 v5, v4
	scratch_store_dwordx2 off, v[4:5], off offset:352
	s_waitcnt vmcnt(1)
	ds_write_b64 v1, v[2:3]
.LBB63_309:
	s_or_b64 exec, exec, s[0:1]
	s_waitcnt lgkmcnt(0)
	; wave barrier
	scratch_load_dwordx4 v[4:7], off, off offset:360
	scratch_load_dwordx4 v[8:11], off, off offset:376
	;; [unrolled: 1-line block ×9, first 2 shown]
	scratch_load_dwordx2 v[76:77], off, off offset:504
	scratch_load_dwordx2 v[78:79], off, off offset:352
	v_mov_b32_e32 v2, 0
	ds_read2_b64 v[40:43], v2 offset0:109 offset1:110
	ds_read2_b64 v[44:47], v2 offset0:111 offset1:112
	;; [unrolled: 1-line block ×9, first 2 shown]
	ds_read_b64 v[80:81], v2 offset:1016
	v_cmp_lt_u32_e32 vcc, 43, v0
	s_waitcnt vmcnt(10) lgkmcnt(9)
	v_mul_f32_e32 v87, v42, v7
	v_mul_f32_e32 v3, v40, v5
	;; [unrolled: 1-line block ×3, first 2 shown]
	v_fmac_f32_e32 v87, v43, v6
	s_waitcnt vmcnt(9) lgkmcnt(8)
	v_mul_f32_e32 v88, v44, v9
	s_waitcnt vmcnt(5)
	v_mov_b32_e32 v86, v27
	v_mul_f32_e32 v89, v46, v11
	s_waitcnt lgkmcnt(7)
	v_mul_f32_e32 v91, v50, v15
	v_mul_f32_e32 v7, v43, v7
	;; [unrolled: 1-line block ×5, first 2 shown]
	v_fmac_f32_e32 v3, v41, v4
	v_fma_f32 v40, v40, v4, -v5
	s_waitcnt lgkmcnt(4)
	v_pk_mul_f32 v[4:5], v[62:63], v[86:87] op_sel:[1,0] op_sel_hi:[0,0]
	v_fmac_f32_e32 v88, v45, v8
	v_fma_f32 v41, v42, v6, -v7
	v_fma_f32 v8, v44, v8, -v9
	;; [unrolled: 1-line block ×4, first 2 shown]
	v_add_f32_e32 v3, 0, v3
	v_add_f32_e32 v15, 0, v40
	v_pk_fma_f32 v[6:7], v[62:63], v[26:27], v[4:5] neg_lo:[0,0,1] neg_hi:[0,0,1]
	v_pk_fma_f32 v[4:5], v[62:63], v[26:27], v[4:5] op_sel_hi:[1,0,1]
	v_add_f32_e32 v3, v3, v87
	v_add_f32_e32 v4, v15, v41
	v_mul_f32_e32 v90, v48, v13
	v_mul_f32_e32 v13, v49, v13
	v_fmac_f32_e32 v89, v47, v10
	v_add_f32_e32 v3, v3, v88
	v_add_f32_e32 v4, v4, v8
	v_fmac_f32_e32 v90, v49, v12
	v_fma_f32 v10, v48, v12, -v13
	v_add_f32_e32 v3, v3, v89
	v_add_f32_e32 v4, v4, v9
	v_mul_f32_e32 v92, v52, v17
	v_mul_f32_e32 v17, v53, v17
	v_fmac_f32_e32 v91, v51, v14
	v_add_f32_e32 v3, v3, v90
	v_add_f32_e32 v4, v4, v10
	v_mul_f32_e32 v93, v54, v19
	v_mul_f32_e32 v19, v55, v19
	v_fmac_f32_e32 v92, v53, v16
	v_fma_f32 v12, v52, v16, -v17
	v_add_f32_e32 v3, v3, v91
	v_add_f32_e32 v4, v4, v11
	v_mul_f32_e32 v94, v56, v21
	v_mul_f32_e32 v21, v57, v21
	v_fmac_f32_e32 v93, v55, v18
	v_fma_f32 v13, v54, v18, -v19
	;; [unrolled: 6-line block ×4, first 2 shown]
	v_mov_b32_e32 v7, v5
	v_add_f32_e32 v5, v3, v94
	v_add_f32_e32 v4, v4, v14
	v_fmac_f32_e32 v85, v61, v24
	v_fma_f32 v84, v60, v24, -v25
	v_pk_add_f32 v[4:5], v[4:5], v[82:83]
	s_nop 0
	v_pk_add_f32 v[4:5], v[4:5], v[84:85]
	s_nop 0
	v_pk_add_f32 v[4:5], v[4:5], v[6:7]
	s_waitcnt vmcnt(4) lgkmcnt(3)
	v_pk_mul_f32 v[6:7], v[64:65], v[28:29] op_sel:[1,1] op_sel_hi:[0,1]
	v_pk_fma_f32 v[8:9], v[64:65], v[28:29], v[6:7] neg_lo:[0,0,1] neg_hi:[0,0,1]
	v_pk_fma_f32 v[6:7], v[64:65], v[28:29], v[6:7] op_sel_hi:[1,0,1]
	s_nop 0
	v_mov_b32_e32 v6, v31
	v_mov_b32_e32 v9, v7
	v_pk_mul_f32 v[6:7], v[66:67], v[6:7] op_sel:[1,0] op_sel_hi:[0,0]
	v_pk_add_f32 v[4:5], v[4:5], v[8:9]
	v_pk_fma_f32 v[8:9], v[66:67], v[30:31], v[6:7] neg_lo:[0,0,1] neg_hi:[0,0,1]
	v_pk_fma_f32 v[6:7], v[66:67], v[30:31], v[6:7] op_sel_hi:[1,0,1]
	s_nop 0
	v_mov_b32_e32 v9, v7
	s_waitcnt vmcnt(3) lgkmcnt(2)
	v_pk_mul_f32 v[6:7], v[68:69], v[32:33] op_sel:[1,1] op_sel_hi:[0,1]
	v_pk_add_f32 v[4:5], v[4:5], v[8:9]
	v_pk_fma_f32 v[8:9], v[68:69], v[32:33], v[6:7] neg_lo:[0,0,1] neg_hi:[0,0,1]
	v_pk_fma_f32 v[6:7], v[68:69], v[32:33], v[6:7] op_sel_hi:[1,0,1]
	s_nop 0
	v_mov_b32_e32 v6, v35
	v_mov_b32_e32 v9, v7
	v_pk_mul_f32 v[6:7], v[70:71], v[6:7] op_sel:[1,0] op_sel_hi:[0,0]
	v_pk_add_f32 v[4:5], v[4:5], v[8:9]
	v_pk_fma_f32 v[8:9], v[70:71], v[34:35], v[6:7] neg_lo:[0,0,1] neg_hi:[0,0,1]
	v_pk_fma_f32 v[6:7], v[70:71], v[34:35], v[6:7] op_sel_hi:[1,0,1]
	s_nop 0
	v_mov_b32_e32 v9, v7
	s_waitcnt vmcnt(2) lgkmcnt(1)
	v_pk_mul_f32 v[6:7], v[72:73], v[36:37] op_sel:[1,1] op_sel_hi:[0,1]
	v_pk_add_f32 v[4:5], v[4:5], v[8:9]
	;; [unrolled: 14-line block ×3, first 2 shown]
	v_pk_fma_f32 v[8:9], v[80:81], v[76:77], v[6:7] neg_lo:[0,0,1] neg_hi:[0,0,1]
	v_pk_fma_f32 v[6:7], v[80:81], v[76:77], v[6:7] op_sel_hi:[1,0,1]
	s_nop 0
	v_mov_b32_e32 v9, v7
	v_pk_add_f32 v[4:5], v[4:5], v[8:9]
	s_waitcnt vmcnt(0)
	v_pk_add_f32 v[4:5], v[78:79], v[4:5] neg_lo:[0,1] neg_hi:[0,1]
	scratch_store_dwordx2 off, v[4:5], off offset:352
	s_and_saveexec_b64 s[0:1], vcc
	s_cbranch_execz .LBB63_311
; %bb.310:
	scratch_load_dwordx2 v[4:5], off, off offset:344
	v_mov_b32_e32 v3, v2
	scratch_store_dwordx2 off, v[2:3], off offset:344
	s_waitcnt vmcnt(1)
	ds_write_b64 v1, v[4:5]
.LBB63_311:
	s_or_b64 exec, exec, s[0:1]
	s_waitcnt lgkmcnt(0)
	; wave barrier
	scratch_load_dwordx4 v[4:7], off, off offset:352
	scratch_load_dwordx4 v[8:11], off, off offset:368
	;; [unrolled: 1-line block ×7, first 2 shown]
	ds_read_b128 v[32:35], v2 offset:864
	ds_read_b128 v[36:39], v2 offset:880
	;; [unrolled: 1-line block ×6, first 2 shown]
	scratch_load_dwordx4 v[56:59], off, off offset:464
	scratch_load_dwordx4 v[60:63], off, off offset:480
	;; [unrolled: 1-line block ×3, first 2 shown]
	ds_read_b128 v[68:71], v2 offset:960
	ds_read_b128 v[72:75], v2 offset:976
	;; [unrolled: 1-line block ×4, first 2 shown]
	scratch_load_dwordx2 v[2:3], off, off offset:344
	v_cmp_lt_u32_e32 vcc, 42, v0
	s_waitcnt vmcnt(10) lgkmcnt(9)
	v_mul_f32_e32 v90, v32, v5
	v_mul_f32_e32 v5, v33, v5
	v_mul_f32_e32 v91, v34, v7
	s_waitcnt vmcnt(9) lgkmcnt(8)
	v_mul_f32_e32 v92, v36, v9
	s_waitcnt vmcnt(8) lgkmcnt(7)
	v_mul_f32_e32 v95, v42, v15
	v_mul_f32_e32 v7, v35, v7
	v_mul_f32_e32 v9, v37, v9
	v_mul_f32_e32 v15, v43, v15
	v_fmac_f32_e32 v90, v33, v4
	v_fma_f32 v4, v32, v4, -v5
	v_fmac_f32_e32 v91, v35, v6
	v_fmac_f32_e32 v95, v43, v14
	v_fma_f32 v5, v34, v6, -v7
	v_fma_f32 v6, v36, v8, -v9
	;; [unrolled: 1-line block ×3, first 2 shown]
	v_add_f32_e32 v14, 0, v90
	v_add_f32_e32 v4, 0, v4
	v_mul_f32_e32 v93, v38, v11
	v_mul_f32_e32 v11, v39, v11
	v_fmac_f32_e32 v92, v37, v8
	v_add_f32_e32 v14, v14, v91
	v_add_f32_e32 v4, v4, v5
	v_mul_f32_e32 v94, v40, v13
	v_mul_f32_e32 v13, v41, v13
	v_fmac_f32_e32 v93, v39, v10
	v_fma_f32 v7, v38, v10, -v11
	v_add_f32_e32 v5, v14, v92
	v_add_f32_e32 v4, v4, v6
	v_fmac_f32_e32 v94, v41, v12
	v_fma_f32 v8, v40, v12, -v13
	v_add_f32_e32 v5, v5, v93
	v_add_f32_e32 v4, v4, v7
	s_waitcnt vmcnt(7) lgkmcnt(6)
	v_mul_f32_e32 v96, v44, v17
	v_mul_f32_e32 v17, v45, v17
	v_add_f32_e32 v5, v5, v94
	v_add_f32_e32 v4, v4, v8
	v_mul_f32_e32 v97, v46, v19
	v_mul_f32_e32 v19, v47, v19
	v_fmac_f32_e32 v96, v45, v16
	v_fma_f32 v10, v44, v16, -v17
	v_add_f32_e32 v5, v5, v95
	v_add_f32_e32 v4, v4, v9
	s_waitcnt vmcnt(6) lgkmcnt(5)
	v_mul_f32_e32 v98, v48, v21
	v_mul_f32_e32 v21, v49, v21
	v_fmac_f32_e32 v97, v47, v18
	v_fma_f32 v11, v46, v18, -v19
	v_add_f32_e32 v5, v5, v96
	v_add_f32_e32 v4, v4, v10
	v_mul_f32_e32 v99, v50, v23
	v_mul_f32_e32 v23, v51, v23
	v_fmac_f32_e32 v98, v49, v20
	v_fma_f32 v12, v48, v20, -v21
	v_add_f32_e32 v5, v5, v97
	v_add_f32_e32 v4, v4, v11
	s_waitcnt vmcnt(5) lgkmcnt(4)
	v_mul_f32_e32 v85, v52, v25
	v_mul_f32_e32 v25, v53, v25
	v_fmac_f32_e32 v99, v51, v22
	v_fma_f32 v13, v50, v22, -v23
	v_add_f32_e32 v5, v5, v98
	v_add_f32_e32 v4, v4, v12
	v_mul_f32_e32 v87, v54, v27
	v_mul_f32_e32 v27, v55, v27
	s_waitcnt vmcnt(4) lgkmcnt(3)
	v_pk_mul_f32 v[88:89], v[68:69], v[28:29] op_sel:[1,1] op_sel_hi:[0,1]
	v_fmac_f32_e32 v85, v53, v24
	v_fma_f32 v84, v52, v24, -v25
	v_add_f32_e32 v5, v5, v99
	v_add_f32_e32 v4, v4, v13
	v_fmac_f32_e32 v87, v55, v26
	v_fma_f32 v86, v54, v26, -v27
	v_pk_add_f32 v[4:5], v[4:5], v[84:85]
	v_pk_fma_f32 v[6:7], v[68:69], v[28:29], v[88:89] neg_lo:[0,0,1] neg_hi:[0,0,1]
	v_pk_fma_f32 v[8:9], v[68:69], v[28:29], v[88:89] op_sel_hi:[1,0,1]
	v_pk_add_f32 v[4:5], v[4:5], v[86:87]
	v_mov_b32_e32 v7, v9
	v_pk_add_f32 v[4:5], v[4:5], v[6:7]
	v_mov_b32_e32 v6, v31
	v_pk_mul_f32 v[6:7], v[70:71], v[6:7] op_sel:[1,0] op_sel_hi:[0,0]
	v_pk_fma_f32 v[8:9], v[70:71], v[30:31], v[6:7] neg_lo:[0,0,1] neg_hi:[0,0,1]
	v_pk_fma_f32 v[6:7], v[70:71], v[30:31], v[6:7] op_sel_hi:[1,0,1]
	s_nop 0
	v_mov_b32_e32 v9, v7
	s_waitcnt vmcnt(3) lgkmcnt(2)
	v_pk_mul_f32 v[6:7], v[72:73], v[56:57] op_sel:[1,1] op_sel_hi:[0,1]
	v_pk_add_f32 v[4:5], v[4:5], v[8:9]
	v_pk_fma_f32 v[8:9], v[72:73], v[56:57], v[6:7] neg_lo:[0,0,1] neg_hi:[0,0,1]
	v_pk_fma_f32 v[6:7], v[72:73], v[56:57], v[6:7] op_sel_hi:[1,0,1]
	s_nop 0
	v_mov_b32_e32 v6, v59
	v_mov_b32_e32 v9, v7
	v_pk_mul_f32 v[6:7], v[74:75], v[6:7] op_sel:[1,0] op_sel_hi:[0,0]
	v_pk_add_f32 v[4:5], v[4:5], v[8:9]
	v_pk_fma_f32 v[8:9], v[74:75], v[58:59], v[6:7] neg_lo:[0,0,1] neg_hi:[0,0,1]
	v_pk_fma_f32 v[6:7], v[74:75], v[58:59], v[6:7] op_sel_hi:[1,0,1]
	s_nop 0
	v_mov_b32_e32 v9, v7
	s_waitcnt vmcnt(2) lgkmcnt(1)
	v_pk_mul_f32 v[6:7], v[76:77], v[60:61] op_sel:[1,1] op_sel_hi:[0,1]
	v_pk_add_f32 v[4:5], v[4:5], v[8:9]
	v_pk_fma_f32 v[8:9], v[76:77], v[60:61], v[6:7] neg_lo:[0,0,1] neg_hi:[0,0,1]
	v_pk_fma_f32 v[6:7], v[76:77], v[60:61], v[6:7] op_sel_hi:[1,0,1]
	s_nop 0
	v_mov_b32_e32 v6, v63
	v_mov_b32_e32 v9, v7
	v_pk_mul_f32 v[6:7], v[78:79], v[6:7] op_sel:[1,0] op_sel_hi:[0,0]
	v_pk_add_f32 v[4:5], v[4:5], v[8:9]
	;; [unrolled: 14-line block ×3, first 2 shown]
	v_pk_fma_f32 v[8:9], v[82:83], v[66:67], v[6:7] neg_lo:[0,0,1] neg_hi:[0,0,1]
	v_pk_fma_f32 v[6:7], v[82:83], v[66:67], v[6:7] op_sel_hi:[1,0,1]
	s_nop 0
	v_mov_b32_e32 v9, v7
	v_pk_add_f32 v[4:5], v[4:5], v[8:9]
	s_waitcnt vmcnt(0)
	v_pk_add_f32 v[2:3], v[2:3], v[4:5] neg_lo:[0,1] neg_hi:[0,1]
	scratch_store_dwordx2 off, v[2:3], off offset:344
	s_and_saveexec_b64 s[0:1], vcc
	s_cbranch_execz .LBB63_313
; %bb.312:
	scratch_load_dwordx2 v[2:3], off, off offset:336
	v_mov_b32_e32 v4, 0
	v_mov_b32_e32 v5, v4
	scratch_store_dwordx2 off, v[4:5], off offset:336
	s_waitcnt vmcnt(1)
	ds_write_b64 v1, v[2:3]
.LBB63_313:
	s_or_b64 exec, exec, s[0:1]
	s_waitcnt lgkmcnt(0)
	; wave barrier
	scratch_load_dwordx4 v[2:5], off, off offset:344
	scratch_load_dwordx4 v[8:11], off, off offset:360
	;; [unrolled: 1-line block ×10, first 2 shown]
	scratch_load_dwordx2 v[76:77], off, off offset:504
	scratch_load_dwordx2 v[78:79], off, off offset:336
	v_mov_b32_e32 v6, 0
	ds_read2_b64 v[44:47], v6 offset0:107 offset1:108
	ds_read2_b64 v[48:51], v6 offset0:109 offset1:110
	;; [unrolled: 1-line block ×8, first 2 shown]
	v_cmp_lt_u32_e32 vcc, 41, v0
	s_waitcnt vmcnt(11) lgkmcnt(7)
	v_mul_f32_e32 v7, v44, v3
	v_mul_f32_e32 v3, v45, v3
	;; [unrolled: 1-line block ×4, first 2 shown]
	v_fmac_f32_e32 v7, v45, v2
	v_fma_f32 v2, v44, v2, -v3
	s_waitcnt vmcnt(10) lgkmcnt(6)
	v_mul_f32_e32 v82, v48, v9
	v_mul_f32_e32 v9, v49, v9
	v_fma_f32 v3, v46, v4, -v5
	v_add_f32_e32 v2, 0, v2
	v_mul_f32_e32 v84, v50, v11
	v_mul_f32_e32 v11, v51, v11
	v_fmac_f32_e32 v80, v47, v4
	v_fma_f32 v4, v48, v8, -v9
	v_add_f32_e32 v7, 0, v7
	v_add_f32_e32 v2, v2, v3
	s_waitcnt vmcnt(9) lgkmcnt(5)
	v_mul_f32_e32 v85, v52, v13
	v_mul_f32_e32 v13, v53, v13
	v_fmac_f32_e32 v82, v49, v8
	v_fma_f32 v5, v50, v10, -v11
	v_add_f32_e32 v7, v7, v80
	v_add_f32_e32 v2, v2, v4
	v_mul_f32_e32 v86, v54, v15
	v_mul_f32_e32 v15, v55, v15
	v_fmac_f32_e32 v84, v51, v10
	v_fma_f32 v8, v52, v12, -v13
	v_add_f32_e32 v3, v7, v82
	v_add_f32_e32 v2, v2, v5
	s_waitcnt vmcnt(8) lgkmcnt(4)
	v_mul_f32_e32 v87, v56, v17
	v_mul_f32_e32 v17, v57, v17
	v_fmac_f32_e32 v85, v53, v12
	v_fma_f32 v9, v54, v14, -v15
	v_add_f32_e32 v3, v3, v84
	;; [unrolled: 13-line block ×4, first 2 shown]
	v_add_f32_e32 v2, v2, v12
	v_fmac_f32_e32 v90, v63, v22
	v_fma_f32 v14, v64, v24, -v25
	v_add_f32_e32 v3, v3, v89
	v_add_f32_e32 v2, v2, v13
	v_mul_f32_e32 v81, v66, v27
	v_fmac_f32_e32 v91, v65, v24
	v_add_f32_e32 v3, v3, v90
	v_add_f32_e32 v12, v2, v14
	v_mul_f32_e32 v2, v67, v27
	s_waitcnt vmcnt(5)
	v_mov_b32_e32 v16, v31
	s_waitcnt lgkmcnt(1)
	v_mul_f32_e32 v83, v68, v29
	v_fmac_f32_e32 v81, v67, v26
	v_add_f32_e32 v13, v3, v91
	v_fma_f32 v80, v66, v26, -v2
	v_mul_f32_e32 v2, v69, v29
	v_pk_mul_f32 v[16:17], v[70:71], v[16:17] op_sel:[1,0] op_sel_hi:[0,0]
	v_fmac_f32_e32 v83, v69, v28
	v_fma_f32 v82, v68, v28, -v2
	v_pk_add_f32 v[12:13], v[12:13], v[80:81]
	v_pk_fma_f32 v[18:19], v[70:71], v[30:31], v[16:17] neg_lo:[0,0,1] neg_hi:[0,0,1]
	v_pk_fma_f32 v[16:17], v[70:71], v[30:31], v[16:17] op_sel_hi:[1,0,1]
	v_pk_add_f32 v[12:13], v[12:13], v[82:83]
	v_mov_b32_e32 v19, v17
	s_waitcnt vmcnt(4) lgkmcnt(0)
	v_pk_mul_f32 v[16:17], v[72:73], v[32:33] op_sel:[1,1] op_sel_hi:[0,1]
	v_pk_add_f32 v[12:13], v[12:13], v[18:19]
	v_pk_fma_f32 v[18:19], v[72:73], v[32:33], v[16:17] neg_lo:[0,0,1] neg_hi:[0,0,1]
	v_pk_fma_f32 v[16:17], v[72:73], v[32:33], v[16:17] op_sel_hi:[1,0,1]
	ds_read2_b64 v[2:5], v6 offset0:123 offset1:124
	ds_read2_b64 v[8:11], v6 offset0:125 offset1:126
	ds_read_b64 v[14:15], v6 offset:1016
	v_mov_b32_e32 v16, v35
	v_mov_b32_e32 v19, v17
	v_pk_mul_f32 v[16:17], v[74:75], v[16:17] op_sel:[1,0] op_sel_hi:[0,0]
	v_pk_add_f32 v[12:13], v[12:13], v[18:19]
	v_pk_fma_f32 v[18:19], v[74:75], v[34:35], v[16:17] neg_lo:[0,0,1] neg_hi:[0,0,1]
	v_pk_fma_f32 v[16:17], v[74:75], v[34:35], v[16:17] op_sel_hi:[1,0,1]
	s_nop 0
	v_mov_b32_e32 v19, v17
	s_waitcnt vmcnt(3) lgkmcnt(2)
	v_pk_mul_f32 v[16:17], v[2:3], v[36:37] op_sel:[1,1] op_sel_hi:[0,1]
	v_pk_add_f32 v[12:13], v[12:13], v[18:19]
	v_pk_fma_f32 v[18:19], v[2:3], v[36:37], v[16:17] neg_lo:[0,0,1] neg_hi:[0,0,1]
	v_pk_fma_f32 v[2:3], v[2:3], v[36:37], v[16:17] op_sel_hi:[1,0,1]
	s_nop 0
	v_mov_b32_e32 v19, v3
	v_pk_add_f32 v[2:3], v[12:13], v[18:19]
	v_mov_b32_e32 v12, v39
	v_pk_mul_f32 v[12:13], v[4:5], v[12:13] op_sel:[1,0] op_sel_hi:[0,0]
	v_pk_fma_f32 v[16:17], v[4:5], v[38:39], v[12:13] neg_lo:[0,0,1] neg_hi:[0,0,1]
	v_pk_fma_f32 v[4:5], v[4:5], v[38:39], v[12:13] op_sel_hi:[1,0,1]
	s_nop 0
	v_mov_b32_e32 v17, v5
	s_waitcnt vmcnt(2) lgkmcnt(1)
	v_pk_mul_f32 v[4:5], v[8:9], v[40:41] op_sel:[1,1] op_sel_hi:[0,1]
	v_pk_fma_f32 v[12:13], v[8:9], v[40:41], v[4:5] neg_lo:[0,0,1] neg_hi:[0,0,1]
	v_pk_fma_f32 v[4:5], v[8:9], v[40:41], v[4:5] op_sel_hi:[1,0,1]
	v_pk_add_f32 v[2:3], v[2:3], v[16:17]
	v_mov_b32_e32 v4, v43
	v_mov_b32_e32 v13, v5
	v_pk_mul_f32 v[4:5], v[10:11], v[4:5] op_sel:[1,0] op_sel_hi:[0,0]
	v_pk_fma_f32 v[8:9], v[10:11], v[42:43], v[4:5] neg_lo:[0,0,1] neg_hi:[0,0,1]
	v_pk_fma_f32 v[4:5], v[10:11], v[42:43], v[4:5] op_sel_hi:[1,0,1]
	v_pk_add_f32 v[2:3], v[2:3], v[12:13]
	v_mov_b32_e32 v9, v5
	s_waitcnt vmcnt(1) lgkmcnt(0)
	v_pk_mul_f32 v[4:5], v[14:15], v[76:77] op_sel:[1,1] op_sel_hi:[0,1]
	v_pk_add_f32 v[2:3], v[2:3], v[8:9]
	v_pk_fma_f32 v[8:9], v[14:15], v[76:77], v[4:5] neg_lo:[0,0,1] neg_hi:[0,0,1]
	v_pk_fma_f32 v[4:5], v[14:15], v[76:77], v[4:5] op_sel_hi:[1,0,1]
	s_nop 0
	v_mov_b32_e32 v9, v5
	v_pk_add_f32 v[2:3], v[2:3], v[8:9]
	s_waitcnt vmcnt(0)
	v_pk_add_f32 v[2:3], v[78:79], v[2:3] neg_lo:[0,1] neg_hi:[0,1]
	scratch_store_dwordx2 off, v[2:3], off offset:336
	s_and_saveexec_b64 s[0:1], vcc
	s_cbranch_execz .LBB63_315
; %bb.314:
	scratch_load_dwordx2 v[2:3], off, off offset:328
	v_mov_b32_e32 v7, v6
	scratch_store_dwordx2 off, v[6:7], off offset:328
	s_waitcnt vmcnt(1)
	ds_write_b64 v1, v[2:3]
.LBB63_315:
	s_or_b64 exec, exec, s[0:1]
	s_waitcnt lgkmcnt(0)
	; wave barrier
	scratch_load_dwordx4 v[8:11], off, off offset:336
	scratch_load_dwordx4 v[12:15], off, off offset:352
	;; [unrolled: 1-line block ×7, first 2 shown]
	ds_read_b128 v[36:39], v6 offset:848
	ds_read_b128 v[40:43], v6 offset:864
	;; [unrolled: 1-line block ×6, first 2 shown]
	scratch_load_dwordx4 v[60:63], off, off offset:448
	scratch_load_dwordx4 v[64:67], off, off offset:464
	scratch_load_dwordx4 v[68:71], off, off offset:480
	scratch_load_dwordx4 v[2:5], off, off offset:496
	ds_read_b128 v[72:75], v6 offset:944
	ds_read_b128 v[76:79], v6 offset:960
	scratch_load_dwordx2 v[80:81], off, off offset:328
	v_cmp_lt_u32_e32 vcc, 40, v0
	s_waitcnt vmcnt(11) lgkmcnt(7)
	v_mul_f32_e32 v7, v36, v9
	v_mul_f32_e32 v82, v38, v11
	v_mul_f32_e32 v9, v37, v9
	v_fmac_f32_e32 v7, v37, v8
	s_waitcnt vmcnt(10) lgkmcnt(6)
	v_mul_f32_e32 v84, v40, v13
	v_mul_f32_e32 v11, v39, v11
	v_fmac_f32_e32 v82, v39, v10
	v_fma_f32 v8, v36, v8, -v9
	v_add_f32_e32 v7, 0, v7
	v_mul_f32_e32 v86, v42, v15
	v_mul_f32_e32 v13, v41, v13
	v_fmac_f32_e32 v84, v41, v12
	v_fma_f32 v9, v38, v10, -v11
	v_add_f32_e32 v8, 0, v8
	v_add_f32_e32 v7, v7, v82
	s_waitcnt vmcnt(9) lgkmcnt(5)
	v_mul_f32_e32 v87, v44, v17
	v_mul_f32_e32 v15, v43, v15
	v_fmac_f32_e32 v86, v43, v14
	v_fma_f32 v10, v40, v12, -v13
	v_add_f32_e32 v8, v8, v9
	v_add_f32_e32 v7, v7, v84
	v_mul_f32_e32 v88, v46, v19
	v_mul_f32_e32 v17, v45, v17
	v_fmac_f32_e32 v87, v45, v16
	v_fma_f32 v11, v42, v14, -v15
	v_add_f32_e32 v8, v8, v10
	v_add_f32_e32 v7, v7, v86
	s_waitcnt vmcnt(8) lgkmcnt(4)
	v_mul_f32_e32 v89, v48, v21
	v_mul_f32_e32 v19, v47, v19
	v_fmac_f32_e32 v88, v47, v18
	v_fma_f32 v12, v44, v16, -v17
	v_add_f32_e32 v8, v8, v11
	;; [unrolled: 13-line block ×4, first 2 shown]
	v_add_f32_e32 v7, v7, v91
	v_mul_f32_e32 v94, v58, v31
	v_mul_f32_e32 v29, v57, v29
	v_fmac_f32_e32 v93, v57, v28
	v_fma_f32 v17, v54, v26, -v27
	v_add_f32_e32 v8, v8, v16
	v_add_f32_e32 v7, v7, v92
	v_fmac_f32_e32 v94, v59, v30
	v_fma_f32 v18, v56, v28, -v29
	v_add_f32_e32 v8, v8, v17
	v_add_f32_e32 v7, v7, v93
	;; [unrolled: 1-line block ×4, first 2 shown]
	v_mul_f32_e32 v8, v59, v31
	v_fma_f32 v8, v58, v30, -v8
	s_waitcnt vmcnt(5) lgkmcnt(1)
	v_mul_f32_e32 v83, v72, v33
	v_add_f32_e32 v20, v7, v8
	v_mul_f32_e32 v7, v73, v33
	v_fmac_f32_e32 v83, v73, v32
	v_fma_f32 v82, v72, v32, -v7
	v_mul_f32_e32 v7, v75, v35
	v_fma_f32 v84, v74, v34, -v7
	ds_read_b128 v[8:11], v6 offset:976
	ds_read_b128 v[12:15], v6 offset:992
	;; [unrolled: 1-line block ×3, first 2 shown]
	v_pk_add_f32 v[6:7], v[20:21], v[82:83]
	s_waitcnt vmcnt(4) lgkmcnt(3)
	v_pk_mul_f32 v[20:21], v[76:77], v[60:61] op_sel:[1,1] op_sel_hi:[0,1]
	v_mul_f32_e32 v85, v74, v35
	v_pk_fma_f32 v[22:23], v[76:77], v[60:61], v[20:21] neg_lo:[0,0,1] neg_hi:[0,0,1]
	v_pk_fma_f32 v[20:21], v[76:77], v[60:61], v[20:21] op_sel_hi:[1,0,1]
	v_fmac_f32_e32 v85, v75, v34
	v_mov_b32_e32 v20, v63
	v_pk_add_f32 v[6:7], v[6:7], v[84:85]
	v_mov_b32_e32 v23, v21
	v_pk_mul_f32 v[20:21], v[78:79], v[20:21] op_sel:[1,0] op_sel_hi:[0,0]
	v_pk_add_f32 v[6:7], v[6:7], v[22:23]
	v_pk_fma_f32 v[22:23], v[78:79], v[62:63], v[20:21] neg_lo:[0,0,1] neg_hi:[0,0,1]
	v_pk_fma_f32 v[20:21], v[78:79], v[62:63], v[20:21] op_sel_hi:[1,0,1]
	s_nop 0
	v_mov_b32_e32 v23, v21
	s_waitcnt vmcnt(3) lgkmcnt(2)
	v_pk_mul_f32 v[20:21], v[8:9], v[64:65] op_sel:[1,1] op_sel_hi:[0,1]
	v_pk_add_f32 v[6:7], v[6:7], v[22:23]
	v_pk_fma_f32 v[22:23], v[8:9], v[64:65], v[20:21] neg_lo:[0,0,1] neg_hi:[0,0,1]
	v_pk_fma_f32 v[8:9], v[8:9], v[64:65], v[20:21] op_sel_hi:[1,0,1]
	s_nop 0
	v_mov_b32_e32 v8, v67
	v_mov_b32_e32 v23, v9
	v_pk_mul_f32 v[8:9], v[10:11], v[8:9] op_sel:[1,0] op_sel_hi:[0,0]
	v_pk_fma_f32 v[20:21], v[10:11], v[66:67], v[8:9] neg_lo:[0,0,1] neg_hi:[0,0,1]
	v_pk_fma_f32 v[8:9], v[10:11], v[66:67], v[8:9] op_sel_hi:[1,0,1]
	v_pk_add_f32 v[6:7], v[6:7], v[22:23]
	v_mov_b32_e32 v21, v9
	s_waitcnt vmcnt(2) lgkmcnt(1)
	v_pk_mul_f32 v[8:9], v[12:13], v[68:69] op_sel:[1,1] op_sel_hi:[0,1]
	v_pk_fma_f32 v[10:11], v[12:13], v[68:69], v[8:9] neg_lo:[0,0,1] neg_hi:[0,0,1]
	v_pk_fma_f32 v[8:9], v[12:13], v[68:69], v[8:9] op_sel_hi:[1,0,1]
	v_pk_add_f32 v[6:7], v[6:7], v[20:21]
	v_mov_b32_e32 v8, v71
	v_mov_b32_e32 v11, v9
	v_pk_mul_f32 v[8:9], v[14:15], v[8:9] op_sel:[1,0] op_sel_hi:[0,0]
	v_pk_add_f32 v[6:7], v[6:7], v[10:11]
	v_pk_fma_f32 v[10:11], v[14:15], v[70:71], v[8:9] neg_lo:[0,0,1] neg_hi:[0,0,1]
	v_pk_fma_f32 v[8:9], v[14:15], v[70:71], v[8:9] op_sel_hi:[1,0,1]
	s_nop 0
	v_mov_b32_e32 v11, v9
	s_waitcnt vmcnt(1) lgkmcnt(0)
	v_pk_mul_f32 v[8:9], v[16:17], v[2:3] op_sel:[1,1] op_sel_hi:[0,1]
	v_pk_add_f32 v[6:7], v[6:7], v[10:11]
	v_pk_fma_f32 v[10:11], v[16:17], v[2:3], v[8:9] neg_lo:[0,0,1] neg_hi:[0,0,1]
	v_pk_fma_f32 v[2:3], v[16:17], v[2:3], v[8:9] op_sel_hi:[1,0,1]
	s_nop 0
	v_mov_b32_e32 v11, v3
	v_pk_add_f32 v[2:3], v[6:7], v[10:11]
	v_mov_b32_e32 v6, v5
	v_pk_mul_f32 v[6:7], v[18:19], v[6:7] op_sel:[1,0] op_sel_hi:[0,0]
	v_pk_fma_f32 v[8:9], v[18:19], v[4:5], v[6:7] neg_lo:[0,0,1] neg_hi:[0,0,1]
	v_pk_fma_f32 v[4:5], v[18:19], v[4:5], v[6:7] op_sel_hi:[1,0,1]
	s_nop 0
	v_mov_b32_e32 v9, v5
	v_pk_add_f32 v[2:3], v[2:3], v[8:9]
	s_waitcnt vmcnt(0)
	v_pk_add_f32 v[2:3], v[80:81], v[2:3] neg_lo:[0,1] neg_hi:[0,1]
	scratch_store_dwordx2 off, v[2:3], off offset:328
	s_and_saveexec_b64 s[0:1], vcc
	s_cbranch_execz .LBB63_317
; %bb.316:
	scratch_load_dwordx2 v[2:3], off, off offset:320
	v_mov_b32_e32 v4, 0
	v_mov_b32_e32 v5, v4
	scratch_store_dwordx2 off, v[4:5], off offset:320
	s_waitcnt vmcnt(1)
	ds_write_b64 v1, v[2:3]
.LBB63_317:
	s_or_b64 exec, exec, s[0:1]
	s_waitcnt lgkmcnt(0)
	; wave barrier
	scratch_load_dwordx4 v[2:5], off, off offset:328
	scratch_load_dwordx4 v[14:17], off, off offset:344
	;; [unrolled: 1-line block ×11, first 2 shown]
	scratch_load_dwordx2 v[22:23], off, off offset:504
	scratch_load_dwordx2 v[36:37], off, off offset:320
	v_mov_b32_e32 v38, 0
	ds_read2_b64 v[52:55], v38 offset0:105 offset1:106
	ds_read2_b64 v[56:59], v38 offset0:107 offset1:108
	;; [unrolled: 1-line block ×8, first 2 shown]
	v_cmp_lt_u32_e32 vcc, 39, v0
	s_waitcnt vmcnt(12) lgkmcnt(7)
	v_mul_f32_e32 v39, v52, v3
	v_mul_f32_e32 v84, v54, v5
	v_mul_f32_e32 v3, v53, v3
	v_fmac_f32_e32 v39, v53, v2
	s_waitcnt vmcnt(8) lgkmcnt(3)
	v_mul_f32_e32 v93, v68, v19
	v_mul_f32_e32 v19, v69, v19
	;; [unrolled: 1-line block ×4, first 2 shown]
	v_fmac_f32_e32 v84, v55, v4
	v_fmac_f32_e32 v93, v69, v18
	v_fma_f32 v2, v52, v2, -v3
	v_fma_f32 v18, v68, v18, -v19
	v_add_f32_e32 v19, 0, v39
	v_mul_f32_e32 v88, v58, v17
	v_fmac_f32_e32 v86, v57, v14
	v_fma_f32 v3, v54, v4, -v5
	v_add_f32_e32 v2, 0, v2
	v_add_f32_e32 v19, v19, v84
	v_mul_f32_e32 v89, v60, v25
	v_fmac_f32_e32 v88, v59, v16
	v_add_f32_e32 v2, v2, v3
	v_add_f32_e32 v3, v19, v86
	v_mul_f32_e32 v90, v62, v27
	v_fmac_f32_e32 v89, v61, v24
	v_add_f32_e32 v3, v3, v88
	v_mul_f32_e32 v91, v64, v29
	v_mul_f32_e32 v15, v57, v15
	v_fmac_f32_e32 v90, v63, v26
	v_add_f32_e32 v3, v3, v89
	v_mul_f32_e32 v92, v66, v31
	v_mul_f32_e32 v17, v59, v17
	v_fmac_f32_e32 v91, v65, v28
	v_fma_f32 v4, v56, v14, -v15
	v_add_f32_e32 v3, v3, v90
	v_mul_f32_e32 v25, v61, v25
	v_fmac_f32_e32 v92, v67, v30
	v_fma_f32 v5, v58, v16, -v17
	v_add_f32_e32 v2, v2, v4
	v_add_f32_e32 v3, v3, v91
	v_mul_f32_e32 v94, v70, v21
	v_mul_f32_e32 v27, v63, v27
	v_fma_f32 v14, v60, v24, -v25
	v_add_f32_e32 v2, v2, v5
	v_add_f32_e32 v3, v3, v92
	s_waitcnt vmcnt(7) lgkmcnt(2)
	v_mul_f32_e32 v95, v72, v33
	v_mul_f32_e32 v29, v65, v29
	v_fmac_f32_e32 v94, v71, v20
	v_fma_f32 v15, v62, v26, -v27
	v_add_f32_e32 v2, v2, v14
	v_add_f32_e32 v3, v3, v93
	v_mul_f32_e32 v96, v74, v35
	v_mul_f32_e32 v31, v67, v31
	v_fmac_f32_e32 v95, v73, v32
	v_fma_f32 v16, v64, v28, -v29
	v_add_f32_e32 v2, v2, v15
	v_add_f32_e32 v3, v3, v94
	s_waitcnt vmcnt(6) lgkmcnt(1)
	v_mul_f32_e32 v97, v76, v41
	v_fmac_f32_e32 v96, v75, v34
	v_fma_f32 v17, v66, v30, -v31
	v_add_f32_e32 v2, v2, v16
	v_add_f32_e32 v3, v3, v95
	v_mul_f32_e32 v21, v71, v21
	v_fmac_f32_e32 v97, v77, v40
	v_add_f32_e32 v2, v2, v17
	v_add_f32_e32 v3, v3, v96
	;; [unrolled: 1-line block ×4, first 2 shown]
	v_fma_f32 v3, v70, v20, -v21
	v_add_f32_e32 v2, v2, v3
	v_mul_f32_e32 v3, v73, v33
	v_fma_f32 v3, v72, v32, -v3
	v_add_f32_e32 v2, v2, v3
	v_mul_f32_e32 v3, v75, v35
	;; [unrolled: 3-line block ×4, first 2 shown]
	v_mul_f32_e32 v85, v78, v43
	v_fma_f32 v84, v78, v42, -v2
	s_waitcnt vmcnt(5) lgkmcnt(0)
	v_mul_f32_e32 v2, v81, v45
	v_mov_b32_e32 v28, v47
	v_mul_f32_e32 v87, v80, v45
	v_fmac_f32_e32 v85, v79, v42
	v_fma_f32 v86, v80, v44, -v2
	ds_read2_b64 v[2:5], v38 offset0:121 offset1:122
	ds_read2_b64 v[14:17], v38 offset0:123 offset1:124
	;; [unrolled: 1-line block ×3, first 2 shown]
	ds_read_b64 v[26:27], v38 offset:1016
	v_pk_mul_f32 v[28:29], v[82:83], v[28:29] op_sel:[1,0] op_sel_hi:[0,0]
	v_fmac_f32_e32 v87, v81, v44
	v_pk_add_f32 v[24:25], v[24:25], v[84:85]
	v_pk_fma_f32 v[30:31], v[82:83], v[46:47], v[28:29] neg_lo:[0,0,1] neg_hi:[0,0,1]
	v_pk_fma_f32 v[28:29], v[82:83], v[46:47], v[28:29] op_sel_hi:[1,0,1]
	v_pk_add_f32 v[24:25], v[24:25], v[86:87]
	v_mov_b32_e32 v31, v29
	s_waitcnt vmcnt(4) lgkmcnt(3)
	v_pk_mul_f32 v[28:29], v[2:3], v[48:49] op_sel:[1,1] op_sel_hi:[0,1]
	v_pk_add_f32 v[24:25], v[24:25], v[30:31]
	v_pk_fma_f32 v[30:31], v[2:3], v[48:49], v[28:29] neg_lo:[0,0,1] neg_hi:[0,0,1]
	v_pk_fma_f32 v[2:3], v[2:3], v[48:49], v[28:29] op_sel_hi:[1,0,1]
	s_nop 0
	v_mov_b32_e32 v31, v3
	v_pk_add_f32 v[2:3], v[24:25], v[30:31]
	v_mov_b32_e32 v24, v51
	v_pk_mul_f32 v[24:25], v[4:5], v[24:25] op_sel:[1,0] op_sel_hi:[0,0]
	v_pk_fma_f32 v[28:29], v[4:5], v[50:51], v[24:25] neg_lo:[0,0,1] neg_hi:[0,0,1]
	v_pk_fma_f32 v[4:5], v[4:5], v[50:51], v[24:25] op_sel_hi:[1,0,1]
	s_nop 0
	v_mov_b32_e32 v29, v5
	s_waitcnt vmcnt(3) lgkmcnt(2)
	v_pk_mul_f32 v[4:5], v[14:15], v[10:11] op_sel:[1,1] op_sel_hi:[0,1]
	v_pk_fma_f32 v[24:25], v[14:15], v[10:11], v[4:5] neg_lo:[0,0,1] neg_hi:[0,0,1]
	v_pk_fma_f32 v[4:5], v[14:15], v[10:11], v[4:5] op_sel_hi:[1,0,1]
	v_pk_add_f32 v[2:3], v[2:3], v[28:29]
	v_mov_b32_e32 v4, v13
	v_mov_b32_e32 v25, v5
	v_pk_mul_f32 v[4:5], v[16:17], v[4:5] op_sel:[1,0] op_sel_hi:[0,0]
	v_pk_fma_f32 v[10:11], v[16:17], v[12:13], v[4:5] neg_lo:[0,0,1] neg_hi:[0,0,1]
	v_pk_fma_f32 v[4:5], v[16:17], v[12:13], v[4:5] op_sel_hi:[1,0,1]
	v_pk_add_f32 v[2:3], v[2:3], v[24:25]
	v_mov_b32_e32 v11, v5
	s_waitcnt vmcnt(2) lgkmcnt(1)
	v_pk_mul_f32 v[4:5], v[18:19], v[6:7] op_sel:[1,1] op_sel_hi:[0,1]
	v_pk_add_f32 v[2:3], v[2:3], v[10:11]
	v_pk_fma_f32 v[10:11], v[18:19], v[6:7], v[4:5] neg_lo:[0,0,1] neg_hi:[0,0,1]
	v_pk_fma_f32 v[4:5], v[18:19], v[6:7], v[4:5] op_sel_hi:[1,0,1]
	s_nop 0
	v_mov_b32_e32 v4, v9
	v_mov_b32_e32 v11, v5
	v_pk_mul_f32 v[4:5], v[20:21], v[4:5] op_sel:[1,0] op_sel_hi:[0,0]
	v_pk_fma_f32 v[6:7], v[20:21], v[8:9], v[4:5] neg_lo:[0,0,1] neg_hi:[0,0,1]
	v_pk_fma_f32 v[4:5], v[20:21], v[8:9], v[4:5] op_sel_hi:[1,0,1]
	v_pk_add_f32 v[2:3], v[2:3], v[10:11]
	v_mov_b32_e32 v7, v5
	s_waitcnt vmcnt(1) lgkmcnt(0)
	v_pk_mul_f32 v[4:5], v[26:27], v[22:23] op_sel:[1,1] op_sel_hi:[0,1]
	v_pk_add_f32 v[2:3], v[2:3], v[6:7]
	v_pk_fma_f32 v[6:7], v[26:27], v[22:23], v[4:5] neg_lo:[0,0,1] neg_hi:[0,0,1]
	v_pk_fma_f32 v[4:5], v[26:27], v[22:23], v[4:5] op_sel_hi:[1,0,1]
	s_nop 0
	v_mov_b32_e32 v7, v5
	v_pk_add_f32 v[2:3], v[2:3], v[6:7]
	s_waitcnt vmcnt(0)
	v_pk_add_f32 v[2:3], v[36:37], v[2:3] neg_lo:[0,1] neg_hi:[0,1]
	scratch_store_dwordx2 off, v[2:3], off offset:320
	s_and_saveexec_b64 s[0:1], vcc
	s_cbranch_execz .LBB63_319
; %bb.318:
	scratch_load_dwordx2 v[2:3], off, off offset:312
	v_mov_b32_e32 v39, v38
	scratch_store_dwordx2 off, v[38:39], off offset:312
	s_waitcnt vmcnt(1)
	ds_write_b64 v1, v[2:3]
.LBB63_319:
	s_or_b64 exec, exec, s[0:1]
	s_waitcnt lgkmcnt(0)
	; wave barrier
	scratch_load_dwordx4 v[6:9], off, off offset:320
	scratch_load_dwordx4 v[18:21], off, off offset:336
	;; [unrolled: 1-line block ×8, first 2 shown]
	ds_read_b128 v[48:51], v38 offset:832
	ds_read_b128 v[52:55], v38 offset:848
	ds_read_b128 v[56:59], v38 offset:864
	ds_read_b128 v[60:63], v38 offset:880
	ds_read_b128 v[64:67], v38 offset:896
	ds_read_b128 v[68:71], v38 offset:912
	ds_read_b128 v[72:75], v38 offset:928
	ds_read_b128 v[76:79], v38 offset:944
	scratch_load_dwordx4 v[80:83], off, off offset:448
	scratch_load_dwordx4 v[26:29], off, off offset:464
	;; [unrolled: 1-line block ×4, first 2 shown]
	scratch_load_dwordx2 v[84:85], off, off offset:312
	v_cmp_lt_u32_e32 vcc, 38, v0
	s_waitcnt vmcnt(12) lgkmcnt(7)
	v_mul_f32_e32 v39, v48, v7
	v_mul_f32_e32 v86, v50, v9
	;; [unrolled: 1-line block ×3, first 2 shown]
	v_fmac_f32_e32 v39, v49, v6
	s_waitcnt vmcnt(8) lgkmcnt(3)
	v_mul_f32_e32 v95, v64, v15
	v_mul_f32_e32 v15, v65, v15
	;; [unrolled: 1-line block ×4, first 2 shown]
	v_fmac_f32_e32 v86, v51, v8
	v_fmac_f32_e32 v95, v65, v14
	v_fma_f32 v6, v48, v6, -v7
	v_fma_f32 v14, v64, v14, -v15
	v_add_f32_e32 v15, 0, v39
	v_mul_f32_e32 v90, v54, v21
	v_fmac_f32_e32 v88, v53, v18
	v_fma_f32 v7, v50, v8, -v9
	v_add_f32_e32 v6, 0, v6
	v_add_f32_e32 v15, v15, v86
	v_mul_f32_e32 v91, v56, v35
	v_fmac_f32_e32 v90, v55, v20
	v_add_f32_e32 v6, v6, v7
	v_add_f32_e32 v7, v15, v88
	v_mul_f32_e32 v92, v58, v37
	v_fmac_f32_e32 v91, v57, v34
	v_add_f32_e32 v7, v7, v90
	v_mul_f32_e32 v93, v60, v41
	v_fmac_f32_e32 v92, v59, v36
	;; [unrolled: 3-line block ×4, first 2 shown]
	v_add_f32_e32 v7, v7, v93
	v_mul_f32_e32 v96, v66, v17
	v_mul_f32_e32 v21, v55, v21
	v_fma_f32 v8, v52, v18, -v19
	v_add_f32_e32 v7, v7, v94
	s_waitcnt vmcnt(7) lgkmcnt(2)
	v_mul_f32_e32 v97, v68, v23
	v_mul_f32_e32 v35, v57, v35
	v_fmac_f32_e32 v96, v67, v16
	v_fma_f32 v9, v54, v20, -v21
	v_add_f32_e32 v6, v6, v8
	v_add_f32_e32 v7, v7, v95
	v_mul_f32_e32 v98, v70, v25
	v_mul_f32_e32 v37, v59, v37
	v_fmac_f32_e32 v97, v69, v22
	v_fma_f32 v18, v56, v34, -v35
	v_add_f32_e32 v6, v6, v9
	v_add_f32_e32 v7, v7, v96
	s_waitcnt vmcnt(6) lgkmcnt(1)
	v_mul_f32_e32 v99, v72, v31
	v_mul_f32_e32 v41, v61, v41
	v_fmac_f32_e32 v98, v71, v24
	v_fma_f32 v19, v58, v36, -v37
	v_add_f32_e32 v6, v6, v18
	v_add_f32_e32 v7, v7, v97
	v_mul_f32_e32 v100, v74, v33
	v_mul_f32_e32 v43, v63, v43
	v_fmac_f32_e32 v99, v73, v30
	v_fma_f32 v20, v60, v40, -v41
	v_add_f32_e32 v6, v6, v19
	v_add_f32_e32 v7, v7, v98
	v_fmac_f32_e32 v100, v75, v32
	v_fma_f32 v21, v62, v42, -v43
	v_add_f32_e32 v6, v6, v20
	v_add_f32_e32 v7, v7, v99
	;; [unrolled: 1-line block ×4, first 2 shown]
	v_mul_f32_e32 v7, v67, v17
	v_add_f32_e32 v6, v6, v14
	v_fma_f32 v7, v66, v16, -v7
	v_add_f32_e32 v6, v6, v7
	v_mul_f32_e32 v7, v69, v23
	v_fma_f32 v7, v68, v22, -v7
	v_add_f32_e32 v6, v6, v7
	v_mul_f32_e32 v7, v71, v25
	;; [unrolled: 3-line block ×4, first 2 shown]
	v_fma_f32 v7, v74, v32, -v7
	v_add_f32_e32 v34, v6, v7
	s_waitcnt vmcnt(5) lgkmcnt(0)
	v_mul_f32_e32 v6, v77, v45
	v_fma_f32 v86, v76, v44, -v6
	v_mul_f32_e32 v6, v79, v47
	v_fma_f32 v88, v78, v46, -v6
	ds_read_b128 v[6:9], v38 offset:960
	ds_read_b128 v[14:17], v38 offset:976
	;; [unrolled: 1-line block ×4, first 2 shown]
	v_mul_f32_e32 v87, v76, v45
	v_mul_f32_e32 v89, v78, v47
	v_fmac_f32_e32 v87, v77, v44
	s_waitcnt vmcnt(4) lgkmcnt(3)
	v_pk_mul_f32 v[32:33], v[6:7], v[80:81] op_sel:[1,1] op_sel_hi:[0,1]
	v_fmac_f32_e32 v89, v79, v46
	v_pk_add_f32 v[30:31], v[34:35], v[86:87]
	v_pk_fma_f32 v[34:35], v[6:7], v[80:81], v[32:33] neg_lo:[0,0,1] neg_hi:[0,0,1]
	v_pk_fma_f32 v[6:7], v[6:7], v[80:81], v[32:33] op_sel_hi:[1,0,1]
	v_pk_add_f32 v[30:31], v[30:31], v[88:89]
	v_mov_b32_e32 v35, v7
	v_pk_add_f32 v[6:7], v[30:31], v[34:35]
	v_mov_b32_e32 v30, v83
	v_pk_mul_f32 v[30:31], v[8:9], v[30:31] op_sel:[1,0] op_sel_hi:[0,0]
	v_pk_fma_f32 v[32:33], v[8:9], v[82:83], v[30:31] neg_lo:[0,0,1] neg_hi:[0,0,1]
	v_pk_fma_f32 v[8:9], v[8:9], v[82:83], v[30:31] op_sel_hi:[1,0,1]
	s_nop 0
	v_mov_b32_e32 v33, v9
	s_waitcnt vmcnt(3) lgkmcnt(2)
	v_pk_mul_f32 v[8:9], v[14:15], v[26:27] op_sel:[1,1] op_sel_hi:[0,1]
	v_pk_fma_f32 v[30:31], v[14:15], v[26:27], v[8:9] neg_lo:[0,0,1] neg_hi:[0,0,1]
	v_pk_fma_f32 v[8:9], v[14:15], v[26:27], v[8:9] op_sel_hi:[1,0,1]
	v_pk_add_f32 v[6:7], v[6:7], v[32:33]
	v_mov_b32_e32 v8, v29
	v_mov_b32_e32 v31, v9
	v_pk_mul_f32 v[8:9], v[16:17], v[8:9] op_sel:[1,0] op_sel_hi:[0,0]
	v_pk_fma_f32 v[14:15], v[16:17], v[28:29], v[8:9] neg_lo:[0,0,1] neg_hi:[0,0,1]
	v_pk_fma_f32 v[8:9], v[16:17], v[28:29], v[8:9] op_sel_hi:[1,0,1]
	v_pk_add_f32 v[6:7], v[6:7], v[30:31]
	v_mov_b32_e32 v15, v9
	s_waitcnt vmcnt(2) lgkmcnt(1)
	v_pk_mul_f32 v[8:9], v[18:19], v[10:11] op_sel:[1,1] op_sel_hi:[0,1]
	v_pk_add_f32 v[6:7], v[6:7], v[14:15]
	v_pk_fma_f32 v[14:15], v[18:19], v[10:11], v[8:9] neg_lo:[0,0,1] neg_hi:[0,0,1]
	v_pk_fma_f32 v[8:9], v[18:19], v[10:11], v[8:9] op_sel_hi:[1,0,1]
	s_nop 0
	v_mov_b32_e32 v8, v13
	v_mov_b32_e32 v15, v9
	v_pk_mul_f32 v[8:9], v[20:21], v[8:9] op_sel:[1,0] op_sel_hi:[0,0]
	v_pk_fma_f32 v[10:11], v[20:21], v[12:13], v[8:9] neg_lo:[0,0,1] neg_hi:[0,0,1]
	v_pk_fma_f32 v[8:9], v[20:21], v[12:13], v[8:9] op_sel_hi:[1,0,1]
	v_pk_add_f32 v[6:7], v[6:7], v[14:15]
	v_mov_b32_e32 v11, v9
	s_waitcnt vmcnt(1) lgkmcnt(0)
	v_pk_mul_f32 v[8:9], v[22:23], v[2:3] op_sel:[1,1] op_sel_hi:[0,1]
	v_pk_add_f32 v[6:7], v[6:7], v[10:11]
	v_pk_fma_f32 v[10:11], v[22:23], v[2:3], v[8:9] neg_lo:[0,0,1] neg_hi:[0,0,1]
	v_pk_fma_f32 v[2:3], v[22:23], v[2:3], v[8:9] op_sel_hi:[1,0,1]
	s_nop 0
	v_mov_b32_e32 v11, v3
	v_pk_add_f32 v[2:3], v[6:7], v[10:11]
	v_mov_b32_e32 v6, v5
	v_pk_mul_f32 v[6:7], v[24:25], v[6:7] op_sel:[1,0] op_sel_hi:[0,0]
	v_pk_fma_f32 v[8:9], v[24:25], v[4:5], v[6:7] neg_lo:[0,0,1] neg_hi:[0,0,1]
	v_pk_fma_f32 v[4:5], v[24:25], v[4:5], v[6:7] op_sel_hi:[1,0,1]
	s_nop 0
	v_mov_b32_e32 v9, v5
	v_pk_add_f32 v[2:3], v[2:3], v[8:9]
	s_waitcnt vmcnt(0)
	v_pk_add_f32 v[2:3], v[84:85], v[2:3] neg_lo:[0,1] neg_hi:[0,1]
	scratch_store_dwordx2 off, v[2:3], off offset:312
	s_and_saveexec_b64 s[0:1], vcc
	s_cbranch_execz .LBB63_321
; %bb.320:
	scratch_load_dwordx2 v[2:3], off, off offset:304
	v_mov_b32_e32 v4, 0
	v_mov_b32_e32 v5, v4
	scratch_store_dwordx2 off, v[4:5], off offset:304
	s_waitcnt vmcnt(1)
	ds_write_b64 v1, v[2:3]
.LBB63_321:
	s_or_b64 exec, exec, s[0:1]
	s_waitcnt lgkmcnt(0)
	; wave barrier
	scratch_load_dwordx4 v[2:5], off, off offset:312
	scratch_load_dwordx4 v[22:25], off, off offset:328
	;; [unrolled: 1-line block ×12, first 2 shown]
	scratch_load_dwordx2 v[50:51], off, off offset:504
	scratch_load_dwordx2 v[56:57], off, off offset:304
	v_mov_b32_e32 v58, 0
	ds_read2_b64 v[52:55], v58 offset0:103 offset1:104
	ds_read2_b64 v[60:63], v58 offset0:105 offset1:106
	;; [unrolled: 1-line block ×10, first 2 shown]
	v_cmp_lt_u32_e32 vcc, 37, v0
	s_waitcnt vmcnt(13) lgkmcnt(9)
	v_mul_f32_e32 v59, v52, v3
	v_mul_f32_e32 v96, v54, v5
	;; [unrolled: 1-line block ×3, first 2 shown]
	s_waitcnt vmcnt(10) lgkmcnt(6)
	v_mul_f32_e32 v103, v68, v11
	v_mul_f32_e32 v11, v69, v11
	v_fmac_f32_e32 v59, v53, v2
	v_mul_f32_e32 v98, v60, v23
	v_mul_f32_e32 v5, v55, v5
	v_fmac_f32_e32 v96, v55, v4
	v_fmac_f32_e32 v103, v69, v10
	v_fma_f32 v2, v52, v2, -v3
	v_fma_f32 v10, v68, v10, -v11
	v_add_f32_e32 v11, 0, v59
	v_mul_f32_e32 v100, v62, v25
	v_fmac_f32_e32 v98, v61, v22
	v_fma_f32 v3, v54, v4, -v5
	v_add_f32_e32 v2, 0, v2
	v_add_f32_e32 v11, v11, v96
	v_mul_f32_e32 v101, v64, v39
	v_fmac_f32_e32 v100, v63, v24
	v_add_f32_e32 v2, v2, v3
	v_add_f32_e32 v3, v11, v98
	v_mul_f32_e32 v102, v66, v41
	v_fmac_f32_e32 v101, v65, v38
	v_add_f32_e32 v3, v3, v100
	v_fmac_f32_e32 v102, v67, v40
	v_add_f32_e32 v3, v3, v101
	v_mul_f32_e32 v104, v70, v13
	v_add_f32_e32 v3, v3, v102
	s_waitcnt vmcnt(9) lgkmcnt(5)
	v_mul_f32_e32 v105, v72, v15
	v_fmac_f32_e32 v104, v71, v12
	v_add_f32_e32 v3, v3, v103
	v_mul_f32_e32 v106, v74, v17
	v_fmac_f32_e32 v105, v73, v14
	v_add_f32_e32 v3, v3, v104
	s_waitcnt vmcnt(8) lgkmcnt(4)
	v_mul_f32_e32 v107, v76, v27
	v_fmac_f32_e32 v106, v75, v16
	v_add_f32_e32 v3, v3, v105
	v_mul_f32_e32 v108, v78, v29
	v_mul_f32_e32 v23, v61, v23
	v_fmac_f32_e32 v107, v77, v26
	v_add_f32_e32 v3, v3, v106
	s_waitcnt vmcnt(7) lgkmcnt(3)
	v_mul_f32_e32 v109, v80, v31
	v_mul_f32_e32 v25, v63, v25
	v_fmac_f32_e32 v108, v79, v28
	v_fma_f32 v4, v60, v22, -v23
	v_add_f32_e32 v3, v3, v107
	v_mul_f32_e32 v110, v82, v33
	v_mul_f32_e32 v39, v65, v39
	v_fmac_f32_e32 v109, v81, v30
	v_fma_f32 v5, v62, v24, -v25
	v_add_f32_e32 v2, v2, v4
	v_add_f32_e32 v3, v3, v108
	s_waitcnt vmcnt(6) lgkmcnt(2)
	v_mul_f32_e32 v111, v84, v43
	v_mul_f32_e32 v41, v67, v41
	v_fmac_f32_e32 v110, v83, v32
	v_fma_f32 v22, v64, v38, -v39
	v_add_f32_e32 v2, v2, v5
	v_add_f32_e32 v3, v3, v109
	v_fmac_f32_e32 v111, v85, v42
	v_fma_f32 v23, v66, v40, -v41
	v_add_f32_e32 v2, v2, v22
	v_add_f32_e32 v3, v3, v110
	;; [unrolled: 1-line block ×4, first 2 shown]
	v_mul_f32_e32 v3, v71, v13
	v_add_f32_e32 v2, v2, v10
	v_fma_f32 v3, v70, v12, -v3
	v_add_f32_e32 v2, v2, v3
	v_mul_f32_e32 v3, v73, v15
	v_fma_f32 v3, v72, v14, -v3
	v_add_f32_e32 v2, v2, v3
	v_mul_f32_e32 v3, v75, v17
	;; [unrolled: 3-line block ×7, first 2 shown]
	v_fma_f32 v3, v84, v42, -v3
	v_mul_f32_e32 v97, v86, v45
	v_add_f32_e32 v22, v2, v3
	v_mul_f32_e32 v2, v87, v45
	v_fmac_f32_e32 v97, v87, v44
	v_fma_f32 v96, v86, v44, -v2
	v_pk_add_f32 v[16:17], v[22:23], v[96:97]
	s_waitcnt vmcnt(5)
	v_mov_b32_e32 v22, v49
	s_waitcnt lgkmcnt(1)
	v_mul_f32_e32 v99, v88, v47
	v_mul_f32_e32 v2, v89, v47
	v_pk_mul_f32 v[22:23], v[90:91], v[22:23] op_sel:[1,0] op_sel_hi:[0,0]
	v_fmac_f32_e32 v99, v89, v46
	v_fma_f32 v98, v88, v46, -v2
	v_pk_fma_f32 v[24:25], v[90:91], v[48:49], v[22:23] neg_lo:[0,0,1] neg_hi:[0,0,1]
	v_pk_fma_f32 v[22:23], v[90:91], v[48:49], v[22:23] op_sel_hi:[1,0,1]
	v_pk_add_f32 v[16:17], v[16:17], v[98:99]
	v_mov_b32_e32 v25, v23
	s_waitcnt vmcnt(4) lgkmcnt(0)
	v_pk_mul_f32 v[22:23], v[92:93], v[34:35] op_sel:[1,1] op_sel_hi:[0,1]
	v_pk_add_f32 v[16:17], v[16:17], v[24:25]
	v_pk_fma_f32 v[24:25], v[92:93], v[34:35], v[22:23] neg_lo:[0,0,1] neg_hi:[0,0,1]
	v_pk_fma_f32 v[22:23], v[92:93], v[34:35], v[22:23] op_sel_hi:[1,0,1]
	ds_read2_b64 v[2:5], v58 offset0:123 offset1:124
	ds_read2_b64 v[10:13], v58 offset0:125 offset1:126
	ds_read_b64 v[14:15], v58 offset:1016
	v_mov_b32_e32 v22, v37
	v_mov_b32_e32 v25, v23
	v_pk_mul_f32 v[22:23], v[94:95], v[22:23] op_sel:[1,0] op_sel_hi:[0,0]
	v_pk_add_f32 v[16:17], v[16:17], v[24:25]
	v_pk_fma_f32 v[24:25], v[94:95], v[36:37], v[22:23] neg_lo:[0,0,1] neg_hi:[0,0,1]
	v_pk_fma_f32 v[22:23], v[94:95], v[36:37], v[22:23] op_sel_hi:[1,0,1]
	s_nop 0
	v_mov_b32_e32 v25, v23
	s_waitcnt vmcnt(3) lgkmcnt(2)
	v_pk_mul_f32 v[22:23], v[2:3], v[18:19] op_sel:[1,1] op_sel_hi:[0,1]
	v_pk_add_f32 v[16:17], v[16:17], v[24:25]
	v_pk_fma_f32 v[24:25], v[2:3], v[18:19], v[22:23] neg_lo:[0,0,1] neg_hi:[0,0,1]
	v_pk_fma_f32 v[2:3], v[2:3], v[18:19], v[22:23] op_sel_hi:[1,0,1]
	s_nop 0
	v_mov_b32_e32 v25, v3
	v_pk_add_f32 v[2:3], v[16:17], v[24:25]
	v_mov_b32_e32 v16, v21
	v_pk_mul_f32 v[16:17], v[4:5], v[16:17] op_sel:[1,0] op_sel_hi:[0,0]
	v_pk_fma_f32 v[18:19], v[4:5], v[20:21], v[16:17] neg_lo:[0,0,1] neg_hi:[0,0,1]
	v_pk_fma_f32 v[4:5], v[4:5], v[20:21], v[16:17] op_sel_hi:[1,0,1]
	s_nop 0
	v_mov_b32_e32 v19, v5
	s_waitcnt vmcnt(2) lgkmcnt(1)
	v_pk_mul_f32 v[4:5], v[10:11], v[6:7] op_sel:[1,1] op_sel_hi:[0,1]
	v_pk_fma_f32 v[16:17], v[10:11], v[6:7], v[4:5] neg_lo:[0,0,1] neg_hi:[0,0,1]
	v_pk_fma_f32 v[4:5], v[10:11], v[6:7], v[4:5] op_sel_hi:[1,0,1]
	v_pk_add_f32 v[2:3], v[2:3], v[18:19]
	v_mov_b32_e32 v4, v9
	v_mov_b32_e32 v17, v5
	v_pk_mul_f32 v[4:5], v[12:13], v[4:5] op_sel:[1,0] op_sel_hi:[0,0]
	v_pk_fma_f32 v[6:7], v[12:13], v[8:9], v[4:5] neg_lo:[0,0,1] neg_hi:[0,0,1]
	v_pk_fma_f32 v[4:5], v[12:13], v[8:9], v[4:5] op_sel_hi:[1,0,1]
	v_pk_add_f32 v[2:3], v[2:3], v[16:17]
	v_mov_b32_e32 v7, v5
	s_waitcnt vmcnt(1) lgkmcnt(0)
	v_pk_mul_f32 v[4:5], v[14:15], v[50:51] op_sel:[1,1] op_sel_hi:[0,1]
	v_pk_add_f32 v[2:3], v[2:3], v[6:7]
	v_pk_fma_f32 v[6:7], v[14:15], v[50:51], v[4:5] neg_lo:[0,0,1] neg_hi:[0,0,1]
	v_pk_fma_f32 v[4:5], v[14:15], v[50:51], v[4:5] op_sel_hi:[1,0,1]
	s_nop 0
	v_mov_b32_e32 v7, v5
	v_pk_add_f32 v[2:3], v[2:3], v[6:7]
	s_waitcnt vmcnt(0)
	v_pk_add_f32 v[2:3], v[56:57], v[2:3] neg_lo:[0,1] neg_hi:[0,1]
	scratch_store_dwordx2 off, v[2:3], off offset:304
	s_and_saveexec_b64 s[0:1], vcc
	s_cbranch_execz .LBB63_323
; %bb.322:
	scratch_load_dwordx2 v[2:3], off, off offset:296
	v_mov_b32_e32 v59, v58
	scratch_store_dwordx2 off, v[58:59], off offset:296
	s_waitcnt vmcnt(1)
	ds_write_b64 v1, v[2:3]
.LBB63_323:
	s_or_b64 exec, exec, s[0:1]
	s_waitcnt lgkmcnt(0)
	; wave barrier
	scratch_load_dwordx4 v[10:13], off, off offset:304
	scratch_load_dwordx4 v[26:29], off, off offset:320
	;; [unrolled: 1-line block ×9, first 2 shown]
	ds_read_b128 v[60:63], v58 offset:816
	ds_read_b128 v[64:67], v58 offset:832
	;; [unrolled: 1-line block ×8, first 2 shown]
	scratch_load_dwordx4 v[50:53], off, off offset:448
	scratch_load_dwordx4 v[34:37], off, off offset:464
	;; [unrolled: 1-line block ×4, first 2 shown]
	ds_read_b128 v[88:91], v58 offset:944
	ds_read_b128 v[92:95], v58 offset:960
	scratch_load_dwordx2 v[96:97], off, off offset:296
	v_cmp_lt_u32_e32 vcc, 36, v0
	s_waitcnt vmcnt(13) lgkmcnt(9)
	v_mul_f32_e32 v59, v60, v11
	v_mul_f32_e32 v98, v62, v13
	v_fmac_f32_e32 v59, v61, v10
	s_waitcnt vmcnt(10) lgkmcnt(6)
	v_mul_f32_e32 v105, v72, v3
	v_mul_f32_e32 v3, v73, v3
	v_mul_f32_e32 v100, v64, v27
	v_fmac_f32_e32 v98, v63, v12
	v_fmac_f32_e32 v105, v73, v2
	v_fma_f32 v2, v72, v2, -v3
	v_add_f32_e32 v3, 0, v59
	v_mul_f32_e32 v102, v66, v29
	v_fmac_f32_e32 v100, v65, v26
	v_add_f32_e32 v3, v3, v98
	v_mul_f32_e32 v103, v68, v43
	v_fmac_f32_e32 v102, v67, v28
	;; [unrolled: 3-line block ×3, first 2 shown]
	v_add_f32_e32 v3, v3, v102
	v_fmac_f32_e32 v104, v71, v44
	v_add_f32_e32 v3, v3, v103
	v_mul_f32_e32 v106, v74, v5
	v_add_f32_e32 v3, v3, v104
	s_waitcnt vmcnt(9) lgkmcnt(5)
	v_mul_f32_e32 v107, v76, v15
	v_fmac_f32_e32 v106, v75, v4
	v_add_f32_e32 v3, v3, v105
	v_mul_f32_e32 v108, v78, v17
	v_fmac_f32_e32 v107, v77, v14
	v_add_f32_e32 v3, v3, v106
	s_waitcnt vmcnt(8) lgkmcnt(4)
	v_mul_f32_e32 v109, v80, v19
	v_mul_f32_e32 v11, v61, v11
	v_fmac_f32_e32 v108, v79, v16
	v_add_f32_e32 v3, v3, v107
	v_mul_f32_e32 v110, v82, v21
	v_mul_f32_e32 v13, v63, v13
	v_fmac_f32_e32 v109, v81, v18
	v_fma_f32 v10, v60, v10, -v11
	v_add_f32_e32 v3, v3, v108
	s_waitcnt vmcnt(7) lgkmcnt(3)
	v_mul_f32_e32 v111, v84, v31
	v_mul_f32_e32 v27, v65, v27
	v_fmac_f32_e32 v110, v83, v20
	v_fma_f32 v11, v62, v12, -v13
	v_add_f32_e32 v10, 0, v10
	v_add_f32_e32 v3, v3, v109
	v_mul_f32_e32 v112, v86, v33
	v_mul_f32_e32 v29, v67, v29
	v_fmac_f32_e32 v111, v85, v30
	v_fma_f32 v12, v64, v26, -v27
	v_add_f32_e32 v10, v10, v11
	v_add_f32_e32 v3, v3, v110
	s_waitcnt vmcnt(6) lgkmcnt(2)
	v_mul_f32_e32 v113, v54, v39
	v_mul_f32_e32 v43, v69, v43
	v_fmac_f32_e32 v112, v87, v32
	v_fma_f32 v13, v66, v28, -v29
	v_add_f32_e32 v10, v10, v12
	v_add_f32_e32 v3, v3, v111
	v_mul_f32_e32 v114, v56, v41
	v_mul_f32_e32 v45, v71, v45
	v_fmac_f32_e32 v113, v55, v38
	v_fma_f32 v26, v68, v42, -v43
	v_add_f32_e32 v10, v10, v13
	v_add_f32_e32 v3, v3, v112
	v_fmac_f32_e32 v114, v57, v40
	v_fma_f32 v27, v70, v44, -v45
	v_add_f32_e32 v10, v10, v26
	v_add_f32_e32 v3, v3, v113
	;; [unrolled: 1-line block ×4, first 2 shown]
	v_mul_f32_e32 v3, v75, v5
	v_add_f32_e32 v2, v10, v2
	v_fma_f32 v3, v74, v4, -v3
	v_add_f32_e32 v2, v2, v3
	v_mul_f32_e32 v3, v77, v15
	v_fma_f32 v3, v76, v14, -v3
	v_add_f32_e32 v2, v2, v3
	v_mul_f32_e32 v3, v79, v17
	;; [unrolled: 3-line block ×8, first 2 shown]
	v_fma_f32 v3, v56, v40, -v3
	s_waitcnt vmcnt(5) lgkmcnt(1)
	v_mul_f32_e32 v99, v88, v47
	v_add_f32_e32 v26, v2, v3
	v_mul_f32_e32 v2, v89, v47
	v_fmac_f32_e32 v99, v89, v46
	v_fma_f32 v98, v88, v46, -v2
	s_waitcnt vmcnt(4) lgkmcnt(0)
	v_pk_mul_f32 v[20:21], v[92:93], v[50:51] op_sel:[1,1] op_sel_hi:[0,1]
	v_mul_f32_e32 v101, v90, v49
	v_mul_f32_e32 v2, v91, v49
	v_pk_add_f32 v[18:19], v[26:27], v[98:99]
	v_pk_fma_f32 v[26:27], v[92:93], v[50:51], v[20:21] neg_lo:[0,0,1] neg_hi:[0,0,1]
	v_pk_fma_f32 v[20:21], v[92:93], v[50:51], v[20:21] op_sel_hi:[1,0,1]
	v_fmac_f32_e32 v101, v91, v48
	v_fma_f32 v100, v90, v48, -v2
	ds_read_b128 v[2:5], v58 offset:976
	ds_read_b128 v[10:13], v58 offset:992
	;; [unrolled: 1-line block ×3, first 2 shown]
	v_mov_b32_e32 v20, v53
	v_pk_add_f32 v[18:19], v[18:19], v[100:101]
	v_mov_b32_e32 v27, v21
	v_pk_mul_f32 v[20:21], v[94:95], v[20:21] op_sel:[1,0] op_sel_hi:[0,0]
	v_pk_add_f32 v[18:19], v[18:19], v[26:27]
	v_pk_fma_f32 v[26:27], v[94:95], v[52:53], v[20:21] neg_lo:[0,0,1] neg_hi:[0,0,1]
	v_pk_fma_f32 v[20:21], v[94:95], v[52:53], v[20:21] op_sel_hi:[1,0,1]
	s_nop 0
	v_mov_b32_e32 v27, v21
	s_waitcnt vmcnt(3) lgkmcnt(2)
	v_pk_mul_f32 v[20:21], v[2:3], v[34:35] op_sel:[1,1] op_sel_hi:[0,1]
	v_pk_add_f32 v[18:19], v[18:19], v[26:27]
	v_pk_fma_f32 v[26:27], v[2:3], v[34:35], v[20:21] neg_lo:[0,0,1] neg_hi:[0,0,1]
	v_pk_fma_f32 v[2:3], v[2:3], v[34:35], v[20:21] op_sel_hi:[1,0,1]
	s_nop 0
	v_mov_b32_e32 v27, v3
	v_pk_add_f32 v[2:3], v[18:19], v[26:27]
	v_mov_b32_e32 v18, v37
	v_pk_mul_f32 v[18:19], v[4:5], v[18:19] op_sel:[1,0] op_sel_hi:[0,0]
	v_pk_fma_f32 v[20:21], v[4:5], v[36:37], v[18:19] neg_lo:[0,0,1] neg_hi:[0,0,1]
	v_pk_fma_f32 v[4:5], v[4:5], v[36:37], v[18:19] op_sel_hi:[1,0,1]
	s_nop 0
	v_mov_b32_e32 v21, v5
	s_waitcnt vmcnt(2) lgkmcnt(1)
	v_pk_mul_f32 v[4:5], v[10:11], v[22:23] op_sel:[1,1] op_sel_hi:[0,1]
	v_pk_fma_f32 v[18:19], v[10:11], v[22:23], v[4:5] neg_lo:[0,0,1] neg_hi:[0,0,1]
	v_pk_fma_f32 v[4:5], v[10:11], v[22:23], v[4:5] op_sel_hi:[1,0,1]
	v_pk_add_f32 v[2:3], v[2:3], v[20:21]
	v_mov_b32_e32 v4, v25
	v_mov_b32_e32 v19, v5
	v_pk_mul_f32 v[4:5], v[12:13], v[4:5] op_sel:[1,0] op_sel_hi:[0,0]
	v_pk_fma_f32 v[10:11], v[12:13], v[24:25], v[4:5] neg_lo:[0,0,1] neg_hi:[0,0,1]
	v_pk_fma_f32 v[4:5], v[12:13], v[24:25], v[4:5] op_sel_hi:[1,0,1]
	v_pk_add_f32 v[2:3], v[2:3], v[18:19]
	v_mov_b32_e32 v11, v5
	s_waitcnt vmcnt(1) lgkmcnt(0)
	v_pk_mul_f32 v[4:5], v[14:15], v[6:7] op_sel:[1,1] op_sel_hi:[0,1]
	v_pk_add_f32 v[2:3], v[2:3], v[10:11]
	v_pk_fma_f32 v[10:11], v[14:15], v[6:7], v[4:5] neg_lo:[0,0,1] neg_hi:[0,0,1]
	v_pk_fma_f32 v[4:5], v[14:15], v[6:7], v[4:5] op_sel_hi:[1,0,1]
	s_nop 0
	v_mov_b32_e32 v4, v9
	v_mov_b32_e32 v11, v5
	v_pk_mul_f32 v[4:5], v[16:17], v[4:5] op_sel:[1,0] op_sel_hi:[0,0]
	v_pk_fma_f32 v[6:7], v[16:17], v[8:9], v[4:5] neg_lo:[0,0,1] neg_hi:[0,0,1]
	v_pk_fma_f32 v[4:5], v[16:17], v[8:9], v[4:5] op_sel_hi:[1,0,1]
	v_pk_add_f32 v[2:3], v[2:3], v[10:11]
	v_mov_b32_e32 v7, v5
	v_pk_add_f32 v[2:3], v[2:3], v[6:7]
	s_waitcnt vmcnt(0)
	v_pk_add_f32 v[2:3], v[96:97], v[2:3] neg_lo:[0,1] neg_hi:[0,1]
	scratch_store_dwordx2 off, v[2:3], off offset:296
	s_and_saveexec_b64 s[0:1], vcc
	s_cbranch_execz .LBB63_325
; %bb.324:
	scratch_load_dwordx2 v[2:3], off, off offset:288
	v_mov_b32_e32 v4, 0
	v_mov_b32_e32 v5, v4
	scratch_store_dwordx2 off, v[4:5], off offset:288
	s_waitcnt vmcnt(1)
	ds_write_b64 v1, v[2:3]
.LBB63_325:
	s_or_b64 exec, exec, s[0:1]
	s_waitcnt lgkmcnt(0)
	; wave barrier
	scratch_load_dwordx4 v[10:13], off, off offset:296
	scratch_load_dwordx4 v[30:33], off, off offset:312
	;; [unrolled: 1-line block ×13, first 2 shown]
	scratch_load_dwordx2 v[54:55], off, off offset:504
	scratch_load_dwordx2 v[80:81], off, off offset:288
	v_mov_b32_e32 v82, 0
	ds_read2_b64 v[56:59], v82 offset0:101 offset1:102
	ds_read2_b64 v[60:63], v82 offset0:103 offset1:104
	;; [unrolled: 1-line block ×10, first 2 shown]
	v_cmp_lt_u32_e32 vcc, 35, v0
	s_waitcnt vmcnt(14) lgkmcnt(9)
	v_mul_f32_e32 v83, v56, v11
	v_mul_f32_e32 v100, v58, v13
	s_waitcnt vmcnt(12) lgkmcnt(7)
	v_mul_f32_e32 v105, v64, v3
	v_mul_f32_e32 v3, v65, v3
	v_fmac_f32_e32 v83, v57, v10
	v_mul_f32_e32 v102, v60, v31
	v_fmac_f32_e32 v100, v59, v12
	v_fmac_f32_e32 v105, v65, v2
	v_fma_f32 v2, v64, v2, -v3
	v_add_f32_e32 v3, 0, v83
	v_mul_f32_e32 v104, v62, v33
	v_fmac_f32_e32 v102, v61, v30
	v_add_f32_e32 v3, v3, v100
	v_fmac_f32_e32 v104, v63, v32
	v_add_f32_e32 v3, v3, v102
	v_mul_f32_e32 v106, v66, v5
	v_add_f32_e32 v3, v3, v104
	s_waitcnt vmcnt(11) lgkmcnt(6)
	v_mul_f32_e32 v107, v68, v7
	v_fmac_f32_e32 v106, v67, v4
	v_add_f32_e32 v3, v3, v105
	v_mul_f32_e32 v108, v70, v9
	v_fmac_f32_e32 v107, v69, v6
	v_add_f32_e32 v3, v3, v106
	s_waitcnt vmcnt(10) lgkmcnt(5)
	v_mul_f32_e32 v109, v72, v19
	v_fmac_f32_e32 v108, v71, v8
	v_add_f32_e32 v3, v3, v107
	v_mul_f32_e32 v110, v74, v21
	v_fmac_f32_e32 v109, v73, v18
	;; [unrolled: 7-line block ×3, first 2 shown]
	v_add_f32_e32 v3, v3, v110
	s_waitcnt vmcnt(8) lgkmcnt(3)
	v_mul_f32_e32 v113, v84, v35
	v_mul_f32_e32 v11, v57, v11
	v_fmac_f32_e32 v112, v79, v24
	v_add_f32_e32 v3, v3, v111
	v_mul_f32_e32 v114, v86, v37
	v_mul_f32_e32 v13, v59, v13
	v_fmac_f32_e32 v113, v85, v34
	v_fma_f32 v10, v56, v10, -v11
	v_add_f32_e32 v3, v3, v112
	s_waitcnt vmcnt(7) lgkmcnt(2)
	v_mul_f32_e32 v115, v88, v39
	v_mul_f32_e32 v31, v61, v31
	v_fmac_f32_e32 v114, v87, v36
	v_fma_f32 v11, v58, v12, -v13
	v_add_f32_e32 v10, 0, v10
	v_add_f32_e32 v3, v3, v113
	v_mul_f32_e32 v116, v90, v41
	v_mul_f32_e32 v33, v63, v33
	v_fmac_f32_e32 v115, v89, v38
	v_fma_f32 v12, v60, v30, -v31
	v_add_f32_e32 v10, v10, v11
	v_add_f32_e32 v3, v3, v114
	s_waitcnt vmcnt(6) lgkmcnt(1)
	v_mul_f32_e32 v117, v92, v51
	v_fmac_f32_e32 v116, v91, v40
	v_fma_f32 v13, v62, v32, -v33
	v_add_f32_e32 v10, v10, v12
	v_add_f32_e32 v3, v3, v115
	v_mul_f32_e32 v5, v67, v5
	v_fmac_f32_e32 v117, v93, v50
	v_add_f32_e32 v10, v10, v13
	v_add_f32_e32 v3, v3, v116
	;; [unrolled: 1-line block ×4, first 2 shown]
	v_fma_f32 v3, v66, v4, -v5
	v_add_f32_e32 v2, v2, v3
	v_mul_f32_e32 v3, v69, v7
	v_fma_f32 v3, v68, v6, -v3
	v_add_f32_e32 v2, v2, v3
	v_mul_f32_e32 v3, v71, v9
	;; [unrolled: 3-line block ×12, first 2 shown]
	v_mul_f32_e32 v101, v94, v53
	v_fma_f32 v100, v94, v52, -v2
	s_waitcnt vmcnt(5) lgkmcnt(0)
	v_mul_f32_e32 v2, v97, v47
	v_mov_b32_e32 v22, v49
	v_mul_f32_e32 v103, v96, v47
	v_fmac_f32_e32 v101, v95, v52
	v_fma_f32 v102, v96, v46, -v2
	ds_read2_b64 v[2:5], v82 offset0:121 offset1:122
	ds_read2_b64 v[6:9], v82 offset0:123 offset1:124
	ds_read2_b64 v[10:13], v82 offset0:125 offset1:126
	ds_read_b64 v[18:19], v82 offset:1016
	v_pk_mul_f32 v[22:23], v[98:99], v[22:23] op_sel:[1,0] op_sel_hi:[0,0]
	v_fmac_f32_e32 v103, v97, v46
	v_pk_add_f32 v[20:21], v[30:31], v[100:101]
	v_pk_fma_f32 v[24:25], v[98:99], v[48:49], v[22:23] neg_lo:[0,0,1] neg_hi:[0,0,1]
	v_pk_fma_f32 v[22:23], v[98:99], v[48:49], v[22:23] op_sel_hi:[1,0,1]
	v_pk_add_f32 v[20:21], v[20:21], v[102:103]
	v_mov_b32_e32 v25, v23
	s_waitcnt vmcnt(4) lgkmcnt(3)
	v_pk_mul_f32 v[22:23], v[2:3], v[42:43] op_sel:[1,1] op_sel_hi:[0,1]
	v_pk_add_f32 v[20:21], v[20:21], v[24:25]
	v_pk_fma_f32 v[24:25], v[2:3], v[42:43], v[22:23] neg_lo:[0,0,1] neg_hi:[0,0,1]
	v_pk_fma_f32 v[2:3], v[2:3], v[42:43], v[22:23] op_sel_hi:[1,0,1]
	s_nop 0
	v_mov_b32_e32 v25, v3
	v_pk_add_f32 v[2:3], v[20:21], v[24:25]
	v_mov_b32_e32 v20, v45
	v_pk_mul_f32 v[20:21], v[4:5], v[20:21] op_sel:[1,0] op_sel_hi:[0,0]
	v_pk_fma_f32 v[22:23], v[4:5], v[44:45], v[20:21] neg_lo:[0,0,1] neg_hi:[0,0,1]
	v_pk_fma_f32 v[4:5], v[4:5], v[44:45], v[20:21] op_sel_hi:[1,0,1]
	s_nop 0
	v_mov_b32_e32 v23, v5
	s_waitcnt vmcnt(3) lgkmcnt(2)
	v_pk_mul_f32 v[4:5], v[6:7], v[26:27] op_sel:[1,1] op_sel_hi:[0,1]
	v_pk_fma_f32 v[20:21], v[6:7], v[26:27], v[4:5] neg_lo:[0,0,1] neg_hi:[0,0,1]
	v_pk_fma_f32 v[4:5], v[6:7], v[26:27], v[4:5] op_sel_hi:[1,0,1]
	v_pk_add_f32 v[2:3], v[2:3], v[22:23]
	v_mov_b32_e32 v4, v29
	v_mov_b32_e32 v21, v5
	v_pk_mul_f32 v[4:5], v[8:9], v[4:5] op_sel:[1,0] op_sel_hi:[0,0]
	v_pk_fma_f32 v[6:7], v[8:9], v[28:29], v[4:5] neg_lo:[0,0,1] neg_hi:[0,0,1]
	v_pk_fma_f32 v[4:5], v[8:9], v[28:29], v[4:5] op_sel_hi:[1,0,1]
	v_pk_add_f32 v[2:3], v[2:3], v[20:21]
	v_mov_b32_e32 v7, v5
	s_waitcnt vmcnt(2) lgkmcnt(1)
	v_pk_mul_f32 v[4:5], v[10:11], v[14:15] op_sel:[1,1] op_sel_hi:[0,1]
	v_pk_add_f32 v[2:3], v[2:3], v[6:7]
	v_pk_fma_f32 v[6:7], v[10:11], v[14:15], v[4:5] neg_lo:[0,0,1] neg_hi:[0,0,1]
	v_pk_fma_f32 v[4:5], v[10:11], v[14:15], v[4:5] op_sel_hi:[1,0,1]
	s_nop 0
	v_mov_b32_e32 v4, v17
	v_mov_b32_e32 v7, v5
	v_pk_mul_f32 v[4:5], v[12:13], v[4:5] op_sel:[1,0] op_sel_hi:[0,0]
	v_pk_add_f32 v[2:3], v[2:3], v[6:7]
	v_pk_fma_f32 v[6:7], v[12:13], v[16:17], v[4:5] neg_lo:[0,0,1] neg_hi:[0,0,1]
	v_pk_fma_f32 v[4:5], v[12:13], v[16:17], v[4:5] op_sel_hi:[1,0,1]
	s_nop 0
	v_mov_b32_e32 v7, v5
	s_waitcnt vmcnt(1) lgkmcnt(0)
	v_pk_mul_f32 v[4:5], v[18:19], v[54:55] op_sel:[1,1] op_sel_hi:[0,1]
	v_pk_add_f32 v[2:3], v[2:3], v[6:7]
	v_pk_fma_f32 v[6:7], v[18:19], v[54:55], v[4:5] neg_lo:[0,0,1] neg_hi:[0,0,1]
	v_pk_fma_f32 v[4:5], v[18:19], v[54:55], v[4:5] op_sel_hi:[1,0,1]
	s_nop 0
	v_mov_b32_e32 v7, v5
	v_pk_add_f32 v[2:3], v[2:3], v[6:7]
	s_waitcnt vmcnt(0)
	v_pk_add_f32 v[2:3], v[80:81], v[2:3] neg_lo:[0,1] neg_hi:[0,1]
	scratch_store_dwordx2 off, v[2:3], off offset:288
	s_and_saveexec_b64 s[0:1], vcc
	s_cbranch_execz .LBB63_327
; %bb.326:
	scratch_load_dwordx2 v[2:3], off, off offset:280
	v_mov_b32_e32 v83, v82
	scratch_store_dwordx2 off, v[82:83], off offset:280
	s_waitcnt vmcnt(1)
	ds_write_b64 v1, v[2:3]
.LBB63_327:
	s_or_b64 exec, exec, s[0:1]
	s_waitcnt lgkmcnt(0)
	; wave barrier
	scratch_load_dwordx4 v[18:21], off, off offset:288
	scratch_load_dwordx4 v[34:37], off, off offset:304
	;; [unrolled: 1-line block ×10, first 2 shown]
	ds_read_b128 v[84:87], v82 offset:800
	ds_read_b128 v[88:91], v82 offset:816
	;; [unrolled: 1-line block ×10, first 2 shown]
	scratch_load_dwordx4 v[54:57], off, off offset:448
	scratch_load_dwordx4 v[46:49], off, off offset:464
	;; [unrolled: 1-line block ×4, first 2 shown]
	scratch_load_dwordx2 v[100:101], off, off offset:280
	v_cmp_lt_u32_e32 vcc, 34, v0
	s_waitcnt vmcnt(14) lgkmcnt(9)
	v_mul_f32_e32 v83, v84, v19
	v_mul_f32_e32 v102, v86, v21
	s_waitcnt vmcnt(12) lgkmcnt(7)
	v_mul_f32_e32 v107, v92, v3
	v_mul_f32_e32 v3, v93, v3
	v_fmac_f32_e32 v83, v85, v18
	v_mul_f32_e32 v104, v88, v35
	v_fmac_f32_e32 v102, v87, v20
	v_fmac_f32_e32 v107, v93, v2
	v_fma_f32 v2, v92, v2, -v3
	v_add_f32_e32 v3, 0, v83
	v_mul_f32_e32 v106, v90, v37
	v_fmac_f32_e32 v104, v89, v34
	v_add_f32_e32 v3, v3, v102
	v_fmac_f32_e32 v106, v91, v36
	v_add_f32_e32 v3, v3, v104
	v_mul_f32_e32 v108, v94, v5
	v_add_f32_e32 v3, v3, v106
	s_waitcnt vmcnt(11) lgkmcnt(6)
	v_mul_f32_e32 v109, v96, v7
	v_fmac_f32_e32 v108, v95, v4
	v_add_f32_e32 v3, v3, v107
	v_mul_f32_e32 v110, v98, v9
	v_fmac_f32_e32 v109, v97, v6
	v_add_f32_e32 v3, v3, v108
	s_waitcnt vmcnt(10) lgkmcnt(5)
	v_mul_f32_e32 v111, v78, v11
	v_fmac_f32_e32 v110, v99, v8
	v_add_f32_e32 v3, v3, v109
	v_mul_f32_e32 v112, v80, v13
	v_fmac_f32_e32 v111, v79, v10
	;; [unrolled: 7-line block ×4, first 2 shown]
	v_add_f32_e32 v3, v3, v114
	s_waitcnt vmcnt(7) lgkmcnt(2)
	v_mul_f32_e32 v117, v66, v39
	v_mul_f32_e32 v19, v85, v19
	v_fmac_f32_e32 v116, v73, v28
	v_add_f32_e32 v3, v3, v115
	v_mul_f32_e32 v118, v68, v41
	v_mul_f32_e32 v21, v87, v21
	v_fmac_f32_e32 v117, v67, v38
	v_fma_f32 v18, v84, v18, -v19
	v_add_f32_e32 v3, v3, v116
	s_waitcnt vmcnt(6) lgkmcnt(1)
	v_mul_f32_e32 v119, v62, v43
	v_mul_f32_e32 v35, v89, v35
	v_fmac_f32_e32 v118, v69, v40
	v_fma_f32 v19, v86, v20, -v21
	v_add_f32_e32 v18, 0, v18
	v_add_f32_e32 v3, v3, v117
	v_mul_f32_e32 v120, v64, v45
	v_mul_f32_e32 v37, v91, v37
	v_fmac_f32_e32 v119, v63, v42
	v_fma_f32 v20, v88, v34, -v35
	v_add_f32_e32 v18, v18, v19
	v_add_f32_e32 v3, v3, v118
	v_fmac_f32_e32 v120, v65, v44
	v_fma_f32 v21, v90, v36, -v37
	v_add_f32_e32 v18, v18, v20
	v_add_f32_e32 v3, v3, v119
	;; [unrolled: 1-line block ×4, first 2 shown]
	v_mul_f32_e32 v3, v95, v5
	v_add_f32_e32 v2, v18, v2
	v_fma_f32 v3, v94, v4, -v3
	v_add_f32_e32 v2, v2, v3
	v_mul_f32_e32 v3, v97, v7
	v_fma_f32 v3, v96, v6, -v3
	v_add_f32_e32 v2, v2, v3
	v_mul_f32_e32 v3, v99, v9
	;; [unrolled: 3-line block ×12, first 2 shown]
	v_fma_f32 v3, v64, v44, -v3
	v_add_f32_e32 v34, v2, v3
	s_waitcnt vmcnt(5) lgkmcnt(0)
	v_mul_f32_e32 v2, v59, v51
	v_fma_f32 v102, v58, v50, -v2
	v_mul_f32_e32 v2, v61, v53
	v_fma_f32 v104, v60, v52, -v2
	ds_read_b128 v[2:5], v82 offset:960
	ds_read_b128 v[6:9], v82 offset:976
	;; [unrolled: 1-line block ×4, first 2 shown]
	v_mul_f32_e32 v103, v58, v51
	v_mul_f32_e32 v105, v60, v53
	v_fmac_f32_e32 v103, v59, v50
	s_waitcnt vmcnt(4) lgkmcnt(3)
	v_pk_mul_f32 v[24:25], v[2:3], v[54:55] op_sel:[1,1] op_sel_hi:[0,1]
	v_fmac_f32_e32 v105, v61, v52
	v_pk_add_f32 v[22:23], v[34:35], v[102:103]
	v_pk_fma_f32 v[26:27], v[2:3], v[54:55], v[24:25] neg_lo:[0,0,1] neg_hi:[0,0,1]
	v_pk_fma_f32 v[2:3], v[2:3], v[54:55], v[24:25] op_sel_hi:[1,0,1]
	v_pk_add_f32 v[22:23], v[22:23], v[104:105]
	v_mov_b32_e32 v27, v3
	v_pk_add_f32 v[2:3], v[22:23], v[26:27]
	v_mov_b32_e32 v22, v57
	v_pk_mul_f32 v[22:23], v[4:5], v[22:23] op_sel:[1,0] op_sel_hi:[0,0]
	v_pk_fma_f32 v[24:25], v[4:5], v[56:57], v[22:23] neg_lo:[0,0,1] neg_hi:[0,0,1]
	v_pk_fma_f32 v[4:5], v[4:5], v[56:57], v[22:23] op_sel_hi:[1,0,1]
	s_nop 0
	v_mov_b32_e32 v25, v5
	s_waitcnt vmcnt(3) lgkmcnt(2)
	v_pk_mul_f32 v[4:5], v[6:7], v[46:47] op_sel:[1,1] op_sel_hi:[0,1]
	v_pk_fma_f32 v[22:23], v[6:7], v[46:47], v[4:5] neg_lo:[0,0,1] neg_hi:[0,0,1]
	v_pk_fma_f32 v[4:5], v[6:7], v[46:47], v[4:5] op_sel_hi:[1,0,1]
	v_pk_add_f32 v[2:3], v[2:3], v[24:25]
	v_mov_b32_e32 v4, v49
	v_mov_b32_e32 v23, v5
	v_pk_mul_f32 v[4:5], v[8:9], v[4:5] op_sel:[1,0] op_sel_hi:[0,0]
	v_pk_fma_f32 v[6:7], v[8:9], v[48:49], v[4:5] neg_lo:[0,0,1] neg_hi:[0,0,1]
	v_pk_fma_f32 v[4:5], v[8:9], v[48:49], v[4:5] op_sel_hi:[1,0,1]
	v_pk_add_f32 v[2:3], v[2:3], v[22:23]
	v_mov_b32_e32 v7, v5
	s_waitcnt vmcnt(2) lgkmcnt(1)
	v_pk_mul_f32 v[4:5], v[10:11], v[30:31] op_sel:[1,1] op_sel_hi:[0,1]
	v_pk_add_f32 v[2:3], v[2:3], v[6:7]
	v_pk_fma_f32 v[6:7], v[10:11], v[30:31], v[4:5] neg_lo:[0,0,1] neg_hi:[0,0,1]
	v_pk_fma_f32 v[4:5], v[10:11], v[30:31], v[4:5] op_sel_hi:[1,0,1]
	s_nop 0
	v_mov_b32_e32 v4, v33
	v_mov_b32_e32 v7, v5
	v_pk_mul_f32 v[4:5], v[12:13], v[4:5] op_sel:[1,0] op_sel_hi:[0,0]
	v_pk_add_f32 v[2:3], v[2:3], v[6:7]
	v_pk_fma_f32 v[6:7], v[12:13], v[32:33], v[4:5] neg_lo:[0,0,1] neg_hi:[0,0,1]
	v_pk_fma_f32 v[4:5], v[12:13], v[32:33], v[4:5] op_sel_hi:[1,0,1]
	s_nop 0
	v_mov_b32_e32 v7, v5
	s_waitcnt vmcnt(1) lgkmcnt(0)
	v_pk_mul_f32 v[4:5], v[18:19], v[14:15] op_sel:[1,1] op_sel_hi:[0,1]
	v_pk_add_f32 v[2:3], v[2:3], v[6:7]
	v_pk_fma_f32 v[6:7], v[18:19], v[14:15], v[4:5] neg_lo:[0,0,1] neg_hi:[0,0,1]
	v_pk_fma_f32 v[4:5], v[18:19], v[14:15], v[4:5] op_sel_hi:[1,0,1]
	s_nop 0
	v_mov_b32_e32 v4, v17
	v_mov_b32_e32 v7, v5
	v_pk_mul_f32 v[4:5], v[20:21], v[4:5] op_sel:[1,0] op_sel_hi:[0,0]
	v_pk_add_f32 v[2:3], v[2:3], v[6:7]
	v_pk_fma_f32 v[6:7], v[20:21], v[16:17], v[4:5] neg_lo:[0,0,1] neg_hi:[0,0,1]
	v_pk_fma_f32 v[4:5], v[20:21], v[16:17], v[4:5] op_sel_hi:[1,0,1]
	s_nop 0
	v_mov_b32_e32 v7, v5
	v_pk_add_f32 v[2:3], v[2:3], v[6:7]
	s_waitcnt vmcnt(0)
	v_pk_add_f32 v[2:3], v[100:101], v[2:3] neg_lo:[0,1] neg_hi:[0,1]
	scratch_store_dwordx2 off, v[2:3], off offset:280
	s_and_saveexec_b64 s[0:1], vcc
	s_cbranch_execz .LBB63_329
; %bb.328:
	scratch_load_dwordx2 v[2:3], off, off offset:272
	v_mov_b32_e32 v4, 0
	v_mov_b32_e32 v5, v4
	scratch_store_dwordx2 off, v[4:5], off offset:272
	s_waitcnt vmcnt(1)
	ds_write_b64 v1, v[2:3]
.LBB63_329:
	s_or_b64 exec, exec, s[0:1]
	s_waitcnt lgkmcnt(0)
	; wave barrier
	scratch_load_dwordx4 v[70:73], off, off offset:280
	scratch_load_dwordx4 v[74:77], off, off offset:296
	;; [unrolled: 1-line block ×14, first 2 shown]
	scratch_load_dwordx2 v[64:65], off, off offset:504
	v_mov_b32_e32 v62, 0
	ds_read2_b64 v[90:93], v62 offset0:99 offset1:100
	ds_read2_b64 v[94:97], v62 offset0:101 offset1:102
	;; [unrolled: 1-line block ×11, first 2 shown]
	v_cmp_lt_u32_e32 vcc, 33, v0
	s_waitcnt vmcnt(14) lgkmcnt(10)
	v_mul_f32_e32 v63, v90, v71
	v_mul_f32_e32 v66, v92, v73
	v_fmac_f32_e32 v63, v91, v70
	s_waitcnt vmcnt(13) lgkmcnt(9)
	v_mul_f32_e32 v68, v94, v75
	v_fmac_f32_e32 v66, v93, v72
	s_waitcnt vmcnt(9) lgkmcnt(5)
	v_mul_f32_e32 v117, v58, v23
	v_mul_f32_e32 v23, v59, v23
	v_fmac_f32_e32 v117, v59, v22
	v_fma_f32 v58, v58, v22, -v23
	scratch_load_dwordx2 v[22:23], off, off offset:272
	v_add_f32_e32 v63, 0, v63
	v_mul_f32_e32 v110, v96, v77
	v_fmac_f32_e32 v68, v95, v74
	v_add_f32_e32 v63, v63, v66
	v_mul_f32_e32 v111, v98, v79
	v_fmac_f32_e32 v110, v97, v76
	;; [unrolled: 3-line block ×7, first 2 shown]
	v_add_f32_e32 v63, v63, v114
	v_fmac_f32_e32 v116, v109, v88
	v_add_f32_e32 v63, v63, v115
	v_mul_f32_e32 v118, v60, v25
	v_add_f32_e32 v63, v63, v116
	s_waitcnt vmcnt(9) lgkmcnt(4)
	v_mul_f32_e32 v119, v54, v27
	v_fmac_f32_e32 v118, v61, v24
	v_add_f32_e32 v63, v63, v117
	v_mul_f32_e32 v120, v56, v29
	v_fmac_f32_e32 v119, v55, v26
	v_add_f32_e32 v63, v63, v118
	s_waitcnt vmcnt(8) lgkmcnt(3)
	v_mul_f32_e32 v121, v50, v31
	v_fmac_f32_e32 v120, v57, v28
	v_add_f32_e32 v63, v63, v119
	v_mul_f32_e32 v122, v52, v33
	v_mul_f32_e32 v71, v91, v71
	v_fmac_f32_e32 v121, v51, v30
	v_add_f32_e32 v63, v63, v120
	s_waitcnt vmcnt(7) lgkmcnt(2)
	v_mul_f32_e32 v123, v46, v35
	v_mul_f32_e32 v73, v93, v73
	v_fmac_f32_e32 v122, v53, v32
	v_fma_f32 v70, v90, v70, -v71
	v_add_f32_e32 v63, v63, v121
	v_mul_f32_e32 v124, v48, v37
	v_mul_f32_e32 v75, v95, v75
	v_fmac_f32_e32 v123, v47, v34
	v_fma_f32 v71, v92, v72, -v73
	v_add_f32_e32 v70, 0, v70
	v_add_f32_e32 v63, v63, v122
	s_waitcnt vmcnt(6) lgkmcnt(1)
	v_mul_f32_e32 v125, v42, v39
	v_mul_f32_e32 v77, v97, v77
	v_fmac_f32_e32 v124, v49, v36
	v_fma_f32 v72, v94, v74, -v75
	v_add_f32_e32 v66, v70, v71
	v_add_f32_e32 v63, v63, v123
	v_fmac_f32_e32 v125, v43, v38
	v_fma_f32 v73, v96, v76, -v77
	v_add_f32_e32 v66, v66, v72
	v_add_f32_e32 v63, v63, v124
	v_add_f32_e32 v71, v63, v125
	v_add_f32_e32 v63, v66, v73
	v_mul_f32_e32 v66, v99, v79
	v_fma_f32 v66, v98, v78, -v66
	v_add_f32_e32 v63, v63, v66
	v_mul_f32_e32 v66, v101, v81
	v_fma_f32 v66, v100, v80, -v66
	v_add_f32_e32 v63, v63, v66
	;; [unrolled: 3-line block ×6, first 2 shown]
	v_mul_f32_e32 v25, v61, v25
	v_add_f32_e32 v58, v63, v58
	v_fma_f32 v24, v60, v24, -v25
	v_mul_f32_e32 v25, v55, v27
	v_add_f32_e32 v24, v58, v24
	v_fma_f32 v25, v54, v26, -v25
	v_add_f32_e32 v24, v24, v25
	v_mul_f32_e32 v25, v57, v29
	v_fma_f32 v25, v56, v28, -v25
	v_add_f32_e32 v24, v24, v25
	v_mul_f32_e32 v25, v51, v31
	;; [unrolled: 3-line block ×6, first 2 shown]
	v_fma_f32 v25, v42, v38, -v25
	v_mul_f32_e32 v69, v44, v41
	v_add_f32_e32 v70, v24, v25
	v_mul_f32_e32 v24, v45, v41
	s_waitcnt vmcnt(5)
	v_mov_b32_e32 v36, v13
	s_waitcnt lgkmcnt(0)
	v_mul_f32_e32 v67, v18, v11
	v_fmac_f32_e32 v69, v45, v40
	v_fma_f32 v68, v44, v40, -v24
	v_mul_f32_e32 v11, v19, v11
	v_pk_mul_f32 v[36:37], v[20:21], v[36:37] op_sel:[1,0] op_sel_hi:[0,0]
	v_fmac_f32_e32 v67, v19, v10
	v_fma_f32 v66, v18, v10, -v11
	ds_read2_b64 v[24:27], v62 offset0:121 offset1:122
	ds_read2_b64 v[28:31], v62 offset0:123 offset1:124
	;; [unrolled: 1-line block ×3, first 2 shown]
	ds_read_b64 v[10:11], v62 offset:1016
	v_pk_add_f32 v[18:19], v[70:71], v[68:69]
	v_pk_fma_f32 v[38:39], v[20:21], v[12:13], v[36:37] neg_lo:[0,0,1] neg_hi:[0,0,1]
	v_pk_fma_f32 v[12:13], v[20:21], v[12:13], v[36:37] op_sel_hi:[1,0,1]
	v_pk_add_f32 v[18:19], v[18:19], v[66:67]
	v_mov_b32_e32 v39, v13
	v_pk_add_f32 v[12:13], v[18:19], v[38:39]
	s_waitcnt vmcnt(4) lgkmcnt(3)
	v_pk_mul_f32 v[18:19], v[24:25], v[14:15] op_sel:[1,1] op_sel_hi:[0,1]
	v_pk_fma_f32 v[20:21], v[24:25], v[14:15], v[18:19] neg_lo:[0,0,1] neg_hi:[0,0,1]
	v_pk_fma_f32 v[14:15], v[24:25], v[14:15], v[18:19] op_sel_hi:[1,0,1]
	s_nop 0
	v_mov_b32_e32 v14, v17
	v_mov_b32_e32 v21, v15
	v_pk_mul_f32 v[14:15], v[26:27], v[14:15] op_sel:[1,0] op_sel_hi:[0,0]
	v_pk_fma_f32 v[18:19], v[26:27], v[16:17], v[14:15] neg_lo:[0,0,1] neg_hi:[0,0,1]
	v_pk_fma_f32 v[14:15], v[26:27], v[16:17], v[14:15] op_sel_hi:[1,0,1]
	v_pk_add_f32 v[12:13], v[12:13], v[20:21]
	v_mov_b32_e32 v19, v15
	s_waitcnt vmcnt(3) lgkmcnt(2)
	v_pk_mul_f32 v[14:15], v[28:29], v[6:7] op_sel:[1,1] op_sel_hi:[0,1]
	v_pk_fma_f32 v[16:17], v[28:29], v[6:7], v[14:15] neg_lo:[0,0,1] neg_hi:[0,0,1]
	v_pk_fma_f32 v[6:7], v[28:29], v[6:7], v[14:15] op_sel_hi:[1,0,1]
	v_pk_add_f32 v[12:13], v[12:13], v[18:19]
	v_mov_b32_e32 v17, v7
	v_pk_add_f32 v[6:7], v[12:13], v[16:17]
	v_mov_b32_e32 v12, v9
	v_pk_mul_f32 v[12:13], v[30:31], v[12:13] op_sel:[1,0] op_sel_hi:[0,0]
	v_pk_fma_f32 v[14:15], v[30:31], v[8:9], v[12:13] neg_lo:[0,0,1] neg_hi:[0,0,1]
	v_pk_fma_f32 v[8:9], v[30:31], v[8:9], v[12:13] op_sel_hi:[1,0,1]
	s_nop 0
	v_mov_b32_e32 v15, v9
	s_waitcnt vmcnt(2) lgkmcnt(1)
	v_pk_mul_f32 v[8:9], v[32:33], v[2:3] op_sel:[1,1] op_sel_hi:[0,1]
	v_pk_fma_f32 v[12:13], v[32:33], v[2:3], v[8:9] neg_lo:[0,0,1] neg_hi:[0,0,1]
	v_pk_fma_f32 v[2:3], v[32:33], v[2:3], v[8:9] op_sel_hi:[1,0,1]
	v_pk_add_f32 v[6:7], v[6:7], v[14:15]
	v_mov_b32_e32 v13, v3
	v_pk_add_f32 v[2:3], v[6:7], v[12:13]
	v_mov_b32_e32 v6, v5
	v_pk_mul_f32 v[6:7], v[34:35], v[6:7] op_sel:[1,0] op_sel_hi:[0,0]
	v_pk_fma_f32 v[8:9], v[34:35], v[4:5], v[6:7] neg_lo:[0,0,1] neg_hi:[0,0,1]
	v_pk_fma_f32 v[4:5], v[34:35], v[4:5], v[6:7] op_sel_hi:[1,0,1]
	s_nop 0
	v_mov_b32_e32 v9, v5
	s_waitcnt vmcnt(1) lgkmcnt(0)
	v_pk_mul_f32 v[4:5], v[10:11], v[64:65] op_sel:[1,1] op_sel_hi:[0,1]
	v_pk_fma_f32 v[6:7], v[10:11], v[64:65], v[4:5] neg_lo:[0,0,1] neg_hi:[0,0,1]
	v_pk_fma_f32 v[4:5], v[10:11], v[64:65], v[4:5] op_sel_hi:[1,0,1]
	v_pk_add_f32 v[2:3], v[2:3], v[8:9]
	v_mov_b32_e32 v7, v5
	v_pk_add_f32 v[2:3], v[2:3], v[6:7]
	s_waitcnt vmcnt(0)
	v_pk_add_f32 v[2:3], v[22:23], v[2:3] neg_lo:[0,1] neg_hi:[0,1]
	scratch_store_dwordx2 off, v[2:3], off offset:272
	s_and_saveexec_b64 s[0:1], vcc
	s_cbranch_execz .LBB63_331
; %bb.330:
	scratch_load_dwordx2 v[2:3], off, off offset:264
	v_mov_b32_e32 v63, v62
	scratch_store_dwordx2 off, v[62:63], off offset:264
	s_waitcnt vmcnt(1)
	ds_write_b64 v1, v[2:3]
.LBB63_331:
	s_or_b64 exec, exec, s[0:1]
	s_waitcnt lgkmcnt(0)
	; wave barrier
	ds_read_b128 v[14:17], v62 offset:784
	ds_read_b128 v[10:13], v62 offset:800
	;; [unrolled: 1-line block ×4, first 2 shown]
	scratch_load_dwordx4 v[18:21], off, off offset:272
	scratch_load_dwordx4 v[38:41], off, off offset:336
	;; [unrolled: 1-line block ×5, first 2 shown]
	ds_read_b128 v[76:79], v62 offset:912
	ds_read_b128 v[84:87], v62 offset:928
	;; [unrolled: 1-line block ×3, first 2 shown]
	v_cmp_lt_u32_e32 vcc, 32, v0
	scratch_load_dwordx4 v[52:55], off, off offset:352
	scratch_load_dwordx4 v[64:67], off, off offset:368
	;; [unrolled: 1-line block ×3, first 2 shown]
	ds_read_b128 v[56:59], v62 offset:880
	ds_read_b128 v[68:71], v62 offset:896
	s_waitcnt vmcnt(7) lgkmcnt(8)
	v_mul_f32_e32 v22, v14, v19
	v_fmac_f32_e32 v22, v15, v18
	v_mul_f32_e32 v23, v16, v21
	v_add_f32_e32 v22, 0, v22
	v_fmac_f32_e32 v23, v17, v20
	v_add_f32_e32 v26, v22, v23
	scratch_load_dwordx4 v[22:25], off, off offset:288
	v_mul_f32_e32 v15, v15, v19
	v_fma_f32 v14, v14, v18, -v15
	v_mul_f32_e32 v15, v17, v21
	v_add_f32_e32 v14, 0, v14
	v_fma_f32 v15, v16, v20, -v15
	v_add_f32_e32 v14, v14, v15
	s_waitcnt vmcnt(4) lgkmcnt(2)
	v_mul_f32_e32 v49, v92, v97
	v_fmac_f32_e32 v49, v93, v96
	v_mul_f32_e32 v51, v94, v99
	v_fmac_f32_e32 v51, v95, v98
	s_waitcnt vmcnt(0)
	v_mul_f32_e32 v27, v10, v23
	v_fmac_f32_e32 v27, v11, v22
	v_add_f32_e32 v26, v26, v27
	v_mul_f32_e32 v27, v12, v25
	v_fmac_f32_e32 v27, v13, v24
	v_add_f32_e32 v30, v26, v27
	scratch_load_dwordx4 v[26:29], off, off offset:304
	v_mul_f32_e32 v11, v11, v23
	v_fma_f32 v10, v10, v22, -v11
	v_mul_f32_e32 v11, v13, v25
	v_add_f32_e32 v10, v14, v10
	v_fma_f32 v11, v12, v24, -v11
	v_add_f32_e32 v10, v10, v11
	s_waitcnt vmcnt(0)
	v_mul_f32_e32 v31, v6, v27
	v_fmac_f32_e32 v31, v7, v26
	v_add_f32_e32 v30, v30, v31
	v_mul_f32_e32 v31, v8, v29
	v_fmac_f32_e32 v31, v9, v28
	v_add_f32_e32 v34, v30, v31
	scratch_load_dwordx4 v[30:33], off, off offset:320
	v_mul_f32_e32 v7, v7, v27
	v_fma_f32 v6, v6, v26, -v7
	v_mul_f32_e32 v7, v9, v29
	v_add_f32_e32 v6, v10, v6
	v_fma_f32 v7, v8, v28, -v7
	v_add_f32_e32 v6, v6, v7
	s_waitcnt vmcnt(0)
	v_mul_f32_e32 v35, v2, v31
	v_fmac_f32_e32 v35, v3, v30
	v_add_f32_e32 v34, v34, v35
	v_mul_f32_e32 v35, v4, v33
	v_fmac_f32_e32 v35, v5, v32
	v_add_f32_e32 v42, v34, v35
	ds_read_b128 v[34:37], v62 offset:848
	v_mul_f32_e32 v3, v3, v31
	v_fma_f32 v2, v2, v30, -v3
	v_mul_f32_e32 v3, v5, v33
	v_add_f32_e32 v2, v6, v2
	s_waitcnt lgkmcnt(0)
	v_mul_f32_e32 v43, v34, v39
	v_fmac_f32_e32 v43, v35, v38
	v_add_f32_e32 v42, v42, v43
	v_mul_f32_e32 v43, v36, v41
	v_fmac_f32_e32 v43, v37, v40
	v_add_f32_e32 v46, v42, v43
	ds_read_b128 v[42:45], v62 offset:864
	scratch_load_dwordx4 v[100:103], off, off offset:448
	scratch_load_dwordx4 v[104:107], off, off offset:464
	;; [unrolled: 1-line block ×4, first 2 shown]
	v_fma_f32 v3, v4, v32, -v3
	v_add_f32_e32 v2, v2, v3
	v_mul_f32_e32 v3, v35, v39
	v_fma_f32 v3, v34, v38, -v3
	v_add_f32_e32 v2, v2, v3
	v_mul_f32_e32 v3, v37, v41
	v_fma_f32 v3, v36, v40, -v3
	s_waitcnt lgkmcnt(0)
	v_mul_f32_e32 v47, v42, v53
	v_add_f32_e32 v2, v2, v3
	v_mul_f32_e32 v3, v43, v53
	v_fmac_f32_e32 v47, v43, v52
	v_fma_f32 v3, v42, v52, -v3
	v_add_f32_e32 v46, v46, v47
	v_mul_f32_e32 v47, v44, v55
	v_add_f32_e32 v2, v2, v3
	v_mul_f32_e32 v3, v45, v55
	v_fmac_f32_e32 v47, v45, v54
	v_fma_f32 v3, v44, v54, -v3
	v_add_f32_e32 v46, v46, v47
	v_mul_f32_e32 v47, v56, v65
	v_add_f32_e32 v2, v2, v3
	v_mul_f32_e32 v3, v57, v65
	v_fmac_f32_e32 v47, v57, v64
	v_fma_f32 v3, v56, v64, -v3
	v_add_f32_e32 v46, v46, v47
	v_mul_f32_e32 v47, v58, v67
	v_add_f32_e32 v2, v2, v3
	v_mul_f32_e32 v3, v59, v67
	v_fmac_f32_e32 v47, v59, v66
	v_fma_f32 v3, v58, v66, -v3
	v_add_f32_e32 v46, v46, v47
	v_mul_f32_e32 v47, v68, v73
	v_add_f32_e32 v2, v2, v3
	v_mul_f32_e32 v3, v69, v73
	v_fmac_f32_e32 v47, v69, v72
	v_fma_f32 v3, v68, v72, -v3
	v_add_f32_e32 v46, v46, v47
	v_mul_f32_e32 v47, v70, v75
	v_add_f32_e32 v2, v2, v3
	v_mul_f32_e32 v3, v71, v75
	v_fmac_f32_e32 v47, v71, v74
	v_fma_f32 v3, v70, v74, -v3
	v_add_f32_e32 v46, v46, v47
	v_mul_f32_e32 v47, v76, v81
	v_add_f32_e32 v2, v2, v3
	v_mul_f32_e32 v3, v77, v81
	v_fmac_f32_e32 v47, v77, v80
	v_fma_f32 v3, v76, v80, -v3
	v_add_f32_e32 v46, v46, v47
	v_mul_f32_e32 v47, v78, v83
	v_add_f32_e32 v2, v2, v3
	v_mul_f32_e32 v3, v79, v83
	v_fmac_f32_e32 v47, v79, v82
	v_fma_f32 v3, v78, v82, -v3
	v_add_f32_e32 v46, v46, v47
	v_mul_f32_e32 v47, v84, v89
	v_add_f32_e32 v2, v2, v3
	v_mul_f32_e32 v3, v85, v89
	v_fmac_f32_e32 v47, v85, v88
	v_fma_f32 v3, v84, v88, -v3
	v_add_f32_e32 v46, v46, v47
	v_mul_f32_e32 v47, v86, v91
	v_add_f32_e32 v2, v2, v3
	v_mul_f32_e32 v3, v87, v91
	v_fmac_f32_e32 v47, v87, v90
	v_fma_f32 v3, v86, v90, -v3
	v_add_f32_e32 v47, v46, v47
	v_add_f32_e32 v46, v2, v3
	v_mul_f32_e32 v2, v93, v97
	v_fma_f32 v48, v92, v96, -v2
	v_mul_f32_e32 v2, v95, v99
	v_fma_f32 v50, v94, v98, -v2
	ds_read_b128 v[2:5], v62 offset:960
	ds_read_b128 v[6:9], v62 offset:976
	;; [unrolled: 1-line block ×4, first 2 shown]
	v_pk_add_f32 v[18:19], v[46:47], v[48:49]
	s_waitcnt vmcnt(3) lgkmcnt(3)
	v_pk_mul_f32 v[20:21], v[2:3], v[100:101] op_sel:[1,1] op_sel_hi:[0,1]
	v_pk_fma_f32 v[22:23], v[2:3], v[100:101], v[20:21] neg_lo:[0,0,1] neg_hi:[0,0,1]
	v_pk_fma_f32 v[2:3], v[2:3], v[100:101], v[20:21] op_sel_hi:[1,0,1]
	v_pk_add_f32 v[18:19], v[18:19], v[50:51]
	v_mov_b32_e32 v23, v3
	v_pk_add_f32 v[2:3], v[18:19], v[22:23]
	v_mov_b32_e32 v18, v103
	v_pk_mul_f32 v[18:19], v[4:5], v[18:19] op_sel:[1,0] op_sel_hi:[0,0]
	v_pk_fma_f32 v[20:21], v[4:5], v[102:103], v[18:19] neg_lo:[0,0,1] neg_hi:[0,0,1]
	v_pk_fma_f32 v[4:5], v[4:5], v[102:103], v[18:19] op_sel_hi:[1,0,1]
	s_nop 0
	v_mov_b32_e32 v21, v5
	s_waitcnt vmcnt(2) lgkmcnt(2)
	v_pk_mul_f32 v[4:5], v[6:7], v[104:105] op_sel:[1,1] op_sel_hi:[0,1]
	v_pk_fma_f32 v[18:19], v[6:7], v[104:105], v[4:5] neg_lo:[0,0,1] neg_hi:[0,0,1]
	v_pk_fma_f32 v[4:5], v[6:7], v[104:105], v[4:5] op_sel_hi:[1,0,1]
	v_pk_add_f32 v[2:3], v[2:3], v[20:21]
	v_mov_b32_e32 v4, v107
	v_mov_b32_e32 v19, v5
	v_pk_mul_f32 v[4:5], v[8:9], v[4:5] op_sel:[1,0] op_sel_hi:[0,0]
	v_pk_fma_f32 v[6:7], v[8:9], v[106:107], v[4:5] neg_lo:[0,0,1] neg_hi:[0,0,1]
	v_pk_fma_f32 v[4:5], v[8:9], v[106:107], v[4:5] op_sel_hi:[1,0,1]
	v_pk_add_f32 v[2:3], v[2:3], v[18:19]
	v_mov_b32_e32 v7, v5
	s_waitcnt vmcnt(1) lgkmcnt(1)
	v_pk_mul_f32 v[4:5], v[10:11], v[108:109] op_sel:[1,1] op_sel_hi:[0,1]
	v_pk_add_f32 v[2:3], v[2:3], v[6:7]
	v_pk_fma_f32 v[6:7], v[10:11], v[108:109], v[4:5] neg_lo:[0,0,1] neg_hi:[0,0,1]
	v_pk_fma_f32 v[4:5], v[10:11], v[108:109], v[4:5] op_sel_hi:[1,0,1]
	s_nop 0
	v_mov_b32_e32 v4, v111
	v_mov_b32_e32 v7, v5
	v_pk_mul_f32 v[4:5], v[12:13], v[4:5] op_sel:[1,0] op_sel_hi:[0,0]
	v_pk_add_f32 v[2:3], v[2:3], v[6:7]
	v_pk_fma_f32 v[6:7], v[12:13], v[110:111], v[4:5] neg_lo:[0,0,1] neg_hi:[0,0,1]
	v_pk_fma_f32 v[4:5], v[12:13], v[110:111], v[4:5] op_sel_hi:[1,0,1]
	s_nop 0
	v_mov_b32_e32 v7, v5
	s_waitcnt vmcnt(0) lgkmcnt(0)
	v_pk_mul_f32 v[4:5], v[14:15], v[112:113] op_sel:[1,1] op_sel_hi:[0,1]
	v_pk_add_f32 v[2:3], v[2:3], v[6:7]
	v_pk_fma_f32 v[6:7], v[14:15], v[112:113], v[4:5] neg_lo:[0,0,1] neg_hi:[0,0,1]
	v_pk_fma_f32 v[4:5], v[14:15], v[112:113], v[4:5] op_sel_hi:[1,0,1]
	s_nop 0
	v_mov_b32_e32 v4, v115
	v_mov_b32_e32 v7, v5
	v_pk_mul_f32 v[4:5], v[16:17], v[4:5] op_sel:[1,0] op_sel_hi:[0,0]
	v_pk_add_f32 v[2:3], v[2:3], v[6:7]
	v_pk_fma_f32 v[6:7], v[16:17], v[114:115], v[4:5] neg_lo:[0,0,1] neg_hi:[0,0,1]
	v_pk_fma_f32 v[4:5], v[16:17], v[114:115], v[4:5] op_sel_hi:[1,0,1]
	s_nop 0
	v_mov_b32_e32 v7, v5
	scratch_load_dwordx2 v[4:5], off, off offset:264
	v_pk_add_f32 v[2:3], v[2:3], v[6:7]
	s_waitcnt vmcnt(0)
	v_pk_add_f32 v[2:3], v[4:5], v[2:3] neg_lo:[0,1] neg_hi:[0,1]
	scratch_store_dwordx2 off, v[2:3], off offset:264
	s_and_saveexec_b64 s[0:1], vcc
	s_cbranch_execz .LBB63_333
; %bb.332:
	scratch_load_dwordx2 v[2:3], off, off offset:256
	v_mov_b32_e32 v4, 0
	v_mov_b32_e32 v5, v4
	scratch_store_dwordx2 off, v[4:5], off offset:256
	s_waitcnt vmcnt(1)
	ds_write_b64 v1, v[2:3]
.LBB63_333:
	s_or_b64 exec, exec, s[0:1]
	s_waitcnt lgkmcnt(0)
	; wave barrier
	scratch_load_dwordx4 v[6:9], off, off offset:264
	scratch_load_dwordx4 v[14:17], off, off offset:280
	;; [unrolled: 1-line block ×10, first 2 shown]
	v_mov_b32_e32 v62, 0
	ds_read2_b64 v[2:5], v62 offset0:97 offset1:98
	scratch_load_dwordx4 v[88:91], off, off offset:424
	scratch_load_dwordx4 v[96:99], off, off offset:440
	v_cmp_lt_u32_e32 vcc, 31, v0
	s_waitcnt vmcnt(11) lgkmcnt(0)
	v_mul_f32_e32 v10, v2, v7
	v_fmac_f32_e32 v10, v3, v6
	v_mul_f32_e32 v11, v4, v9
	v_add_f32_e32 v10, 0, v10
	v_fmac_f32_e32 v11, v5, v8
	v_add_f32_e32 v18, v10, v11
	ds_read2_b64 v[10:13], v62 offset0:99 offset1:100
	v_mul_f32_e32 v3, v3, v7
	v_fma_f32 v2, v2, v6, -v3
	v_mul_f32_e32 v3, v5, v9
	v_add_f32_e32 v2, 0, v2
	s_waitcnt vmcnt(10) lgkmcnt(0)
	v_mul_f32_e32 v19, v10, v15
	v_fmac_f32_e32 v19, v11, v14
	v_add_f32_e32 v18, v18, v19
	v_mul_f32_e32 v19, v12, v17
	v_fmac_f32_e32 v19, v13, v16
	v_add_f32_e32 v26, v18, v19
	ds_read2_b64 v[18:21], v62 offset0:101 offset1:102
	v_fma_f32 v3, v4, v8, -v3
	v_add_f32_e32 v2, v2, v3
	v_mul_f32_e32 v3, v11, v15
	v_fma_f32 v3, v10, v14, -v3
	s_waitcnt vmcnt(9) lgkmcnt(0)
	v_mul_f32_e32 v27, v18, v23
	v_fmac_f32_e32 v27, v19, v22
	v_add_f32_e32 v26, v26, v27
	v_mul_f32_e32 v27, v20, v25
	v_fmac_f32_e32 v27, v21, v24
	v_add_f32_e32 v34, v26, v27
	ds_read2_b64 v[26:29], v62 offset0:103 offset1:104
	v_add_f32_e32 v2, v2, v3
	v_mul_f32_e32 v3, v13, v17
	v_fma_f32 v3, v12, v16, -v3
	v_add_f32_e32 v2, v2, v3
	s_waitcnt vmcnt(8) lgkmcnt(0)
	v_mul_f32_e32 v35, v26, v31
	v_fmac_f32_e32 v35, v27, v30
	v_add_f32_e32 v34, v34, v35
	v_mul_f32_e32 v35, v28, v33
	v_fmac_f32_e32 v35, v29, v32
	v_add_f32_e32 v42, v34, v35
	ds_read2_b64 v[34:37], v62 offset0:105 offset1:106
	v_mul_f32_e32 v3, v19, v23
	v_fma_f32 v3, v18, v22, -v3
	v_add_f32_e32 v2, v2, v3
	v_mul_f32_e32 v3, v21, v25
	s_waitcnt vmcnt(7) lgkmcnt(0)
	v_mul_f32_e32 v43, v34, v39
	v_fmac_f32_e32 v43, v35, v38
	v_add_f32_e32 v42, v42, v43
	v_mul_f32_e32 v43, v36, v41
	v_fmac_f32_e32 v43, v37, v40
	v_add_f32_e32 v50, v42, v43
	ds_read2_b64 v[42:45], v62 offset0:107 offset1:108
	v_fma_f32 v3, v20, v24, -v3
	v_add_f32_e32 v2, v2, v3
	v_mul_f32_e32 v3, v27, v31
	v_fma_f32 v3, v26, v30, -v3
	s_waitcnt vmcnt(6) lgkmcnt(0)
	v_mul_f32_e32 v51, v42, v47
	v_fmac_f32_e32 v51, v43, v46
	v_add_f32_e32 v50, v50, v51
	v_mul_f32_e32 v51, v44, v49
	v_fmac_f32_e32 v51, v45, v48
	v_add_f32_e32 v58, v50, v51
	ds_read2_b64 v[50:53], v62 offset0:109 offset1:110
	v_add_f32_e32 v2, v2, v3
	v_mul_f32_e32 v3, v29, v33
	v_fma_f32 v3, v28, v32, -v3
	v_add_f32_e32 v2, v2, v3
	s_waitcnt vmcnt(5) lgkmcnt(0)
	v_mul_f32_e32 v59, v50, v55
	v_fmac_f32_e32 v59, v51, v54
	v_add_f32_e32 v58, v58, v59
	v_mul_f32_e32 v59, v52, v57
	v_fmac_f32_e32 v59, v53, v56
	v_add_f32_e32 v63, v58, v59
	ds_read2_b64 v[58:61], v62 offset0:111 offset1:112
	v_mul_f32_e32 v3, v35, v39
	v_fma_f32 v3, v34, v38, -v3
	v_add_f32_e32 v2, v2, v3
	v_mul_f32_e32 v3, v37, v41
	;; [unrolled: 36-line block ×3, first 2 shown]
	s_waitcnt vmcnt(1) lgkmcnt(0)
	v_mul_f32_e32 v92, v84, v89
	v_fmac_f32_e32 v92, v85, v88
	v_add_f32_e32 v113, v63, v92
	ds_read2_b64 v[92:95], v62 offset0:119 offset1:120
	scratch_load_dwordx4 v[100:103], off, off offset:456
	scratch_load_dwordx4 v[104:107], off, off offset:472
	scratch_load_dwordx4 v[108:111], off, off offset:488
	scratch_load_dwordx2 v[118:119], off, off offset:504
	v_fma_f32 v3, v52, v56, -v3
	v_add_f32_e32 v2, v2, v3
	v_mul_f32_e32 v3, v59, v65
	v_fma_f32 v3, v58, v64, -v3
	v_add_f32_e32 v2, v2, v3
	v_mul_f32_e32 v3, v61, v67
	;; [unrolled: 3-line block ×8, first 2 shown]
	v_mul_f32_e32 v115, v86, v91
	v_fma_f32 v114, v86, v90, -v2
	s_waitcnt vmcnt(4) lgkmcnt(0)
	v_mul_f32_e32 v2, v93, v97
	v_mov_b32_e32 v18, v99
	v_fmac_f32_e32 v115, v87, v90
	v_mul_f32_e32 v117, v92, v97
	v_fma_f32 v116, v92, v96, -v2
	ds_read2_b64 v[2:5], v62 offset0:121 offset1:122
	ds_read2_b64 v[6:9], v62 offset0:123 offset1:124
	ds_read2_b64 v[10:13], v62 offset0:125 offset1:126
	ds_read_b64 v[14:15], v62 offset:1016
	v_pk_mul_f32 v[18:19], v[94:95], v[18:19] op_sel:[1,0] op_sel_hi:[0,0]
	v_fmac_f32_e32 v117, v93, v96
	v_pk_add_f32 v[16:17], v[112:113], v[114:115]
	v_pk_fma_f32 v[20:21], v[94:95], v[98:99], v[18:19] neg_lo:[0,0,1] neg_hi:[0,0,1]
	v_pk_fma_f32 v[18:19], v[94:95], v[98:99], v[18:19] op_sel_hi:[1,0,1]
	v_pk_add_f32 v[16:17], v[16:17], v[116:117]
	v_mov_b32_e32 v21, v19
	v_pk_add_f32 v[16:17], v[16:17], v[20:21]
	s_waitcnt vmcnt(3) lgkmcnt(3)
	v_pk_mul_f32 v[18:19], v[2:3], v[100:101] op_sel:[1,1] op_sel_hi:[0,1]
	v_pk_fma_f32 v[20:21], v[2:3], v[100:101], v[18:19] neg_lo:[0,0,1] neg_hi:[0,0,1]
	v_pk_fma_f32 v[2:3], v[2:3], v[100:101], v[18:19] op_sel_hi:[1,0,1]
	s_nop 0
	v_mov_b32_e32 v21, v3
	v_pk_add_f32 v[2:3], v[16:17], v[20:21]
	v_mov_b32_e32 v16, v103
	v_pk_mul_f32 v[16:17], v[4:5], v[16:17] op_sel:[1,0] op_sel_hi:[0,0]
	v_pk_fma_f32 v[18:19], v[4:5], v[102:103], v[16:17] neg_lo:[0,0,1] neg_hi:[0,0,1]
	v_pk_fma_f32 v[4:5], v[4:5], v[102:103], v[16:17] op_sel_hi:[1,0,1]
	s_nop 0
	v_mov_b32_e32 v19, v5
	s_waitcnt vmcnt(2) lgkmcnt(2)
	v_pk_mul_f32 v[4:5], v[6:7], v[104:105] op_sel:[1,1] op_sel_hi:[0,1]
	v_pk_fma_f32 v[16:17], v[6:7], v[104:105], v[4:5] neg_lo:[0,0,1] neg_hi:[0,0,1]
	v_pk_fma_f32 v[4:5], v[6:7], v[104:105], v[4:5] op_sel_hi:[1,0,1]
	v_pk_add_f32 v[2:3], v[2:3], v[18:19]
	v_mov_b32_e32 v4, v107
	v_mov_b32_e32 v17, v5
	v_pk_mul_f32 v[4:5], v[8:9], v[4:5] op_sel:[1,0] op_sel_hi:[0,0]
	v_pk_fma_f32 v[6:7], v[8:9], v[106:107], v[4:5] neg_lo:[0,0,1] neg_hi:[0,0,1]
	v_pk_fma_f32 v[4:5], v[8:9], v[106:107], v[4:5] op_sel_hi:[1,0,1]
	v_pk_add_f32 v[2:3], v[2:3], v[16:17]
	v_mov_b32_e32 v7, v5
	s_waitcnt vmcnt(1) lgkmcnt(1)
	v_pk_mul_f32 v[4:5], v[10:11], v[108:109] op_sel:[1,1] op_sel_hi:[0,1]
	v_pk_add_f32 v[2:3], v[2:3], v[6:7]
	v_pk_fma_f32 v[6:7], v[10:11], v[108:109], v[4:5] neg_lo:[0,0,1] neg_hi:[0,0,1]
	v_pk_fma_f32 v[4:5], v[10:11], v[108:109], v[4:5] op_sel_hi:[1,0,1]
	s_nop 0
	v_mov_b32_e32 v4, v111
	v_mov_b32_e32 v7, v5
	v_pk_mul_f32 v[4:5], v[12:13], v[4:5] op_sel:[1,0] op_sel_hi:[0,0]
	v_pk_add_f32 v[2:3], v[2:3], v[6:7]
	v_pk_fma_f32 v[6:7], v[12:13], v[110:111], v[4:5] neg_lo:[0,0,1] neg_hi:[0,0,1]
	v_pk_fma_f32 v[4:5], v[12:13], v[110:111], v[4:5] op_sel_hi:[1,0,1]
	s_nop 0
	v_mov_b32_e32 v7, v5
	s_waitcnt vmcnt(0) lgkmcnt(0)
	v_pk_mul_f32 v[4:5], v[14:15], v[118:119] op_sel:[1,1] op_sel_hi:[0,1]
	v_pk_add_f32 v[2:3], v[2:3], v[6:7]
	v_pk_fma_f32 v[6:7], v[14:15], v[118:119], v[4:5] neg_lo:[0,0,1] neg_hi:[0,0,1]
	v_pk_fma_f32 v[4:5], v[14:15], v[118:119], v[4:5] op_sel_hi:[1,0,1]
	s_nop 0
	v_mov_b32_e32 v7, v5
	scratch_load_dwordx2 v[4:5], off, off offset:256
	v_pk_add_f32 v[2:3], v[2:3], v[6:7]
	s_waitcnt vmcnt(0)
	v_pk_add_f32 v[2:3], v[4:5], v[2:3] neg_lo:[0,1] neg_hi:[0,1]
	scratch_store_dwordx2 off, v[2:3], off offset:256
	s_and_saveexec_b64 s[0:1], vcc
	s_cbranch_execz .LBB63_335
; %bb.334:
	scratch_load_dwordx2 v[2:3], off, off offset:248
	v_mov_b32_e32 v63, v62
	scratch_store_dwordx2 off, v[62:63], off offset:248
	s_waitcnt vmcnt(1)
	ds_write_b64 v1, v[2:3]
.LBB63_335:
	s_or_b64 exec, exec, s[0:1]
	s_waitcnt lgkmcnt(0)
	; wave barrier
	ds_read_b128 v[14:17], v62 offset:768
	ds_read_b128 v[10:13], v62 offset:784
	;; [unrolled: 1-line block ×4, first 2 shown]
	scratch_load_dwordx4 v[18:21], off, off offset:256
	scratch_load_dwordx4 v[38:41], off, off offset:320
	;; [unrolled: 1-line block ×6, first 2 shown]
	v_cmp_lt_u32_e32 vcc, 30, v0
	scratch_load_dwordx4 v[46:49], off, off offset:336
	scratch_load_dwordx4 v[54:57], off, off offset:352
	;; [unrolled: 1-line block ×3, first 2 shown]
	s_waitcnt vmcnt(8) lgkmcnt(3)
	v_mul_f32_e32 v22, v14, v19
	v_fmac_f32_e32 v22, v15, v18
	v_mul_f32_e32 v23, v16, v21
	v_add_f32_e32 v22, 0, v22
	v_fmac_f32_e32 v23, v17, v20
	v_add_f32_e32 v26, v22, v23
	scratch_load_dwordx4 v[22:25], off, off offset:272
	v_mul_f32_e32 v15, v15, v19
	v_fma_f32 v14, v14, v18, -v15
	v_mul_f32_e32 v15, v17, v21
	v_add_f32_e32 v14, 0, v14
	v_fma_f32 v15, v16, v20, -v15
	v_add_f32_e32 v14, v14, v15
	s_waitcnt vmcnt(0) lgkmcnt(2)
	v_mul_f32_e32 v27, v10, v23
	v_fmac_f32_e32 v27, v11, v22
	v_add_f32_e32 v26, v26, v27
	v_mul_f32_e32 v27, v12, v25
	v_fmac_f32_e32 v27, v13, v24
	v_add_f32_e32 v30, v26, v27
	scratch_load_dwordx4 v[26:29], off, off offset:288
	v_mul_f32_e32 v11, v11, v23
	v_fma_f32 v10, v10, v22, -v11
	v_mul_f32_e32 v11, v13, v25
	v_add_f32_e32 v10, v14, v10
	v_fma_f32 v11, v12, v24, -v11
	v_add_f32_e32 v10, v10, v11
	s_waitcnt vmcnt(0) lgkmcnt(1)
	v_mul_f32_e32 v31, v6, v27
	v_fmac_f32_e32 v31, v7, v26
	v_add_f32_e32 v30, v30, v31
	v_mul_f32_e32 v31, v8, v29
	;; [unrolled: 14-line block ×3, first 2 shown]
	v_fmac_f32_e32 v35, v5, v32
	v_add_f32_e32 v42, v34, v35
	ds_read_b128 v[34:37], v62 offset:832
	v_mul_f32_e32 v3, v3, v31
	v_fma_f32 v2, v2, v30, -v3
	v_mul_f32_e32 v3, v5, v33
	v_add_f32_e32 v2, v6, v2
	s_waitcnt lgkmcnt(0)
	v_mul_f32_e32 v43, v34, v39
	v_fmac_f32_e32 v43, v35, v38
	v_add_f32_e32 v42, v42, v43
	v_mul_f32_e32 v43, v36, v41
	v_fmac_f32_e32 v43, v37, v40
	v_add_f32_e32 v50, v42, v43
	ds_read_b128 v[42:45], v62 offset:848
	v_fma_f32 v3, v4, v32, -v3
	v_add_f32_e32 v2, v2, v3
	v_mul_f32_e32 v3, v35, v39
	v_fma_f32 v3, v34, v38, -v3
	s_waitcnt lgkmcnt(0)
	v_mul_f32_e32 v51, v42, v47
	v_fmac_f32_e32 v51, v43, v46
	v_add_f32_e32 v50, v50, v51
	v_mul_f32_e32 v51, v44, v49
	v_fmac_f32_e32 v51, v45, v48
	v_add_f32_e32 v58, v50, v51
	ds_read_b128 v[50:53], v62 offset:864
	v_add_f32_e32 v2, v2, v3
	v_mul_f32_e32 v3, v37, v41
	v_fma_f32 v3, v36, v40, -v3
	v_add_f32_e32 v2, v2, v3
	s_waitcnt lgkmcnt(0)
	v_mul_f32_e32 v59, v50, v55
	v_fmac_f32_e32 v59, v51, v54
	v_add_f32_e32 v58, v58, v59
	v_mul_f32_e32 v59, v52, v57
	v_fmac_f32_e32 v59, v53, v56
	v_add_f32_e32 v63, v58, v59
	ds_read_b128 v[58:61], v62 offset:880
	v_mul_f32_e32 v3, v43, v47
	v_fma_f32 v3, v42, v46, -v3
	v_add_f32_e32 v2, v2, v3
	v_mul_f32_e32 v3, v45, v49
	s_waitcnt lgkmcnt(0)
	v_mul_f32_e32 v68, v58, v65
	v_fmac_f32_e32 v68, v59, v64
	v_add_f32_e32 v63, v63, v68
	v_mul_f32_e32 v68, v60, v67
	v_fmac_f32_e32 v68, v61, v66
	v_add_f32_e32 v63, v63, v68
	ds_read_b128 v[68:71], v62 offset:896
	v_fma_f32 v3, v44, v48, -v3
	v_add_f32_e32 v2, v2, v3
	v_mul_f32_e32 v3, v51, v55
	v_fma_f32 v3, v50, v54, -v3
	s_waitcnt lgkmcnt(0)
	v_mul_f32_e32 v76, v68, v73
	v_fmac_f32_e32 v76, v69, v72
	v_add_f32_e32 v63, v63, v76
	v_mul_f32_e32 v76, v70, v75
	v_fmac_f32_e32 v76, v71, v74
	v_add_f32_e32 v63, v63, v76
	ds_read_b128 v[76:79], v62 offset:912
	v_add_f32_e32 v2, v2, v3
	v_mul_f32_e32 v3, v53, v57
	v_fma_f32 v3, v52, v56, -v3
	v_add_f32_e32 v2, v2, v3
	s_waitcnt lgkmcnt(0)
	v_mul_f32_e32 v84, v76, v81
	v_fmac_f32_e32 v84, v77, v80
	v_add_f32_e32 v63, v63, v84
	v_mul_f32_e32 v84, v78, v83
	v_fmac_f32_e32 v84, v79, v82
	v_add_f32_e32 v63, v63, v84
	ds_read_b128 v[84:87], v62 offset:928
	v_mul_f32_e32 v3, v59, v65
	v_fma_f32 v3, v58, v64, -v3
	v_add_f32_e32 v2, v2, v3
	v_mul_f32_e32 v3, v61, v67
	s_waitcnt lgkmcnt(0)
	v_mul_f32_e32 v92, v84, v89
	v_fmac_f32_e32 v92, v85, v88
	v_add_f32_e32 v63, v63, v92
	v_mul_f32_e32 v92, v86, v91
	v_fmac_f32_e32 v92, v87, v90
	v_add_f32_e32 v117, v63, v92
	ds_read_b128 v[92:95], v62 offset:944
	scratch_load_dwordx4 v[100:103], off, off offset:448
	scratch_load_dwordx4 v[104:107], off, off offset:464
	;; [unrolled: 1-line block ×4, first 2 shown]
	v_fma_f32 v3, v60, v66, -v3
	v_add_f32_e32 v2, v2, v3
	v_mul_f32_e32 v3, v69, v73
	v_fma_f32 v3, v68, v72, -v3
	v_add_f32_e32 v2, v2, v3
	v_mul_f32_e32 v3, v71, v75
	;; [unrolled: 3-line block ×6, first 2 shown]
	v_fma_f32 v3, v86, v90, -v3
	v_add_f32_e32 v116, v2, v3
	s_waitcnt lgkmcnt(0)
	v_mul_f32_e32 v2, v93, v97
	v_fma_f32 v118, v92, v96, -v2
	v_mul_f32_e32 v2, v95, v99
	v_fma_f32 v120, v94, v98, -v2
	ds_read_b128 v[2:5], v62 offset:960
	ds_read_b128 v[6:9], v62 offset:976
	;; [unrolled: 1-line block ×4, first 2 shown]
	v_mul_f32_e32 v119, v92, v97
	v_fmac_f32_e32 v119, v93, v96
	v_mul_f32_e32 v121, v94, v99
	v_fmac_f32_e32 v121, v95, v98
	v_pk_add_f32 v[18:19], v[116:117], v[118:119]
	s_waitcnt vmcnt(3) lgkmcnt(3)
	v_pk_mul_f32 v[20:21], v[2:3], v[100:101] op_sel:[1,1] op_sel_hi:[0,1]
	v_pk_fma_f32 v[22:23], v[2:3], v[100:101], v[20:21] neg_lo:[0,0,1] neg_hi:[0,0,1]
	v_pk_fma_f32 v[2:3], v[2:3], v[100:101], v[20:21] op_sel_hi:[1,0,1]
	v_pk_add_f32 v[18:19], v[18:19], v[120:121]
	v_mov_b32_e32 v23, v3
	v_pk_add_f32 v[2:3], v[18:19], v[22:23]
	v_mov_b32_e32 v18, v103
	v_pk_mul_f32 v[18:19], v[4:5], v[18:19] op_sel:[1,0] op_sel_hi:[0,0]
	v_pk_fma_f32 v[20:21], v[4:5], v[102:103], v[18:19] neg_lo:[0,0,1] neg_hi:[0,0,1]
	v_pk_fma_f32 v[4:5], v[4:5], v[102:103], v[18:19] op_sel_hi:[1,0,1]
	s_nop 0
	v_mov_b32_e32 v21, v5
	s_waitcnt vmcnt(2) lgkmcnt(2)
	v_pk_mul_f32 v[4:5], v[6:7], v[104:105] op_sel:[1,1] op_sel_hi:[0,1]
	v_pk_fma_f32 v[18:19], v[6:7], v[104:105], v[4:5] neg_lo:[0,0,1] neg_hi:[0,0,1]
	v_pk_fma_f32 v[4:5], v[6:7], v[104:105], v[4:5] op_sel_hi:[1,0,1]
	v_pk_add_f32 v[2:3], v[2:3], v[20:21]
	v_mov_b32_e32 v4, v107
	v_mov_b32_e32 v19, v5
	v_pk_mul_f32 v[4:5], v[8:9], v[4:5] op_sel:[1,0] op_sel_hi:[0,0]
	v_pk_fma_f32 v[6:7], v[8:9], v[106:107], v[4:5] neg_lo:[0,0,1] neg_hi:[0,0,1]
	v_pk_fma_f32 v[4:5], v[8:9], v[106:107], v[4:5] op_sel_hi:[1,0,1]
	v_pk_add_f32 v[2:3], v[2:3], v[18:19]
	v_mov_b32_e32 v7, v5
	s_waitcnt vmcnt(1) lgkmcnt(1)
	v_pk_mul_f32 v[4:5], v[10:11], v[108:109] op_sel:[1,1] op_sel_hi:[0,1]
	v_pk_add_f32 v[2:3], v[2:3], v[6:7]
	v_pk_fma_f32 v[6:7], v[10:11], v[108:109], v[4:5] neg_lo:[0,0,1] neg_hi:[0,0,1]
	v_pk_fma_f32 v[4:5], v[10:11], v[108:109], v[4:5] op_sel_hi:[1,0,1]
	s_nop 0
	v_mov_b32_e32 v4, v111
	v_mov_b32_e32 v7, v5
	v_pk_mul_f32 v[4:5], v[12:13], v[4:5] op_sel:[1,0] op_sel_hi:[0,0]
	v_pk_add_f32 v[2:3], v[2:3], v[6:7]
	v_pk_fma_f32 v[6:7], v[12:13], v[110:111], v[4:5] neg_lo:[0,0,1] neg_hi:[0,0,1]
	v_pk_fma_f32 v[4:5], v[12:13], v[110:111], v[4:5] op_sel_hi:[1,0,1]
	s_nop 0
	v_mov_b32_e32 v7, v5
	s_waitcnt vmcnt(0) lgkmcnt(0)
	v_pk_mul_f32 v[4:5], v[14:15], v[112:113] op_sel:[1,1] op_sel_hi:[0,1]
	v_pk_add_f32 v[2:3], v[2:3], v[6:7]
	v_pk_fma_f32 v[6:7], v[14:15], v[112:113], v[4:5] neg_lo:[0,0,1] neg_hi:[0,0,1]
	v_pk_fma_f32 v[4:5], v[14:15], v[112:113], v[4:5] op_sel_hi:[1,0,1]
	s_nop 0
	v_mov_b32_e32 v4, v115
	v_mov_b32_e32 v7, v5
	v_pk_mul_f32 v[4:5], v[16:17], v[4:5] op_sel:[1,0] op_sel_hi:[0,0]
	v_pk_add_f32 v[2:3], v[2:3], v[6:7]
	v_pk_fma_f32 v[6:7], v[16:17], v[114:115], v[4:5] neg_lo:[0,0,1] neg_hi:[0,0,1]
	v_pk_fma_f32 v[4:5], v[16:17], v[114:115], v[4:5] op_sel_hi:[1,0,1]
	s_nop 0
	v_mov_b32_e32 v7, v5
	scratch_load_dwordx2 v[4:5], off, off offset:248
	v_pk_add_f32 v[2:3], v[2:3], v[6:7]
	s_waitcnt vmcnt(0)
	v_pk_add_f32 v[2:3], v[4:5], v[2:3] neg_lo:[0,1] neg_hi:[0,1]
	scratch_store_dwordx2 off, v[2:3], off offset:248
	s_and_saveexec_b64 s[0:1], vcc
	s_cbranch_execz .LBB63_337
; %bb.336:
	scratch_load_dwordx2 v[2:3], off, off offset:240
	v_mov_b32_e32 v4, 0
	v_mov_b32_e32 v5, v4
	scratch_store_dwordx2 off, v[4:5], off offset:240
	s_waitcnt vmcnt(1)
	ds_write_b64 v1, v[2:3]
.LBB63_337:
	s_or_b64 exec, exec, s[0:1]
	s_waitcnt lgkmcnt(0)
	; wave barrier
	scratch_load_dwordx4 v[6:9], off, off offset:248
	scratch_load_dwordx4 v[14:17], off, off offset:264
	;; [unrolled: 1-line block ×10, first 2 shown]
	v_mov_b32_e32 v70, 0
	ds_read2_b64 v[2:5], v70 offset0:95 offset1:96
	scratch_load_dwordx4 v[88:91], off, off offset:408
	scratch_load_dwordx4 v[96:99], off, off offset:424
	;; [unrolled: 1-line block ×3, first 2 shown]
	v_cmp_lt_u32_e32 vcc, 29, v0
	s_waitcnt vmcnt(12) lgkmcnt(0)
	v_mul_f32_e32 v10, v2, v7
	v_fmac_f32_e32 v10, v3, v6
	v_mul_f32_e32 v11, v4, v9
	v_add_f32_e32 v10, 0, v10
	v_fmac_f32_e32 v11, v5, v8
	v_add_f32_e32 v18, v10, v11
	ds_read2_b64 v[10:13], v70 offset0:97 offset1:98
	v_mul_f32_e32 v3, v3, v7
	v_fma_f32 v2, v2, v6, -v3
	v_mul_f32_e32 v3, v5, v9
	v_add_f32_e32 v2, 0, v2
	s_waitcnt vmcnt(11) lgkmcnt(0)
	v_mul_f32_e32 v19, v10, v15
	v_fmac_f32_e32 v19, v11, v14
	v_add_f32_e32 v18, v18, v19
	v_mul_f32_e32 v19, v12, v17
	v_fmac_f32_e32 v19, v13, v16
	v_add_f32_e32 v26, v18, v19
	ds_read2_b64 v[18:21], v70 offset0:99 offset1:100
	v_fma_f32 v3, v4, v8, -v3
	v_add_f32_e32 v2, v2, v3
	v_mul_f32_e32 v3, v11, v15
	v_fma_f32 v3, v10, v14, -v3
	s_waitcnt vmcnt(10) lgkmcnt(0)
	v_mul_f32_e32 v27, v18, v23
	v_fmac_f32_e32 v27, v19, v22
	v_add_f32_e32 v26, v26, v27
	v_mul_f32_e32 v27, v20, v25
	v_fmac_f32_e32 v27, v21, v24
	v_add_f32_e32 v34, v26, v27
	ds_read2_b64 v[26:29], v70 offset0:101 offset1:102
	v_add_f32_e32 v2, v2, v3
	v_mul_f32_e32 v3, v13, v17
	v_fma_f32 v3, v12, v16, -v3
	v_add_f32_e32 v2, v2, v3
	s_waitcnt vmcnt(9) lgkmcnt(0)
	v_mul_f32_e32 v35, v26, v31
	v_fmac_f32_e32 v35, v27, v30
	v_add_f32_e32 v34, v34, v35
	v_mul_f32_e32 v35, v28, v33
	v_fmac_f32_e32 v35, v29, v32
	v_add_f32_e32 v42, v34, v35
	ds_read2_b64 v[34:37], v70 offset0:103 offset1:104
	v_mul_f32_e32 v3, v19, v23
	v_fma_f32 v3, v18, v22, -v3
	v_add_f32_e32 v2, v2, v3
	v_mul_f32_e32 v3, v21, v25
	s_waitcnt vmcnt(8) lgkmcnt(0)
	v_mul_f32_e32 v43, v34, v39
	v_fmac_f32_e32 v43, v35, v38
	v_add_f32_e32 v42, v42, v43
	v_mul_f32_e32 v43, v36, v41
	v_fmac_f32_e32 v43, v37, v40
	v_add_f32_e32 v50, v42, v43
	ds_read2_b64 v[42:45], v70 offset0:105 offset1:106
	v_fma_f32 v3, v20, v24, -v3
	v_add_f32_e32 v2, v2, v3
	v_mul_f32_e32 v3, v27, v31
	v_fma_f32 v3, v26, v30, -v3
	s_waitcnt vmcnt(7) lgkmcnt(0)
	v_mul_f32_e32 v51, v42, v47
	v_fmac_f32_e32 v51, v43, v46
	v_add_f32_e32 v50, v50, v51
	v_mul_f32_e32 v51, v44, v49
	v_fmac_f32_e32 v51, v45, v48
	v_add_f32_e32 v58, v50, v51
	ds_read2_b64 v[50:53], v70 offset0:107 offset1:108
	v_add_f32_e32 v2, v2, v3
	v_mul_f32_e32 v3, v29, v33
	v_fma_f32 v3, v28, v32, -v3
	v_add_f32_e32 v2, v2, v3
	s_waitcnt vmcnt(6) lgkmcnt(0)
	v_mul_f32_e32 v59, v50, v55
	v_fmac_f32_e32 v59, v51, v54
	v_add_f32_e32 v58, v58, v59
	v_mul_f32_e32 v59, v52, v57
	v_fmac_f32_e32 v59, v53, v56
	v_add_f32_e32 v66, v58, v59
	ds_read2_b64 v[58:61], v70 offset0:109 offset1:110
	v_mul_f32_e32 v3, v35, v39
	v_fma_f32 v3, v34, v38, -v3
	v_add_f32_e32 v2, v2, v3
	v_mul_f32_e32 v3, v37, v41
	;; [unrolled: 36-line block ×3, first 2 shown]
	s_waitcnt vmcnt(2) lgkmcnt(0)
	v_mul_f32_e32 v92, v84, v89
	v_fmac_f32_e32 v92, v85, v88
	v_add_f32_e32 v71, v71, v92
	v_mul_f32_e32 v92, v86, v91
	v_fmac_f32_e32 v92, v87, v90
	v_add_f32_e32 v71, v71, v92
	ds_read2_b64 v[92:95], v70 offset0:117 offset1:118
	v_fma_f32 v3, v52, v56, -v3
	v_add_f32_e32 v2, v2, v3
	v_mul_f32_e32 v3, v59, v63
	v_fma_f32 v3, v58, v62, -v3
	s_waitcnt vmcnt(1) lgkmcnt(0)
	v_mul_f32_e32 v100, v92, v97
	v_fmac_f32_e32 v100, v93, v96
	v_add_f32_e32 v121, v71, v100
	ds_read2_b64 v[100:103], v70 offset0:119 offset1:120
	scratch_load_dwordx4 v[108:111], off, off offset:456
	scratch_load_dwordx4 v[112:115], off, off offset:472
	;; [unrolled: 1-line block ×3, first 2 shown]
	scratch_load_dwordx2 v[126:127], off, off offset:504
	v_add_f32_e32 v2, v2, v3
	v_mul_f32_e32 v3, v61, v65
	v_fma_f32 v3, v60, v64, -v3
	v_add_f32_e32 v2, v2, v3
	v_mul_f32_e32 v3, v67, v73
	v_fma_f32 v3, v66, v72, -v3
	;; [unrolled: 3-line block ×8, first 2 shown]
	v_add_f32_e32 v120, v2, v3
	v_mul_f32_e32 v2, v95, v99
	v_mul_f32_e32 v123, v94, v99
	v_fma_f32 v122, v94, v98, -v2
	s_waitcnt vmcnt(4) lgkmcnt(0)
	v_mul_f32_e32 v2, v101, v105
	v_mov_b32_e32 v18, v107
	v_fmac_f32_e32 v123, v95, v98
	v_mul_f32_e32 v125, v100, v105
	v_fma_f32 v124, v100, v104, -v2
	ds_read2_b64 v[2:5], v70 offset0:121 offset1:122
	ds_read2_b64 v[6:9], v70 offset0:123 offset1:124
	;; [unrolled: 1-line block ×3, first 2 shown]
	ds_read_b64 v[14:15], v70 offset:1016
	v_pk_mul_f32 v[18:19], v[102:103], v[18:19] op_sel:[1,0] op_sel_hi:[0,0]
	v_fmac_f32_e32 v125, v101, v104
	v_pk_add_f32 v[16:17], v[120:121], v[122:123]
	v_pk_fma_f32 v[20:21], v[102:103], v[106:107], v[18:19] neg_lo:[0,0,1] neg_hi:[0,0,1]
	v_pk_fma_f32 v[18:19], v[102:103], v[106:107], v[18:19] op_sel_hi:[1,0,1]
	v_pk_add_f32 v[16:17], v[16:17], v[124:125]
	v_mov_b32_e32 v21, v19
	v_pk_add_f32 v[16:17], v[16:17], v[20:21]
	s_waitcnt vmcnt(3) lgkmcnt(3)
	v_pk_mul_f32 v[18:19], v[2:3], v[108:109] op_sel:[1,1] op_sel_hi:[0,1]
	v_pk_fma_f32 v[20:21], v[2:3], v[108:109], v[18:19] neg_lo:[0,0,1] neg_hi:[0,0,1]
	v_pk_fma_f32 v[2:3], v[2:3], v[108:109], v[18:19] op_sel_hi:[1,0,1]
	s_nop 0
	v_mov_b32_e32 v21, v3
	v_pk_add_f32 v[2:3], v[16:17], v[20:21]
	v_mov_b32_e32 v16, v111
	v_pk_mul_f32 v[16:17], v[4:5], v[16:17] op_sel:[1,0] op_sel_hi:[0,0]
	v_pk_fma_f32 v[18:19], v[4:5], v[110:111], v[16:17] neg_lo:[0,0,1] neg_hi:[0,0,1]
	v_pk_fma_f32 v[4:5], v[4:5], v[110:111], v[16:17] op_sel_hi:[1,0,1]
	s_nop 0
	v_mov_b32_e32 v19, v5
	s_waitcnt vmcnt(2) lgkmcnt(2)
	v_pk_mul_f32 v[4:5], v[6:7], v[112:113] op_sel:[1,1] op_sel_hi:[0,1]
	v_pk_fma_f32 v[16:17], v[6:7], v[112:113], v[4:5] neg_lo:[0,0,1] neg_hi:[0,0,1]
	v_pk_fma_f32 v[4:5], v[6:7], v[112:113], v[4:5] op_sel_hi:[1,0,1]
	v_pk_add_f32 v[2:3], v[2:3], v[18:19]
	v_mov_b32_e32 v4, v115
	v_mov_b32_e32 v17, v5
	v_pk_mul_f32 v[4:5], v[8:9], v[4:5] op_sel:[1,0] op_sel_hi:[0,0]
	v_pk_fma_f32 v[6:7], v[8:9], v[114:115], v[4:5] neg_lo:[0,0,1] neg_hi:[0,0,1]
	v_pk_fma_f32 v[4:5], v[8:9], v[114:115], v[4:5] op_sel_hi:[1,0,1]
	v_pk_add_f32 v[2:3], v[2:3], v[16:17]
	v_mov_b32_e32 v7, v5
	s_waitcnt vmcnt(1) lgkmcnt(1)
	v_pk_mul_f32 v[4:5], v[10:11], v[116:117] op_sel:[1,1] op_sel_hi:[0,1]
	v_pk_add_f32 v[2:3], v[2:3], v[6:7]
	v_pk_fma_f32 v[6:7], v[10:11], v[116:117], v[4:5] neg_lo:[0,0,1] neg_hi:[0,0,1]
	v_pk_fma_f32 v[4:5], v[10:11], v[116:117], v[4:5] op_sel_hi:[1,0,1]
	s_nop 0
	v_mov_b32_e32 v4, v119
	v_mov_b32_e32 v7, v5
	v_pk_mul_f32 v[4:5], v[12:13], v[4:5] op_sel:[1,0] op_sel_hi:[0,0]
	v_pk_add_f32 v[2:3], v[2:3], v[6:7]
	v_pk_fma_f32 v[6:7], v[12:13], v[118:119], v[4:5] neg_lo:[0,0,1] neg_hi:[0,0,1]
	v_pk_fma_f32 v[4:5], v[12:13], v[118:119], v[4:5] op_sel_hi:[1,0,1]
	s_nop 0
	v_mov_b32_e32 v7, v5
	s_waitcnt vmcnt(0) lgkmcnt(0)
	v_pk_mul_f32 v[4:5], v[14:15], v[126:127] op_sel:[1,1] op_sel_hi:[0,1]
	v_pk_add_f32 v[2:3], v[2:3], v[6:7]
	v_pk_fma_f32 v[6:7], v[14:15], v[126:127], v[4:5] neg_lo:[0,0,1] neg_hi:[0,0,1]
	v_pk_fma_f32 v[4:5], v[14:15], v[126:127], v[4:5] op_sel_hi:[1,0,1]
	s_nop 0
	v_mov_b32_e32 v7, v5
	scratch_load_dwordx2 v[4:5], off, off offset:240
	v_pk_add_f32 v[2:3], v[2:3], v[6:7]
	s_waitcnt vmcnt(0)
	v_pk_add_f32 v[2:3], v[4:5], v[2:3] neg_lo:[0,1] neg_hi:[0,1]
	scratch_store_dwordx2 off, v[2:3], off offset:240
	s_and_saveexec_b64 s[0:1], vcc
	s_cbranch_execz .LBB63_339
; %bb.338:
	scratch_load_dwordx2 v[2:3], off, off offset:232
	v_mov_b32_e32 v71, v70
	scratch_store_dwordx2 off, v[70:71], off offset:232
	s_waitcnt vmcnt(1)
	ds_write_b64 v1, v[2:3]
.LBB63_339:
	s_or_b64 exec, exec, s[0:1]
	s_waitcnt lgkmcnt(0)
	; wave barrier
	ds_read_b128 v[14:17], v70 offset:752
	ds_read_b128 v[10:13], v70 offset:768
	ds_read_b128 v[6:9], v70 offset:784
	ds_read_b128 v[2:5], v70 offset:800
	scratch_load_dwordx4 v[18:21], off, off offset:240
	scratch_load_dwordx4 v[34:37], off, off offset:288
	;; [unrolled: 1-line block ×8, first 2 shown]
	ds_read_b128 v[38:41], v70 offset:816
	ds_read_b128 v[54:57], v70 offset:832
	;; [unrolled: 1-line block ×8, first 2 shown]
	scratch_load_dwordx4 v[126:129], off, off offset:432
	ds_read_b128 v[122:125], v70 offset:944
	v_cmp_lt_u32_e32 vcc, 28, v0
	scratch_load_dwordx4 v[50:53], off, off offset:304
	scratch_load_dwordx4 v[62:65], off, off offset:320
	s_waitcnt vmcnt(10) lgkmcnt(12)
	v_mul_f32_e32 v22, v14, v19
	v_fmac_f32_e32 v22, v15, v18
	v_mul_f32_e32 v23, v16, v21
	v_add_f32_e32 v22, 0, v22
	v_fmac_f32_e32 v23, v17, v20
	v_add_f32_e32 v26, v22, v23
	scratch_load_dwordx4 v[22:25], off, off offset:256
	v_mul_f32_e32 v15, v15, v19
	v_fma_f32 v14, v14, v18, -v15
	v_mul_f32_e32 v15, v17, v21
	v_add_f32_e32 v14, 0, v14
	v_fma_f32 v15, v16, v20, -v15
	v_add_f32_e32 v14, v14, v15
	s_waitcnt vmcnt(3) lgkmcnt(0)
	v_mul_f32_e32 v75, v122, v127
	v_fmac_f32_e32 v75, v123, v126
	v_mul_f32_e32 v77, v124, v129
	v_fmac_f32_e32 v77, v125, v128
	s_waitcnt vmcnt(0)
	v_mul_f32_e32 v27, v10, v23
	v_fmac_f32_e32 v27, v11, v22
	v_add_f32_e32 v26, v26, v27
	v_mul_f32_e32 v27, v12, v25
	v_fmac_f32_e32 v27, v13, v24
	v_add_f32_e32 v30, v26, v27
	scratch_load_dwordx4 v[26:29], off, off offset:272
	v_mul_f32_e32 v11, v11, v23
	v_fma_f32 v10, v10, v22, -v11
	v_mul_f32_e32 v11, v13, v25
	v_add_f32_e32 v10, v14, v10
	v_fma_f32 v11, v12, v24, -v11
	v_add_f32_e32 v10, v10, v11
	s_waitcnt vmcnt(0)
	v_mul_f32_e32 v31, v6, v27
	v_fmac_f32_e32 v31, v7, v26
	v_add_f32_e32 v30, v30, v31
	v_mul_f32_e32 v31, v8, v29
	v_fmac_f32_e32 v31, v9, v28
	v_add_f32_e32 v30, v30, v31
	;; [unrolled: 3-line block ×20, first 2 shown]
	scratch_load_dwordx4 v[58:61], off, off offset:448
	scratch_load_dwordx4 v[46:49], off, off offset:464
	scratch_load_dwordx4 v[42:45], off, off offset:480
	scratch_load_dwordx4 v[30:33], off, off offset:496
	v_mul_f32_e32 v7, v7, v27
	v_fma_f32 v6, v6, v26, -v7
	v_mul_f32_e32 v7, v9, v29
	v_add_f32_e32 v6, v10, v6
	v_fma_f32 v7, v8, v28, -v7
	v_mul_f32_e32 v3, v3, v35
	v_add_f32_e32 v6, v6, v7
	v_fma_f32 v2, v2, v34, -v3
	v_mul_f32_e32 v3, v5, v37
	v_add_f32_e32 v2, v6, v2
	v_fma_f32 v3, v4, v36, -v3
	v_add_f32_e32 v2, v2, v3
	v_mul_f32_e32 v3, v39, v51
	v_fma_f32 v3, v38, v50, -v3
	v_add_f32_e32 v2, v2, v3
	v_mul_f32_e32 v3, v41, v53
	;; [unrolled: 3-line block ×17, first 2 shown]
	v_fma_f32 v74, v122, v126, -v2
	v_mul_f32_e32 v2, v125, v129
	v_fma_f32 v76, v124, v128, -v2
	ds_read_b128 v[2:5], v70 offset:960
	ds_read_b128 v[6:9], v70 offset:976
	;; [unrolled: 1-line block ×4, first 2 shown]
	v_pk_add_f32 v[18:19], v[72:73], v[74:75]
	s_waitcnt vmcnt(3) lgkmcnt(3)
	v_pk_mul_f32 v[20:21], v[2:3], v[58:59] op_sel:[1,1] op_sel_hi:[0,1]
	v_pk_fma_f32 v[22:23], v[2:3], v[58:59], v[20:21] neg_lo:[0,0,1] neg_hi:[0,0,1]
	v_pk_fma_f32 v[2:3], v[2:3], v[58:59], v[20:21] op_sel_hi:[1,0,1]
	v_pk_add_f32 v[18:19], v[18:19], v[76:77]
	v_mov_b32_e32 v23, v3
	v_pk_add_f32 v[2:3], v[18:19], v[22:23]
	v_mov_b32_e32 v18, v61
	v_pk_mul_f32 v[18:19], v[4:5], v[18:19] op_sel:[1,0] op_sel_hi:[0,0]
	v_pk_fma_f32 v[20:21], v[4:5], v[60:61], v[18:19] neg_lo:[0,0,1] neg_hi:[0,0,1]
	v_pk_fma_f32 v[4:5], v[4:5], v[60:61], v[18:19] op_sel_hi:[1,0,1]
	s_nop 0
	v_mov_b32_e32 v21, v5
	s_waitcnt vmcnt(2) lgkmcnt(2)
	v_pk_mul_f32 v[4:5], v[6:7], v[46:47] op_sel:[1,1] op_sel_hi:[0,1]
	v_pk_fma_f32 v[18:19], v[6:7], v[46:47], v[4:5] neg_lo:[0,0,1] neg_hi:[0,0,1]
	v_pk_fma_f32 v[4:5], v[6:7], v[46:47], v[4:5] op_sel_hi:[1,0,1]
	v_pk_add_f32 v[2:3], v[2:3], v[20:21]
	v_mov_b32_e32 v4, v49
	v_mov_b32_e32 v19, v5
	v_pk_mul_f32 v[4:5], v[8:9], v[4:5] op_sel:[1,0] op_sel_hi:[0,0]
	v_pk_fma_f32 v[6:7], v[8:9], v[48:49], v[4:5] neg_lo:[0,0,1] neg_hi:[0,0,1]
	v_pk_fma_f32 v[4:5], v[8:9], v[48:49], v[4:5] op_sel_hi:[1,0,1]
	v_pk_add_f32 v[2:3], v[2:3], v[18:19]
	v_mov_b32_e32 v7, v5
	s_waitcnt vmcnt(1) lgkmcnt(1)
	v_pk_mul_f32 v[4:5], v[10:11], v[42:43] op_sel:[1,1] op_sel_hi:[0,1]
	v_pk_add_f32 v[2:3], v[2:3], v[6:7]
	v_pk_fma_f32 v[6:7], v[10:11], v[42:43], v[4:5] neg_lo:[0,0,1] neg_hi:[0,0,1]
	v_pk_fma_f32 v[4:5], v[10:11], v[42:43], v[4:5] op_sel_hi:[1,0,1]
	s_nop 0
	v_mov_b32_e32 v4, v45
	v_mov_b32_e32 v7, v5
	v_pk_mul_f32 v[4:5], v[12:13], v[4:5] op_sel:[1,0] op_sel_hi:[0,0]
	v_pk_add_f32 v[2:3], v[2:3], v[6:7]
	v_pk_fma_f32 v[6:7], v[12:13], v[44:45], v[4:5] neg_lo:[0,0,1] neg_hi:[0,0,1]
	v_pk_fma_f32 v[4:5], v[12:13], v[44:45], v[4:5] op_sel_hi:[1,0,1]
	s_nop 0
	v_mov_b32_e32 v7, v5
	s_waitcnt vmcnt(0) lgkmcnt(0)
	v_pk_mul_f32 v[4:5], v[14:15], v[30:31] op_sel:[1,1] op_sel_hi:[0,1]
	v_pk_add_f32 v[2:3], v[2:3], v[6:7]
	v_pk_fma_f32 v[6:7], v[14:15], v[30:31], v[4:5] neg_lo:[0,0,1] neg_hi:[0,0,1]
	v_pk_fma_f32 v[4:5], v[14:15], v[30:31], v[4:5] op_sel_hi:[1,0,1]
	s_nop 0
	v_mov_b32_e32 v4, v33
	v_mov_b32_e32 v7, v5
	v_pk_mul_f32 v[4:5], v[16:17], v[4:5] op_sel:[1,0] op_sel_hi:[0,0]
	v_pk_add_f32 v[2:3], v[2:3], v[6:7]
	v_pk_fma_f32 v[6:7], v[16:17], v[32:33], v[4:5] neg_lo:[0,0,1] neg_hi:[0,0,1]
	v_pk_fma_f32 v[4:5], v[16:17], v[32:33], v[4:5] op_sel_hi:[1,0,1]
	s_nop 0
	v_mov_b32_e32 v7, v5
	scratch_load_dwordx2 v[4:5], off, off offset:232
	v_pk_add_f32 v[2:3], v[2:3], v[6:7]
	s_waitcnt vmcnt(0)
	v_pk_add_f32 v[2:3], v[4:5], v[2:3] neg_lo:[0,1] neg_hi:[0,1]
	scratch_store_dwordx2 off, v[2:3], off offset:232
	s_and_saveexec_b64 s[0:1], vcc
	s_cbranch_execz .LBB63_341
; %bb.340:
	scratch_load_dwordx2 v[2:3], off, off offset:224
	v_mov_b32_e32 v4, 0
	v_mov_b32_e32 v5, v4
	scratch_store_dwordx2 off, v[4:5], off offset:224
	s_waitcnt vmcnt(1)
	ds_write_b64 v1, v[2:3]
.LBB63_341:
	s_or_b64 exec, exec, s[0:1]
	s_waitcnt lgkmcnt(0)
	; wave barrier
	scratch_load_dwordx4 v[6:9], off, off offset:232
	scratch_load_dwordx4 v[14:17], off, off offset:248
	;; [unrolled: 1-line block ×10, first 2 shown]
	v_mov_b32_e32 v70, 0
	ds_read2_b64 v[2:5], v70 offset0:93 offset1:94
	scratch_load_dwordx4 v[88:91], off, off offset:392
	scratch_load_dwordx4 v[96:99], off, off offset:408
	;; [unrolled: 1-line block ×4, first 2 shown]
	v_cmp_lt_u32_e32 vcc, 27, v0
	s_waitcnt vmcnt(13) lgkmcnt(0)
	v_mul_f32_e32 v10, v2, v7
	v_fmac_f32_e32 v10, v3, v6
	v_mul_f32_e32 v11, v4, v9
	v_add_f32_e32 v10, 0, v10
	v_fmac_f32_e32 v11, v5, v8
	v_add_f32_e32 v18, v10, v11
	ds_read2_b64 v[10:13], v70 offset0:95 offset1:96
	v_mul_f32_e32 v3, v3, v7
	v_fma_f32 v2, v2, v6, -v3
	v_mul_f32_e32 v3, v5, v9
	v_add_f32_e32 v2, 0, v2
	s_waitcnt vmcnt(12) lgkmcnt(0)
	v_mul_f32_e32 v19, v10, v15
	v_fmac_f32_e32 v19, v11, v14
	v_add_f32_e32 v18, v18, v19
	v_mul_f32_e32 v19, v12, v17
	v_fmac_f32_e32 v19, v13, v16
	v_add_f32_e32 v26, v18, v19
	ds_read2_b64 v[18:21], v70 offset0:97 offset1:98
	v_fma_f32 v3, v4, v8, -v3
	v_add_f32_e32 v2, v2, v3
	v_mul_f32_e32 v3, v11, v15
	v_fma_f32 v3, v10, v14, -v3
	s_waitcnt vmcnt(11) lgkmcnt(0)
	v_mul_f32_e32 v27, v18, v23
	v_fmac_f32_e32 v27, v19, v22
	v_add_f32_e32 v26, v26, v27
	v_mul_f32_e32 v27, v20, v25
	v_fmac_f32_e32 v27, v21, v24
	v_add_f32_e32 v34, v26, v27
	ds_read2_b64 v[26:29], v70 offset0:99 offset1:100
	v_add_f32_e32 v2, v2, v3
	v_mul_f32_e32 v3, v13, v17
	v_fma_f32 v3, v12, v16, -v3
	v_add_f32_e32 v2, v2, v3
	s_waitcnt vmcnt(10) lgkmcnt(0)
	v_mul_f32_e32 v35, v26, v31
	v_fmac_f32_e32 v35, v27, v30
	v_add_f32_e32 v34, v34, v35
	v_mul_f32_e32 v35, v28, v33
	v_fmac_f32_e32 v35, v29, v32
	v_add_f32_e32 v42, v34, v35
	ds_read2_b64 v[34:37], v70 offset0:101 offset1:102
	v_mul_f32_e32 v3, v19, v23
	v_fma_f32 v3, v18, v22, -v3
	v_add_f32_e32 v2, v2, v3
	v_mul_f32_e32 v3, v21, v25
	s_waitcnt vmcnt(9) lgkmcnt(0)
	v_mul_f32_e32 v43, v34, v39
	v_fmac_f32_e32 v43, v35, v38
	v_add_f32_e32 v42, v42, v43
	v_mul_f32_e32 v43, v36, v41
	v_fmac_f32_e32 v43, v37, v40
	v_add_f32_e32 v50, v42, v43
	ds_read2_b64 v[42:45], v70 offset0:103 offset1:104
	v_fma_f32 v3, v20, v24, -v3
	v_add_f32_e32 v2, v2, v3
	v_mul_f32_e32 v3, v27, v31
	v_fma_f32 v3, v26, v30, -v3
	s_waitcnt vmcnt(8) lgkmcnt(0)
	v_mul_f32_e32 v51, v42, v47
	v_fmac_f32_e32 v51, v43, v46
	v_add_f32_e32 v50, v50, v51
	v_mul_f32_e32 v51, v44, v49
	v_fmac_f32_e32 v51, v45, v48
	v_add_f32_e32 v58, v50, v51
	ds_read2_b64 v[50:53], v70 offset0:105 offset1:106
	v_add_f32_e32 v2, v2, v3
	v_mul_f32_e32 v3, v29, v33
	v_fma_f32 v3, v28, v32, -v3
	v_add_f32_e32 v2, v2, v3
	s_waitcnt vmcnt(7) lgkmcnt(0)
	v_mul_f32_e32 v59, v50, v55
	v_fmac_f32_e32 v59, v51, v54
	v_add_f32_e32 v58, v58, v59
	v_mul_f32_e32 v59, v52, v57
	v_fmac_f32_e32 v59, v53, v56
	v_add_f32_e32 v66, v58, v59
	ds_read2_b64 v[58:61], v70 offset0:107 offset1:108
	v_mul_f32_e32 v3, v35, v39
	v_fma_f32 v3, v34, v38, -v3
	v_add_f32_e32 v2, v2, v3
	v_mul_f32_e32 v3, v37, v41
	s_waitcnt vmcnt(6) lgkmcnt(0)
	v_mul_f32_e32 v67, v58, v63
	v_fmac_f32_e32 v67, v59, v62
	v_add_f32_e32 v66, v66, v67
	v_mul_f32_e32 v67, v60, v65
	v_fmac_f32_e32 v67, v61, v64
	v_add_f32_e32 v71, v66, v67
	ds_read2_b64 v[66:69], v70 offset0:109 offset1:110
	v_fma_f32 v3, v36, v40, -v3
	v_add_f32_e32 v2, v2, v3
	v_mul_f32_e32 v3, v43, v47
	v_fma_f32 v3, v42, v46, -v3
	s_waitcnt vmcnt(5) lgkmcnt(0)
	v_mul_f32_e32 v76, v66, v73
	v_fmac_f32_e32 v76, v67, v72
	v_add_f32_e32 v71, v71, v76
	v_mul_f32_e32 v76, v68, v75
	v_fmac_f32_e32 v76, v69, v74
	v_add_f32_e32 v71, v71, v76
	ds_read2_b64 v[76:79], v70 offset0:111 offset1:112
	v_add_f32_e32 v2, v2, v3
	v_mul_f32_e32 v3, v45, v49
	v_fma_f32 v3, v44, v48, -v3
	v_add_f32_e32 v2, v2, v3
	s_waitcnt vmcnt(4) lgkmcnt(0)
	v_mul_f32_e32 v84, v76, v81
	v_fmac_f32_e32 v84, v77, v80
	v_add_f32_e32 v71, v71, v84
	v_mul_f32_e32 v84, v78, v83
	v_fmac_f32_e32 v84, v79, v82
	v_add_f32_e32 v71, v71, v84
	ds_read2_b64 v[84:87], v70 offset0:113 offset1:114
	v_mul_f32_e32 v3, v51, v55
	v_fma_f32 v3, v50, v54, -v3
	v_add_f32_e32 v2, v2, v3
	v_mul_f32_e32 v3, v53, v57
	s_waitcnt vmcnt(3) lgkmcnt(0)
	v_mul_f32_e32 v92, v84, v89
	v_fmac_f32_e32 v92, v85, v88
	v_add_f32_e32 v71, v71, v92
	v_mul_f32_e32 v92, v86, v91
	v_fmac_f32_e32 v92, v87, v90
	v_add_f32_e32 v71, v71, v92
	ds_read2_b64 v[92:95], v70 offset0:115 offset1:116
	v_fma_f32 v3, v52, v56, -v3
	v_add_f32_e32 v2, v2, v3
	v_mul_f32_e32 v3, v59, v63
	v_fma_f32 v3, v58, v62, -v3
	s_waitcnt vmcnt(2) lgkmcnt(0)
	v_mul_f32_e32 v100, v92, v97
	v_fmac_f32_e32 v100, v93, v96
	v_add_f32_e32 v71, v71, v100
	v_mul_f32_e32 v100, v94, v99
	v_fmac_f32_e32 v100, v95, v98
	v_add_f32_e32 v71, v71, v100
	ds_read2_b64 v[100:103], v70 offset0:117 offset1:118
	v_add_f32_e32 v2, v2, v3
	v_mul_f32_e32 v3, v61, v65
	v_fma_f32 v3, v60, v64, -v3
	v_add_f32_e32 v2, v2, v3
	s_waitcnt vmcnt(1) lgkmcnt(0)
	v_mul_f32_e32 v108, v100, v105
	v_fmac_f32_e32 v108, v101, v104
	v_add_f32_e32 v129, v71, v108
	ds_read2_b64 v[108:111], v70 offset0:119 offset1:120
	scratch_load_dwordx4 v[116:119], off, off offset:456
	scratch_load_dwordx4 v[120:123], off, off offset:472
	;; [unrolled: 1-line block ×3, first 2 shown]
	scratch_load_dwordx2 v[134:135], off, off offset:504
	v_mul_f32_e32 v3, v67, v73
	v_fma_f32 v3, v66, v72, -v3
	v_add_f32_e32 v2, v2, v3
	v_mul_f32_e32 v3, v69, v75
	v_fma_f32 v3, v68, v74, -v3
	v_add_f32_e32 v2, v2, v3
	;; [unrolled: 3-line block ×9, first 2 shown]
	v_mul_f32_e32 v2, v103, v107
	v_mul_f32_e32 v131, v102, v107
	v_fma_f32 v130, v102, v106, -v2
	s_waitcnt vmcnt(4) lgkmcnt(0)
	v_mul_f32_e32 v2, v109, v113
	v_mov_b32_e32 v18, v115
	v_fmac_f32_e32 v131, v103, v106
	v_mul_f32_e32 v133, v108, v113
	v_fma_f32 v132, v108, v112, -v2
	ds_read2_b64 v[2:5], v70 offset0:121 offset1:122
	ds_read2_b64 v[6:9], v70 offset0:123 offset1:124
	;; [unrolled: 1-line block ×3, first 2 shown]
	ds_read_b64 v[14:15], v70 offset:1016
	v_pk_mul_f32 v[18:19], v[110:111], v[18:19] op_sel:[1,0] op_sel_hi:[0,0]
	v_fmac_f32_e32 v133, v109, v112
	v_pk_add_f32 v[16:17], v[128:129], v[130:131]
	v_pk_fma_f32 v[20:21], v[110:111], v[114:115], v[18:19] neg_lo:[0,0,1] neg_hi:[0,0,1]
	v_pk_fma_f32 v[18:19], v[110:111], v[114:115], v[18:19] op_sel_hi:[1,0,1]
	v_pk_add_f32 v[16:17], v[16:17], v[132:133]
	v_mov_b32_e32 v21, v19
	v_pk_add_f32 v[16:17], v[16:17], v[20:21]
	s_waitcnt vmcnt(3) lgkmcnt(3)
	v_pk_mul_f32 v[18:19], v[2:3], v[116:117] op_sel:[1,1] op_sel_hi:[0,1]
	v_pk_fma_f32 v[20:21], v[2:3], v[116:117], v[18:19] neg_lo:[0,0,1] neg_hi:[0,0,1]
	v_pk_fma_f32 v[2:3], v[2:3], v[116:117], v[18:19] op_sel_hi:[1,0,1]
	s_nop 0
	v_mov_b32_e32 v21, v3
	v_pk_add_f32 v[2:3], v[16:17], v[20:21]
	v_mov_b32_e32 v16, v119
	v_pk_mul_f32 v[16:17], v[4:5], v[16:17] op_sel:[1,0] op_sel_hi:[0,0]
	v_pk_fma_f32 v[18:19], v[4:5], v[118:119], v[16:17] neg_lo:[0,0,1] neg_hi:[0,0,1]
	v_pk_fma_f32 v[4:5], v[4:5], v[118:119], v[16:17] op_sel_hi:[1,0,1]
	s_nop 0
	v_mov_b32_e32 v19, v5
	s_waitcnt vmcnt(2) lgkmcnt(2)
	v_pk_mul_f32 v[4:5], v[6:7], v[120:121] op_sel:[1,1] op_sel_hi:[0,1]
	v_pk_fma_f32 v[16:17], v[6:7], v[120:121], v[4:5] neg_lo:[0,0,1] neg_hi:[0,0,1]
	v_pk_fma_f32 v[4:5], v[6:7], v[120:121], v[4:5] op_sel_hi:[1,0,1]
	v_pk_add_f32 v[2:3], v[2:3], v[18:19]
	v_mov_b32_e32 v4, v123
	v_mov_b32_e32 v17, v5
	v_pk_mul_f32 v[4:5], v[8:9], v[4:5] op_sel:[1,0] op_sel_hi:[0,0]
	v_pk_fma_f32 v[6:7], v[8:9], v[122:123], v[4:5] neg_lo:[0,0,1] neg_hi:[0,0,1]
	v_pk_fma_f32 v[4:5], v[8:9], v[122:123], v[4:5] op_sel_hi:[1,0,1]
	v_pk_add_f32 v[2:3], v[2:3], v[16:17]
	v_mov_b32_e32 v7, v5
	s_waitcnt vmcnt(1) lgkmcnt(1)
	v_pk_mul_f32 v[4:5], v[10:11], v[124:125] op_sel:[1,1] op_sel_hi:[0,1]
	v_pk_add_f32 v[2:3], v[2:3], v[6:7]
	v_pk_fma_f32 v[6:7], v[10:11], v[124:125], v[4:5] neg_lo:[0,0,1] neg_hi:[0,0,1]
	v_pk_fma_f32 v[4:5], v[10:11], v[124:125], v[4:5] op_sel_hi:[1,0,1]
	s_nop 0
	v_mov_b32_e32 v4, v127
	v_mov_b32_e32 v7, v5
	v_pk_mul_f32 v[4:5], v[12:13], v[4:5] op_sel:[1,0] op_sel_hi:[0,0]
	v_pk_add_f32 v[2:3], v[2:3], v[6:7]
	v_pk_fma_f32 v[6:7], v[12:13], v[126:127], v[4:5] neg_lo:[0,0,1] neg_hi:[0,0,1]
	v_pk_fma_f32 v[4:5], v[12:13], v[126:127], v[4:5] op_sel_hi:[1,0,1]
	s_nop 0
	v_mov_b32_e32 v7, v5
	s_waitcnt vmcnt(0) lgkmcnt(0)
	v_pk_mul_f32 v[4:5], v[14:15], v[134:135] op_sel:[1,1] op_sel_hi:[0,1]
	v_pk_add_f32 v[2:3], v[2:3], v[6:7]
	v_pk_fma_f32 v[6:7], v[14:15], v[134:135], v[4:5] neg_lo:[0,0,1] neg_hi:[0,0,1]
	v_pk_fma_f32 v[4:5], v[14:15], v[134:135], v[4:5] op_sel_hi:[1,0,1]
	s_nop 0
	v_mov_b32_e32 v7, v5
	scratch_load_dwordx2 v[4:5], off, off offset:224
	v_pk_add_f32 v[2:3], v[2:3], v[6:7]
	s_waitcnt vmcnt(0)
	v_pk_add_f32 v[2:3], v[4:5], v[2:3] neg_lo:[0,1] neg_hi:[0,1]
	scratch_store_dwordx2 off, v[2:3], off offset:224
	s_and_saveexec_b64 s[0:1], vcc
	s_cbranch_execz .LBB63_343
; %bb.342:
	scratch_load_dwordx2 v[2:3], off, off offset:216
	v_mov_b32_e32 v71, v70
	scratch_store_dwordx2 off, v[70:71], off offset:216
	s_waitcnt vmcnt(1)
	ds_write_b64 v1, v[2:3]
.LBB63_343:
	s_or_b64 exec, exec, s[0:1]
	s_waitcnt lgkmcnt(0)
	; wave barrier
	ds_read_b128 v[14:17], v70 offset:736
	ds_read_b128 v[10:13], v70 offset:752
	;; [unrolled: 1-line block ×4, first 2 shown]
	scratch_load_dwordx4 v[18:21], off, off offset:224
	scratch_load_dwordx4 v[38:41], off, off offset:288
	;; [unrolled: 1-line block ×8, first 2 shown]
	v_cmp_lt_u32_e32 vcc, 26, v0
	scratch_load_dwordx4 v[46:49], off, off offset:304
	scratch_load_dwordx4 v[54:57], off, off offset:320
	;; [unrolled: 1-line block ×3, first 2 shown]
	s_waitcnt vmcnt(10) lgkmcnt(3)
	v_mul_f32_e32 v22, v14, v19
	v_fmac_f32_e32 v22, v15, v18
	v_mul_f32_e32 v23, v16, v21
	v_add_f32_e32 v22, 0, v22
	v_fmac_f32_e32 v23, v17, v20
	v_add_f32_e32 v26, v22, v23
	scratch_load_dwordx4 v[22:25], off, off offset:240
	v_mul_f32_e32 v15, v15, v19
	v_fma_f32 v14, v14, v18, -v15
	v_mul_f32_e32 v15, v17, v21
	v_add_f32_e32 v14, 0, v14
	v_fma_f32 v15, v16, v20, -v15
	v_add_f32_e32 v14, v14, v15
	s_waitcnt vmcnt(0) lgkmcnt(2)
	v_mul_f32_e32 v27, v10, v23
	v_fmac_f32_e32 v27, v11, v22
	v_add_f32_e32 v26, v26, v27
	v_mul_f32_e32 v27, v12, v25
	v_fmac_f32_e32 v27, v13, v24
	v_add_f32_e32 v30, v26, v27
	scratch_load_dwordx4 v[26:29], off, off offset:256
	v_mul_f32_e32 v11, v11, v23
	v_fma_f32 v10, v10, v22, -v11
	v_mul_f32_e32 v11, v13, v25
	v_add_f32_e32 v10, v14, v10
	v_fma_f32 v11, v12, v24, -v11
	v_add_f32_e32 v10, v10, v11
	s_waitcnt vmcnt(0) lgkmcnt(1)
	v_mul_f32_e32 v31, v6, v27
	v_fmac_f32_e32 v31, v7, v26
	v_add_f32_e32 v30, v30, v31
	v_mul_f32_e32 v31, v8, v29
	;; [unrolled: 14-line block ×3, first 2 shown]
	v_fmac_f32_e32 v35, v5, v32
	v_add_f32_e32 v42, v34, v35
	ds_read_b128 v[34:37], v70 offset:800
	v_mul_f32_e32 v3, v3, v31
	v_fma_f32 v2, v2, v30, -v3
	v_mul_f32_e32 v3, v5, v33
	v_add_f32_e32 v2, v6, v2
	s_waitcnt lgkmcnt(0)
	v_mul_f32_e32 v43, v34, v39
	v_fmac_f32_e32 v43, v35, v38
	v_add_f32_e32 v42, v42, v43
	v_mul_f32_e32 v43, v36, v41
	v_fmac_f32_e32 v43, v37, v40
	v_add_f32_e32 v50, v42, v43
	ds_read_b128 v[42:45], v70 offset:816
	v_fma_f32 v3, v4, v32, -v3
	v_add_f32_e32 v2, v2, v3
	v_mul_f32_e32 v3, v35, v39
	v_fma_f32 v3, v34, v38, -v3
	s_waitcnt lgkmcnt(0)
	v_mul_f32_e32 v51, v42, v47
	v_fmac_f32_e32 v51, v43, v46
	v_add_f32_e32 v50, v50, v51
	v_mul_f32_e32 v51, v44, v49
	v_fmac_f32_e32 v51, v45, v48
	v_add_f32_e32 v58, v50, v51
	ds_read_b128 v[50:53], v70 offset:832
	v_add_f32_e32 v2, v2, v3
	v_mul_f32_e32 v3, v37, v41
	v_fma_f32 v3, v36, v40, -v3
	v_add_f32_e32 v2, v2, v3
	s_waitcnt lgkmcnt(0)
	v_mul_f32_e32 v59, v50, v55
	v_fmac_f32_e32 v59, v51, v54
	v_add_f32_e32 v58, v58, v59
	v_mul_f32_e32 v59, v52, v57
	v_fmac_f32_e32 v59, v53, v56
	v_add_f32_e32 v66, v58, v59
	ds_read_b128 v[58:61], v70 offset:848
	v_mul_f32_e32 v3, v43, v47
	v_fma_f32 v3, v42, v46, -v3
	v_add_f32_e32 v2, v2, v3
	v_mul_f32_e32 v3, v45, v49
	s_waitcnt lgkmcnt(0)
	v_mul_f32_e32 v67, v58, v63
	v_fmac_f32_e32 v67, v59, v62
	v_add_f32_e32 v66, v66, v67
	v_mul_f32_e32 v67, v60, v65
	v_fmac_f32_e32 v67, v61, v64
	v_add_f32_e32 v71, v66, v67
	ds_read_b128 v[66:69], v70 offset:864
	v_fma_f32 v3, v44, v48, -v3
	v_add_f32_e32 v2, v2, v3
	v_mul_f32_e32 v3, v51, v55
	v_fma_f32 v3, v50, v54, -v3
	s_waitcnt lgkmcnt(0)
	v_mul_f32_e32 v76, v66, v73
	v_fmac_f32_e32 v76, v67, v72
	v_add_f32_e32 v71, v71, v76
	v_mul_f32_e32 v76, v68, v75
	v_fmac_f32_e32 v76, v69, v74
	v_add_f32_e32 v71, v71, v76
	ds_read_b128 v[76:79], v70 offset:880
	v_add_f32_e32 v2, v2, v3
	v_mul_f32_e32 v3, v53, v57
	v_fma_f32 v3, v52, v56, -v3
	v_add_f32_e32 v2, v2, v3
	s_waitcnt lgkmcnt(0)
	v_mul_f32_e32 v84, v76, v81
	v_fmac_f32_e32 v84, v77, v80
	v_add_f32_e32 v71, v71, v84
	v_mul_f32_e32 v84, v78, v83
	v_fmac_f32_e32 v84, v79, v82
	v_add_f32_e32 v71, v71, v84
	ds_read_b128 v[84:87], v70 offset:896
	v_mul_f32_e32 v3, v59, v63
	v_fma_f32 v3, v58, v62, -v3
	v_add_f32_e32 v2, v2, v3
	v_mul_f32_e32 v3, v61, v65
	s_waitcnt lgkmcnt(0)
	v_mul_f32_e32 v92, v84, v89
	v_fmac_f32_e32 v92, v85, v88
	v_add_f32_e32 v71, v71, v92
	v_mul_f32_e32 v92, v86, v91
	v_fmac_f32_e32 v92, v87, v90
	v_add_f32_e32 v71, v71, v92
	ds_read_b128 v[92:95], v70 offset:912
	v_fma_f32 v3, v60, v64, -v3
	v_add_f32_e32 v2, v2, v3
	v_mul_f32_e32 v3, v67, v73
	v_fma_f32 v3, v66, v72, -v3
	s_waitcnt lgkmcnt(0)
	v_mul_f32_e32 v100, v92, v97
	v_fmac_f32_e32 v100, v93, v96
	v_add_f32_e32 v71, v71, v100
	v_mul_f32_e32 v100, v94, v99
	v_fmac_f32_e32 v100, v95, v98
	v_add_f32_e32 v71, v71, v100
	ds_read_b128 v[100:103], v70 offset:928
	v_add_f32_e32 v2, v2, v3
	v_mul_f32_e32 v3, v69, v75
	v_fma_f32 v3, v68, v74, -v3
	v_add_f32_e32 v2, v2, v3
	s_waitcnt lgkmcnt(0)
	v_mul_f32_e32 v108, v100, v105
	v_fmac_f32_e32 v108, v101, v104
	v_add_f32_e32 v71, v71, v108
	v_mul_f32_e32 v108, v102, v107
	v_fmac_f32_e32 v108, v103, v106
	v_add_f32_e32 v133, v71, v108
	ds_read_b128 v[108:111], v70 offset:944
	scratch_load_dwordx4 v[116:119], off, off offset:448
	scratch_load_dwordx4 v[120:123], off, off offset:464
	;; [unrolled: 1-line block ×4, first 2 shown]
	v_mul_f32_e32 v3, v77, v81
	v_fma_f32 v3, v76, v80, -v3
	v_add_f32_e32 v2, v2, v3
	v_mul_f32_e32 v3, v79, v83
	v_fma_f32 v3, v78, v82, -v3
	v_add_f32_e32 v2, v2, v3
	;; [unrolled: 3-line block ×8, first 2 shown]
	s_waitcnt lgkmcnt(0)
	v_mul_f32_e32 v2, v109, v113
	v_fma_f32 v134, v108, v112, -v2
	v_mul_f32_e32 v2, v111, v115
	v_fma_f32 v136, v110, v114, -v2
	ds_read_b128 v[2:5], v70 offset:960
	ds_read_b128 v[6:9], v70 offset:976
	;; [unrolled: 1-line block ×4, first 2 shown]
	v_mul_f32_e32 v135, v108, v113
	v_fmac_f32_e32 v135, v109, v112
	v_mul_f32_e32 v137, v110, v115
	v_fmac_f32_e32 v137, v111, v114
	v_pk_add_f32 v[18:19], v[132:133], v[134:135]
	s_waitcnt vmcnt(3) lgkmcnt(3)
	v_pk_mul_f32 v[20:21], v[2:3], v[116:117] op_sel:[1,1] op_sel_hi:[0,1]
	v_pk_fma_f32 v[22:23], v[2:3], v[116:117], v[20:21] neg_lo:[0,0,1] neg_hi:[0,0,1]
	v_pk_fma_f32 v[2:3], v[2:3], v[116:117], v[20:21] op_sel_hi:[1,0,1]
	v_pk_add_f32 v[18:19], v[18:19], v[136:137]
	v_mov_b32_e32 v23, v3
	v_pk_add_f32 v[2:3], v[18:19], v[22:23]
	v_mov_b32_e32 v18, v119
	v_pk_mul_f32 v[18:19], v[4:5], v[18:19] op_sel:[1,0] op_sel_hi:[0,0]
	v_pk_fma_f32 v[20:21], v[4:5], v[118:119], v[18:19] neg_lo:[0,0,1] neg_hi:[0,0,1]
	v_pk_fma_f32 v[4:5], v[4:5], v[118:119], v[18:19] op_sel_hi:[1,0,1]
	s_nop 0
	v_mov_b32_e32 v21, v5
	s_waitcnt vmcnt(2) lgkmcnt(2)
	v_pk_mul_f32 v[4:5], v[6:7], v[120:121] op_sel:[1,1] op_sel_hi:[0,1]
	v_pk_fma_f32 v[18:19], v[6:7], v[120:121], v[4:5] neg_lo:[0,0,1] neg_hi:[0,0,1]
	v_pk_fma_f32 v[4:5], v[6:7], v[120:121], v[4:5] op_sel_hi:[1,0,1]
	v_pk_add_f32 v[2:3], v[2:3], v[20:21]
	v_mov_b32_e32 v4, v123
	v_mov_b32_e32 v19, v5
	v_pk_mul_f32 v[4:5], v[8:9], v[4:5] op_sel:[1,0] op_sel_hi:[0,0]
	v_pk_fma_f32 v[6:7], v[8:9], v[122:123], v[4:5] neg_lo:[0,0,1] neg_hi:[0,0,1]
	v_pk_fma_f32 v[4:5], v[8:9], v[122:123], v[4:5] op_sel_hi:[1,0,1]
	v_pk_add_f32 v[2:3], v[2:3], v[18:19]
	v_mov_b32_e32 v7, v5
	s_waitcnt vmcnt(1) lgkmcnt(1)
	v_pk_mul_f32 v[4:5], v[10:11], v[124:125] op_sel:[1,1] op_sel_hi:[0,1]
	v_pk_add_f32 v[2:3], v[2:3], v[6:7]
	v_pk_fma_f32 v[6:7], v[10:11], v[124:125], v[4:5] neg_lo:[0,0,1] neg_hi:[0,0,1]
	v_pk_fma_f32 v[4:5], v[10:11], v[124:125], v[4:5] op_sel_hi:[1,0,1]
	s_nop 0
	v_mov_b32_e32 v4, v127
	v_mov_b32_e32 v7, v5
	v_pk_mul_f32 v[4:5], v[12:13], v[4:5] op_sel:[1,0] op_sel_hi:[0,0]
	v_pk_add_f32 v[2:3], v[2:3], v[6:7]
	v_pk_fma_f32 v[6:7], v[12:13], v[126:127], v[4:5] neg_lo:[0,0,1] neg_hi:[0,0,1]
	v_pk_fma_f32 v[4:5], v[12:13], v[126:127], v[4:5] op_sel_hi:[1,0,1]
	s_nop 0
	v_mov_b32_e32 v7, v5
	s_waitcnt vmcnt(0) lgkmcnt(0)
	v_pk_mul_f32 v[4:5], v[14:15], v[128:129] op_sel:[1,1] op_sel_hi:[0,1]
	v_pk_add_f32 v[2:3], v[2:3], v[6:7]
	v_pk_fma_f32 v[6:7], v[14:15], v[128:129], v[4:5] neg_lo:[0,0,1] neg_hi:[0,0,1]
	v_pk_fma_f32 v[4:5], v[14:15], v[128:129], v[4:5] op_sel_hi:[1,0,1]
	s_nop 0
	v_mov_b32_e32 v4, v131
	v_mov_b32_e32 v7, v5
	v_pk_mul_f32 v[4:5], v[16:17], v[4:5] op_sel:[1,0] op_sel_hi:[0,0]
	v_pk_add_f32 v[2:3], v[2:3], v[6:7]
	v_pk_fma_f32 v[6:7], v[16:17], v[130:131], v[4:5] neg_lo:[0,0,1] neg_hi:[0,0,1]
	v_pk_fma_f32 v[4:5], v[16:17], v[130:131], v[4:5] op_sel_hi:[1,0,1]
	s_nop 0
	v_mov_b32_e32 v7, v5
	scratch_load_dwordx2 v[4:5], off, off offset:216
	v_pk_add_f32 v[2:3], v[2:3], v[6:7]
	s_waitcnt vmcnt(0)
	v_pk_add_f32 v[2:3], v[4:5], v[2:3] neg_lo:[0,1] neg_hi:[0,1]
	scratch_store_dwordx2 off, v[2:3], off offset:216
	s_and_saveexec_b64 s[0:1], vcc
	s_cbranch_execz .LBB63_345
; %bb.344:
	scratch_load_dwordx2 v[2:3], off, off offset:208
	v_mov_b32_e32 v4, 0
	v_mov_b32_e32 v5, v4
	scratch_store_dwordx2 off, v[4:5], off offset:208
	s_waitcnt vmcnt(1)
	ds_write_b64 v1, v[2:3]
.LBB63_345:
	s_or_b64 exec, exec, s[0:1]
	s_waitcnt lgkmcnt(0)
	; wave barrier
	scratch_load_dwordx4 v[6:9], off, off offset:216
	scratch_load_dwordx4 v[14:17], off, off offset:232
	;; [unrolled: 1-line block ×10, first 2 shown]
	v_mov_b32_e32 v86, 0
	ds_read2_b64 v[2:5], v86 offset0:91 offset1:92
	scratch_load_dwordx4 v[88:91], off, off offset:376
	scratch_load_dwordx4 v[96:99], off, off offset:392
	;; [unrolled: 1-line block ×5, first 2 shown]
	v_cmp_lt_u32_e32 vcc, 25, v0
	s_waitcnt vmcnt(14) lgkmcnt(0)
	v_mul_f32_e32 v10, v2, v7
	v_fmac_f32_e32 v10, v3, v6
	v_mul_f32_e32 v11, v4, v9
	v_add_f32_e32 v10, 0, v10
	v_fmac_f32_e32 v11, v5, v8
	v_add_f32_e32 v18, v10, v11
	ds_read2_b64 v[10:13], v86 offset0:93 offset1:94
	v_mul_f32_e32 v3, v3, v7
	v_fma_f32 v2, v2, v6, -v3
	v_mul_f32_e32 v3, v5, v9
	v_add_f32_e32 v2, 0, v2
	s_waitcnt vmcnt(13) lgkmcnt(0)
	v_mul_f32_e32 v19, v10, v15
	v_fmac_f32_e32 v19, v11, v14
	v_add_f32_e32 v18, v18, v19
	v_mul_f32_e32 v19, v12, v17
	v_fmac_f32_e32 v19, v13, v16
	v_add_f32_e32 v26, v18, v19
	ds_read2_b64 v[18:21], v86 offset0:95 offset1:96
	v_fma_f32 v3, v4, v8, -v3
	v_add_f32_e32 v2, v2, v3
	v_mul_f32_e32 v3, v11, v15
	v_fma_f32 v3, v10, v14, -v3
	s_waitcnt vmcnt(12) lgkmcnt(0)
	v_mul_f32_e32 v27, v18, v23
	v_fmac_f32_e32 v27, v19, v22
	v_add_f32_e32 v26, v26, v27
	v_mul_f32_e32 v27, v20, v25
	v_fmac_f32_e32 v27, v21, v24
	v_add_f32_e32 v34, v26, v27
	ds_read2_b64 v[26:29], v86 offset0:97 offset1:98
	v_add_f32_e32 v2, v2, v3
	v_mul_f32_e32 v3, v13, v17
	v_fma_f32 v3, v12, v16, -v3
	v_add_f32_e32 v2, v2, v3
	s_waitcnt vmcnt(11) lgkmcnt(0)
	v_mul_f32_e32 v35, v26, v31
	v_fmac_f32_e32 v35, v27, v30
	v_add_f32_e32 v34, v34, v35
	v_mul_f32_e32 v35, v28, v33
	v_fmac_f32_e32 v35, v29, v32
	v_add_f32_e32 v42, v34, v35
	ds_read2_b64 v[34:37], v86 offset0:99 offset1:100
	v_mul_f32_e32 v3, v19, v23
	v_fma_f32 v3, v18, v22, -v3
	v_add_f32_e32 v2, v2, v3
	v_mul_f32_e32 v3, v21, v25
	s_waitcnt vmcnt(10) lgkmcnt(0)
	v_mul_f32_e32 v43, v34, v39
	v_fmac_f32_e32 v43, v35, v38
	v_add_f32_e32 v42, v42, v43
	v_mul_f32_e32 v43, v36, v41
	v_fmac_f32_e32 v43, v37, v40
	v_add_f32_e32 v50, v42, v43
	ds_read2_b64 v[42:45], v86 offset0:101 offset1:102
	v_fma_f32 v3, v20, v24, -v3
	v_add_f32_e32 v2, v2, v3
	v_mul_f32_e32 v3, v27, v31
	v_fma_f32 v3, v26, v30, -v3
	s_waitcnt vmcnt(9) lgkmcnt(0)
	v_mul_f32_e32 v51, v42, v47
	v_fmac_f32_e32 v51, v43, v46
	v_add_f32_e32 v50, v50, v51
	v_mul_f32_e32 v51, v44, v49
	v_fmac_f32_e32 v51, v45, v48
	v_add_f32_e32 v58, v50, v51
	ds_read2_b64 v[50:53], v86 offset0:103 offset1:104
	v_add_f32_e32 v2, v2, v3
	v_mul_f32_e32 v3, v29, v33
	v_fma_f32 v3, v28, v32, -v3
	v_add_f32_e32 v2, v2, v3
	s_waitcnt vmcnt(8) lgkmcnt(0)
	v_mul_f32_e32 v59, v50, v55
	v_fmac_f32_e32 v59, v51, v54
	v_add_f32_e32 v58, v58, v59
	v_mul_f32_e32 v59, v52, v57
	v_fmac_f32_e32 v59, v53, v56
	v_add_f32_e32 v66, v58, v59
	ds_read2_b64 v[58:61], v86 offset0:105 offset1:106
	v_mul_f32_e32 v3, v35, v39
	v_fma_f32 v3, v34, v38, -v3
	v_add_f32_e32 v2, v2, v3
	v_mul_f32_e32 v3, v37, v41
	;; [unrolled: 36-line block ×4, first 2 shown]
	s_waitcnt vmcnt(1) lgkmcnt(0)
	v_mul_f32_e32 v116, v108, v113
	v_fmac_f32_e32 v116, v109, v112
	v_add_f32_e32 v137, v87, v116
	ds_read2_b64 v[116:119], v86 offset0:119 offset1:120
	scratch_load_dwordx4 v[124:127], off, off offset:456
	scratch_load_dwordx4 v[128:131], off, off offset:472
	;; [unrolled: 1-line block ×3, first 2 shown]
	scratch_load_dwordx2 v[142:143], off, off offset:504
	v_fma_f32 v3, v68, v72, -v3
	v_add_f32_e32 v2, v2, v3
	v_mul_f32_e32 v3, v75, v79
	v_fma_f32 v3, v74, v78, -v3
	v_add_f32_e32 v2, v2, v3
	v_mul_f32_e32 v3, v77, v81
	;; [unrolled: 3-line block ×10, first 2 shown]
	v_mul_f32_e32 v139, v110, v115
	v_fma_f32 v138, v110, v114, -v2
	s_waitcnt vmcnt(4) lgkmcnt(0)
	v_mul_f32_e32 v2, v117, v121
	v_mov_b32_e32 v18, v123
	v_fmac_f32_e32 v139, v111, v114
	v_mul_f32_e32 v141, v116, v121
	v_fma_f32 v140, v116, v120, -v2
	ds_read2_b64 v[2:5], v86 offset0:121 offset1:122
	ds_read2_b64 v[6:9], v86 offset0:123 offset1:124
	;; [unrolled: 1-line block ×3, first 2 shown]
	ds_read_b64 v[14:15], v86 offset:1016
	v_pk_mul_f32 v[18:19], v[118:119], v[18:19] op_sel:[1,0] op_sel_hi:[0,0]
	v_fmac_f32_e32 v141, v117, v120
	v_pk_add_f32 v[16:17], v[136:137], v[138:139]
	v_pk_fma_f32 v[20:21], v[118:119], v[122:123], v[18:19] neg_lo:[0,0,1] neg_hi:[0,0,1]
	v_pk_fma_f32 v[18:19], v[118:119], v[122:123], v[18:19] op_sel_hi:[1,0,1]
	v_pk_add_f32 v[16:17], v[16:17], v[140:141]
	v_mov_b32_e32 v21, v19
	v_pk_add_f32 v[16:17], v[16:17], v[20:21]
	s_waitcnt vmcnt(3) lgkmcnt(3)
	v_pk_mul_f32 v[18:19], v[2:3], v[124:125] op_sel:[1,1] op_sel_hi:[0,1]
	v_pk_fma_f32 v[20:21], v[2:3], v[124:125], v[18:19] neg_lo:[0,0,1] neg_hi:[0,0,1]
	v_pk_fma_f32 v[2:3], v[2:3], v[124:125], v[18:19] op_sel_hi:[1,0,1]
	s_nop 0
	v_mov_b32_e32 v21, v3
	v_pk_add_f32 v[2:3], v[16:17], v[20:21]
	v_mov_b32_e32 v16, v127
	v_pk_mul_f32 v[16:17], v[4:5], v[16:17] op_sel:[1,0] op_sel_hi:[0,0]
	v_pk_fma_f32 v[18:19], v[4:5], v[126:127], v[16:17] neg_lo:[0,0,1] neg_hi:[0,0,1]
	v_pk_fma_f32 v[4:5], v[4:5], v[126:127], v[16:17] op_sel_hi:[1,0,1]
	s_nop 0
	v_mov_b32_e32 v19, v5
	s_waitcnt vmcnt(2) lgkmcnt(2)
	v_pk_mul_f32 v[4:5], v[6:7], v[128:129] op_sel:[1,1] op_sel_hi:[0,1]
	v_pk_fma_f32 v[16:17], v[6:7], v[128:129], v[4:5] neg_lo:[0,0,1] neg_hi:[0,0,1]
	v_pk_fma_f32 v[4:5], v[6:7], v[128:129], v[4:5] op_sel_hi:[1,0,1]
	v_pk_add_f32 v[2:3], v[2:3], v[18:19]
	v_mov_b32_e32 v4, v131
	v_mov_b32_e32 v17, v5
	v_pk_mul_f32 v[4:5], v[8:9], v[4:5] op_sel:[1,0] op_sel_hi:[0,0]
	v_pk_fma_f32 v[6:7], v[8:9], v[130:131], v[4:5] neg_lo:[0,0,1] neg_hi:[0,0,1]
	v_pk_fma_f32 v[4:5], v[8:9], v[130:131], v[4:5] op_sel_hi:[1,0,1]
	v_pk_add_f32 v[2:3], v[2:3], v[16:17]
	v_mov_b32_e32 v7, v5
	s_waitcnt vmcnt(1) lgkmcnt(1)
	v_pk_mul_f32 v[4:5], v[10:11], v[132:133] op_sel:[1,1] op_sel_hi:[0,1]
	v_pk_add_f32 v[2:3], v[2:3], v[6:7]
	v_pk_fma_f32 v[6:7], v[10:11], v[132:133], v[4:5] neg_lo:[0,0,1] neg_hi:[0,0,1]
	v_pk_fma_f32 v[4:5], v[10:11], v[132:133], v[4:5] op_sel_hi:[1,0,1]
	s_nop 0
	v_mov_b32_e32 v4, v135
	v_mov_b32_e32 v7, v5
	v_pk_mul_f32 v[4:5], v[12:13], v[4:5] op_sel:[1,0] op_sel_hi:[0,0]
	v_pk_add_f32 v[2:3], v[2:3], v[6:7]
	v_pk_fma_f32 v[6:7], v[12:13], v[134:135], v[4:5] neg_lo:[0,0,1] neg_hi:[0,0,1]
	v_pk_fma_f32 v[4:5], v[12:13], v[134:135], v[4:5] op_sel_hi:[1,0,1]
	s_nop 0
	v_mov_b32_e32 v7, v5
	s_waitcnt vmcnt(0) lgkmcnt(0)
	v_pk_mul_f32 v[4:5], v[14:15], v[142:143] op_sel:[1,1] op_sel_hi:[0,1]
	v_pk_add_f32 v[2:3], v[2:3], v[6:7]
	v_pk_fma_f32 v[6:7], v[14:15], v[142:143], v[4:5] neg_lo:[0,0,1] neg_hi:[0,0,1]
	v_pk_fma_f32 v[4:5], v[14:15], v[142:143], v[4:5] op_sel_hi:[1,0,1]
	s_nop 0
	v_mov_b32_e32 v7, v5
	scratch_load_dwordx2 v[4:5], off, off offset:208
	v_pk_add_f32 v[2:3], v[2:3], v[6:7]
	s_waitcnt vmcnt(0)
	v_pk_add_f32 v[2:3], v[4:5], v[2:3] neg_lo:[0,1] neg_hi:[0,1]
	scratch_store_dwordx2 off, v[2:3], off offset:208
	s_and_saveexec_b64 s[0:1], vcc
	s_cbranch_execz .LBB63_347
; %bb.346:
	scratch_load_dwordx2 v[2:3], off, off offset:200
	v_mov_b32_e32 v87, v86
	scratch_store_dwordx2 off, v[86:87], off offset:200
	s_waitcnt vmcnt(1)
	ds_write_b64 v1, v[2:3]
.LBB63_347:
	s_or_b64 exec, exec, s[0:1]
	s_waitcnt lgkmcnt(0)
	; wave barrier
	ds_read_b128 v[14:17], v86 offset:720
	ds_read_b128 v[10:13], v86 offset:736
	;; [unrolled: 1-line block ×4, first 2 shown]
	scratch_load_dwordx4 v[18:21], off, off offset:208
	scratch_load_dwordx4 v[38:41], off, off offset:272
	scratch_load_dwordx4 v[70:73], off, off offset:336
	scratch_load_dwordx4 v[78:81], off, off offset:352
	scratch_load_dwordx4 v[88:91], off, off offset:368
	scratch_load_dwordx4 v[96:99], off, off offset:384
	scratch_load_dwordx4 v[104:107], off, off offset:400
	scratch_load_dwordx4 v[112:115], off, off offset:416
	scratch_load_dwordx4 v[120:123], off, off offset:432
	v_cmp_lt_u32_e32 vcc, 24, v0
	scratch_load_dwordx4 v[46:49], off, off offset:288
	scratch_load_dwordx4 v[54:57], off, off offset:304
	;; [unrolled: 1-line block ×3, first 2 shown]
	s_waitcnt vmcnt(11) lgkmcnt(3)
	v_mul_f32_e32 v22, v14, v19
	v_fmac_f32_e32 v22, v15, v18
	v_mul_f32_e32 v23, v16, v21
	v_add_f32_e32 v22, 0, v22
	v_fmac_f32_e32 v23, v17, v20
	v_add_f32_e32 v26, v22, v23
	scratch_load_dwordx4 v[22:25], off, off offset:224
	v_mul_f32_e32 v15, v15, v19
	v_fma_f32 v14, v14, v18, -v15
	v_mul_f32_e32 v15, v17, v21
	v_add_f32_e32 v14, 0, v14
	v_fma_f32 v15, v16, v20, -v15
	v_add_f32_e32 v14, v14, v15
	s_waitcnt vmcnt(0) lgkmcnt(2)
	v_mul_f32_e32 v27, v10, v23
	v_fmac_f32_e32 v27, v11, v22
	v_add_f32_e32 v26, v26, v27
	v_mul_f32_e32 v27, v12, v25
	v_fmac_f32_e32 v27, v13, v24
	v_add_f32_e32 v30, v26, v27
	scratch_load_dwordx4 v[26:29], off, off offset:240
	v_mul_f32_e32 v11, v11, v23
	v_fma_f32 v10, v10, v22, -v11
	v_mul_f32_e32 v11, v13, v25
	v_add_f32_e32 v10, v14, v10
	v_fma_f32 v11, v12, v24, -v11
	v_add_f32_e32 v10, v10, v11
	s_waitcnt vmcnt(0) lgkmcnt(1)
	v_mul_f32_e32 v31, v6, v27
	v_fmac_f32_e32 v31, v7, v26
	v_add_f32_e32 v30, v30, v31
	v_mul_f32_e32 v31, v8, v29
	;; [unrolled: 14-line block ×3, first 2 shown]
	v_fmac_f32_e32 v35, v5, v32
	v_add_f32_e32 v42, v34, v35
	ds_read_b128 v[34:37], v86 offset:784
	v_mul_f32_e32 v3, v3, v31
	v_fma_f32 v2, v2, v30, -v3
	v_mul_f32_e32 v3, v5, v33
	v_add_f32_e32 v2, v6, v2
	s_waitcnt lgkmcnt(0)
	v_mul_f32_e32 v43, v34, v39
	v_fmac_f32_e32 v43, v35, v38
	v_add_f32_e32 v42, v42, v43
	v_mul_f32_e32 v43, v36, v41
	v_fmac_f32_e32 v43, v37, v40
	v_add_f32_e32 v50, v42, v43
	ds_read_b128 v[42:45], v86 offset:800
	v_fma_f32 v3, v4, v32, -v3
	v_add_f32_e32 v2, v2, v3
	v_mul_f32_e32 v3, v35, v39
	v_fma_f32 v3, v34, v38, -v3
	s_waitcnt lgkmcnt(0)
	v_mul_f32_e32 v51, v42, v47
	v_fmac_f32_e32 v51, v43, v46
	v_add_f32_e32 v50, v50, v51
	v_mul_f32_e32 v51, v44, v49
	v_fmac_f32_e32 v51, v45, v48
	v_add_f32_e32 v58, v50, v51
	ds_read_b128 v[50:53], v86 offset:816
	v_add_f32_e32 v2, v2, v3
	v_mul_f32_e32 v3, v37, v41
	v_fma_f32 v3, v36, v40, -v3
	v_add_f32_e32 v2, v2, v3
	s_waitcnt lgkmcnt(0)
	v_mul_f32_e32 v59, v50, v55
	v_fmac_f32_e32 v59, v51, v54
	v_add_f32_e32 v58, v58, v59
	v_mul_f32_e32 v59, v52, v57
	v_fmac_f32_e32 v59, v53, v56
	v_add_f32_e32 v66, v58, v59
	ds_read_b128 v[58:61], v86 offset:832
	v_mul_f32_e32 v3, v43, v47
	v_fma_f32 v3, v42, v46, -v3
	v_add_f32_e32 v2, v2, v3
	v_mul_f32_e32 v3, v45, v49
	s_waitcnt lgkmcnt(0)
	v_mul_f32_e32 v67, v58, v63
	v_fmac_f32_e32 v67, v59, v62
	v_add_f32_e32 v66, v66, v67
	v_mul_f32_e32 v67, v60, v65
	v_fmac_f32_e32 v67, v61, v64
	v_add_f32_e32 v74, v66, v67
	ds_read_b128 v[66:69], v86 offset:848
	v_fma_f32 v3, v44, v48, -v3
	v_add_f32_e32 v2, v2, v3
	v_mul_f32_e32 v3, v51, v55
	v_fma_f32 v3, v50, v54, -v3
	s_waitcnt lgkmcnt(0)
	v_mul_f32_e32 v75, v66, v71
	v_fmac_f32_e32 v75, v67, v70
	v_add_f32_e32 v74, v74, v75
	v_mul_f32_e32 v75, v68, v73
	v_fmac_f32_e32 v75, v69, v72
	v_add_f32_e32 v82, v74, v75
	ds_read_b128 v[74:77], v86 offset:864
	v_add_f32_e32 v2, v2, v3
	v_mul_f32_e32 v3, v53, v57
	v_fma_f32 v3, v52, v56, -v3
	v_add_f32_e32 v2, v2, v3
	s_waitcnt lgkmcnt(0)
	v_mul_f32_e32 v83, v74, v79
	v_fmac_f32_e32 v83, v75, v78
	v_add_f32_e32 v82, v82, v83
	v_mul_f32_e32 v83, v76, v81
	v_fmac_f32_e32 v83, v77, v80
	v_add_f32_e32 v87, v82, v83
	ds_read_b128 v[82:85], v86 offset:880
	v_mul_f32_e32 v3, v59, v63
	v_fma_f32 v3, v58, v62, -v3
	v_add_f32_e32 v2, v2, v3
	v_mul_f32_e32 v3, v61, v65
	;; [unrolled: 36-line block ×3, first 2 shown]
	s_waitcnt lgkmcnt(0)
	v_mul_f32_e32 v116, v108, v113
	v_fmac_f32_e32 v116, v109, v112
	v_add_f32_e32 v87, v87, v116
	v_mul_f32_e32 v116, v110, v115
	v_fmac_f32_e32 v116, v111, v114
	v_add_f32_e32 v141, v87, v116
	ds_read_b128 v[116:119], v86 offset:944
	scratch_load_dwordx4 v[124:127], off, off offset:448
	scratch_load_dwordx4 v[128:131], off, off offset:464
	;; [unrolled: 1-line block ×4, first 2 shown]
	v_fma_f32 v3, v76, v80, -v3
	v_add_f32_e32 v2, v2, v3
	v_mul_f32_e32 v3, v83, v89
	v_fma_f32 v3, v82, v88, -v3
	v_add_f32_e32 v2, v2, v3
	v_mul_f32_e32 v3, v85, v91
	;; [unrolled: 3-line block ×8, first 2 shown]
	v_fma_f32 v3, v110, v114, -v3
	v_add_f32_e32 v140, v2, v3
	s_waitcnt lgkmcnt(0)
	v_mul_f32_e32 v2, v117, v121
	v_fma_f32 v142, v116, v120, -v2
	v_mul_f32_e32 v2, v119, v123
	v_fma_f32 v144, v118, v122, -v2
	ds_read_b128 v[2:5], v86 offset:960
	ds_read_b128 v[6:9], v86 offset:976
	;; [unrolled: 1-line block ×4, first 2 shown]
	v_mul_f32_e32 v143, v116, v121
	v_fmac_f32_e32 v143, v117, v120
	v_mul_f32_e32 v145, v118, v123
	v_fmac_f32_e32 v145, v119, v122
	v_pk_add_f32 v[18:19], v[140:141], v[142:143]
	s_waitcnt vmcnt(3) lgkmcnt(3)
	v_pk_mul_f32 v[20:21], v[2:3], v[124:125] op_sel:[1,1] op_sel_hi:[0,1]
	v_pk_fma_f32 v[22:23], v[2:3], v[124:125], v[20:21] neg_lo:[0,0,1] neg_hi:[0,0,1]
	v_pk_fma_f32 v[2:3], v[2:3], v[124:125], v[20:21] op_sel_hi:[1,0,1]
	v_pk_add_f32 v[18:19], v[18:19], v[144:145]
	v_mov_b32_e32 v23, v3
	v_pk_add_f32 v[2:3], v[18:19], v[22:23]
	v_mov_b32_e32 v18, v127
	v_pk_mul_f32 v[18:19], v[4:5], v[18:19] op_sel:[1,0] op_sel_hi:[0,0]
	v_pk_fma_f32 v[20:21], v[4:5], v[126:127], v[18:19] neg_lo:[0,0,1] neg_hi:[0,0,1]
	v_pk_fma_f32 v[4:5], v[4:5], v[126:127], v[18:19] op_sel_hi:[1,0,1]
	s_nop 0
	v_mov_b32_e32 v21, v5
	s_waitcnt vmcnt(2) lgkmcnt(2)
	v_pk_mul_f32 v[4:5], v[6:7], v[128:129] op_sel:[1,1] op_sel_hi:[0,1]
	v_pk_fma_f32 v[18:19], v[6:7], v[128:129], v[4:5] neg_lo:[0,0,1] neg_hi:[0,0,1]
	v_pk_fma_f32 v[4:5], v[6:7], v[128:129], v[4:5] op_sel_hi:[1,0,1]
	v_pk_add_f32 v[2:3], v[2:3], v[20:21]
	v_mov_b32_e32 v4, v131
	v_mov_b32_e32 v19, v5
	v_pk_mul_f32 v[4:5], v[8:9], v[4:5] op_sel:[1,0] op_sel_hi:[0,0]
	v_pk_fma_f32 v[6:7], v[8:9], v[130:131], v[4:5] neg_lo:[0,0,1] neg_hi:[0,0,1]
	v_pk_fma_f32 v[4:5], v[8:9], v[130:131], v[4:5] op_sel_hi:[1,0,1]
	v_pk_add_f32 v[2:3], v[2:3], v[18:19]
	v_mov_b32_e32 v7, v5
	s_waitcnt vmcnt(1) lgkmcnt(1)
	v_pk_mul_f32 v[4:5], v[10:11], v[132:133] op_sel:[1,1] op_sel_hi:[0,1]
	v_pk_add_f32 v[2:3], v[2:3], v[6:7]
	v_pk_fma_f32 v[6:7], v[10:11], v[132:133], v[4:5] neg_lo:[0,0,1] neg_hi:[0,0,1]
	v_pk_fma_f32 v[4:5], v[10:11], v[132:133], v[4:5] op_sel_hi:[1,0,1]
	s_nop 0
	v_mov_b32_e32 v4, v135
	v_mov_b32_e32 v7, v5
	v_pk_mul_f32 v[4:5], v[12:13], v[4:5] op_sel:[1,0] op_sel_hi:[0,0]
	v_pk_add_f32 v[2:3], v[2:3], v[6:7]
	v_pk_fma_f32 v[6:7], v[12:13], v[134:135], v[4:5] neg_lo:[0,0,1] neg_hi:[0,0,1]
	v_pk_fma_f32 v[4:5], v[12:13], v[134:135], v[4:5] op_sel_hi:[1,0,1]
	s_nop 0
	v_mov_b32_e32 v7, v5
	s_waitcnt vmcnt(0) lgkmcnt(0)
	v_pk_mul_f32 v[4:5], v[14:15], v[136:137] op_sel:[1,1] op_sel_hi:[0,1]
	v_pk_add_f32 v[2:3], v[2:3], v[6:7]
	v_pk_fma_f32 v[6:7], v[14:15], v[136:137], v[4:5] neg_lo:[0,0,1] neg_hi:[0,0,1]
	v_pk_fma_f32 v[4:5], v[14:15], v[136:137], v[4:5] op_sel_hi:[1,0,1]
	s_nop 0
	v_mov_b32_e32 v4, v139
	v_mov_b32_e32 v7, v5
	v_pk_mul_f32 v[4:5], v[16:17], v[4:5] op_sel:[1,0] op_sel_hi:[0,0]
	v_pk_add_f32 v[2:3], v[2:3], v[6:7]
	v_pk_fma_f32 v[6:7], v[16:17], v[138:139], v[4:5] neg_lo:[0,0,1] neg_hi:[0,0,1]
	v_pk_fma_f32 v[4:5], v[16:17], v[138:139], v[4:5] op_sel_hi:[1,0,1]
	s_nop 0
	v_mov_b32_e32 v7, v5
	scratch_load_dwordx2 v[4:5], off, off offset:200
	v_pk_add_f32 v[2:3], v[2:3], v[6:7]
	s_waitcnt vmcnt(0)
	v_pk_add_f32 v[2:3], v[4:5], v[2:3] neg_lo:[0,1] neg_hi:[0,1]
	scratch_store_dwordx2 off, v[2:3], off offset:200
	s_and_saveexec_b64 s[0:1], vcc
	s_cbranch_execz .LBB63_349
; %bb.348:
	scratch_load_dwordx2 v[2:3], off, off offset:192
	v_mov_b32_e32 v4, 0
	v_mov_b32_e32 v5, v4
	scratch_store_dwordx2 off, v[4:5], off offset:192
	s_waitcnt vmcnt(1)
	ds_write_b64 v1, v[2:3]
.LBB63_349:
	s_or_b64 exec, exec, s[0:1]
	s_waitcnt lgkmcnt(0)
	; wave barrier
	scratch_load_dwordx4 v[6:9], off, off offset:200
	scratch_load_dwordx4 v[14:17], off, off offset:216
	;; [unrolled: 1-line block ×10, first 2 shown]
	v_mov_b32_e32 v94, 0
	ds_read2_b64 v[2:5], v94 offset0:89 offset1:90
	scratch_load_dwordx4 v[86:89], off, off offset:360
	scratch_load_dwordx4 v[96:99], off, off offset:376
	;; [unrolled: 1-line block ×6, first 2 shown]
	v_cmp_lt_u32_e32 vcc, 23, v0
	s_waitcnt vmcnt(15) lgkmcnt(0)
	v_mul_f32_e32 v10, v2, v7
	v_fmac_f32_e32 v10, v3, v6
	v_mul_f32_e32 v11, v4, v9
	v_add_f32_e32 v10, 0, v10
	v_fmac_f32_e32 v11, v5, v8
	v_add_f32_e32 v18, v10, v11
	ds_read2_b64 v[10:13], v94 offset0:91 offset1:92
	v_mul_f32_e32 v3, v3, v7
	v_fma_f32 v2, v2, v6, -v3
	v_mul_f32_e32 v3, v5, v9
	v_add_f32_e32 v2, 0, v2
	s_waitcnt vmcnt(14) lgkmcnt(0)
	v_mul_f32_e32 v19, v10, v15
	v_fmac_f32_e32 v19, v11, v14
	v_add_f32_e32 v18, v18, v19
	v_mul_f32_e32 v19, v12, v17
	v_fmac_f32_e32 v19, v13, v16
	v_add_f32_e32 v26, v18, v19
	ds_read2_b64 v[18:21], v94 offset0:93 offset1:94
	v_fma_f32 v3, v4, v8, -v3
	v_add_f32_e32 v2, v2, v3
	v_mul_f32_e32 v3, v11, v15
	v_fma_f32 v3, v10, v14, -v3
	s_waitcnt vmcnt(13) lgkmcnt(0)
	v_mul_f32_e32 v27, v18, v23
	v_fmac_f32_e32 v27, v19, v22
	v_add_f32_e32 v26, v26, v27
	v_mul_f32_e32 v27, v20, v25
	v_fmac_f32_e32 v27, v21, v24
	v_add_f32_e32 v34, v26, v27
	ds_read2_b64 v[26:29], v94 offset0:95 offset1:96
	v_add_f32_e32 v2, v2, v3
	v_mul_f32_e32 v3, v13, v17
	v_fma_f32 v3, v12, v16, -v3
	v_add_f32_e32 v2, v2, v3
	s_waitcnt vmcnt(12) lgkmcnt(0)
	v_mul_f32_e32 v35, v26, v31
	v_fmac_f32_e32 v35, v27, v30
	v_add_f32_e32 v34, v34, v35
	v_mul_f32_e32 v35, v28, v33
	v_fmac_f32_e32 v35, v29, v32
	v_add_f32_e32 v42, v34, v35
	ds_read2_b64 v[34:37], v94 offset0:97 offset1:98
	v_mul_f32_e32 v3, v19, v23
	v_fma_f32 v3, v18, v22, -v3
	v_add_f32_e32 v2, v2, v3
	v_mul_f32_e32 v3, v21, v25
	s_waitcnt vmcnt(11) lgkmcnt(0)
	v_mul_f32_e32 v43, v34, v39
	v_fmac_f32_e32 v43, v35, v38
	v_add_f32_e32 v42, v42, v43
	v_mul_f32_e32 v43, v36, v41
	v_fmac_f32_e32 v43, v37, v40
	v_add_f32_e32 v50, v42, v43
	ds_read2_b64 v[42:45], v94 offset0:99 offset1:100
	v_fma_f32 v3, v20, v24, -v3
	v_add_f32_e32 v2, v2, v3
	v_mul_f32_e32 v3, v27, v31
	v_fma_f32 v3, v26, v30, -v3
	s_waitcnt vmcnt(10) lgkmcnt(0)
	v_mul_f32_e32 v51, v42, v47
	v_fmac_f32_e32 v51, v43, v46
	v_add_f32_e32 v50, v50, v51
	v_mul_f32_e32 v51, v44, v49
	v_fmac_f32_e32 v51, v45, v48
	v_add_f32_e32 v58, v50, v51
	ds_read2_b64 v[50:53], v94 offset0:101 offset1:102
	v_add_f32_e32 v2, v2, v3
	v_mul_f32_e32 v3, v29, v33
	v_fma_f32 v3, v28, v32, -v3
	v_add_f32_e32 v2, v2, v3
	s_waitcnt vmcnt(9) lgkmcnt(0)
	v_mul_f32_e32 v59, v50, v55
	v_fmac_f32_e32 v59, v51, v54
	v_add_f32_e32 v58, v58, v59
	v_mul_f32_e32 v59, v52, v57
	v_fmac_f32_e32 v59, v53, v56
	v_add_f32_e32 v66, v58, v59
	ds_read2_b64 v[58:61], v94 offset0:103 offset1:104
	v_mul_f32_e32 v3, v35, v39
	v_fma_f32 v3, v34, v38, -v3
	v_add_f32_e32 v2, v2, v3
	v_mul_f32_e32 v3, v37, v41
	;; [unrolled: 36-line block ×4, first 2 shown]
	s_waitcnt vmcnt(2) lgkmcnt(0)
	v_mul_f32_e32 v116, v108, v113
	v_fmac_f32_e32 v116, v109, v112
	v_add_f32_e32 v95, v95, v116
	v_mul_f32_e32 v116, v110, v115
	v_fmac_f32_e32 v116, v111, v114
	v_add_f32_e32 v95, v95, v116
	ds_read2_b64 v[116:119], v94 offset0:117 offset1:118
	v_fma_f32 v3, v68, v72, -v3
	v_add_f32_e32 v2, v2, v3
	v_mul_f32_e32 v3, v75, v79
	v_fma_f32 v3, v74, v78, -v3
	s_waitcnt vmcnt(1) lgkmcnt(0)
	v_mul_f32_e32 v124, v116, v121
	v_fmac_f32_e32 v124, v117, v120
	v_add_f32_e32 v145, v95, v124
	ds_read2_b64 v[124:127], v94 offset0:119 offset1:120
	scratch_load_dwordx4 v[132:135], off, off offset:456
	scratch_load_dwordx4 v[136:139], off, off offset:472
	;; [unrolled: 1-line block ×3, first 2 shown]
	scratch_load_dwordx2 v[150:151], off, off offset:504
	v_add_f32_e32 v2, v2, v3
	v_mul_f32_e32 v3, v77, v81
	v_fma_f32 v3, v76, v80, -v3
	v_add_f32_e32 v2, v2, v3
	v_mul_f32_e32 v3, v83, v87
	v_fma_f32 v3, v82, v86, -v3
	;; [unrolled: 3-line block ×10, first 2 shown]
	v_add_f32_e32 v144, v2, v3
	v_mul_f32_e32 v2, v119, v123
	v_mul_f32_e32 v147, v118, v123
	v_fma_f32 v146, v118, v122, -v2
	s_waitcnt vmcnt(4) lgkmcnt(0)
	v_mul_f32_e32 v2, v125, v129
	v_mov_b32_e32 v18, v131
	v_fmac_f32_e32 v147, v119, v122
	v_mul_f32_e32 v149, v124, v129
	v_fma_f32 v148, v124, v128, -v2
	ds_read2_b64 v[2:5], v94 offset0:121 offset1:122
	ds_read2_b64 v[6:9], v94 offset0:123 offset1:124
	;; [unrolled: 1-line block ×3, first 2 shown]
	ds_read_b64 v[14:15], v94 offset:1016
	v_pk_mul_f32 v[18:19], v[126:127], v[18:19] op_sel:[1,0] op_sel_hi:[0,0]
	v_fmac_f32_e32 v149, v125, v128
	v_pk_add_f32 v[16:17], v[144:145], v[146:147]
	v_pk_fma_f32 v[20:21], v[126:127], v[130:131], v[18:19] neg_lo:[0,0,1] neg_hi:[0,0,1]
	v_pk_fma_f32 v[18:19], v[126:127], v[130:131], v[18:19] op_sel_hi:[1,0,1]
	v_pk_add_f32 v[16:17], v[16:17], v[148:149]
	v_mov_b32_e32 v21, v19
	v_pk_add_f32 v[16:17], v[16:17], v[20:21]
	s_waitcnt vmcnt(3) lgkmcnt(3)
	v_pk_mul_f32 v[18:19], v[2:3], v[132:133] op_sel:[1,1] op_sel_hi:[0,1]
	v_pk_fma_f32 v[20:21], v[2:3], v[132:133], v[18:19] neg_lo:[0,0,1] neg_hi:[0,0,1]
	v_pk_fma_f32 v[2:3], v[2:3], v[132:133], v[18:19] op_sel_hi:[1,0,1]
	s_nop 0
	v_mov_b32_e32 v21, v3
	v_pk_add_f32 v[2:3], v[16:17], v[20:21]
	v_mov_b32_e32 v16, v135
	v_pk_mul_f32 v[16:17], v[4:5], v[16:17] op_sel:[1,0] op_sel_hi:[0,0]
	v_pk_fma_f32 v[18:19], v[4:5], v[134:135], v[16:17] neg_lo:[0,0,1] neg_hi:[0,0,1]
	v_pk_fma_f32 v[4:5], v[4:5], v[134:135], v[16:17] op_sel_hi:[1,0,1]
	s_nop 0
	v_mov_b32_e32 v19, v5
	s_waitcnt vmcnt(2) lgkmcnt(2)
	v_pk_mul_f32 v[4:5], v[6:7], v[136:137] op_sel:[1,1] op_sel_hi:[0,1]
	v_pk_fma_f32 v[16:17], v[6:7], v[136:137], v[4:5] neg_lo:[0,0,1] neg_hi:[0,0,1]
	v_pk_fma_f32 v[4:5], v[6:7], v[136:137], v[4:5] op_sel_hi:[1,0,1]
	v_pk_add_f32 v[2:3], v[2:3], v[18:19]
	v_mov_b32_e32 v4, v139
	v_mov_b32_e32 v17, v5
	v_pk_mul_f32 v[4:5], v[8:9], v[4:5] op_sel:[1,0] op_sel_hi:[0,0]
	v_pk_fma_f32 v[6:7], v[8:9], v[138:139], v[4:5] neg_lo:[0,0,1] neg_hi:[0,0,1]
	v_pk_fma_f32 v[4:5], v[8:9], v[138:139], v[4:5] op_sel_hi:[1,0,1]
	v_pk_add_f32 v[2:3], v[2:3], v[16:17]
	v_mov_b32_e32 v7, v5
	s_waitcnt vmcnt(1) lgkmcnt(1)
	v_pk_mul_f32 v[4:5], v[10:11], v[140:141] op_sel:[1,1] op_sel_hi:[0,1]
	v_pk_add_f32 v[2:3], v[2:3], v[6:7]
	v_pk_fma_f32 v[6:7], v[10:11], v[140:141], v[4:5] neg_lo:[0,0,1] neg_hi:[0,0,1]
	v_pk_fma_f32 v[4:5], v[10:11], v[140:141], v[4:5] op_sel_hi:[1,0,1]
	s_nop 0
	v_mov_b32_e32 v4, v143
	v_mov_b32_e32 v7, v5
	v_pk_mul_f32 v[4:5], v[12:13], v[4:5] op_sel:[1,0] op_sel_hi:[0,0]
	v_pk_add_f32 v[2:3], v[2:3], v[6:7]
	v_pk_fma_f32 v[6:7], v[12:13], v[142:143], v[4:5] neg_lo:[0,0,1] neg_hi:[0,0,1]
	v_pk_fma_f32 v[4:5], v[12:13], v[142:143], v[4:5] op_sel_hi:[1,0,1]
	s_nop 0
	v_mov_b32_e32 v7, v5
	s_waitcnt vmcnt(0) lgkmcnt(0)
	v_pk_mul_f32 v[4:5], v[14:15], v[150:151] op_sel:[1,1] op_sel_hi:[0,1]
	v_pk_add_f32 v[2:3], v[2:3], v[6:7]
	v_pk_fma_f32 v[6:7], v[14:15], v[150:151], v[4:5] neg_lo:[0,0,1] neg_hi:[0,0,1]
	v_pk_fma_f32 v[4:5], v[14:15], v[150:151], v[4:5] op_sel_hi:[1,0,1]
	s_nop 0
	v_mov_b32_e32 v7, v5
	scratch_load_dwordx2 v[4:5], off, off offset:192
	v_pk_add_f32 v[2:3], v[2:3], v[6:7]
	s_waitcnt vmcnt(0)
	v_pk_add_f32 v[2:3], v[4:5], v[2:3] neg_lo:[0,1] neg_hi:[0,1]
	scratch_store_dwordx2 off, v[2:3], off offset:192
	s_and_saveexec_b64 s[0:1], vcc
	s_cbranch_execz .LBB63_351
; %bb.350:
	scratch_load_dwordx2 v[2:3], off, off offset:184
	v_mov_b32_e32 v95, v94
	scratch_store_dwordx2 off, v[94:95], off offset:184
	s_waitcnt vmcnt(1)
	ds_write_b64 v1, v[2:3]
.LBB63_351:
	s_or_b64 exec, exec, s[0:1]
	s_waitcnt lgkmcnt(0)
	; wave barrier
	ds_read_b128 v[14:17], v94 offset:704
	ds_read_b128 v[10:13], v94 offset:720
	;; [unrolled: 1-line block ×4, first 2 shown]
	scratch_load_dwordx4 v[18:21], off, off offset:192
	scratch_load_dwordx4 v[38:41], off, off offset:256
	;; [unrolled: 1-line block ×10, first 2 shown]
	v_cmp_lt_u32_e32 vcc, 22, v0
	scratch_load_dwordx4 v[46:49], off, off offset:272
	scratch_load_dwordx4 v[54:57], off, off offset:288
	;; [unrolled: 1-line block ×3, first 2 shown]
	s_waitcnt vmcnt(12) lgkmcnt(3)
	v_mul_f32_e32 v22, v14, v19
	v_fmac_f32_e32 v22, v15, v18
	v_mul_f32_e32 v23, v16, v21
	v_add_f32_e32 v22, 0, v22
	v_fmac_f32_e32 v23, v17, v20
	v_add_f32_e32 v26, v22, v23
	scratch_load_dwordx4 v[22:25], off, off offset:208
	v_mul_f32_e32 v15, v15, v19
	v_fma_f32 v14, v14, v18, -v15
	v_mul_f32_e32 v15, v17, v21
	v_add_f32_e32 v14, 0, v14
	v_fma_f32 v15, v16, v20, -v15
	v_add_f32_e32 v14, v14, v15
	s_waitcnt vmcnt(0) lgkmcnt(2)
	v_mul_f32_e32 v27, v10, v23
	v_fmac_f32_e32 v27, v11, v22
	v_add_f32_e32 v26, v26, v27
	v_mul_f32_e32 v27, v12, v25
	v_fmac_f32_e32 v27, v13, v24
	v_add_f32_e32 v30, v26, v27
	scratch_load_dwordx4 v[26:29], off, off offset:224
	v_mul_f32_e32 v11, v11, v23
	v_fma_f32 v10, v10, v22, -v11
	v_mul_f32_e32 v11, v13, v25
	v_add_f32_e32 v10, v14, v10
	v_fma_f32 v11, v12, v24, -v11
	v_add_f32_e32 v10, v10, v11
	s_waitcnt vmcnt(0) lgkmcnt(1)
	v_mul_f32_e32 v31, v6, v27
	v_fmac_f32_e32 v31, v7, v26
	v_add_f32_e32 v30, v30, v31
	v_mul_f32_e32 v31, v8, v29
	;; [unrolled: 14-line block ×3, first 2 shown]
	v_fmac_f32_e32 v35, v5, v32
	v_add_f32_e32 v42, v34, v35
	ds_read_b128 v[34:37], v94 offset:768
	v_mul_f32_e32 v3, v3, v31
	v_fma_f32 v2, v2, v30, -v3
	v_mul_f32_e32 v3, v5, v33
	v_add_f32_e32 v2, v6, v2
	s_waitcnt lgkmcnt(0)
	v_mul_f32_e32 v43, v34, v39
	v_fmac_f32_e32 v43, v35, v38
	v_add_f32_e32 v42, v42, v43
	v_mul_f32_e32 v43, v36, v41
	v_fmac_f32_e32 v43, v37, v40
	v_add_f32_e32 v50, v42, v43
	ds_read_b128 v[42:45], v94 offset:784
	v_fma_f32 v3, v4, v32, -v3
	v_add_f32_e32 v2, v2, v3
	v_mul_f32_e32 v3, v35, v39
	v_fma_f32 v3, v34, v38, -v3
	s_waitcnt lgkmcnt(0)
	v_mul_f32_e32 v51, v42, v47
	v_fmac_f32_e32 v51, v43, v46
	v_add_f32_e32 v50, v50, v51
	v_mul_f32_e32 v51, v44, v49
	v_fmac_f32_e32 v51, v45, v48
	v_add_f32_e32 v58, v50, v51
	ds_read_b128 v[50:53], v94 offset:800
	v_add_f32_e32 v2, v2, v3
	v_mul_f32_e32 v3, v37, v41
	v_fma_f32 v3, v36, v40, -v3
	v_add_f32_e32 v2, v2, v3
	s_waitcnt lgkmcnt(0)
	v_mul_f32_e32 v59, v50, v55
	v_fmac_f32_e32 v59, v51, v54
	v_add_f32_e32 v58, v58, v59
	v_mul_f32_e32 v59, v52, v57
	v_fmac_f32_e32 v59, v53, v56
	v_add_f32_e32 v66, v58, v59
	ds_read_b128 v[58:61], v94 offset:816
	v_mul_f32_e32 v3, v43, v47
	v_fma_f32 v3, v42, v46, -v3
	v_add_f32_e32 v2, v2, v3
	v_mul_f32_e32 v3, v45, v49
	s_waitcnt lgkmcnt(0)
	v_mul_f32_e32 v67, v58, v63
	v_fmac_f32_e32 v67, v59, v62
	v_add_f32_e32 v66, v66, v67
	v_mul_f32_e32 v67, v60, v65
	v_fmac_f32_e32 v67, v61, v64
	v_add_f32_e32 v74, v66, v67
	ds_read_b128 v[66:69], v94 offset:832
	v_fma_f32 v3, v44, v48, -v3
	v_add_f32_e32 v2, v2, v3
	v_mul_f32_e32 v3, v51, v55
	v_fma_f32 v3, v50, v54, -v3
	s_waitcnt lgkmcnt(0)
	v_mul_f32_e32 v75, v66, v71
	v_fmac_f32_e32 v75, v67, v70
	v_add_f32_e32 v74, v74, v75
	v_mul_f32_e32 v75, v68, v73
	v_fmac_f32_e32 v75, v69, v72
	v_add_f32_e32 v82, v74, v75
	ds_read_b128 v[74:77], v94 offset:848
	v_add_f32_e32 v2, v2, v3
	v_mul_f32_e32 v3, v53, v57
	v_fma_f32 v3, v52, v56, -v3
	v_add_f32_e32 v2, v2, v3
	s_waitcnt lgkmcnt(0)
	v_mul_f32_e32 v83, v74, v79
	v_fmac_f32_e32 v83, v75, v78
	v_add_f32_e32 v82, v82, v83
	v_mul_f32_e32 v83, v76, v81
	v_fmac_f32_e32 v83, v77, v80
	v_add_f32_e32 v90, v82, v83
	ds_read_b128 v[82:85], v94 offset:864
	v_mul_f32_e32 v3, v59, v63
	v_fma_f32 v3, v58, v62, -v3
	v_add_f32_e32 v2, v2, v3
	v_mul_f32_e32 v3, v61, v65
	;; [unrolled: 36-line block ×3, first 2 shown]
	s_waitcnt lgkmcnt(0)
	v_mul_f32_e32 v116, v108, v113
	v_fmac_f32_e32 v116, v109, v112
	v_add_f32_e32 v95, v95, v116
	v_mul_f32_e32 v116, v110, v115
	v_fmac_f32_e32 v116, v111, v114
	v_add_f32_e32 v95, v95, v116
	ds_read_b128 v[116:119], v94 offset:928
	v_fma_f32 v3, v76, v80, -v3
	v_add_f32_e32 v2, v2, v3
	v_mul_f32_e32 v3, v83, v87
	v_fma_f32 v3, v82, v86, -v3
	s_waitcnt lgkmcnt(0)
	v_mul_f32_e32 v124, v116, v121
	v_fmac_f32_e32 v124, v117, v120
	v_add_f32_e32 v95, v95, v124
	v_mul_f32_e32 v124, v118, v123
	v_fmac_f32_e32 v124, v119, v122
	v_add_f32_e32 v149, v95, v124
	ds_read_b128 v[124:127], v94 offset:944
	scratch_load_dwordx4 v[132:135], off, off offset:448
	scratch_load_dwordx4 v[136:139], off, off offset:464
	;; [unrolled: 1-line block ×4, first 2 shown]
	v_add_f32_e32 v2, v2, v3
	v_mul_f32_e32 v3, v85, v89
	v_fma_f32 v3, v84, v88, -v3
	v_add_f32_e32 v2, v2, v3
	v_mul_f32_e32 v3, v91, v97
	v_fma_f32 v3, v90, v96, -v3
	;; [unrolled: 3-line block ×9, first 2 shown]
	v_add_f32_e32 v148, v2, v3
	s_waitcnt lgkmcnt(0)
	v_mul_f32_e32 v2, v125, v129
	v_fma_f32 v150, v124, v128, -v2
	v_mul_f32_e32 v2, v127, v131
	v_fma_f32 v152, v126, v130, -v2
	ds_read_b128 v[2:5], v94 offset:960
	ds_read_b128 v[6:9], v94 offset:976
	;; [unrolled: 1-line block ×4, first 2 shown]
	v_mul_f32_e32 v151, v124, v129
	v_fmac_f32_e32 v151, v125, v128
	v_mul_f32_e32 v153, v126, v131
	v_fmac_f32_e32 v153, v127, v130
	v_pk_add_f32 v[18:19], v[148:149], v[150:151]
	s_waitcnt vmcnt(3) lgkmcnt(3)
	v_pk_mul_f32 v[20:21], v[2:3], v[132:133] op_sel:[1,1] op_sel_hi:[0,1]
	v_pk_fma_f32 v[22:23], v[2:3], v[132:133], v[20:21] neg_lo:[0,0,1] neg_hi:[0,0,1]
	v_pk_fma_f32 v[2:3], v[2:3], v[132:133], v[20:21] op_sel_hi:[1,0,1]
	v_pk_add_f32 v[18:19], v[18:19], v[152:153]
	v_mov_b32_e32 v23, v3
	v_pk_add_f32 v[2:3], v[18:19], v[22:23]
	v_mov_b32_e32 v18, v135
	v_pk_mul_f32 v[18:19], v[4:5], v[18:19] op_sel:[1,0] op_sel_hi:[0,0]
	v_pk_fma_f32 v[20:21], v[4:5], v[134:135], v[18:19] neg_lo:[0,0,1] neg_hi:[0,0,1]
	v_pk_fma_f32 v[4:5], v[4:5], v[134:135], v[18:19] op_sel_hi:[1,0,1]
	s_nop 0
	v_mov_b32_e32 v21, v5
	s_waitcnt vmcnt(2) lgkmcnt(2)
	v_pk_mul_f32 v[4:5], v[6:7], v[136:137] op_sel:[1,1] op_sel_hi:[0,1]
	v_pk_fma_f32 v[18:19], v[6:7], v[136:137], v[4:5] neg_lo:[0,0,1] neg_hi:[0,0,1]
	v_pk_fma_f32 v[4:5], v[6:7], v[136:137], v[4:5] op_sel_hi:[1,0,1]
	v_pk_add_f32 v[2:3], v[2:3], v[20:21]
	v_mov_b32_e32 v4, v139
	v_mov_b32_e32 v19, v5
	v_pk_mul_f32 v[4:5], v[8:9], v[4:5] op_sel:[1,0] op_sel_hi:[0,0]
	v_pk_fma_f32 v[6:7], v[8:9], v[138:139], v[4:5] neg_lo:[0,0,1] neg_hi:[0,0,1]
	v_pk_fma_f32 v[4:5], v[8:9], v[138:139], v[4:5] op_sel_hi:[1,0,1]
	v_pk_add_f32 v[2:3], v[2:3], v[18:19]
	v_mov_b32_e32 v7, v5
	s_waitcnt vmcnt(1) lgkmcnt(1)
	v_pk_mul_f32 v[4:5], v[10:11], v[140:141] op_sel:[1,1] op_sel_hi:[0,1]
	v_pk_add_f32 v[2:3], v[2:3], v[6:7]
	v_pk_fma_f32 v[6:7], v[10:11], v[140:141], v[4:5] neg_lo:[0,0,1] neg_hi:[0,0,1]
	v_pk_fma_f32 v[4:5], v[10:11], v[140:141], v[4:5] op_sel_hi:[1,0,1]
	s_nop 0
	v_mov_b32_e32 v4, v143
	v_mov_b32_e32 v7, v5
	v_pk_mul_f32 v[4:5], v[12:13], v[4:5] op_sel:[1,0] op_sel_hi:[0,0]
	v_pk_add_f32 v[2:3], v[2:3], v[6:7]
	v_pk_fma_f32 v[6:7], v[12:13], v[142:143], v[4:5] neg_lo:[0,0,1] neg_hi:[0,0,1]
	v_pk_fma_f32 v[4:5], v[12:13], v[142:143], v[4:5] op_sel_hi:[1,0,1]
	s_nop 0
	v_mov_b32_e32 v7, v5
	s_waitcnt vmcnt(0) lgkmcnt(0)
	v_pk_mul_f32 v[4:5], v[14:15], v[144:145] op_sel:[1,1] op_sel_hi:[0,1]
	v_pk_add_f32 v[2:3], v[2:3], v[6:7]
	v_pk_fma_f32 v[6:7], v[14:15], v[144:145], v[4:5] neg_lo:[0,0,1] neg_hi:[0,0,1]
	v_pk_fma_f32 v[4:5], v[14:15], v[144:145], v[4:5] op_sel_hi:[1,0,1]
	s_nop 0
	v_mov_b32_e32 v4, v147
	v_mov_b32_e32 v7, v5
	v_pk_mul_f32 v[4:5], v[16:17], v[4:5] op_sel:[1,0] op_sel_hi:[0,0]
	v_pk_add_f32 v[2:3], v[2:3], v[6:7]
	v_pk_fma_f32 v[6:7], v[16:17], v[146:147], v[4:5] neg_lo:[0,0,1] neg_hi:[0,0,1]
	v_pk_fma_f32 v[4:5], v[16:17], v[146:147], v[4:5] op_sel_hi:[1,0,1]
	s_nop 0
	v_mov_b32_e32 v7, v5
	scratch_load_dwordx2 v[4:5], off, off offset:184
	v_pk_add_f32 v[2:3], v[2:3], v[6:7]
	s_waitcnt vmcnt(0)
	v_pk_add_f32 v[2:3], v[4:5], v[2:3] neg_lo:[0,1] neg_hi:[0,1]
	scratch_store_dwordx2 off, v[2:3], off offset:184
	s_and_saveexec_b64 s[0:1], vcc
	s_cbranch_execz .LBB63_353
; %bb.352:
	scratch_load_dwordx2 v[2:3], off, off offset:176
	v_mov_b32_e32 v4, 0
	v_mov_b32_e32 v5, v4
	scratch_store_dwordx2 off, v[4:5], off offset:176
	s_waitcnt vmcnt(1)
	ds_write_b64 v1, v[2:3]
.LBB63_353:
	s_or_b64 exec, exec, s[0:1]
	s_waitcnt lgkmcnt(0)
	; wave barrier
	scratch_load_dwordx4 v[6:9], off, off offset:184
	scratch_load_dwordx4 v[14:17], off, off offset:200
	;; [unrolled: 1-line block ×10, first 2 shown]
	v_mov_b32_e32 v102, 0
	ds_read2_b64 v[2:5], v102 offset0:87 offset1:88
	scratch_load_dwordx4 v[86:89], off, off offset:344
	scratch_load_dwordx4 v[94:97], off, off offset:360
	scratch_load_dwordx4 v[104:107], off, off offset:376
	scratch_load_dwordx4 v[112:115], off, off offset:392
	scratch_load_dwordx4 v[120:123], off, off offset:408
	scratch_load_dwordx4 v[128:131], off, off offset:424
	scratch_load_dwordx4 v[136:139], off, off offset:440
	v_cmp_lt_u32_e32 vcc, 21, v0
	s_waitcnt vmcnt(16) lgkmcnt(0)
	v_mul_f32_e32 v10, v2, v7
	v_fmac_f32_e32 v10, v3, v6
	v_mul_f32_e32 v11, v4, v9
	v_add_f32_e32 v10, 0, v10
	v_fmac_f32_e32 v11, v5, v8
	v_add_f32_e32 v18, v10, v11
	ds_read2_b64 v[10:13], v102 offset0:89 offset1:90
	v_mul_f32_e32 v3, v3, v7
	v_fma_f32 v2, v2, v6, -v3
	v_mul_f32_e32 v3, v5, v9
	v_add_f32_e32 v2, 0, v2
	s_waitcnt vmcnt(15) lgkmcnt(0)
	v_mul_f32_e32 v19, v10, v15
	v_fmac_f32_e32 v19, v11, v14
	v_add_f32_e32 v18, v18, v19
	v_mul_f32_e32 v19, v12, v17
	v_fmac_f32_e32 v19, v13, v16
	v_add_f32_e32 v26, v18, v19
	ds_read2_b64 v[18:21], v102 offset0:91 offset1:92
	v_fma_f32 v3, v4, v8, -v3
	v_add_f32_e32 v2, v2, v3
	v_mul_f32_e32 v3, v11, v15
	v_fma_f32 v3, v10, v14, -v3
	s_waitcnt vmcnt(14) lgkmcnt(0)
	v_mul_f32_e32 v27, v18, v23
	v_fmac_f32_e32 v27, v19, v22
	v_add_f32_e32 v26, v26, v27
	v_mul_f32_e32 v27, v20, v25
	v_fmac_f32_e32 v27, v21, v24
	v_add_f32_e32 v34, v26, v27
	ds_read2_b64 v[26:29], v102 offset0:93 offset1:94
	v_add_f32_e32 v2, v2, v3
	v_mul_f32_e32 v3, v13, v17
	v_fma_f32 v3, v12, v16, -v3
	v_add_f32_e32 v2, v2, v3
	s_waitcnt vmcnt(13) lgkmcnt(0)
	v_mul_f32_e32 v35, v26, v31
	v_fmac_f32_e32 v35, v27, v30
	v_add_f32_e32 v34, v34, v35
	v_mul_f32_e32 v35, v28, v33
	v_fmac_f32_e32 v35, v29, v32
	v_add_f32_e32 v42, v34, v35
	ds_read2_b64 v[34:37], v102 offset0:95 offset1:96
	v_mul_f32_e32 v3, v19, v23
	v_fma_f32 v3, v18, v22, -v3
	v_add_f32_e32 v2, v2, v3
	v_mul_f32_e32 v3, v21, v25
	s_waitcnt vmcnt(12) lgkmcnt(0)
	v_mul_f32_e32 v43, v34, v39
	v_fmac_f32_e32 v43, v35, v38
	v_add_f32_e32 v42, v42, v43
	v_mul_f32_e32 v43, v36, v41
	v_fmac_f32_e32 v43, v37, v40
	v_add_f32_e32 v50, v42, v43
	ds_read2_b64 v[42:45], v102 offset0:97 offset1:98
	v_fma_f32 v3, v20, v24, -v3
	v_add_f32_e32 v2, v2, v3
	v_mul_f32_e32 v3, v27, v31
	v_fma_f32 v3, v26, v30, -v3
	s_waitcnt vmcnt(11) lgkmcnt(0)
	v_mul_f32_e32 v51, v42, v47
	v_fmac_f32_e32 v51, v43, v46
	v_add_f32_e32 v50, v50, v51
	v_mul_f32_e32 v51, v44, v49
	v_fmac_f32_e32 v51, v45, v48
	v_add_f32_e32 v58, v50, v51
	ds_read2_b64 v[50:53], v102 offset0:99 offset1:100
	v_add_f32_e32 v2, v2, v3
	v_mul_f32_e32 v3, v29, v33
	v_fma_f32 v3, v28, v32, -v3
	v_add_f32_e32 v2, v2, v3
	s_waitcnt vmcnt(10) lgkmcnt(0)
	v_mul_f32_e32 v59, v50, v55
	v_fmac_f32_e32 v59, v51, v54
	v_add_f32_e32 v58, v58, v59
	v_mul_f32_e32 v59, v52, v57
	v_fmac_f32_e32 v59, v53, v56
	v_add_f32_e32 v66, v58, v59
	ds_read2_b64 v[58:61], v102 offset0:101 offset1:102
	v_mul_f32_e32 v3, v35, v39
	v_fma_f32 v3, v34, v38, -v3
	v_add_f32_e32 v2, v2, v3
	v_mul_f32_e32 v3, v37, v41
	;; [unrolled: 36-line block ×4, first 2 shown]
	s_waitcnt vmcnt(3) lgkmcnt(0)
	v_mul_f32_e32 v116, v108, v113
	v_fmac_f32_e32 v116, v109, v112
	v_add_f32_e32 v103, v103, v116
	v_mul_f32_e32 v116, v110, v115
	v_fmac_f32_e32 v116, v111, v114
	v_add_f32_e32 v103, v103, v116
	ds_read2_b64 v[116:119], v102 offset0:115 offset1:116
	v_fma_f32 v3, v68, v72, -v3
	v_add_f32_e32 v2, v2, v3
	v_mul_f32_e32 v3, v75, v79
	v_fma_f32 v3, v74, v78, -v3
	s_waitcnt vmcnt(2) lgkmcnt(0)
	v_mul_f32_e32 v124, v116, v121
	v_fmac_f32_e32 v124, v117, v120
	v_add_f32_e32 v103, v103, v124
	v_mul_f32_e32 v124, v118, v123
	v_fmac_f32_e32 v124, v119, v122
	v_add_f32_e32 v103, v103, v124
	ds_read2_b64 v[124:127], v102 offset0:117 offset1:118
	v_add_f32_e32 v2, v2, v3
	v_mul_f32_e32 v3, v77, v81
	v_fma_f32 v3, v76, v80, -v3
	v_add_f32_e32 v2, v2, v3
	s_waitcnt vmcnt(1) lgkmcnt(0)
	v_mul_f32_e32 v132, v124, v129
	v_fmac_f32_e32 v132, v125, v128
	v_add_f32_e32 v153, v103, v132
	ds_read2_b64 v[132:135], v102 offset0:119 offset1:120
	scratch_load_dwordx4 v[140:143], off, off offset:456
	scratch_load_dwordx4 v[144:147], off, off offset:472
	;; [unrolled: 1-line block ×3, first 2 shown]
	scratch_load_dwordx2 v[158:159], off, off offset:504
	v_mul_f32_e32 v3, v83, v87
	v_fma_f32 v3, v82, v86, -v3
	v_add_f32_e32 v2, v2, v3
	v_mul_f32_e32 v3, v85, v89
	v_fma_f32 v3, v84, v88, -v3
	v_add_f32_e32 v2, v2, v3
	;; [unrolled: 3-line block ×11, first 2 shown]
	v_mul_f32_e32 v2, v127, v131
	v_mul_f32_e32 v155, v126, v131
	v_fma_f32 v154, v126, v130, -v2
	s_waitcnt vmcnt(4) lgkmcnt(0)
	v_mul_f32_e32 v2, v133, v137
	v_mov_b32_e32 v18, v139
	v_fmac_f32_e32 v155, v127, v130
	v_mul_f32_e32 v157, v132, v137
	v_fma_f32 v156, v132, v136, -v2
	ds_read2_b64 v[2:5], v102 offset0:121 offset1:122
	ds_read2_b64 v[6:9], v102 offset0:123 offset1:124
	;; [unrolled: 1-line block ×3, first 2 shown]
	ds_read_b64 v[14:15], v102 offset:1016
	v_pk_mul_f32 v[18:19], v[134:135], v[18:19] op_sel:[1,0] op_sel_hi:[0,0]
	v_fmac_f32_e32 v157, v133, v136
	v_pk_add_f32 v[16:17], v[152:153], v[154:155]
	v_pk_fma_f32 v[20:21], v[134:135], v[138:139], v[18:19] neg_lo:[0,0,1] neg_hi:[0,0,1]
	v_pk_fma_f32 v[18:19], v[134:135], v[138:139], v[18:19] op_sel_hi:[1,0,1]
	v_pk_add_f32 v[16:17], v[16:17], v[156:157]
	v_mov_b32_e32 v21, v19
	v_pk_add_f32 v[16:17], v[16:17], v[20:21]
	s_waitcnt vmcnt(3) lgkmcnt(3)
	v_pk_mul_f32 v[18:19], v[2:3], v[140:141] op_sel:[1,1] op_sel_hi:[0,1]
	v_pk_fma_f32 v[20:21], v[2:3], v[140:141], v[18:19] neg_lo:[0,0,1] neg_hi:[0,0,1]
	v_pk_fma_f32 v[2:3], v[2:3], v[140:141], v[18:19] op_sel_hi:[1,0,1]
	s_nop 0
	v_mov_b32_e32 v21, v3
	v_pk_add_f32 v[2:3], v[16:17], v[20:21]
	v_mov_b32_e32 v16, v143
	v_pk_mul_f32 v[16:17], v[4:5], v[16:17] op_sel:[1,0] op_sel_hi:[0,0]
	v_pk_fma_f32 v[18:19], v[4:5], v[142:143], v[16:17] neg_lo:[0,0,1] neg_hi:[0,0,1]
	v_pk_fma_f32 v[4:5], v[4:5], v[142:143], v[16:17] op_sel_hi:[1,0,1]
	s_nop 0
	v_mov_b32_e32 v19, v5
	s_waitcnt vmcnt(2) lgkmcnt(2)
	v_pk_mul_f32 v[4:5], v[6:7], v[144:145] op_sel:[1,1] op_sel_hi:[0,1]
	v_pk_fma_f32 v[16:17], v[6:7], v[144:145], v[4:5] neg_lo:[0,0,1] neg_hi:[0,0,1]
	v_pk_fma_f32 v[4:5], v[6:7], v[144:145], v[4:5] op_sel_hi:[1,0,1]
	v_pk_add_f32 v[2:3], v[2:3], v[18:19]
	v_mov_b32_e32 v4, v147
	v_mov_b32_e32 v17, v5
	v_pk_mul_f32 v[4:5], v[8:9], v[4:5] op_sel:[1,0] op_sel_hi:[0,0]
	v_pk_fma_f32 v[6:7], v[8:9], v[146:147], v[4:5] neg_lo:[0,0,1] neg_hi:[0,0,1]
	v_pk_fma_f32 v[4:5], v[8:9], v[146:147], v[4:5] op_sel_hi:[1,0,1]
	v_pk_add_f32 v[2:3], v[2:3], v[16:17]
	v_mov_b32_e32 v7, v5
	s_waitcnt vmcnt(1) lgkmcnt(1)
	v_pk_mul_f32 v[4:5], v[10:11], v[148:149] op_sel:[1,1] op_sel_hi:[0,1]
	v_pk_add_f32 v[2:3], v[2:3], v[6:7]
	v_pk_fma_f32 v[6:7], v[10:11], v[148:149], v[4:5] neg_lo:[0,0,1] neg_hi:[0,0,1]
	v_pk_fma_f32 v[4:5], v[10:11], v[148:149], v[4:5] op_sel_hi:[1,0,1]
	s_nop 0
	v_mov_b32_e32 v4, v151
	v_mov_b32_e32 v7, v5
	v_pk_mul_f32 v[4:5], v[12:13], v[4:5] op_sel:[1,0] op_sel_hi:[0,0]
	v_pk_add_f32 v[2:3], v[2:3], v[6:7]
	v_pk_fma_f32 v[6:7], v[12:13], v[150:151], v[4:5] neg_lo:[0,0,1] neg_hi:[0,0,1]
	v_pk_fma_f32 v[4:5], v[12:13], v[150:151], v[4:5] op_sel_hi:[1,0,1]
	s_nop 0
	v_mov_b32_e32 v7, v5
	s_waitcnt vmcnt(0) lgkmcnt(0)
	v_pk_mul_f32 v[4:5], v[14:15], v[158:159] op_sel:[1,1] op_sel_hi:[0,1]
	v_pk_add_f32 v[2:3], v[2:3], v[6:7]
	v_pk_fma_f32 v[6:7], v[14:15], v[158:159], v[4:5] neg_lo:[0,0,1] neg_hi:[0,0,1]
	v_pk_fma_f32 v[4:5], v[14:15], v[158:159], v[4:5] op_sel_hi:[1,0,1]
	s_nop 0
	v_mov_b32_e32 v7, v5
	scratch_load_dwordx2 v[4:5], off, off offset:176
	v_pk_add_f32 v[2:3], v[2:3], v[6:7]
	s_waitcnt vmcnt(0)
	v_pk_add_f32 v[2:3], v[4:5], v[2:3] neg_lo:[0,1] neg_hi:[0,1]
	scratch_store_dwordx2 off, v[2:3], off offset:176
	s_and_saveexec_b64 s[0:1], vcc
	s_cbranch_execz .LBB63_355
; %bb.354:
	scratch_load_dwordx2 v[2:3], off, off offset:168
	v_mov_b32_e32 v103, v102
	scratch_store_dwordx2 off, v[102:103], off offset:168
	s_waitcnt vmcnt(1)
	ds_write_b64 v1, v[2:3]
.LBB63_355:
	s_or_b64 exec, exec, s[0:1]
	s_waitcnt lgkmcnt(0)
	; wave barrier
	ds_read_b128 v[14:17], v102 offset:688
	ds_read_b128 v[10:13], v102 offset:704
	;; [unrolled: 1-line block ×4, first 2 shown]
	scratch_load_dwordx4 v[18:21], off, off offset:176
	scratch_load_dwordx4 v[38:41], off, off offset:240
	;; [unrolled: 1-line block ×11, first 2 shown]
	v_cmp_lt_u32_e32 vcc, 20, v0
	scratch_load_dwordx4 v[46:49], off, off offset:256
	scratch_load_dwordx4 v[54:57], off, off offset:272
	scratch_load_dwordx4 v[62:65], off, off offset:288
	s_waitcnt vmcnt(13) lgkmcnt(3)
	v_mul_f32_e32 v22, v14, v19
	v_fmac_f32_e32 v22, v15, v18
	v_mul_f32_e32 v23, v16, v21
	v_add_f32_e32 v22, 0, v22
	v_fmac_f32_e32 v23, v17, v20
	v_add_f32_e32 v26, v22, v23
	scratch_load_dwordx4 v[22:25], off, off offset:192
	v_mul_f32_e32 v15, v15, v19
	v_fma_f32 v14, v14, v18, -v15
	v_mul_f32_e32 v15, v17, v21
	v_add_f32_e32 v14, 0, v14
	v_fma_f32 v15, v16, v20, -v15
	v_add_f32_e32 v14, v14, v15
	s_waitcnt vmcnt(0) lgkmcnt(2)
	v_mul_f32_e32 v27, v10, v23
	v_fmac_f32_e32 v27, v11, v22
	v_add_f32_e32 v26, v26, v27
	v_mul_f32_e32 v27, v12, v25
	v_fmac_f32_e32 v27, v13, v24
	v_add_f32_e32 v30, v26, v27
	scratch_load_dwordx4 v[26:29], off, off offset:208
	v_mul_f32_e32 v11, v11, v23
	v_fma_f32 v10, v10, v22, -v11
	v_mul_f32_e32 v11, v13, v25
	v_add_f32_e32 v10, v14, v10
	v_fma_f32 v11, v12, v24, -v11
	v_add_f32_e32 v10, v10, v11
	s_waitcnt vmcnt(0) lgkmcnt(1)
	v_mul_f32_e32 v31, v6, v27
	v_fmac_f32_e32 v31, v7, v26
	v_add_f32_e32 v30, v30, v31
	v_mul_f32_e32 v31, v8, v29
	;; [unrolled: 14-line block ×3, first 2 shown]
	v_fmac_f32_e32 v35, v5, v32
	v_add_f32_e32 v42, v34, v35
	ds_read_b128 v[34:37], v102 offset:752
	v_mul_f32_e32 v3, v3, v31
	v_fma_f32 v2, v2, v30, -v3
	v_mul_f32_e32 v3, v5, v33
	v_add_f32_e32 v2, v6, v2
	s_waitcnt lgkmcnt(0)
	v_mul_f32_e32 v43, v34, v39
	v_fmac_f32_e32 v43, v35, v38
	v_add_f32_e32 v42, v42, v43
	v_mul_f32_e32 v43, v36, v41
	v_fmac_f32_e32 v43, v37, v40
	v_add_f32_e32 v50, v42, v43
	ds_read_b128 v[42:45], v102 offset:768
	v_fma_f32 v3, v4, v32, -v3
	v_add_f32_e32 v2, v2, v3
	v_mul_f32_e32 v3, v35, v39
	v_fma_f32 v3, v34, v38, -v3
	s_waitcnt lgkmcnt(0)
	v_mul_f32_e32 v51, v42, v47
	v_fmac_f32_e32 v51, v43, v46
	v_add_f32_e32 v50, v50, v51
	v_mul_f32_e32 v51, v44, v49
	v_fmac_f32_e32 v51, v45, v48
	v_add_f32_e32 v58, v50, v51
	ds_read_b128 v[50:53], v102 offset:784
	v_add_f32_e32 v2, v2, v3
	v_mul_f32_e32 v3, v37, v41
	v_fma_f32 v3, v36, v40, -v3
	v_add_f32_e32 v2, v2, v3
	s_waitcnt lgkmcnt(0)
	v_mul_f32_e32 v59, v50, v55
	v_fmac_f32_e32 v59, v51, v54
	v_add_f32_e32 v58, v58, v59
	v_mul_f32_e32 v59, v52, v57
	v_fmac_f32_e32 v59, v53, v56
	v_add_f32_e32 v66, v58, v59
	ds_read_b128 v[58:61], v102 offset:800
	v_mul_f32_e32 v3, v43, v47
	v_fma_f32 v3, v42, v46, -v3
	v_add_f32_e32 v2, v2, v3
	v_mul_f32_e32 v3, v45, v49
	s_waitcnt lgkmcnt(0)
	v_mul_f32_e32 v67, v58, v63
	v_fmac_f32_e32 v67, v59, v62
	v_add_f32_e32 v66, v66, v67
	v_mul_f32_e32 v67, v60, v65
	v_fmac_f32_e32 v67, v61, v64
	v_add_f32_e32 v74, v66, v67
	ds_read_b128 v[66:69], v102 offset:816
	v_fma_f32 v3, v44, v48, -v3
	v_add_f32_e32 v2, v2, v3
	v_mul_f32_e32 v3, v51, v55
	v_fma_f32 v3, v50, v54, -v3
	s_waitcnt lgkmcnt(0)
	v_mul_f32_e32 v75, v66, v71
	v_fmac_f32_e32 v75, v67, v70
	v_add_f32_e32 v74, v74, v75
	v_mul_f32_e32 v75, v68, v73
	v_fmac_f32_e32 v75, v69, v72
	v_add_f32_e32 v82, v74, v75
	ds_read_b128 v[74:77], v102 offset:832
	v_add_f32_e32 v2, v2, v3
	v_mul_f32_e32 v3, v53, v57
	v_fma_f32 v3, v52, v56, -v3
	v_add_f32_e32 v2, v2, v3
	s_waitcnt lgkmcnt(0)
	v_mul_f32_e32 v83, v74, v79
	v_fmac_f32_e32 v83, v75, v78
	v_add_f32_e32 v82, v82, v83
	v_mul_f32_e32 v83, v76, v81
	v_fmac_f32_e32 v83, v77, v80
	v_add_f32_e32 v90, v82, v83
	ds_read_b128 v[82:85], v102 offset:848
	v_mul_f32_e32 v3, v59, v63
	v_fma_f32 v3, v58, v62, -v3
	v_add_f32_e32 v2, v2, v3
	v_mul_f32_e32 v3, v61, v65
	;; [unrolled: 36-line block ×3, first 2 shown]
	s_waitcnt lgkmcnt(0)
	v_mul_f32_e32 v116, v108, v113
	v_fmac_f32_e32 v116, v109, v112
	v_add_f32_e32 v103, v103, v116
	v_mul_f32_e32 v116, v110, v115
	v_fmac_f32_e32 v116, v111, v114
	v_add_f32_e32 v103, v103, v116
	ds_read_b128 v[116:119], v102 offset:912
	v_fma_f32 v3, v76, v80, -v3
	v_add_f32_e32 v2, v2, v3
	v_mul_f32_e32 v3, v83, v87
	v_fma_f32 v3, v82, v86, -v3
	s_waitcnt lgkmcnt(0)
	v_mul_f32_e32 v124, v116, v121
	v_fmac_f32_e32 v124, v117, v120
	v_add_f32_e32 v103, v103, v124
	v_mul_f32_e32 v124, v118, v123
	v_fmac_f32_e32 v124, v119, v122
	v_add_f32_e32 v103, v103, v124
	ds_read_b128 v[124:127], v102 offset:928
	v_add_f32_e32 v2, v2, v3
	v_mul_f32_e32 v3, v85, v89
	v_fma_f32 v3, v84, v88, -v3
	v_add_f32_e32 v2, v2, v3
	s_waitcnt lgkmcnt(0)
	v_mul_f32_e32 v132, v124, v129
	v_fmac_f32_e32 v132, v125, v128
	v_add_f32_e32 v103, v103, v132
	v_mul_f32_e32 v132, v126, v131
	v_fmac_f32_e32 v132, v127, v130
	v_add_f32_e32 v157, v103, v132
	ds_read_b128 v[132:135], v102 offset:944
	scratch_load_dwordx4 v[140:143], off, off offset:448
	scratch_load_dwordx4 v[144:147], off, off offset:464
	;; [unrolled: 1-line block ×4, first 2 shown]
	v_mul_f32_e32 v3, v91, v95
	v_fma_f32 v3, v90, v94, -v3
	v_add_f32_e32 v2, v2, v3
	v_mul_f32_e32 v3, v93, v97
	v_fma_f32 v3, v92, v96, -v3
	v_add_f32_e32 v2, v2, v3
	;; [unrolled: 3-line block ×10, first 2 shown]
	s_waitcnt lgkmcnt(0)
	v_mul_f32_e32 v2, v133, v137
	v_fma_f32 v158, v132, v136, -v2
	v_mul_f32_e32 v2, v135, v139
	v_fma_f32 v160, v134, v138, -v2
	ds_read_b128 v[2:5], v102 offset:960
	ds_read_b128 v[6:9], v102 offset:976
	;; [unrolled: 1-line block ×4, first 2 shown]
	v_mul_f32_e32 v159, v132, v137
	v_fmac_f32_e32 v159, v133, v136
	v_mul_f32_e32 v161, v134, v139
	v_fmac_f32_e32 v161, v135, v138
	v_pk_add_f32 v[18:19], v[156:157], v[158:159]
	s_waitcnt vmcnt(3) lgkmcnt(3)
	v_pk_mul_f32 v[20:21], v[2:3], v[140:141] op_sel:[1,1] op_sel_hi:[0,1]
	v_pk_fma_f32 v[22:23], v[2:3], v[140:141], v[20:21] neg_lo:[0,0,1] neg_hi:[0,0,1]
	v_pk_fma_f32 v[2:3], v[2:3], v[140:141], v[20:21] op_sel_hi:[1,0,1]
	v_pk_add_f32 v[18:19], v[18:19], v[160:161]
	v_mov_b32_e32 v23, v3
	v_pk_add_f32 v[2:3], v[18:19], v[22:23]
	v_mov_b32_e32 v18, v143
	v_pk_mul_f32 v[18:19], v[4:5], v[18:19] op_sel:[1,0] op_sel_hi:[0,0]
	v_pk_fma_f32 v[20:21], v[4:5], v[142:143], v[18:19] neg_lo:[0,0,1] neg_hi:[0,0,1]
	v_pk_fma_f32 v[4:5], v[4:5], v[142:143], v[18:19] op_sel_hi:[1,0,1]
	s_nop 0
	v_mov_b32_e32 v21, v5
	s_waitcnt vmcnt(2) lgkmcnt(2)
	v_pk_mul_f32 v[4:5], v[6:7], v[144:145] op_sel:[1,1] op_sel_hi:[0,1]
	v_pk_fma_f32 v[18:19], v[6:7], v[144:145], v[4:5] neg_lo:[0,0,1] neg_hi:[0,0,1]
	v_pk_fma_f32 v[4:5], v[6:7], v[144:145], v[4:5] op_sel_hi:[1,0,1]
	v_pk_add_f32 v[2:3], v[2:3], v[20:21]
	v_mov_b32_e32 v4, v147
	v_mov_b32_e32 v19, v5
	v_pk_mul_f32 v[4:5], v[8:9], v[4:5] op_sel:[1,0] op_sel_hi:[0,0]
	v_pk_fma_f32 v[6:7], v[8:9], v[146:147], v[4:5] neg_lo:[0,0,1] neg_hi:[0,0,1]
	v_pk_fma_f32 v[4:5], v[8:9], v[146:147], v[4:5] op_sel_hi:[1,0,1]
	v_pk_add_f32 v[2:3], v[2:3], v[18:19]
	v_mov_b32_e32 v7, v5
	s_waitcnt vmcnt(1) lgkmcnt(1)
	v_pk_mul_f32 v[4:5], v[10:11], v[148:149] op_sel:[1,1] op_sel_hi:[0,1]
	v_pk_add_f32 v[2:3], v[2:3], v[6:7]
	v_pk_fma_f32 v[6:7], v[10:11], v[148:149], v[4:5] neg_lo:[0,0,1] neg_hi:[0,0,1]
	v_pk_fma_f32 v[4:5], v[10:11], v[148:149], v[4:5] op_sel_hi:[1,0,1]
	s_nop 0
	v_mov_b32_e32 v4, v151
	v_mov_b32_e32 v7, v5
	v_pk_mul_f32 v[4:5], v[12:13], v[4:5] op_sel:[1,0] op_sel_hi:[0,0]
	v_pk_add_f32 v[2:3], v[2:3], v[6:7]
	v_pk_fma_f32 v[6:7], v[12:13], v[150:151], v[4:5] neg_lo:[0,0,1] neg_hi:[0,0,1]
	v_pk_fma_f32 v[4:5], v[12:13], v[150:151], v[4:5] op_sel_hi:[1,0,1]
	s_nop 0
	v_mov_b32_e32 v7, v5
	s_waitcnt vmcnt(0) lgkmcnt(0)
	v_pk_mul_f32 v[4:5], v[14:15], v[152:153] op_sel:[1,1] op_sel_hi:[0,1]
	v_pk_add_f32 v[2:3], v[2:3], v[6:7]
	v_pk_fma_f32 v[6:7], v[14:15], v[152:153], v[4:5] neg_lo:[0,0,1] neg_hi:[0,0,1]
	v_pk_fma_f32 v[4:5], v[14:15], v[152:153], v[4:5] op_sel_hi:[1,0,1]
	s_nop 0
	v_mov_b32_e32 v4, v155
	v_mov_b32_e32 v7, v5
	v_pk_mul_f32 v[4:5], v[16:17], v[4:5] op_sel:[1,0] op_sel_hi:[0,0]
	v_pk_add_f32 v[2:3], v[2:3], v[6:7]
	v_pk_fma_f32 v[6:7], v[16:17], v[154:155], v[4:5] neg_lo:[0,0,1] neg_hi:[0,0,1]
	v_pk_fma_f32 v[4:5], v[16:17], v[154:155], v[4:5] op_sel_hi:[1,0,1]
	s_nop 0
	v_mov_b32_e32 v7, v5
	scratch_load_dwordx2 v[4:5], off, off offset:168
	v_pk_add_f32 v[2:3], v[2:3], v[6:7]
	s_waitcnt vmcnt(0)
	v_pk_add_f32 v[2:3], v[4:5], v[2:3] neg_lo:[0,1] neg_hi:[0,1]
	scratch_store_dwordx2 off, v[2:3], off offset:168
	s_and_saveexec_b64 s[0:1], vcc
	s_cbranch_execz .LBB63_357
; %bb.356:
	scratch_load_dwordx2 v[2:3], off, off offset:160
	v_mov_b32_e32 v4, 0
	v_mov_b32_e32 v5, v4
	scratch_store_dwordx2 off, v[4:5], off offset:160
	s_waitcnt vmcnt(1)
	ds_write_b64 v1, v[2:3]
.LBB63_357:
	s_or_b64 exec, exec, s[0:1]
	s_waitcnt lgkmcnt(0)
	; wave barrier
	scratch_load_dwordx4 v[6:9], off, off offset:168
	scratch_load_dwordx4 v[14:17], off, off offset:184
	;; [unrolled: 1-line block ×10, first 2 shown]
	v_mov_b32_e32 v102, 0
	ds_read2_b64 v[2:5], v102 offset0:85 offset1:86
	scratch_load_dwordx4 v[86:89], off, off offset:328
	scratch_load_dwordx4 v[94:97], off, off offset:344
	;; [unrolled: 1-line block ×8, first 2 shown]
	v_cmp_lt_u32_e32 vcc, 19, v0
	s_waitcnt vmcnt(17) lgkmcnt(0)
	v_mul_f32_e32 v10, v2, v7
	v_fmac_f32_e32 v10, v3, v6
	v_mul_f32_e32 v11, v4, v9
	v_add_f32_e32 v10, 0, v10
	v_fmac_f32_e32 v11, v5, v8
	v_add_f32_e32 v18, v10, v11
	ds_read2_b64 v[10:13], v102 offset0:87 offset1:88
	v_mul_f32_e32 v3, v3, v7
	v_fma_f32 v2, v2, v6, -v3
	v_mul_f32_e32 v3, v5, v9
	v_add_f32_e32 v2, 0, v2
	s_waitcnt vmcnt(16) lgkmcnt(0)
	v_mul_f32_e32 v19, v10, v15
	v_fmac_f32_e32 v19, v11, v14
	v_add_f32_e32 v18, v18, v19
	v_mul_f32_e32 v19, v12, v17
	v_fmac_f32_e32 v19, v13, v16
	v_add_f32_e32 v26, v18, v19
	ds_read2_b64 v[18:21], v102 offset0:89 offset1:90
	v_fma_f32 v3, v4, v8, -v3
	v_add_f32_e32 v2, v2, v3
	v_mul_f32_e32 v3, v11, v15
	v_fma_f32 v3, v10, v14, -v3
	s_waitcnt vmcnt(15) lgkmcnt(0)
	v_mul_f32_e32 v27, v18, v23
	v_fmac_f32_e32 v27, v19, v22
	v_add_f32_e32 v26, v26, v27
	v_mul_f32_e32 v27, v20, v25
	v_fmac_f32_e32 v27, v21, v24
	v_add_f32_e32 v34, v26, v27
	ds_read2_b64 v[26:29], v102 offset0:91 offset1:92
	v_add_f32_e32 v2, v2, v3
	v_mul_f32_e32 v3, v13, v17
	v_fma_f32 v3, v12, v16, -v3
	v_add_f32_e32 v2, v2, v3
	s_waitcnt vmcnt(14) lgkmcnt(0)
	v_mul_f32_e32 v35, v26, v31
	v_fmac_f32_e32 v35, v27, v30
	v_add_f32_e32 v34, v34, v35
	v_mul_f32_e32 v35, v28, v33
	v_fmac_f32_e32 v35, v29, v32
	v_add_f32_e32 v42, v34, v35
	ds_read2_b64 v[34:37], v102 offset0:93 offset1:94
	v_mul_f32_e32 v3, v19, v23
	v_fma_f32 v3, v18, v22, -v3
	v_add_f32_e32 v2, v2, v3
	v_mul_f32_e32 v3, v21, v25
	s_waitcnt vmcnt(13) lgkmcnt(0)
	v_mul_f32_e32 v43, v34, v39
	v_fmac_f32_e32 v43, v35, v38
	v_add_f32_e32 v42, v42, v43
	v_mul_f32_e32 v43, v36, v41
	v_fmac_f32_e32 v43, v37, v40
	v_add_f32_e32 v50, v42, v43
	ds_read2_b64 v[42:45], v102 offset0:95 offset1:96
	v_fma_f32 v3, v20, v24, -v3
	v_add_f32_e32 v2, v2, v3
	v_mul_f32_e32 v3, v27, v31
	v_fma_f32 v3, v26, v30, -v3
	s_waitcnt vmcnt(12) lgkmcnt(0)
	v_mul_f32_e32 v51, v42, v47
	v_fmac_f32_e32 v51, v43, v46
	v_add_f32_e32 v50, v50, v51
	v_mul_f32_e32 v51, v44, v49
	v_fmac_f32_e32 v51, v45, v48
	v_add_f32_e32 v58, v50, v51
	ds_read2_b64 v[50:53], v102 offset0:97 offset1:98
	v_add_f32_e32 v2, v2, v3
	v_mul_f32_e32 v3, v29, v33
	v_fma_f32 v3, v28, v32, -v3
	v_add_f32_e32 v2, v2, v3
	s_waitcnt vmcnt(11) lgkmcnt(0)
	v_mul_f32_e32 v59, v50, v55
	v_fmac_f32_e32 v59, v51, v54
	v_add_f32_e32 v58, v58, v59
	v_mul_f32_e32 v59, v52, v57
	v_fmac_f32_e32 v59, v53, v56
	v_add_f32_e32 v66, v58, v59
	ds_read2_b64 v[58:61], v102 offset0:99 offset1:100
	v_mul_f32_e32 v3, v35, v39
	v_fma_f32 v3, v34, v38, -v3
	v_add_f32_e32 v2, v2, v3
	v_mul_f32_e32 v3, v37, v41
	;; [unrolled: 36-line block ×5, first 2 shown]
	s_waitcnt vmcnt(1) lgkmcnt(0)
	v_mul_f32_e32 v140, v132, v137
	v_fmac_f32_e32 v140, v133, v136
	v_add_f32_e32 v157, v103, v140
	ds_read2_b64 v[140:143], v102 offset0:119 offset1:120
	scratch_load_dwordx4 v[148:151], off, off offset:456
	scratch_load_dwordx4 v[152:155], off, off offset:472
	;; [unrolled: 1-line block ×3, first 2 shown]
	scratch_load_dwordx2 v[162:163], off, off offset:504
	v_fma_f32 v3, v84, v88, -v3
	v_add_f32_e32 v2, v2, v3
	v_mul_f32_e32 v3, v91, v95
	v_fma_f32 v3, v90, v94, -v3
	v_add_f32_e32 v2, v2, v3
	v_mul_f32_e32 v3, v93, v97
	;; [unrolled: 3-line block ×12, first 2 shown]
	v_mul_f32_e32 v159, v134, v139
	v_fma_f32 v158, v134, v138, -v2
	s_waitcnt vmcnt(4) lgkmcnt(0)
	v_mul_f32_e32 v2, v141, v145
	v_mov_b32_e32 v18, v147
	v_fmac_f32_e32 v159, v135, v138
	v_mul_f32_e32 v161, v140, v145
	v_fma_f32 v160, v140, v144, -v2
	ds_read2_b64 v[2:5], v102 offset0:121 offset1:122
	ds_read2_b64 v[6:9], v102 offset0:123 offset1:124
	;; [unrolled: 1-line block ×3, first 2 shown]
	ds_read_b64 v[14:15], v102 offset:1016
	v_pk_mul_f32 v[18:19], v[142:143], v[18:19] op_sel:[1,0] op_sel_hi:[0,0]
	v_fmac_f32_e32 v161, v141, v144
	v_pk_add_f32 v[16:17], v[156:157], v[158:159]
	v_pk_fma_f32 v[20:21], v[142:143], v[146:147], v[18:19] neg_lo:[0,0,1] neg_hi:[0,0,1]
	v_pk_fma_f32 v[18:19], v[142:143], v[146:147], v[18:19] op_sel_hi:[1,0,1]
	v_pk_add_f32 v[16:17], v[16:17], v[160:161]
	v_mov_b32_e32 v21, v19
	v_pk_add_f32 v[16:17], v[16:17], v[20:21]
	s_waitcnt vmcnt(3) lgkmcnt(3)
	v_pk_mul_f32 v[18:19], v[2:3], v[148:149] op_sel:[1,1] op_sel_hi:[0,1]
	v_pk_fma_f32 v[20:21], v[2:3], v[148:149], v[18:19] neg_lo:[0,0,1] neg_hi:[0,0,1]
	v_pk_fma_f32 v[2:3], v[2:3], v[148:149], v[18:19] op_sel_hi:[1,0,1]
	s_nop 0
	v_mov_b32_e32 v21, v3
	v_pk_add_f32 v[2:3], v[16:17], v[20:21]
	v_mov_b32_e32 v16, v151
	v_pk_mul_f32 v[16:17], v[4:5], v[16:17] op_sel:[1,0] op_sel_hi:[0,0]
	v_pk_fma_f32 v[18:19], v[4:5], v[150:151], v[16:17] neg_lo:[0,0,1] neg_hi:[0,0,1]
	v_pk_fma_f32 v[4:5], v[4:5], v[150:151], v[16:17] op_sel_hi:[1,0,1]
	s_nop 0
	v_mov_b32_e32 v19, v5
	s_waitcnt vmcnt(2) lgkmcnt(2)
	v_pk_mul_f32 v[4:5], v[6:7], v[152:153] op_sel:[1,1] op_sel_hi:[0,1]
	v_pk_fma_f32 v[16:17], v[6:7], v[152:153], v[4:5] neg_lo:[0,0,1] neg_hi:[0,0,1]
	v_pk_fma_f32 v[4:5], v[6:7], v[152:153], v[4:5] op_sel_hi:[1,0,1]
	v_pk_add_f32 v[2:3], v[2:3], v[18:19]
	v_mov_b32_e32 v4, v155
	v_mov_b32_e32 v17, v5
	v_pk_mul_f32 v[4:5], v[8:9], v[4:5] op_sel:[1,0] op_sel_hi:[0,0]
	v_pk_fma_f32 v[6:7], v[8:9], v[154:155], v[4:5] neg_lo:[0,0,1] neg_hi:[0,0,1]
	v_pk_fma_f32 v[4:5], v[8:9], v[154:155], v[4:5] op_sel_hi:[1,0,1]
	v_pk_add_f32 v[2:3], v[2:3], v[16:17]
	v_mov_b32_e32 v7, v5
	s_waitcnt vmcnt(1) lgkmcnt(1)
	v_pk_mul_f32 v[4:5], v[10:11], v[184:185] op_sel:[1,1] op_sel_hi:[0,1]
	v_pk_add_f32 v[2:3], v[2:3], v[6:7]
	v_pk_fma_f32 v[6:7], v[10:11], v[184:185], v[4:5] neg_lo:[0,0,1] neg_hi:[0,0,1]
	v_pk_fma_f32 v[4:5], v[10:11], v[184:185], v[4:5] op_sel_hi:[1,0,1]
	s_nop 0
	v_mov_b32_e32 v4, v187
	v_mov_b32_e32 v7, v5
	v_pk_mul_f32 v[4:5], v[12:13], v[4:5] op_sel:[1,0] op_sel_hi:[0,0]
	v_pk_add_f32 v[2:3], v[2:3], v[6:7]
	v_pk_fma_f32 v[6:7], v[12:13], v[186:187], v[4:5] neg_lo:[0,0,1] neg_hi:[0,0,1]
	v_pk_fma_f32 v[4:5], v[12:13], v[186:187], v[4:5] op_sel_hi:[1,0,1]
	s_nop 0
	v_mov_b32_e32 v7, v5
	s_waitcnt vmcnt(0) lgkmcnt(0)
	v_pk_mul_f32 v[4:5], v[14:15], v[162:163] op_sel:[1,1] op_sel_hi:[0,1]
	v_pk_add_f32 v[2:3], v[2:3], v[6:7]
	v_pk_fma_f32 v[6:7], v[14:15], v[162:163], v[4:5] neg_lo:[0,0,1] neg_hi:[0,0,1]
	v_pk_fma_f32 v[4:5], v[14:15], v[162:163], v[4:5] op_sel_hi:[1,0,1]
	s_nop 0
	v_mov_b32_e32 v7, v5
	scratch_load_dwordx2 v[4:5], off, off offset:160
	v_pk_add_f32 v[2:3], v[2:3], v[6:7]
	s_waitcnt vmcnt(0)
	v_pk_add_f32 v[2:3], v[4:5], v[2:3] neg_lo:[0,1] neg_hi:[0,1]
	scratch_store_dwordx2 off, v[2:3], off offset:160
	s_and_saveexec_b64 s[0:1], vcc
	s_cbranch_execz .LBB63_359
; %bb.358:
	scratch_load_dwordx2 v[2:3], off, off offset:152
	v_mov_b32_e32 v103, v102
	scratch_store_dwordx2 off, v[102:103], off offset:152
	s_waitcnt vmcnt(1)
	ds_write_b64 v1, v[2:3]
.LBB63_359:
	s_or_b64 exec, exec, s[0:1]
	s_waitcnt lgkmcnt(0)
	; wave barrier
	ds_read_b128 v[14:17], v102 offset:672
	ds_read_b128 v[10:13], v102 offset:688
	;; [unrolled: 1-line block ×4, first 2 shown]
	scratch_load_dwordx4 v[18:21], off, off offset:160
	scratch_load_dwordx4 v[38:41], off, off offset:224
	;; [unrolled: 1-line block ×12, first 2 shown]
	v_cmp_lt_u32_e32 vcc, 18, v0
	scratch_load_dwordx4 v[46:49], off, off offset:240
	scratch_load_dwordx4 v[54:57], off, off offset:256
	scratch_load_dwordx4 v[62:65], off, off offset:272
	s_waitcnt vmcnt(14) lgkmcnt(3)
	v_mul_f32_e32 v22, v14, v19
	v_fmac_f32_e32 v22, v15, v18
	v_mul_f32_e32 v23, v16, v21
	v_add_f32_e32 v22, 0, v22
	v_fmac_f32_e32 v23, v17, v20
	v_add_f32_e32 v26, v22, v23
	scratch_load_dwordx4 v[22:25], off, off offset:176
	v_mul_f32_e32 v15, v15, v19
	v_fma_f32 v14, v14, v18, -v15
	v_mul_f32_e32 v15, v17, v21
	v_add_f32_e32 v14, 0, v14
	v_fma_f32 v15, v16, v20, -v15
	v_add_f32_e32 v14, v14, v15
	s_waitcnt vmcnt(0) lgkmcnt(2)
	v_mul_f32_e32 v27, v10, v23
	v_fmac_f32_e32 v27, v11, v22
	v_add_f32_e32 v26, v26, v27
	v_mul_f32_e32 v27, v12, v25
	v_fmac_f32_e32 v27, v13, v24
	v_add_f32_e32 v30, v26, v27
	scratch_load_dwordx4 v[26:29], off, off offset:192
	v_mul_f32_e32 v11, v11, v23
	v_fma_f32 v10, v10, v22, -v11
	v_mul_f32_e32 v11, v13, v25
	v_add_f32_e32 v10, v14, v10
	v_fma_f32 v11, v12, v24, -v11
	v_add_f32_e32 v10, v10, v11
	s_waitcnt vmcnt(0) lgkmcnt(1)
	v_mul_f32_e32 v31, v6, v27
	v_fmac_f32_e32 v31, v7, v26
	v_add_f32_e32 v30, v30, v31
	v_mul_f32_e32 v31, v8, v29
	;; [unrolled: 14-line block ×3, first 2 shown]
	v_fmac_f32_e32 v35, v5, v32
	v_add_f32_e32 v42, v34, v35
	ds_read_b128 v[34:37], v102 offset:736
	v_mul_f32_e32 v3, v3, v31
	v_fma_f32 v2, v2, v30, -v3
	v_mul_f32_e32 v3, v5, v33
	v_add_f32_e32 v2, v6, v2
	s_waitcnt lgkmcnt(0)
	v_mul_f32_e32 v43, v34, v39
	v_fmac_f32_e32 v43, v35, v38
	v_add_f32_e32 v42, v42, v43
	v_mul_f32_e32 v43, v36, v41
	v_fmac_f32_e32 v43, v37, v40
	v_add_f32_e32 v50, v42, v43
	ds_read_b128 v[42:45], v102 offset:752
	v_fma_f32 v3, v4, v32, -v3
	v_add_f32_e32 v2, v2, v3
	v_mul_f32_e32 v3, v35, v39
	v_fma_f32 v3, v34, v38, -v3
	s_waitcnt lgkmcnt(0)
	v_mul_f32_e32 v51, v42, v47
	v_fmac_f32_e32 v51, v43, v46
	v_add_f32_e32 v50, v50, v51
	v_mul_f32_e32 v51, v44, v49
	v_fmac_f32_e32 v51, v45, v48
	v_add_f32_e32 v58, v50, v51
	ds_read_b128 v[50:53], v102 offset:768
	v_add_f32_e32 v2, v2, v3
	v_mul_f32_e32 v3, v37, v41
	v_fma_f32 v3, v36, v40, -v3
	v_add_f32_e32 v2, v2, v3
	s_waitcnt lgkmcnt(0)
	v_mul_f32_e32 v59, v50, v55
	v_fmac_f32_e32 v59, v51, v54
	v_add_f32_e32 v58, v58, v59
	v_mul_f32_e32 v59, v52, v57
	v_fmac_f32_e32 v59, v53, v56
	v_add_f32_e32 v66, v58, v59
	ds_read_b128 v[58:61], v102 offset:784
	v_mul_f32_e32 v3, v43, v47
	v_fma_f32 v3, v42, v46, -v3
	v_add_f32_e32 v2, v2, v3
	v_mul_f32_e32 v3, v45, v49
	s_waitcnt lgkmcnt(0)
	v_mul_f32_e32 v67, v58, v63
	v_fmac_f32_e32 v67, v59, v62
	v_add_f32_e32 v66, v66, v67
	v_mul_f32_e32 v67, v60, v65
	v_fmac_f32_e32 v67, v61, v64
	v_add_f32_e32 v74, v66, v67
	ds_read_b128 v[66:69], v102 offset:800
	v_fma_f32 v3, v44, v48, -v3
	v_add_f32_e32 v2, v2, v3
	v_mul_f32_e32 v3, v51, v55
	v_fma_f32 v3, v50, v54, -v3
	s_waitcnt lgkmcnt(0)
	v_mul_f32_e32 v75, v66, v71
	v_fmac_f32_e32 v75, v67, v70
	v_add_f32_e32 v74, v74, v75
	v_mul_f32_e32 v75, v68, v73
	v_fmac_f32_e32 v75, v69, v72
	v_add_f32_e32 v82, v74, v75
	ds_read_b128 v[74:77], v102 offset:816
	v_add_f32_e32 v2, v2, v3
	v_mul_f32_e32 v3, v53, v57
	v_fma_f32 v3, v52, v56, -v3
	v_add_f32_e32 v2, v2, v3
	s_waitcnt lgkmcnt(0)
	v_mul_f32_e32 v83, v74, v79
	v_fmac_f32_e32 v83, v75, v78
	v_add_f32_e32 v82, v82, v83
	v_mul_f32_e32 v83, v76, v81
	v_fmac_f32_e32 v83, v77, v80
	v_add_f32_e32 v90, v82, v83
	ds_read_b128 v[82:85], v102 offset:832
	v_mul_f32_e32 v3, v59, v63
	v_fma_f32 v3, v58, v62, -v3
	v_add_f32_e32 v2, v2, v3
	v_mul_f32_e32 v3, v61, v65
	;; [unrolled: 36-line block ×4, first 2 shown]
	s_waitcnt lgkmcnt(0)
	v_mul_f32_e32 v140, v132, v137
	v_fmac_f32_e32 v140, v133, v136
	v_add_f32_e32 v103, v103, v140
	v_mul_f32_e32 v140, v134, v139
	v_fmac_f32_e32 v140, v135, v138
	v_add_f32_e32 v157, v103, v140
	ds_read_b128 v[140:143], v102 offset:944
	scratch_load_dwordx4 v[148:151], off, off offset:448
	scratch_load_dwordx4 v[152:155], off, off offset:464
	;; [unrolled: 1-line block ×4, first 2 shown]
	v_fma_f32 v3, v92, v96, -v3
	v_add_f32_e32 v2, v2, v3
	v_mul_f32_e32 v3, v99, v105
	v_fma_f32 v3, v98, v104, -v3
	v_add_f32_e32 v2, v2, v3
	v_mul_f32_e32 v3, v101, v107
	;; [unrolled: 3-line block ×10, first 2 shown]
	v_fma_f32 v3, v134, v138, -v3
	v_add_f32_e32 v156, v2, v3
	s_waitcnt lgkmcnt(0)
	v_mul_f32_e32 v2, v141, v145
	v_fma_f32 v158, v140, v144, -v2
	v_mul_f32_e32 v2, v143, v147
	v_fma_f32 v160, v142, v146, -v2
	ds_read_b128 v[2:5], v102 offset:960
	ds_read_b128 v[6:9], v102 offset:976
	;; [unrolled: 1-line block ×4, first 2 shown]
	v_mul_f32_e32 v159, v140, v145
	v_fmac_f32_e32 v159, v141, v144
	v_mul_f32_e32 v161, v142, v147
	v_fmac_f32_e32 v161, v143, v146
	v_pk_add_f32 v[18:19], v[156:157], v[158:159]
	s_waitcnt vmcnt(3) lgkmcnt(3)
	v_pk_mul_f32 v[20:21], v[2:3], v[148:149] op_sel:[1,1] op_sel_hi:[0,1]
	v_pk_fma_f32 v[22:23], v[2:3], v[148:149], v[20:21] neg_lo:[0,0,1] neg_hi:[0,0,1]
	v_pk_fma_f32 v[2:3], v[2:3], v[148:149], v[20:21] op_sel_hi:[1,0,1]
	v_pk_add_f32 v[18:19], v[18:19], v[160:161]
	v_mov_b32_e32 v23, v3
	v_pk_add_f32 v[2:3], v[18:19], v[22:23]
	v_mov_b32_e32 v18, v151
	v_pk_mul_f32 v[18:19], v[4:5], v[18:19] op_sel:[1,0] op_sel_hi:[0,0]
	v_pk_fma_f32 v[20:21], v[4:5], v[150:151], v[18:19] neg_lo:[0,0,1] neg_hi:[0,0,1]
	v_pk_fma_f32 v[4:5], v[4:5], v[150:151], v[18:19] op_sel_hi:[1,0,1]
	s_nop 0
	v_mov_b32_e32 v21, v5
	s_waitcnt vmcnt(2) lgkmcnt(2)
	v_pk_mul_f32 v[4:5], v[6:7], v[152:153] op_sel:[1,1] op_sel_hi:[0,1]
	v_pk_fma_f32 v[18:19], v[6:7], v[152:153], v[4:5] neg_lo:[0,0,1] neg_hi:[0,0,1]
	v_pk_fma_f32 v[4:5], v[6:7], v[152:153], v[4:5] op_sel_hi:[1,0,1]
	v_pk_add_f32 v[2:3], v[2:3], v[20:21]
	v_mov_b32_e32 v4, v155
	v_mov_b32_e32 v19, v5
	v_pk_mul_f32 v[4:5], v[8:9], v[4:5] op_sel:[1,0] op_sel_hi:[0,0]
	v_pk_fma_f32 v[6:7], v[8:9], v[154:155], v[4:5] neg_lo:[0,0,1] neg_hi:[0,0,1]
	v_pk_fma_f32 v[4:5], v[8:9], v[154:155], v[4:5] op_sel_hi:[1,0,1]
	v_pk_add_f32 v[2:3], v[2:3], v[18:19]
	v_mov_b32_e32 v7, v5
	s_waitcnt vmcnt(1) lgkmcnt(1)
	v_pk_mul_f32 v[4:5], v[10:11], v[184:185] op_sel:[1,1] op_sel_hi:[0,1]
	v_pk_add_f32 v[2:3], v[2:3], v[6:7]
	v_pk_fma_f32 v[6:7], v[10:11], v[184:185], v[4:5] neg_lo:[0,0,1] neg_hi:[0,0,1]
	v_pk_fma_f32 v[4:5], v[10:11], v[184:185], v[4:5] op_sel_hi:[1,0,1]
	s_nop 0
	v_mov_b32_e32 v4, v187
	v_mov_b32_e32 v7, v5
	v_pk_mul_f32 v[4:5], v[12:13], v[4:5] op_sel:[1,0] op_sel_hi:[0,0]
	v_pk_add_f32 v[2:3], v[2:3], v[6:7]
	v_pk_fma_f32 v[6:7], v[12:13], v[186:187], v[4:5] neg_lo:[0,0,1] neg_hi:[0,0,1]
	v_pk_fma_f32 v[4:5], v[12:13], v[186:187], v[4:5] op_sel_hi:[1,0,1]
	s_nop 0
	v_mov_b32_e32 v7, v5
	s_waitcnt vmcnt(0) lgkmcnt(0)
	v_pk_mul_f32 v[4:5], v[14:15], v[188:189] op_sel:[1,1] op_sel_hi:[0,1]
	v_pk_add_f32 v[2:3], v[2:3], v[6:7]
	v_pk_fma_f32 v[6:7], v[14:15], v[188:189], v[4:5] neg_lo:[0,0,1] neg_hi:[0,0,1]
	v_pk_fma_f32 v[4:5], v[14:15], v[188:189], v[4:5] op_sel_hi:[1,0,1]
	s_nop 0
	v_mov_b32_e32 v4, v191
	v_mov_b32_e32 v7, v5
	v_pk_mul_f32 v[4:5], v[16:17], v[4:5] op_sel:[1,0] op_sel_hi:[0,0]
	v_pk_add_f32 v[2:3], v[2:3], v[6:7]
	v_pk_fma_f32 v[6:7], v[16:17], v[190:191], v[4:5] neg_lo:[0,0,1] neg_hi:[0,0,1]
	v_pk_fma_f32 v[4:5], v[16:17], v[190:191], v[4:5] op_sel_hi:[1,0,1]
	s_nop 0
	v_mov_b32_e32 v7, v5
	scratch_load_dwordx2 v[4:5], off, off offset:152
	v_pk_add_f32 v[2:3], v[2:3], v[6:7]
	s_waitcnt vmcnt(0)
	v_pk_add_f32 v[2:3], v[4:5], v[2:3] neg_lo:[0,1] neg_hi:[0,1]
	scratch_store_dwordx2 off, v[2:3], off offset:152
	s_and_saveexec_b64 s[0:1], vcc
	s_cbranch_execz .LBB63_361
; %bb.360:
	scratch_load_dwordx2 v[2:3], off, off offset:144
	v_mov_b32_e32 v4, 0
	v_mov_b32_e32 v5, v4
	scratch_store_dwordx2 off, v[4:5], off offset:144
	s_waitcnt vmcnt(1)
	ds_write_b64 v1, v[2:3]
.LBB63_361:
	s_or_b64 exec, exec, s[0:1]
	s_waitcnt lgkmcnt(0)
	; wave barrier
	scratch_load_dwordx4 v[6:9], off, off offset:152
	scratch_load_dwordx4 v[14:17], off, off offset:168
	;; [unrolled: 1-line block ×10, first 2 shown]
	v_mov_b32_e32 v110, 0
	ds_read2_b64 v[2:5], v110 offset0:83 offset1:84
	scratch_load_dwordx4 v[86:89], off, off offset:312
	scratch_load_dwordx4 v[94:97], off, off offset:328
	scratch_load_dwordx4 v[102:105], off, off offset:344
	scratch_load_dwordx4 v[112:115], off, off offset:360
	scratch_load_dwordx4 v[120:123], off, off offset:376
	scratch_load_dwordx4 v[128:131], off, off offset:392
	scratch_load_dwordx4 v[136:139], off, off offset:408
	scratch_load_dwordx4 v[144:147], off, off offset:424
	scratch_load_dwordx4 v[152:155], off, off offset:440
	v_cmp_lt_u32_e32 vcc, 17, v0
	s_waitcnt vmcnt(18) lgkmcnt(0)
	v_mul_f32_e32 v10, v2, v7
	v_fmac_f32_e32 v10, v3, v6
	v_mul_f32_e32 v11, v4, v9
	v_add_f32_e32 v10, 0, v10
	v_fmac_f32_e32 v11, v5, v8
	v_add_f32_e32 v18, v10, v11
	ds_read2_b64 v[10:13], v110 offset0:85 offset1:86
	v_mul_f32_e32 v3, v3, v7
	v_fma_f32 v2, v2, v6, -v3
	v_mul_f32_e32 v3, v5, v9
	v_add_f32_e32 v2, 0, v2
	s_waitcnt vmcnt(17) lgkmcnt(0)
	v_mul_f32_e32 v19, v10, v15
	v_fmac_f32_e32 v19, v11, v14
	v_add_f32_e32 v18, v18, v19
	v_mul_f32_e32 v19, v12, v17
	v_fmac_f32_e32 v19, v13, v16
	v_add_f32_e32 v26, v18, v19
	ds_read2_b64 v[18:21], v110 offset0:87 offset1:88
	v_fma_f32 v3, v4, v8, -v3
	v_add_f32_e32 v2, v2, v3
	v_mul_f32_e32 v3, v11, v15
	v_fma_f32 v3, v10, v14, -v3
	s_waitcnt vmcnt(16) lgkmcnt(0)
	v_mul_f32_e32 v27, v18, v23
	v_fmac_f32_e32 v27, v19, v22
	v_add_f32_e32 v26, v26, v27
	v_mul_f32_e32 v27, v20, v25
	v_fmac_f32_e32 v27, v21, v24
	v_add_f32_e32 v34, v26, v27
	ds_read2_b64 v[26:29], v110 offset0:89 offset1:90
	v_add_f32_e32 v2, v2, v3
	v_mul_f32_e32 v3, v13, v17
	v_fma_f32 v3, v12, v16, -v3
	v_add_f32_e32 v2, v2, v3
	s_waitcnt vmcnt(15) lgkmcnt(0)
	v_mul_f32_e32 v35, v26, v31
	v_fmac_f32_e32 v35, v27, v30
	v_add_f32_e32 v34, v34, v35
	v_mul_f32_e32 v35, v28, v33
	v_fmac_f32_e32 v35, v29, v32
	v_add_f32_e32 v42, v34, v35
	ds_read2_b64 v[34:37], v110 offset0:91 offset1:92
	v_mul_f32_e32 v3, v19, v23
	v_fma_f32 v3, v18, v22, -v3
	v_add_f32_e32 v2, v2, v3
	v_mul_f32_e32 v3, v21, v25
	s_waitcnt vmcnt(14) lgkmcnt(0)
	v_mul_f32_e32 v43, v34, v39
	v_fmac_f32_e32 v43, v35, v38
	v_add_f32_e32 v42, v42, v43
	v_mul_f32_e32 v43, v36, v41
	v_fmac_f32_e32 v43, v37, v40
	v_add_f32_e32 v50, v42, v43
	ds_read2_b64 v[42:45], v110 offset0:93 offset1:94
	v_fma_f32 v3, v20, v24, -v3
	v_add_f32_e32 v2, v2, v3
	v_mul_f32_e32 v3, v27, v31
	v_fma_f32 v3, v26, v30, -v3
	s_waitcnt vmcnt(13) lgkmcnt(0)
	v_mul_f32_e32 v51, v42, v47
	v_fmac_f32_e32 v51, v43, v46
	v_add_f32_e32 v50, v50, v51
	v_mul_f32_e32 v51, v44, v49
	v_fmac_f32_e32 v51, v45, v48
	v_add_f32_e32 v58, v50, v51
	ds_read2_b64 v[50:53], v110 offset0:95 offset1:96
	v_add_f32_e32 v2, v2, v3
	v_mul_f32_e32 v3, v29, v33
	v_fma_f32 v3, v28, v32, -v3
	v_add_f32_e32 v2, v2, v3
	s_waitcnt vmcnt(12) lgkmcnt(0)
	v_mul_f32_e32 v59, v50, v55
	v_fmac_f32_e32 v59, v51, v54
	v_add_f32_e32 v58, v58, v59
	v_mul_f32_e32 v59, v52, v57
	v_fmac_f32_e32 v59, v53, v56
	v_add_f32_e32 v66, v58, v59
	ds_read2_b64 v[58:61], v110 offset0:97 offset1:98
	v_mul_f32_e32 v3, v35, v39
	v_fma_f32 v3, v34, v38, -v3
	v_add_f32_e32 v2, v2, v3
	v_mul_f32_e32 v3, v37, v41
	;; [unrolled: 36-line block ×5, first 2 shown]
	s_waitcnt vmcnt(2) lgkmcnt(0)
	v_mul_f32_e32 v140, v132, v137
	v_fmac_f32_e32 v140, v133, v136
	v_add_f32_e32 v111, v111, v140
	v_mul_f32_e32 v140, v134, v139
	v_fmac_f32_e32 v140, v135, v138
	v_add_f32_e32 v111, v111, v140
	ds_read2_b64 v[140:143], v110 offset0:117 offset1:118
	v_fma_f32 v3, v84, v88, -v3
	v_add_f32_e32 v2, v2, v3
	v_mul_f32_e32 v3, v91, v95
	v_fma_f32 v3, v90, v94, -v3
	s_waitcnt vmcnt(1) lgkmcnt(0)
	v_mul_f32_e32 v148, v140, v145
	v_fmac_f32_e32 v148, v141, v144
	v_add_f32_e32 v157, v111, v148
	ds_read2_b64 v[148:151], v110 offset0:119 offset1:120
	scratch_load_dwordx4 v[184:187], off, off offset:456
	scratch_load_dwordx4 v[188:191], off, off offset:472
	;; [unrolled: 1-line block ×3, first 2 shown]
	scratch_load_dwordx2 v[162:163], off, off offset:504
	v_add_f32_e32 v2, v2, v3
	v_mul_f32_e32 v3, v93, v97
	v_fma_f32 v3, v92, v96, -v3
	v_add_f32_e32 v2, v2, v3
	v_mul_f32_e32 v3, v99, v103
	v_fma_f32 v3, v98, v102, -v3
	;; [unrolled: 3-line block ×12, first 2 shown]
	v_add_f32_e32 v156, v2, v3
	v_mul_f32_e32 v2, v143, v147
	v_mul_f32_e32 v159, v142, v147
	v_fma_f32 v158, v142, v146, -v2
	s_waitcnt vmcnt(4) lgkmcnt(0)
	v_mul_f32_e32 v2, v149, v153
	v_mov_b32_e32 v18, v155
	v_fmac_f32_e32 v159, v143, v146
	v_mul_f32_e32 v161, v148, v153
	v_fma_f32 v160, v148, v152, -v2
	ds_read2_b64 v[2:5], v110 offset0:121 offset1:122
	ds_read2_b64 v[6:9], v110 offset0:123 offset1:124
	;; [unrolled: 1-line block ×3, first 2 shown]
	ds_read_b64 v[14:15], v110 offset:1016
	v_pk_mul_f32 v[18:19], v[150:151], v[18:19] op_sel:[1,0] op_sel_hi:[0,0]
	v_fmac_f32_e32 v161, v149, v152
	v_pk_add_f32 v[16:17], v[156:157], v[158:159]
	v_pk_fma_f32 v[20:21], v[150:151], v[154:155], v[18:19] neg_lo:[0,0,1] neg_hi:[0,0,1]
	v_pk_fma_f32 v[18:19], v[150:151], v[154:155], v[18:19] op_sel_hi:[1,0,1]
	v_pk_add_f32 v[16:17], v[16:17], v[160:161]
	v_mov_b32_e32 v21, v19
	v_pk_add_f32 v[16:17], v[16:17], v[20:21]
	s_waitcnt vmcnt(3) lgkmcnt(3)
	v_pk_mul_f32 v[18:19], v[2:3], v[184:185] op_sel:[1,1] op_sel_hi:[0,1]
	v_pk_fma_f32 v[20:21], v[2:3], v[184:185], v[18:19] neg_lo:[0,0,1] neg_hi:[0,0,1]
	v_pk_fma_f32 v[2:3], v[2:3], v[184:185], v[18:19] op_sel_hi:[1,0,1]
	s_nop 0
	v_mov_b32_e32 v21, v3
	v_pk_add_f32 v[2:3], v[16:17], v[20:21]
	v_mov_b32_e32 v16, v187
	v_pk_mul_f32 v[16:17], v[4:5], v[16:17] op_sel:[1,0] op_sel_hi:[0,0]
	v_pk_fma_f32 v[18:19], v[4:5], v[186:187], v[16:17] neg_lo:[0,0,1] neg_hi:[0,0,1]
	v_pk_fma_f32 v[4:5], v[4:5], v[186:187], v[16:17] op_sel_hi:[1,0,1]
	s_nop 0
	v_mov_b32_e32 v19, v5
	s_waitcnt vmcnt(2) lgkmcnt(2)
	v_pk_mul_f32 v[4:5], v[6:7], v[188:189] op_sel:[1,1] op_sel_hi:[0,1]
	v_pk_fma_f32 v[16:17], v[6:7], v[188:189], v[4:5] neg_lo:[0,0,1] neg_hi:[0,0,1]
	v_pk_fma_f32 v[4:5], v[6:7], v[188:189], v[4:5] op_sel_hi:[1,0,1]
	v_pk_add_f32 v[2:3], v[2:3], v[18:19]
	v_mov_b32_e32 v4, v191
	v_mov_b32_e32 v17, v5
	v_pk_mul_f32 v[4:5], v[8:9], v[4:5] op_sel:[1,0] op_sel_hi:[0,0]
	v_pk_fma_f32 v[6:7], v[8:9], v[190:191], v[4:5] neg_lo:[0,0,1] neg_hi:[0,0,1]
	v_pk_fma_f32 v[4:5], v[8:9], v[190:191], v[4:5] op_sel_hi:[1,0,1]
	v_pk_add_f32 v[2:3], v[2:3], v[16:17]
	v_mov_b32_e32 v7, v5
	s_waitcnt vmcnt(1) lgkmcnt(1)
	v_pk_mul_f32 v[4:5], v[10:11], v[192:193] op_sel:[1,1] op_sel_hi:[0,1]
	v_pk_add_f32 v[2:3], v[2:3], v[6:7]
	v_pk_fma_f32 v[6:7], v[10:11], v[192:193], v[4:5] neg_lo:[0,0,1] neg_hi:[0,0,1]
	v_pk_fma_f32 v[4:5], v[10:11], v[192:193], v[4:5] op_sel_hi:[1,0,1]
	s_nop 0
	v_mov_b32_e32 v4, v195
	v_mov_b32_e32 v7, v5
	v_pk_mul_f32 v[4:5], v[12:13], v[4:5] op_sel:[1,0] op_sel_hi:[0,0]
	v_pk_add_f32 v[2:3], v[2:3], v[6:7]
	v_pk_fma_f32 v[6:7], v[12:13], v[194:195], v[4:5] neg_lo:[0,0,1] neg_hi:[0,0,1]
	v_pk_fma_f32 v[4:5], v[12:13], v[194:195], v[4:5] op_sel_hi:[1,0,1]
	s_nop 0
	v_mov_b32_e32 v7, v5
	s_waitcnt vmcnt(0) lgkmcnt(0)
	v_pk_mul_f32 v[4:5], v[14:15], v[162:163] op_sel:[1,1] op_sel_hi:[0,1]
	v_pk_add_f32 v[2:3], v[2:3], v[6:7]
	v_pk_fma_f32 v[6:7], v[14:15], v[162:163], v[4:5] neg_lo:[0,0,1] neg_hi:[0,0,1]
	v_pk_fma_f32 v[4:5], v[14:15], v[162:163], v[4:5] op_sel_hi:[1,0,1]
	s_nop 0
	v_mov_b32_e32 v7, v5
	scratch_load_dwordx2 v[4:5], off, off offset:144
	v_pk_add_f32 v[2:3], v[2:3], v[6:7]
	s_waitcnt vmcnt(0)
	v_pk_add_f32 v[2:3], v[4:5], v[2:3] neg_lo:[0,1] neg_hi:[0,1]
	scratch_store_dwordx2 off, v[2:3], off offset:144
	s_and_saveexec_b64 s[0:1], vcc
	s_cbranch_execz .LBB63_363
; %bb.362:
	scratch_load_dwordx2 v[2:3], off, off offset:136
	v_mov_b32_e32 v111, v110
	scratch_store_dwordx2 off, v[110:111], off offset:136
	s_waitcnt vmcnt(1)
	ds_write_b64 v1, v[2:3]
.LBB63_363:
	s_or_b64 exec, exec, s[0:1]
	s_waitcnt lgkmcnt(0)
	; wave barrier
	ds_read_b128 v[14:17], v110 offset:656
	ds_read_b128 v[10:13], v110 offset:672
	;; [unrolled: 1-line block ×4, first 2 shown]
	scratch_load_dwordx4 v[18:21], off, off offset:144
	scratch_load_dwordx4 v[38:41], off, off offset:208
	;; [unrolled: 1-line block ×13, first 2 shown]
	v_cmp_lt_u32_e32 vcc, 16, v0
	scratch_load_dwordx4 v[46:49], off, off offset:224
	scratch_load_dwordx4 v[54:57], off, off offset:240
	scratch_load_dwordx4 v[62:65], off, off offset:256
	s_waitcnt vmcnt(15) lgkmcnt(3)
	v_mul_f32_e32 v22, v14, v19
	v_fmac_f32_e32 v22, v15, v18
	v_mul_f32_e32 v23, v16, v21
	v_add_f32_e32 v22, 0, v22
	v_fmac_f32_e32 v23, v17, v20
	v_add_f32_e32 v26, v22, v23
	scratch_load_dwordx4 v[22:25], off, off offset:160
	v_mul_f32_e32 v15, v15, v19
	v_fma_f32 v14, v14, v18, -v15
	v_mul_f32_e32 v15, v17, v21
	v_add_f32_e32 v14, 0, v14
	v_fma_f32 v15, v16, v20, -v15
	v_add_f32_e32 v14, v14, v15
	s_waitcnt vmcnt(0) lgkmcnt(2)
	v_mul_f32_e32 v27, v10, v23
	v_fmac_f32_e32 v27, v11, v22
	v_add_f32_e32 v26, v26, v27
	v_mul_f32_e32 v27, v12, v25
	v_fmac_f32_e32 v27, v13, v24
	v_add_f32_e32 v30, v26, v27
	scratch_load_dwordx4 v[26:29], off, off offset:176
	v_mul_f32_e32 v11, v11, v23
	v_fma_f32 v10, v10, v22, -v11
	v_mul_f32_e32 v11, v13, v25
	v_add_f32_e32 v10, v14, v10
	v_fma_f32 v11, v12, v24, -v11
	v_add_f32_e32 v10, v10, v11
	s_waitcnt vmcnt(0) lgkmcnt(1)
	v_mul_f32_e32 v31, v6, v27
	v_fmac_f32_e32 v31, v7, v26
	v_add_f32_e32 v30, v30, v31
	v_mul_f32_e32 v31, v8, v29
	;; [unrolled: 14-line block ×3, first 2 shown]
	v_fmac_f32_e32 v35, v5, v32
	v_add_f32_e32 v42, v34, v35
	ds_read_b128 v[34:37], v110 offset:720
	v_mul_f32_e32 v3, v3, v31
	v_fma_f32 v2, v2, v30, -v3
	v_mul_f32_e32 v3, v5, v33
	v_add_f32_e32 v2, v6, v2
	s_waitcnt lgkmcnt(0)
	v_mul_f32_e32 v43, v34, v39
	v_fmac_f32_e32 v43, v35, v38
	v_add_f32_e32 v42, v42, v43
	v_mul_f32_e32 v43, v36, v41
	v_fmac_f32_e32 v43, v37, v40
	v_add_f32_e32 v50, v42, v43
	ds_read_b128 v[42:45], v110 offset:736
	v_fma_f32 v3, v4, v32, -v3
	v_add_f32_e32 v2, v2, v3
	v_mul_f32_e32 v3, v35, v39
	v_fma_f32 v3, v34, v38, -v3
	s_waitcnt lgkmcnt(0)
	v_mul_f32_e32 v51, v42, v47
	v_fmac_f32_e32 v51, v43, v46
	v_add_f32_e32 v50, v50, v51
	v_mul_f32_e32 v51, v44, v49
	v_fmac_f32_e32 v51, v45, v48
	v_add_f32_e32 v58, v50, v51
	ds_read_b128 v[50:53], v110 offset:752
	v_add_f32_e32 v2, v2, v3
	v_mul_f32_e32 v3, v37, v41
	v_fma_f32 v3, v36, v40, -v3
	v_add_f32_e32 v2, v2, v3
	s_waitcnt lgkmcnt(0)
	v_mul_f32_e32 v59, v50, v55
	v_fmac_f32_e32 v59, v51, v54
	v_add_f32_e32 v58, v58, v59
	v_mul_f32_e32 v59, v52, v57
	v_fmac_f32_e32 v59, v53, v56
	v_add_f32_e32 v66, v58, v59
	ds_read_b128 v[58:61], v110 offset:768
	v_mul_f32_e32 v3, v43, v47
	v_fma_f32 v3, v42, v46, -v3
	v_add_f32_e32 v2, v2, v3
	v_mul_f32_e32 v3, v45, v49
	s_waitcnt lgkmcnt(0)
	v_mul_f32_e32 v67, v58, v63
	v_fmac_f32_e32 v67, v59, v62
	v_add_f32_e32 v66, v66, v67
	v_mul_f32_e32 v67, v60, v65
	v_fmac_f32_e32 v67, v61, v64
	v_add_f32_e32 v74, v66, v67
	ds_read_b128 v[66:69], v110 offset:784
	v_fma_f32 v3, v44, v48, -v3
	v_add_f32_e32 v2, v2, v3
	v_mul_f32_e32 v3, v51, v55
	v_fma_f32 v3, v50, v54, -v3
	s_waitcnt lgkmcnt(0)
	v_mul_f32_e32 v75, v66, v71
	v_fmac_f32_e32 v75, v67, v70
	v_add_f32_e32 v74, v74, v75
	v_mul_f32_e32 v75, v68, v73
	v_fmac_f32_e32 v75, v69, v72
	v_add_f32_e32 v82, v74, v75
	ds_read_b128 v[74:77], v110 offset:800
	v_add_f32_e32 v2, v2, v3
	v_mul_f32_e32 v3, v53, v57
	v_fma_f32 v3, v52, v56, -v3
	v_add_f32_e32 v2, v2, v3
	s_waitcnt lgkmcnt(0)
	v_mul_f32_e32 v83, v74, v79
	v_fmac_f32_e32 v83, v75, v78
	v_add_f32_e32 v82, v82, v83
	v_mul_f32_e32 v83, v76, v81
	v_fmac_f32_e32 v83, v77, v80
	v_add_f32_e32 v90, v82, v83
	ds_read_b128 v[82:85], v110 offset:816
	v_mul_f32_e32 v3, v59, v63
	v_fma_f32 v3, v58, v62, -v3
	v_add_f32_e32 v2, v2, v3
	v_mul_f32_e32 v3, v61, v65
	;; [unrolled: 36-line block ×4, first 2 shown]
	s_waitcnt lgkmcnt(0)
	v_mul_f32_e32 v140, v132, v137
	v_fmac_f32_e32 v140, v133, v136
	v_add_f32_e32 v111, v111, v140
	v_mul_f32_e32 v140, v134, v139
	v_fmac_f32_e32 v140, v135, v138
	v_add_f32_e32 v111, v111, v140
	ds_read_b128 v[140:143], v110 offset:928
	v_fma_f32 v3, v92, v96, -v3
	v_add_f32_e32 v2, v2, v3
	v_mul_f32_e32 v3, v99, v103
	v_fma_f32 v3, v98, v102, -v3
	s_waitcnt lgkmcnt(0)
	v_mul_f32_e32 v148, v140, v145
	v_fmac_f32_e32 v148, v141, v144
	v_add_f32_e32 v111, v111, v148
	v_mul_f32_e32 v148, v142, v147
	v_fmac_f32_e32 v148, v143, v146
	v_add_f32_e32 v157, v111, v148
	ds_read_b128 v[148:151], v110 offset:944
	scratch_load_dwordx4 v[184:187], off, off offset:448
	scratch_load_dwordx4 v[188:191], off, off offset:464
	;; [unrolled: 1-line block ×4, first 2 shown]
	v_add_f32_e32 v2, v2, v3
	v_mul_f32_e32 v3, v101, v105
	v_fma_f32 v3, v100, v104, -v3
	v_add_f32_e32 v2, v2, v3
	v_mul_f32_e32 v3, v107, v113
	v_fma_f32 v3, v106, v112, -v3
	;; [unrolled: 3-line block ×11, first 2 shown]
	v_add_f32_e32 v156, v2, v3
	s_waitcnt lgkmcnt(0)
	v_mul_f32_e32 v2, v149, v153
	v_fma_f32 v158, v148, v152, -v2
	v_mul_f32_e32 v2, v151, v155
	v_fma_f32 v160, v150, v154, -v2
	ds_read_b128 v[2:5], v110 offset:960
	ds_read_b128 v[6:9], v110 offset:976
	ds_read_b128 v[10:13], v110 offset:992
	ds_read_b128 v[14:17], v110 offset:1008
	v_mul_f32_e32 v159, v148, v153
	v_fmac_f32_e32 v159, v149, v152
	v_mul_f32_e32 v161, v150, v155
	v_fmac_f32_e32 v161, v151, v154
	v_pk_add_f32 v[18:19], v[156:157], v[158:159]
	s_waitcnt vmcnt(3) lgkmcnt(3)
	v_pk_mul_f32 v[20:21], v[2:3], v[184:185] op_sel:[1,1] op_sel_hi:[0,1]
	v_pk_fma_f32 v[22:23], v[2:3], v[184:185], v[20:21] neg_lo:[0,0,1] neg_hi:[0,0,1]
	v_pk_fma_f32 v[2:3], v[2:3], v[184:185], v[20:21] op_sel_hi:[1,0,1]
	v_pk_add_f32 v[18:19], v[18:19], v[160:161]
	v_mov_b32_e32 v23, v3
	v_pk_add_f32 v[2:3], v[18:19], v[22:23]
	v_mov_b32_e32 v18, v187
	v_pk_mul_f32 v[18:19], v[4:5], v[18:19] op_sel:[1,0] op_sel_hi:[0,0]
	v_pk_fma_f32 v[20:21], v[4:5], v[186:187], v[18:19] neg_lo:[0,0,1] neg_hi:[0,0,1]
	v_pk_fma_f32 v[4:5], v[4:5], v[186:187], v[18:19] op_sel_hi:[1,0,1]
	s_nop 0
	v_mov_b32_e32 v21, v5
	s_waitcnt vmcnt(2) lgkmcnt(2)
	v_pk_mul_f32 v[4:5], v[6:7], v[188:189] op_sel:[1,1] op_sel_hi:[0,1]
	v_pk_fma_f32 v[18:19], v[6:7], v[188:189], v[4:5] neg_lo:[0,0,1] neg_hi:[0,0,1]
	v_pk_fma_f32 v[4:5], v[6:7], v[188:189], v[4:5] op_sel_hi:[1,0,1]
	v_pk_add_f32 v[2:3], v[2:3], v[20:21]
	v_mov_b32_e32 v4, v191
	v_mov_b32_e32 v19, v5
	v_pk_mul_f32 v[4:5], v[8:9], v[4:5] op_sel:[1,0] op_sel_hi:[0,0]
	v_pk_fma_f32 v[6:7], v[8:9], v[190:191], v[4:5] neg_lo:[0,0,1] neg_hi:[0,0,1]
	v_pk_fma_f32 v[4:5], v[8:9], v[190:191], v[4:5] op_sel_hi:[1,0,1]
	v_pk_add_f32 v[2:3], v[2:3], v[18:19]
	v_mov_b32_e32 v7, v5
	s_waitcnt vmcnt(1) lgkmcnt(1)
	v_pk_mul_f32 v[4:5], v[10:11], v[192:193] op_sel:[1,1] op_sel_hi:[0,1]
	v_pk_add_f32 v[2:3], v[2:3], v[6:7]
	v_pk_fma_f32 v[6:7], v[10:11], v[192:193], v[4:5] neg_lo:[0,0,1] neg_hi:[0,0,1]
	v_pk_fma_f32 v[4:5], v[10:11], v[192:193], v[4:5] op_sel_hi:[1,0,1]
	s_nop 0
	v_mov_b32_e32 v4, v195
	v_mov_b32_e32 v7, v5
	v_pk_mul_f32 v[4:5], v[12:13], v[4:5] op_sel:[1,0] op_sel_hi:[0,0]
	v_pk_add_f32 v[2:3], v[2:3], v[6:7]
	v_pk_fma_f32 v[6:7], v[12:13], v[194:195], v[4:5] neg_lo:[0,0,1] neg_hi:[0,0,1]
	v_pk_fma_f32 v[4:5], v[12:13], v[194:195], v[4:5] op_sel_hi:[1,0,1]
	s_nop 0
	v_mov_b32_e32 v7, v5
	s_waitcnt vmcnt(0) lgkmcnt(0)
	v_pk_mul_f32 v[4:5], v[14:15], v[196:197] op_sel:[1,1] op_sel_hi:[0,1]
	v_pk_add_f32 v[2:3], v[2:3], v[6:7]
	v_pk_fma_f32 v[6:7], v[14:15], v[196:197], v[4:5] neg_lo:[0,0,1] neg_hi:[0,0,1]
	v_pk_fma_f32 v[4:5], v[14:15], v[196:197], v[4:5] op_sel_hi:[1,0,1]
	s_nop 0
	v_mov_b32_e32 v4, v199
	v_mov_b32_e32 v7, v5
	v_pk_mul_f32 v[4:5], v[16:17], v[4:5] op_sel:[1,0] op_sel_hi:[0,0]
	v_pk_add_f32 v[2:3], v[2:3], v[6:7]
	v_pk_fma_f32 v[6:7], v[16:17], v[198:199], v[4:5] neg_lo:[0,0,1] neg_hi:[0,0,1]
	v_pk_fma_f32 v[4:5], v[16:17], v[198:199], v[4:5] op_sel_hi:[1,0,1]
	s_nop 0
	v_mov_b32_e32 v7, v5
	scratch_load_dwordx2 v[4:5], off, off offset:136
	v_pk_add_f32 v[2:3], v[2:3], v[6:7]
	s_waitcnt vmcnt(0)
	v_pk_add_f32 v[2:3], v[4:5], v[2:3] neg_lo:[0,1] neg_hi:[0,1]
	scratch_store_dwordx2 off, v[2:3], off offset:136
	s_and_saveexec_b64 s[0:1], vcc
	s_cbranch_execz .LBB63_365
; %bb.364:
	scratch_load_dwordx2 v[2:3], off, off offset:128
	v_mov_b32_e32 v4, 0
	v_mov_b32_e32 v5, v4
	scratch_store_dwordx2 off, v[4:5], off offset:128
	s_waitcnt vmcnt(1)
	ds_write_b64 v1, v[2:3]
.LBB63_365:
	s_or_b64 exec, exec, s[0:1]
	s_waitcnt lgkmcnt(0)
	; wave barrier
	scratch_load_dwordx4 v[6:9], off, off offset:136
	scratch_load_dwordx4 v[14:17], off, off offset:152
	scratch_load_dwordx4 v[22:25], off, off offset:168
	scratch_load_dwordx4 v[30:33], off, off offset:184
	scratch_load_dwordx4 v[38:41], off, off offset:200
	scratch_load_dwordx4 v[46:49], off, off offset:216
	scratch_load_dwordx4 v[54:57], off, off offset:232
	scratch_load_dwordx4 v[62:65], off, off offset:248
	scratch_load_dwordx4 v[70:73], off, off offset:264
	scratch_load_dwordx4 v[78:81], off, off offset:280
	v_mov_b32_e32 v118, 0
	ds_read2_b64 v[2:5], v118 offset0:81 offset1:82
	ds_read2_b64 v[184:187], v118 offset0:119 offset1:120
	scratch_load_dwordx4 v[86:89], off, off offset:296
	scratch_load_dwordx4 v[94:97], off, off offset:312
	scratch_load_dwordx4 v[102:105], off, off offset:328
	scratch_load_dwordx4 v[110:113], off, off offset:344
	scratch_load_dwordx4 v[120:123], off, off offset:360
	scratch_load_dwordx4 v[128:131], off, off offset:376
	scratch_load_dwordx4 v[136:139], off, off offset:392
	scratch_load_dwordx4 v[144:147], off, off offset:408
	scratch_load_dwordx4 v[152:155], off, off offset:424
	scratch_load_dwordx4 v[188:191], off, off offset:440
	v_cmp_lt_u32_e32 vcc, 15, v0
	s_waitcnt vmcnt(19) lgkmcnt(1)
	v_mul_f32_e32 v10, v2, v7
	v_fmac_f32_e32 v10, v3, v6
	v_mul_f32_e32 v11, v4, v9
	v_add_f32_e32 v10, 0, v10
	v_fmac_f32_e32 v11, v5, v8
	v_add_f32_e32 v18, v10, v11
	ds_read2_b64 v[10:13], v118 offset0:83 offset1:84
	v_mul_f32_e32 v3, v3, v7
	v_fma_f32 v2, v2, v6, -v3
	v_mul_f32_e32 v3, v5, v9
	v_add_f32_e32 v2, 0, v2
	s_waitcnt vmcnt(18) lgkmcnt(0)
	v_mul_f32_e32 v19, v10, v15
	v_fmac_f32_e32 v19, v11, v14
	v_add_f32_e32 v18, v18, v19
	v_mul_f32_e32 v19, v12, v17
	v_fmac_f32_e32 v19, v13, v16
	v_add_f32_e32 v26, v18, v19
	ds_read2_b64 v[18:21], v118 offset0:85 offset1:86
	v_fma_f32 v3, v4, v8, -v3
	v_add_f32_e32 v2, v2, v3
	v_mul_f32_e32 v3, v11, v15
	v_fma_f32 v3, v10, v14, -v3
	s_waitcnt vmcnt(17) lgkmcnt(0)
	v_mul_f32_e32 v27, v18, v23
	v_fmac_f32_e32 v27, v19, v22
	v_add_f32_e32 v26, v26, v27
	v_mul_f32_e32 v27, v20, v25
	v_fmac_f32_e32 v27, v21, v24
	v_add_f32_e32 v34, v26, v27
	ds_read2_b64 v[26:29], v118 offset0:87 offset1:88
	v_add_f32_e32 v2, v2, v3
	v_mul_f32_e32 v3, v13, v17
	v_fma_f32 v3, v12, v16, -v3
	v_add_f32_e32 v2, v2, v3
	s_waitcnt vmcnt(16) lgkmcnt(0)
	v_mul_f32_e32 v35, v26, v31
	v_fmac_f32_e32 v35, v27, v30
	v_add_f32_e32 v34, v34, v35
	v_mul_f32_e32 v35, v28, v33
	v_fmac_f32_e32 v35, v29, v32
	v_add_f32_e32 v42, v34, v35
	ds_read2_b64 v[34:37], v118 offset0:89 offset1:90
	v_mul_f32_e32 v3, v19, v23
	v_fma_f32 v3, v18, v22, -v3
	v_add_f32_e32 v2, v2, v3
	v_mul_f32_e32 v3, v21, v25
	s_waitcnt vmcnt(15) lgkmcnt(0)
	v_mul_f32_e32 v43, v34, v39
	v_fmac_f32_e32 v43, v35, v38
	v_add_f32_e32 v42, v42, v43
	v_mul_f32_e32 v43, v36, v41
	v_fmac_f32_e32 v43, v37, v40
	v_add_f32_e32 v50, v42, v43
	ds_read2_b64 v[42:45], v118 offset0:91 offset1:92
	v_fma_f32 v3, v20, v24, -v3
	v_add_f32_e32 v2, v2, v3
	v_mul_f32_e32 v3, v27, v31
	v_fma_f32 v3, v26, v30, -v3
	s_waitcnt vmcnt(14) lgkmcnt(0)
	v_mul_f32_e32 v51, v42, v47
	v_fmac_f32_e32 v51, v43, v46
	v_add_f32_e32 v50, v50, v51
	v_mul_f32_e32 v51, v44, v49
	v_fmac_f32_e32 v51, v45, v48
	v_add_f32_e32 v58, v50, v51
	ds_read2_b64 v[50:53], v118 offset0:93 offset1:94
	v_add_f32_e32 v2, v2, v3
	v_mul_f32_e32 v3, v29, v33
	v_fma_f32 v3, v28, v32, -v3
	v_add_f32_e32 v2, v2, v3
	s_waitcnt vmcnt(13) lgkmcnt(0)
	v_mul_f32_e32 v59, v50, v55
	v_fmac_f32_e32 v59, v51, v54
	v_add_f32_e32 v58, v58, v59
	v_mul_f32_e32 v59, v52, v57
	v_fmac_f32_e32 v59, v53, v56
	v_add_f32_e32 v66, v58, v59
	ds_read2_b64 v[58:61], v118 offset0:95 offset1:96
	v_mul_f32_e32 v3, v35, v39
	v_fma_f32 v3, v34, v38, -v3
	v_add_f32_e32 v2, v2, v3
	v_mul_f32_e32 v3, v37, v41
	;; [unrolled: 36-line block ×5, first 2 shown]
	s_waitcnt vmcnt(3) lgkmcnt(0)
	v_mul_f32_e32 v140, v132, v137
	v_fmac_f32_e32 v140, v133, v136
	v_add_f32_e32 v119, v119, v140
	v_mul_f32_e32 v140, v134, v139
	v_fmac_f32_e32 v140, v135, v138
	v_add_f32_e32 v119, v119, v140
	ds_read2_b64 v[140:143], v118 offset0:115 offset1:116
	v_fma_f32 v3, v84, v88, -v3
	v_add_f32_e32 v2, v2, v3
	v_mul_f32_e32 v3, v91, v95
	v_fma_f32 v3, v90, v94, -v3
	s_waitcnt vmcnt(2) lgkmcnt(0)
	v_mul_f32_e32 v148, v140, v145
	v_fmac_f32_e32 v148, v141, v144
	v_add_f32_e32 v119, v119, v148
	v_mul_f32_e32 v148, v142, v147
	v_fmac_f32_e32 v148, v143, v146
	v_add_f32_e32 v119, v119, v148
	ds_read2_b64 v[148:151], v118 offset0:117 offset1:118
	scratch_load_dwordx4 v[192:195], off, off offset:456
	scratch_load_dwordx4 v[196:199], off, off offset:472
	;; [unrolled: 1-line block ×3, first 2 shown]
	scratch_load_dwordx2 v[162:163], off, off offset:504
	v_add_f32_e32 v2, v2, v3
	v_mul_f32_e32 v3, v93, v97
	v_fma_f32 v3, v92, v96, -v3
	v_add_f32_e32 v2, v2, v3
	v_mul_f32_e32 v3, v99, v103
	v_fma_f32 v3, v98, v102, -v3
	v_add_f32_e32 v2, v2, v3
	v_mul_f32_e32 v3, v101, v105
	v_fma_f32 v3, v100, v104, -v3
	v_add_f32_e32 v2, v2, v3
	v_mul_f32_e32 v3, v107, v111
	v_fma_f32 v3, v106, v110, -v3
	v_add_f32_e32 v2, v2, v3
	v_mul_f32_e32 v3, v109, v113
	v_fma_f32 v3, v108, v112, -v3
	v_add_f32_e32 v2, v2, v3
	v_mul_f32_e32 v3, v115, v121
	v_fma_f32 v3, v114, v120, -v3
	v_add_f32_e32 v2, v2, v3
	v_mul_f32_e32 v3, v117, v123
	v_fma_f32 v3, v116, v122, -v3
	v_add_f32_e32 v2, v2, v3
	v_mul_f32_e32 v3, v125, v129
	v_fma_f32 v3, v124, v128, -v3
	v_add_f32_e32 v2, v2, v3
	v_mul_f32_e32 v3, v127, v131
	v_fma_f32 v3, v126, v130, -v3
	v_add_f32_e32 v2, v2, v3
	v_mul_f32_e32 v3, v133, v137
	v_fma_f32 v3, v132, v136, -v3
	v_add_f32_e32 v2, v2, v3
	v_mul_f32_e32 v3, v135, v139
	v_fma_f32 v3, v134, v138, -v3
	v_add_f32_e32 v2, v2, v3
	v_mul_f32_e32 v3, v141, v145
	v_fma_f32 v3, v140, v144, -v3
	v_add_f32_e32 v2, v2, v3
	v_mul_f32_e32 v3, v143, v147
	v_fma_f32 v3, v142, v146, -v3
	s_waitcnt vmcnt(5) lgkmcnt(0)
	v_mul_f32_e32 v156, v148, v153
	v_add_f32_e32 v2, v2, v3
	v_mul_f32_e32 v3, v149, v153
	v_fmac_f32_e32 v156, v149, v152
	v_fma_f32 v3, v148, v152, -v3
	v_add_f32_e32 v157, v119, v156
	v_add_f32_e32 v156, v2, v3
	v_mul_f32_e32 v2, v151, v155
	v_mul_f32_e32 v159, v150, v155
	v_fma_f32 v158, v150, v154, -v2
	s_waitcnt vmcnt(4)
	v_mul_f32_e32 v2, v185, v189
	v_mov_b32_e32 v18, v191
	v_fmac_f32_e32 v159, v151, v154
	v_mul_f32_e32 v161, v184, v189
	v_fma_f32 v160, v184, v188, -v2
	ds_read2_b64 v[2:5], v118 offset0:121 offset1:122
	ds_read2_b64 v[6:9], v118 offset0:123 offset1:124
	;; [unrolled: 1-line block ×3, first 2 shown]
	ds_read_b64 v[14:15], v118 offset:1016
	v_pk_mul_f32 v[18:19], v[186:187], v[18:19] op_sel:[1,0] op_sel_hi:[0,0]
	v_fmac_f32_e32 v161, v185, v188
	v_pk_add_f32 v[16:17], v[156:157], v[158:159]
	v_pk_fma_f32 v[20:21], v[186:187], v[190:191], v[18:19] neg_lo:[0,0,1] neg_hi:[0,0,1]
	v_pk_fma_f32 v[18:19], v[186:187], v[190:191], v[18:19] op_sel_hi:[1,0,1]
	v_pk_add_f32 v[16:17], v[16:17], v[160:161]
	v_mov_b32_e32 v21, v19
	v_pk_add_f32 v[16:17], v[16:17], v[20:21]
	s_waitcnt vmcnt(3) lgkmcnt(3)
	v_pk_mul_f32 v[18:19], v[2:3], v[192:193] op_sel:[1,1] op_sel_hi:[0,1]
	v_pk_fma_f32 v[20:21], v[2:3], v[192:193], v[18:19] neg_lo:[0,0,1] neg_hi:[0,0,1]
	v_pk_fma_f32 v[2:3], v[2:3], v[192:193], v[18:19] op_sel_hi:[1,0,1]
	s_nop 0
	v_mov_b32_e32 v21, v3
	v_pk_add_f32 v[2:3], v[16:17], v[20:21]
	v_mov_b32_e32 v16, v195
	v_pk_mul_f32 v[16:17], v[4:5], v[16:17] op_sel:[1,0] op_sel_hi:[0,0]
	v_pk_fma_f32 v[18:19], v[4:5], v[194:195], v[16:17] neg_lo:[0,0,1] neg_hi:[0,0,1]
	v_pk_fma_f32 v[4:5], v[4:5], v[194:195], v[16:17] op_sel_hi:[1,0,1]
	s_nop 0
	v_mov_b32_e32 v19, v5
	s_waitcnt vmcnt(2) lgkmcnt(2)
	v_pk_mul_f32 v[4:5], v[6:7], v[196:197] op_sel:[1,1] op_sel_hi:[0,1]
	v_pk_fma_f32 v[16:17], v[6:7], v[196:197], v[4:5] neg_lo:[0,0,1] neg_hi:[0,0,1]
	v_pk_fma_f32 v[4:5], v[6:7], v[196:197], v[4:5] op_sel_hi:[1,0,1]
	v_pk_add_f32 v[2:3], v[2:3], v[18:19]
	v_mov_b32_e32 v4, v199
	v_mov_b32_e32 v17, v5
	v_pk_mul_f32 v[4:5], v[8:9], v[4:5] op_sel:[1,0] op_sel_hi:[0,0]
	v_pk_fma_f32 v[6:7], v[8:9], v[198:199], v[4:5] neg_lo:[0,0,1] neg_hi:[0,0,1]
	v_pk_fma_f32 v[4:5], v[8:9], v[198:199], v[4:5] op_sel_hi:[1,0,1]
	v_pk_add_f32 v[2:3], v[2:3], v[16:17]
	v_mov_b32_e32 v7, v5
	s_waitcnt vmcnt(1) lgkmcnt(1)
	v_pk_mul_f32 v[4:5], v[10:11], v[200:201] op_sel:[1,1] op_sel_hi:[0,1]
	v_pk_add_f32 v[2:3], v[2:3], v[6:7]
	v_pk_fma_f32 v[6:7], v[10:11], v[200:201], v[4:5] neg_lo:[0,0,1] neg_hi:[0,0,1]
	v_pk_fma_f32 v[4:5], v[10:11], v[200:201], v[4:5] op_sel_hi:[1,0,1]
	s_nop 0
	v_mov_b32_e32 v4, v203
	v_mov_b32_e32 v7, v5
	v_pk_mul_f32 v[4:5], v[12:13], v[4:5] op_sel:[1,0] op_sel_hi:[0,0]
	v_pk_add_f32 v[2:3], v[2:3], v[6:7]
	v_pk_fma_f32 v[6:7], v[12:13], v[202:203], v[4:5] neg_lo:[0,0,1] neg_hi:[0,0,1]
	v_pk_fma_f32 v[4:5], v[12:13], v[202:203], v[4:5] op_sel_hi:[1,0,1]
	s_nop 0
	v_mov_b32_e32 v7, v5
	s_waitcnt vmcnt(0) lgkmcnt(0)
	v_pk_mul_f32 v[4:5], v[14:15], v[162:163] op_sel:[1,1] op_sel_hi:[0,1]
	v_pk_add_f32 v[2:3], v[2:3], v[6:7]
	v_pk_fma_f32 v[6:7], v[14:15], v[162:163], v[4:5] neg_lo:[0,0,1] neg_hi:[0,0,1]
	v_pk_fma_f32 v[4:5], v[14:15], v[162:163], v[4:5] op_sel_hi:[1,0,1]
	s_nop 0
	v_mov_b32_e32 v7, v5
	scratch_load_dwordx2 v[4:5], off, off offset:128
	v_pk_add_f32 v[2:3], v[2:3], v[6:7]
	s_waitcnt vmcnt(0)
	v_pk_add_f32 v[2:3], v[4:5], v[2:3] neg_lo:[0,1] neg_hi:[0,1]
	scratch_store_dwordx2 off, v[2:3], off offset:128
	s_and_saveexec_b64 s[0:1], vcc
	s_cbranch_execz .LBB63_367
; %bb.366:
	scratch_load_dwordx2 v[2:3], off, off offset:120
	v_mov_b32_e32 v119, v118
	scratch_store_dwordx2 off, v[118:119], off offset:120
	s_waitcnt vmcnt(1)
	ds_write_b64 v1, v[2:3]
.LBB63_367:
	s_or_b64 exec, exec, s[0:1]
	s_waitcnt lgkmcnt(0)
	; wave barrier
	ds_read_b128 v[14:17], v118 offset:640
	ds_read_b128 v[10:13], v118 offset:656
	;; [unrolled: 1-line block ×4, first 2 shown]
	scratch_load_dwordx4 v[18:21], off, off offset:128
	scratch_load_dwordx4 v[38:41], off, off offset:192
	;; [unrolled: 1-line block ×14, first 2 shown]
	v_cmp_lt_u32_e32 vcc, 14, v0
	scratch_load_dwordx4 v[46:49], off, off offset:208
	scratch_load_dwordx4 v[54:57], off, off offset:224
	;; [unrolled: 1-line block ×3, first 2 shown]
	ds_read_b128 v[184:187], v118 offset:944
	s_waitcnt vmcnt(16) lgkmcnt(4)
	v_mul_f32_e32 v22, v14, v19
	v_fmac_f32_e32 v22, v15, v18
	v_mul_f32_e32 v23, v16, v21
	v_add_f32_e32 v22, 0, v22
	v_fmac_f32_e32 v23, v17, v20
	v_add_f32_e32 v26, v22, v23
	scratch_load_dwordx4 v[22:25], off, off offset:144
	v_mul_f32_e32 v15, v15, v19
	v_fma_f32 v14, v14, v18, -v15
	v_mul_f32_e32 v15, v17, v21
	v_add_f32_e32 v14, 0, v14
	v_fma_f32 v15, v16, v20, -v15
	v_add_f32_e32 v14, v14, v15
	s_waitcnt vmcnt(4) lgkmcnt(0)
	v_mul_f32_e32 v159, v184, v189
	v_mul_f32_e32 v161, v186, v191
	v_fmac_f32_e32 v159, v185, v188
	v_fmac_f32_e32 v161, v187, v190
	s_waitcnt vmcnt(0)
	v_mul_f32_e32 v27, v10, v23
	v_fmac_f32_e32 v27, v11, v22
	v_add_f32_e32 v26, v26, v27
	v_mul_f32_e32 v27, v12, v25
	v_fmac_f32_e32 v27, v13, v24
	v_add_f32_e32 v30, v26, v27
	scratch_load_dwordx4 v[26:29], off, off offset:160
	v_mul_f32_e32 v11, v11, v23
	v_fma_f32 v10, v10, v22, -v11
	v_mul_f32_e32 v11, v13, v25
	v_add_f32_e32 v10, v14, v10
	v_fma_f32 v11, v12, v24, -v11
	v_add_f32_e32 v10, v10, v11
	s_waitcnt vmcnt(0)
	v_mul_f32_e32 v31, v6, v27
	v_fmac_f32_e32 v31, v7, v26
	v_add_f32_e32 v30, v30, v31
	v_mul_f32_e32 v31, v8, v29
	v_fmac_f32_e32 v31, v9, v28
	v_add_f32_e32 v34, v30, v31
	scratch_load_dwordx4 v[30:33], off, off offset:176
	v_mul_f32_e32 v7, v7, v27
	v_fma_f32 v6, v6, v26, -v7
	v_mul_f32_e32 v7, v9, v29
	v_add_f32_e32 v6, v10, v6
	v_fma_f32 v7, v8, v28, -v7
	v_add_f32_e32 v6, v6, v7
	s_waitcnt vmcnt(0)
	v_mul_f32_e32 v35, v2, v31
	v_fmac_f32_e32 v35, v3, v30
	v_add_f32_e32 v34, v34, v35
	v_mul_f32_e32 v35, v4, v33
	v_fmac_f32_e32 v35, v5, v32
	v_add_f32_e32 v42, v34, v35
	ds_read_b128 v[34:37], v118 offset:704
	v_mul_f32_e32 v3, v3, v31
	v_fma_f32 v2, v2, v30, -v3
	v_mul_f32_e32 v3, v5, v33
	v_add_f32_e32 v2, v6, v2
	s_waitcnt lgkmcnt(0)
	v_mul_f32_e32 v43, v34, v39
	v_fmac_f32_e32 v43, v35, v38
	v_add_f32_e32 v42, v42, v43
	v_mul_f32_e32 v43, v36, v41
	v_fmac_f32_e32 v43, v37, v40
	v_add_f32_e32 v50, v42, v43
	ds_read_b128 v[42:45], v118 offset:720
	v_fma_f32 v3, v4, v32, -v3
	v_add_f32_e32 v2, v2, v3
	v_mul_f32_e32 v3, v35, v39
	v_fma_f32 v3, v34, v38, -v3
	s_waitcnt lgkmcnt(0)
	v_mul_f32_e32 v51, v42, v47
	v_fmac_f32_e32 v51, v43, v46
	v_add_f32_e32 v50, v50, v51
	v_mul_f32_e32 v51, v44, v49
	v_fmac_f32_e32 v51, v45, v48
	v_add_f32_e32 v58, v50, v51
	ds_read_b128 v[50:53], v118 offset:736
	v_add_f32_e32 v2, v2, v3
	v_mul_f32_e32 v3, v37, v41
	v_fma_f32 v3, v36, v40, -v3
	v_add_f32_e32 v2, v2, v3
	s_waitcnt lgkmcnt(0)
	v_mul_f32_e32 v59, v50, v55
	v_fmac_f32_e32 v59, v51, v54
	v_add_f32_e32 v58, v58, v59
	v_mul_f32_e32 v59, v52, v57
	v_fmac_f32_e32 v59, v53, v56
	v_add_f32_e32 v66, v58, v59
	ds_read_b128 v[58:61], v118 offset:752
	v_mul_f32_e32 v3, v43, v47
	v_fma_f32 v3, v42, v46, -v3
	v_add_f32_e32 v2, v2, v3
	v_mul_f32_e32 v3, v45, v49
	s_waitcnt lgkmcnt(0)
	v_mul_f32_e32 v67, v58, v63
	v_fmac_f32_e32 v67, v59, v62
	v_add_f32_e32 v66, v66, v67
	v_mul_f32_e32 v67, v60, v65
	v_fmac_f32_e32 v67, v61, v64
	v_add_f32_e32 v74, v66, v67
	ds_read_b128 v[66:69], v118 offset:768
	v_fma_f32 v3, v44, v48, -v3
	v_add_f32_e32 v2, v2, v3
	v_mul_f32_e32 v3, v51, v55
	v_fma_f32 v3, v50, v54, -v3
	s_waitcnt lgkmcnt(0)
	v_mul_f32_e32 v75, v66, v71
	v_fmac_f32_e32 v75, v67, v70
	v_add_f32_e32 v74, v74, v75
	v_mul_f32_e32 v75, v68, v73
	v_fmac_f32_e32 v75, v69, v72
	v_add_f32_e32 v82, v74, v75
	ds_read_b128 v[74:77], v118 offset:784
	v_add_f32_e32 v2, v2, v3
	v_mul_f32_e32 v3, v53, v57
	v_fma_f32 v3, v52, v56, -v3
	v_add_f32_e32 v2, v2, v3
	s_waitcnt lgkmcnt(0)
	v_mul_f32_e32 v83, v74, v79
	v_fmac_f32_e32 v83, v75, v78
	v_add_f32_e32 v82, v82, v83
	v_mul_f32_e32 v83, v76, v81
	v_fmac_f32_e32 v83, v77, v80
	v_add_f32_e32 v90, v82, v83
	ds_read_b128 v[82:85], v118 offset:800
	v_mul_f32_e32 v3, v59, v63
	v_fma_f32 v3, v58, v62, -v3
	v_add_f32_e32 v2, v2, v3
	v_mul_f32_e32 v3, v61, v65
	s_waitcnt lgkmcnt(0)
	v_mul_f32_e32 v91, v82, v87
	v_fmac_f32_e32 v91, v83, v86
	v_add_f32_e32 v90, v90, v91
	v_mul_f32_e32 v91, v84, v89
	v_fmac_f32_e32 v91, v85, v88
	v_add_f32_e32 v98, v90, v91
	ds_read_b128 v[90:93], v118 offset:816
	v_fma_f32 v3, v60, v64, -v3
	v_add_f32_e32 v2, v2, v3
	v_mul_f32_e32 v3, v67, v71
	v_fma_f32 v3, v66, v70, -v3
	s_waitcnt lgkmcnt(0)
	v_mul_f32_e32 v99, v90, v95
	v_fmac_f32_e32 v99, v91, v94
	v_add_f32_e32 v98, v98, v99
	v_mul_f32_e32 v99, v92, v97
	v_fmac_f32_e32 v99, v93, v96
	v_add_f32_e32 v106, v98, v99
	ds_read_b128 v[98:101], v118 offset:832
	v_add_f32_e32 v2, v2, v3
	v_mul_f32_e32 v3, v69, v73
	v_fma_f32 v3, v68, v72, -v3
	v_add_f32_e32 v2, v2, v3
	s_waitcnt lgkmcnt(0)
	v_mul_f32_e32 v107, v98, v103
	v_fmac_f32_e32 v107, v99, v102
	v_add_f32_e32 v106, v106, v107
	v_mul_f32_e32 v107, v100, v105
	v_fmac_f32_e32 v107, v101, v104
	v_add_f32_e32 v114, v106, v107
	ds_read_b128 v[106:109], v118 offset:848
	v_mul_f32_e32 v3, v75, v79
	v_fma_f32 v3, v74, v78, -v3
	v_add_f32_e32 v2, v2, v3
	v_mul_f32_e32 v3, v77, v81
	s_waitcnt lgkmcnt(0)
	v_mul_f32_e32 v115, v106, v111
	v_fmac_f32_e32 v115, v107, v110
	v_add_f32_e32 v114, v114, v115
	v_mul_f32_e32 v115, v108, v113
	v_fmac_f32_e32 v115, v109, v112
	v_add_f32_e32 v119, v114, v115
	ds_read_b128 v[114:117], v118 offset:864
	v_fma_f32 v3, v76, v80, -v3
	v_add_f32_e32 v2, v2, v3
	v_mul_f32_e32 v3, v83, v87
	v_fma_f32 v3, v82, v86, -v3
	s_waitcnt lgkmcnt(0)
	v_mul_f32_e32 v124, v114, v121
	v_fmac_f32_e32 v124, v115, v120
	v_add_f32_e32 v119, v119, v124
	v_mul_f32_e32 v124, v116, v123
	v_fmac_f32_e32 v124, v117, v122
	v_add_f32_e32 v119, v119, v124
	ds_read_b128 v[124:127], v118 offset:880
	v_add_f32_e32 v2, v2, v3
	v_mul_f32_e32 v3, v85, v89
	v_fma_f32 v3, v84, v88, -v3
	v_add_f32_e32 v2, v2, v3
	s_waitcnt lgkmcnt(0)
	v_mul_f32_e32 v132, v124, v129
	v_fmac_f32_e32 v132, v125, v128
	v_add_f32_e32 v119, v119, v132
	v_mul_f32_e32 v132, v126, v131
	v_fmac_f32_e32 v132, v127, v130
	v_add_f32_e32 v119, v119, v132
	ds_read_b128 v[132:135], v118 offset:896
	v_mul_f32_e32 v3, v91, v95
	v_fma_f32 v3, v90, v94, -v3
	v_add_f32_e32 v2, v2, v3
	v_mul_f32_e32 v3, v93, v97
	s_waitcnt lgkmcnt(0)
	v_mul_f32_e32 v140, v132, v137
	v_fmac_f32_e32 v140, v133, v136
	v_add_f32_e32 v119, v119, v140
	v_mul_f32_e32 v140, v134, v139
	v_fmac_f32_e32 v140, v135, v138
	v_add_f32_e32 v119, v119, v140
	ds_read_b128 v[140:143], v118 offset:912
	v_fma_f32 v3, v92, v96, -v3
	v_add_f32_e32 v2, v2, v3
	v_mul_f32_e32 v3, v99, v103
	v_fma_f32 v3, v98, v102, -v3
	s_waitcnt lgkmcnt(0)
	v_mul_f32_e32 v148, v140, v145
	v_fmac_f32_e32 v148, v141, v144
	v_add_f32_e32 v119, v119, v148
	v_mul_f32_e32 v148, v142, v147
	v_fmac_f32_e32 v148, v143, v146
	v_add_f32_e32 v119, v119, v148
	ds_read_b128 v[148:151], v118 offset:928
	scratch_load_dwordx4 v[192:195], off, off offset:448
	scratch_load_dwordx4 v[196:199], off, off offset:464
	;; [unrolled: 1-line block ×4, first 2 shown]
	v_add_f32_e32 v2, v2, v3
	v_mul_f32_e32 v3, v101, v105
	v_fma_f32 v3, v100, v104, -v3
	v_add_f32_e32 v2, v2, v3
	v_mul_f32_e32 v3, v107, v111
	v_fma_f32 v3, v106, v110, -v3
	;; [unrolled: 3-line block ×11, first 2 shown]
	s_waitcnt lgkmcnt(0)
	v_mul_f32_e32 v156, v148, v153
	v_add_f32_e32 v2, v2, v3
	v_mul_f32_e32 v3, v149, v153
	v_fmac_f32_e32 v156, v149, v152
	v_fma_f32 v3, v148, v152, -v3
	v_add_f32_e32 v119, v119, v156
	v_mul_f32_e32 v156, v150, v155
	v_add_f32_e32 v2, v2, v3
	v_mul_f32_e32 v3, v151, v155
	v_fmac_f32_e32 v156, v151, v154
	v_fma_f32 v3, v150, v154, -v3
	v_add_f32_e32 v157, v119, v156
	v_add_f32_e32 v156, v2, v3
	v_mul_f32_e32 v2, v185, v189
	v_fma_f32 v158, v184, v188, -v2
	v_mul_f32_e32 v2, v187, v191
	v_fma_f32 v160, v186, v190, -v2
	ds_read_b128 v[2:5], v118 offset:960
	ds_read_b128 v[6:9], v118 offset:976
	;; [unrolled: 1-line block ×4, first 2 shown]
	v_pk_add_f32 v[18:19], v[156:157], v[158:159]
	s_waitcnt vmcnt(3) lgkmcnt(3)
	v_pk_mul_f32 v[20:21], v[2:3], v[192:193] op_sel:[1,1] op_sel_hi:[0,1]
	v_pk_fma_f32 v[22:23], v[2:3], v[192:193], v[20:21] neg_lo:[0,0,1] neg_hi:[0,0,1]
	v_pk_fma_f32 v[2:3], v[2:3], v[192:193], v[20:21] op_sel_hi:[1,0,1]
	v_pk_add_f32 v[18:19], v[18:19], v[160:161]
	v_mov_b32_e32 v23, v3
	v_pk_add_f32 v[2:3], v[18:19], v[22:23]
	v_mov_b32_e32 v18, v195
	v_pk_mul_f32 v[18:19], v[4:5], v[18:19] op_sel:[1,0] op_sel_hi:[0,0]
	v_pk_fma_f32 v[20:21], v[4:5], v[194:195], v[18:19] neg_lo:[0,0,1] neg_hi:[0,0,1]
	v_pk_fma_f32 v[4:5], v[4:5], v[194:195], v[18:19] op_sel_hi:[1,0,1]
	s_nop 0
	v_mov_b32_e32 v21, v5
	s_waitcnt vmcnt(2) lgkmcnt(2)
	v_pk_mul_f32 v[4:5], v[6:7], v[196:197] op_sel:[1,1] op_sel_hi:[0,1]
	v_pk_fma_f32 v[18:19], v[6:7], v[196:197], v[4:5] neg_lo:[0,0,1] neg_hi:[0,0,1]
	v_pk_fma_f32 v[4:5], v[6:7], v[196:197], v[4:5] op_sel_hi:[1,0,1]
	v_pk_add_f32 v[2:3], v[2:3], v[20:21]
	v_mov_b32_e32 v4, v199
	v_mov_b32_e32 v19, v5
	v_pk_mul_f32 v[4:5], v[8:9], v[4:5] op_sel:[1,0] op_sel_hi:[0,0]
	v_pk_fma_f32 v[6:7], v[8:9], v[198:199], v[4:5] neg_lo:[0,0,1] neg_hi:[0,0,1]
	v_pk_fma_f32 v[4:5], v[8:9], v[198:199], v[4:5] op_sel_hi:[1,0,1]
	v_pk_add_f32 v[2:3], v[2:3], v[18:19]
	v_mov_b32_e32 v7, v5
	s_waitcnt vmcnt(1) lgkmcnt(1)
	v_pk_mul_f32 v[4:5], v[10:11], v[200:201] op_sel:[1,1] op_sel_hi:[0,1]
	v_pk_add_f32 v[2:3], v[2:3], v[6:7]
	v_pk_fma_f32 v[6:7], v[10:11], v[200:201], v[4:5] neg_lo:[0,0,1] neg_hi:[0,0,1]
	v_pk_fma_f32 v[4:5], v[10:11], v[200:201], v[4:5] op_sel_hi:[1,0,1]
	s_nop 0
	v_mov_b32_e32 v4, v203
	v_mov_b32_e32 v7, v5
	v_pk_mul_f32 v[4:5], v[12:13], v[4:5] op_sel:[1,0] op_sel_hi:[0,0]
	v_pk_add_f32 v[2:3], v[2:3], v[6:7]
	v_pk_fma_f32 v[6:7], v[12:13], v[202:203], v[4:5] neg_lo:[0,0,1] neg_hi:[0,0,1]
	v_pk_fma_f32 v[4:5], v[12:13], v[202:203], v[4:5] op_sel_hi:[1,0,1]
	s_nop 0
	v_mov_b32_e32 v7, v5
	s_waitcnt vmcnt(0) lgkmcnt(0)
	v_pk_mul_f32 v[4:5], v[14:15], v[204:205] op_sel:[1,1] op_sel_hi:[0,1]
	v_pk_add_f32 v[2:3], v[2:3], v[6:7]
	v_pk_fma_f32 v[6:7], v[14:15], v[204:205], v[4:5] neg_lo:[0,0,1] neg_hi:[0,0,1]
	v_pk_fma_f32 v[4:5], v[14:15], v[204:205], v[4:5] op_sel_hi:[1,0,1]
	s_nop 0
	v_mov_b32_e32 v4, v207
	v_mov_b32_e32 v7, v5
	v_pk_mul_f32 v[4:5], v[16:17], v[4:5] op_sel:[1,0] op_sel_hi:[0,0]
	v_pk_add_f32 v[2:3], v[2:3], v[6:7]
	v_pk_fma_f32 v[6:7], v[16:17], v[206:207], v[4:5] neg_lo:[0,0,1] neg_hi:[0,0,1]
	v_pk_fma_f32 v[4:5], v[16:17], v[206:207], v[4:5] op_sel_hi:[1,0,1]
	s_nop 0
	v_mov_b32_e32 v7, v5
	scratch_load_dwordx2 v[4:5], off, off offset:120
	v_pk_add_f32 v[2:3], v[2:3], v[6:7]
	s_waitcnt vmcnt(0)
	v_pk_add_f32 v[2:3], v[4:5], v[2:3] neg_lo:[0,1] neg_hi:[0,1]
	scratch_store_dwordx2 off, v[2:3], off offset:120
	s_and_saveexec_b64 s[0:1], vcc
	s_cbranch_execz .LBB63_369
; %bb.368:
	scratch_load_dwordx2 v[2:3], off, off offset:112
	v_mov_b32_e32 v4, 0
	v_mov_b32_e32 v5, v4
	scratch_store_dwordx2 off, v[4:5], off offset:112
	s_waitcnt vmcnt(1)
	ds_write_b64 v1, v[2:3]
.LBB63_369:
	s_or_b64 exec, exec, s[0:1]
	s_waitcnt lgkmcnt(0)
	; wave barrier
	scratch_load_dwordx4 v[6:9], off, off offset:120
	scratch_load_dwordx4 v[14:17], off, off offset:136
	;; [unrolled: 1-line block ×10, first 2 shown]
	v_mov_b32_e32 v134, 0
	ds_read2_b64 v[2:5], v134 offset0:79 offset1:80
	ds_read2_b64 v[184:187], v134 offset0:117 offset1:118
	scratch_load_dwordx4 v[86:89], off, off offset:280
	scratch_load_dwordx4 v[94:97], off, off offset:296
	;; [unrolled: 1-line block ×11, first 2 shown]
	v_cmp_lt_u32_e32 vcc, 13, v0
	ds_read2_b64 v[192:195], v134 offset0:119 offset1:120
	s_waitcnt vmcnt(20) lgkmcnt(2)
	v_mul_f32_e32 v10, v2, v7
	v_fmac_f32_e32 v10, v3, v6
	v_mul_f32_e32 v11, v4, v9
	v_add_f32_e32 v10, 0, v10
	v_fmac_f32_e32 v11, v5, v8
	v_add_f32_e32 v18, v10, v11
	ds_read2_b64 v[10:13], v134 offset0:81 offset1:82
	v_mul_f32_e32 v3, v3, v7
	v_fma_f32 v2, v2, v6, -v3
	v_mul_f32_e32 v3, v5, v9
	v_add_f32_e32 v2, 0, v2
	s_waitcnt vmcnt(19) lgkmcnt(0)
	v_mul_f32_e32 v19, v10, v15
	v_fmac_f32_e32 v19, v11, v14
	v_add_f32_e32 v18, v18, v19
	v_mul_f32_e32 v19, v12, v17
	v_fmac_f32_e32 v19, v13, v16
	v_add_f32_e32 v26, v18, v19
	ds_read2_b64 v[18:21], v134 offset0:83 offset1:84
	v_fma_f32 v3, v4, v8, -v3
	v_add_f32_e32 v2, v2, v3
	v_mul_f32_e32 v3, v11, v15
	v_fma_f32 v3, v10, v14, -v3
	s_waitcnt vmcnt(18) lgkmcnt(0)
	v_mul_f32_e32 v27, v18, v23
	v_fmac_f32_e32 v27, v19, v22
	v_add_f32_e32 v26, v26, v27
	v_mul_f32_e32 v27, v20, v25
	v_fmac_f32_e32 v27, v21, v24
	v_add_f32_e32 v34, v26, v27
	ds_read2_b64 v[26:29], v134 offset0:85 offset1:86
	v_add_f32_e32 v2, v2, v3
	v_mul_f32_e32 v3, v13, v17
	v_fma_f32 v3, v12, v16, -v3
	v_add_f32_e32 v2, v2, v3
	s_waitcnt vmcnt(17) lgkmcnt(0)
	v_mul_f32_e32 v35, v26, v31
	v_fmac_f32_e32 v35, v27, v30
	v_add_f32_e32 v34, v34, v35
	v_mul_f32_e32 v35, v28, v33
	v_fmac_f32_e32 v35, v29, v32
	v_add_f32_e32 v42, v34, v35
	ds_read2_b64 v[34:37], v134 offset0:87 offset1:88
	v_mul_f32_e32 v3, v19, v23
	v_fma_f32 v3, v18, v22, -v3
	v_add_f32_e32 v2, v2, v3
	v_mul_f32_e32 v3, v21, v25
	s_waitcnt vmcnt(16) lgkmcnt(0)
	v_mul_f32_e32 v43, v34, v39
	v_fmac_f32_e32 v43, v35, v38
	v_add_f32_e32 v42, v42, v43
	v_mul_f32_e32 v43, v36, v41
	v_fmac_f32_e32 v43, v37, v40
	v_add_f32_e32 v50, v42, v43
	ds_read2_b64 v[42:45], v134 offset0:89 offset1:90
	v_fma_f32 v3, v20, v24, -v3
	v_add_f32_e32 v2, v2, v3
	v_mul_f32_e32 v3, v27, v31
	v_fma_f32 v3, v26, v30, -v3
	s_waitcnt vmcnt(15) lgkmcnt(0)
	v_mul_f32_e32 v51, v42, v47
	v_fmac_f32_e32 v51, v43, v46
	v_add_f32_e32 v50, v50, v51
	v_mul_f32_e32 v51, v44, v49
	v_fmac_f32_e32 v51, v45, v48
	v_add_f32_e32 v58, v50, v51
	ds_read2_b64 v[50:53], v134 offset0:91 offset1:92
	v_add_f32_e32 v2, v2, v3
	v_mul_f32_e32 v3, v29, v33
	v_fma_f32 v3, v28, v32, -v3
	v_add_f32_e32 v2, v2, v3
	s_waitcnt vmcnt(14) lgkmcnt(0)
	v_mul_f32_e32 v59, v50, v55
	v_fmac_f32_e32 v59, v51, v54
	v_add_f32_e32 v58, v58, v59
	v_mul_f32_e32 v59, v52, v57
	v_fmac_f32_e32 v59, v53, v56
	v_add_f32_e32 v66, v58, v59
	ds_read2_b64 v[58:61], v134 offset0:93 offset1:94
	v_mul_f32_e32 v3, v35, v39
	v_fma_f32 v3, v34, v38, -v3
	v_add_f32_e32 v2, v2, v3
	v_mul_f32_e32 v3, v37, v41
	s_waitcnt vmcnt(13) lgkmcnt(0)
	v_mul_f32_e32 v67, v58, v63
	v_fmac_f32_e32 v67, v59, v62
	v_add_f32_e32 v66, v66, v67
	v_mul_f32_e32 v67, v60, v65
	v_fmac_f32_e32 v67, v61, v64
	v_add_f32_e32 v74, v66, v67
	ds_read2_b64 v[66:69], v134 offset0:95 offset1:96
	v_fma_f32 v3, v36, v40, -v3
	v_add_f32_e32 v2, v2, v3
	v_mul_f32_e32 v3, v43, v47
	v_fma_f32 v3, v42, v46, -v3
	s_waitcnt vmcnt(12) lgkmcnt(0)
	v_mul_f32_e32 v75, v66, v71
	v_fmac_f32_e32 v75, v67, v70
	v_add_f32_e32 v74, v74, v75
	v_mul_f32_e32 v75, v68, v73
	v_fmac_f32_e32 v75, v69, v72
	v_add_f32_e32 v82, v74, v75
	ds_read2_b64 v[74:77], v134 offset0:97 offset1:98
	v_add_f32_e32 v2, v2, v3
	v_mul_f32_e32 v3, v45, v49
	v_fma_f32 v3, v44, v48, -v3
	v_add_f32_e32 v2, v2, v3
	s_waitcnt vmcnt(11) lgkmcnt(0)
	v_mul_f32_e32 v83, v74, v79
	v_fmac_f32_e32 v83, v75, v78
	v_add_f32_e32 v82, v82, v83
	v_mul_f32_e32 v83, v76, v81
	v_fmac_f32_e32 v83, v77, v80
	v_add_f32_e32 v90, v82, v83
	ds_read2_b64 v[82:85], v134 offset0:99 offset1:100
	v_mul_f32_e32 v3, v51, v55
	v_fma_f32 v3, v50, v54, -v3
	v_add_f32_e32 v2, v2, v3
	v_mul_f32_e32 v3, v53, v57
	s_waitcnt vmcnt(10) lgkmcnt(0)
	v_mul_f32_e32 v91, v82, v87
	v_fmac_f32_e32 v91, v83, v86
	v_add_f32_e32 v90, v90, v91
	v_mul_f32_e32 v91, v84, v89
	v_fmac_f32_e32 v91, v85, v88
	v_add_f32_e32 v98, v90, v91
	ds_read2_b64 v[90:93], v134 offset0:101 offset1:102
	v_fma_f32 v3, v52, v56, -v3
	v_add_f32_e32 v2, v2, v3
	v_mul_f32_e32 v3, v59, v63
	v_fma_f32 v3, v58, v62, -v3
	s_waitcnt vmcnt(9) lgkmcnt(0)
	v_mul_f32_e32 v99, v90, v95
	v_fmac_f32_e32 v99, v91, v94
	v_add_f32_e32 v98, v98, v99
	v_mul_f32_e32 v99, v92, v97
	v_fmac_f32_e32 v99, v93, v96
	v_add_f32_e32 v106, v98, v99
	ds_read2_b64 v[98:101], v134 offset0:103 offset1:104
	v_add_f32_e32 v2, v2, v3
	v_mul_f32_e32 v3, v61, v65
	v_fma_f32 v3, v60, v64, -v3
	v_add_f32_e32 v2, v2, v3
	s_waitcnt vmcnt(8) lgkmcnt(0)
	v_mul_f32_e32 v107, v98, v103
	v_fmac_f32_e32 v107, v99, v102
	v_add_f32_e32 v106, v106, v107
	v_mul_f32_e32 v107, v100, v105
	v_fmac_f32_e32 v107, v101, v104
	v_add_f32_e32 v114, v106, v107
	ds_read2_b64 v[106:109], v134 offset0:105 offset1:106
	v_mul_f32_e32 v3, v67, v71
	v_fma_f32 v3, v66, v70, -v3
	v_add_f32_e32 v2, v2, v3
	v_mul_f32_e32 v3, v69, v73
	s_waitcnt vmcnt(7) lgkmcnt(0)
	v_mul_f32_e32 v115, v106, v111
	v_fmac_f32_e32 v115, v107, v110
	v_add_f32_e32 v114, v114, v115
	v_mul_f32_e32 v115, v108, v113
	v_fmac_f32_e32 v115, v109, v112
	v_add_f32_e32 v122, v114, v115
	ds_read2_b64 v[114:117], v134 offset0:107 offset1:108
	v_fma_f32 v3, v68, v72, -v3
	v_add_f32_e32 v2, v2, v3
	v_mul_f32_e32 v3, v75, v79
	v_fma_f32 v3, v74, v78, -v3
	s_waitcnt vmcnt(6) lgkmcnt(0)
	v_mul_f32_e32 v123, v114, v119
	v_fmac_f32_e32 v123, v115, v118
	v_add_f32_e32 v122, v122, v123
	v_mul_f32_e32 v123, v116, v121
	v_fmac_f32_e32 v123, v117, v120
	v_add_f32_e32 v130, v122, v123
	ds_read2_b64 v[122:125], v134 offset0:109 offset1:110
	v_add_f32_e32 v2, v2, v3
	v_mul_f32_e32 v3, v77, v81
	v_fma_f32 v3, v76, v80, -v3
	v_add_f32_e32 v2, v2, v3
	s_waitcnt vmcnt(5) lgkmcnt(0)
	v_mul_f32_e32 v131, v122, v127
	v_fmac_f32_e32 v131, v123, v126
	v_add_f32_e32 v130, v130, v131
	v_mul_f32_e32 v131, v124, v129
	v_fmac_f32_e32 v131, v125, v128
	v_add_f32_e32 v135, v130, v131
	ds_read2_b64 v[130:133], v134 offset0:111 offset1:112
	v_mul_f32_e32 v3, v83, v87
	v_fma_f32 v3, v82, v86, -v3
	v_add_f32_e32 v2, v2, v3
	v_mul_f32_e32 v3, v85, v89
	s_waitcnt vmcnt(4) lgkmcnt(0)
	v_mul_f32_e32 v140, v130, v137
	v_fmac_f32_e32 v140, v131, v136
	v_add_f32_e32 v135, v135, v140
	v_mul_f32_e32 v140, v132, v139
	v_fmac_f32_e32 v140, v133, v138
	v_add_f32_e32 v135, v135, v140
	ds_read2_b64 v[140:143], v134 offset0:113 offset1:114
	v_fma_f32 v3, v84, v88, -v3
	v_add_f32_e32 v2, v2, v3
	v_mul_f32_e32 v3, v91, v95
	v_fma_f32 v3, v90, v94, -v3
	s_waitcnt vmcnt(3) lgkmcnt(0)
	v_mul_f32_e32 v148, v140, v145
	v_fmac_f32_e32 v148, v141, v144
	v_add_f32_e32 v135, v135, v148
	v_mul_f32_e32 v148, v142, v147
	v_fmac_f32_e32 v148, v143, v146
	v_add_f32_e32 v135, v135, v148
	ds_read2_b64 v[148:151], v134 offset0:115 offset1:116
	scratch_load_dwordx4 v[200:203], off, off offset:456
	scratch_load_dwordx4 v[204:207], off, off offset:472
	scratch_load_dwordx4 v[208:211], off, off offset:488
	scratch_load_dwordx2 v[162:163], off, off offset:504
	v_add_f32_e32 v2, v2, v3
	v_mul_f32_e32 v3, v93, v97
	v_fma_f32 v3, v92, v96, -v3
	v_add_f32_e32 v2, v2, v3
	v_mul_f32_e32 v3, v99, v103
	v_fma_f32 v3, v98, v102, -v3
	;; [unrolled: 3-line block ×13, first 2 shown]
	s_waitcnt vmcnt(6) lgkmcnt(0)
	v_mul_f32_e32 v156, v148, v153
	v_add_f32_e32 v2, v2, v3
	v_mul_f32_e32 v3, v149, v153
	v_fmac_f32_e32 v156, v149, v152
	v_fma_f32 v3, v148, v152, -v3
	v_add_f32_e32 v135, v135, v156
	v_mul_f32_e32 v156, v150, v155
	v_add_f32_e32 v2, v2, v3
	v_mul_f32_e32 v3, v151, v155
	v_fmac_f32_e32 v156, v151, v154
	v_fma_f32 v3, v150, v154, -v3
	v_add_f32_e32 v135, v135, v156
	s_waitcnt vmcnt(5)
	v_mul_f32_e32 v156, v184, v189
	v_add_f32_e32 v2, v2, v3
	v_mul_f32_e32 v3, v185, v189
	v_fmac_f32_e32 v156, v185, v188
	v_fma_f32 v3, v184, v188, -v3
	v_add_f32_e32 v157, v135, v156
	v_add_f32_e32 v156, v2, v3
	v_mul_f32_e32 v2, v187, v191
	v_mul_f32_e32 v159, v186, v191
	v_fma_f32 v158, v186, v190, -v2
	s_waitcnt vmcnt(4)
	v_mul_f32_e32 v2, v193, v197
	v_mov_b32_e32 v18, v199
	v_fmac_f32_e32 v159, v187, v190
	v_mul_f32_e32 v161, v192, v197
	v_fma_f32 v160, v192, v196, -v2
	ds_read2_b64 v[2:5], v134 offset0:121 offset1:122
	ds_read2_b64 v[6:9], v134 offset0:123 offset1:124
	;; [unrolled: 1-line block ×3, first 2 shown]
	ds_read_b64 v[14:15], v134 offset:1016
	v_pk_mul_f32 v[18:19], v[194:195], v[18:19] op_sel:[1,0] op_sel_hi:[0,0]
	v_fmac_f32_e32 v161, v193, v196
	v_pk_add_f32 v[16:17], v[156:157], v[158:159]
	v_pk_fma_f32 v[20:21], v[194:195], v[198:199], v[18:19] neg_lo:[0,0,1] neg_hi:[0,0,1]
	v_pk_fma_f32 v[18:19], v[194:195], v[198:199], v[18:19] op_sel_hi:[1,0,1]
	v_pk_add_f32 v[16:17], v[16:17], v[160:161]
	v_mov_b32_e32 v21, v19
	v_pk_add_f32 v[16:17], v[16:17], v[20:21]
	s_waitcnt vmcnt(3) lgkmcnt(3)
	v_pk_mul_f32 v[18:19], v[2:3], v[200:201] op_sel:[1,1] op_sel_hi:[0,1]
	v_pk_fma_f32 v[20:21], v[2:3], v[200:201], v[18:19] neg_lo:[0,0,1] neg_hi:[0,0,1]
	v_pk_fma_f32 v[2:3], v[2:3], v[200:201], v[18:19] op_sel_hi:[1,0,1]
	s_nop 0
	v_mov_b32_e32 v21, v3
	v_pk_add_f32 v[2:3], v[16:17], v[20:21]
	v_mov_b32_e32 v16, v203
	v_pk_mul_f32 v[16:17], v[4:5], v[16:17] op_sel:[1,0] op_sel_hi:[0,0]
	v_pk_fma_f32 v[18:19], v[4:5], v[202:203], v[16:17] neg_lo:[0,0,1] neg_hi:[0,0,1]
	v_pk_fma_f32 v[4:5], v[4:5], v[202:203], v[16:17] op_sel_hi:[1,0,1]
	s_nop 0
	v_mov_b32_e32 v19, v5
	s_waitcnt vmcnt(2) lgkmcnt(2)
	v_pk_mul_f32 v[4:5], v[6:7], v[204:205] op_sel:[1,1] op_sel_hi:[0,1]
	v_pk_fma_f32 v[16:17], v[6:7], v[204:205], v[4:5] neg_lo:[0,0,1] neg_hi:[0,0,1]
	v_pk_fma_f32 v[4:5], v[6:7], v[204:205], v[4:5] op_sel_hi:[1,0,1]
	v_pk_add_f32 v[2:3], v[2:3], v[18:19]
	v_mov_b32_e32 v4, v207
	v_mov_b32_e32 v17, v5
	v_pk_mul_f32 v[4:5], v[8:9], v[4:5] op_sel:[1,0] op_sel_hi:[0,0]
	v_pk_fma_f32 v[6:7], v[8:9], v[206:207], v[4:5] neg_lo:[0,0,1] neg_hi:[0,0,1]
	v_pk_fma_f32 v[4:5], v[8:9], v[206:207], v[4:5] op_sel_hi:[1,0,1]
	v_pk_add_f32 v[2:3], v[2:3], v[16:17]
	v_mov_b32_e32 v7, v5
	s_waitcnt vmcnt(1) lgkmcnt(1)
	v_pk_mul_f32 v[4:5], v[10:11], v[208:209] op_sel:[1,1] op_sel_hi:[0,1]
	v_pk_add_f32 v[2:3], v[2:3], v[6:7]
	v_pk_fma_f32 v[6:7], v[10:11], v[208:209], v[4:5] neg_lo:[0,0,1] neg_hi:[0,0,1]
	v_pk_fma_f32 v[4:5], v[10:11], v[208:209], v[4:5] op_sel_hi:[1,0,1]
	s_nop 0
	v_mov_b32_e32 v4, v211
	v_mov_b32_e32 v7, v5
	v_pk_mul_f32 v[4:5], v[12:13], v[4:5] op_sel:[1,0] op_sel_hi:[0,0]
	v_pk_add_f32 v[2:3], v[2:3], v[6:7]
	v_pk_fma_f32 v[6:7], v[12:13], v[210:211], v[4:5] neg_lo:[0,0,1] neg_hi:[0,0,1]
	v_pk_fma_f32 v[4:5], v[12:13], v[210:211], v[4:5] op_sel_hi:[1,0,1]
	s_nop 0
	v_mov_b32_e32 v7, v5
	s_waitcnt vmcnt(0) lgkmcnt(0)
	v_pk_mul_f32 v[4:5], v[14:15], v[162:163] op_sel:[1,1] op_sel_hi:[0,1]
	v_pk_add_f32 v[2:3], v[2:3], v[6:7]
	v_pk_fma_f32 v[6:7], v[14:15], v[162:163], v[4:5] neg_lo:[0,0,1] neg_hi:[0,0,1]
	v_pk_fma_f32 v[4:5], v[14:15], v[162:163], v[4:5] op_sel_hi:[1,0,1]
	s_nop 0
	v_mov_b32_e32 v7, v5
	scratch_load_dwordx2 v[4:5], off, off offset:112
	v_pk_add_f32 v[2:3], v[2:3], v[6:7]
	s_waitcnt vmcnt(0)
	v_pk_add_f32 v[2:3], v[4:5], v[2:3] neg_lo:[0,1] neg_hi:[0,1]
	scratch_store_dwordx2 off, v[2:3], off offset:112
	s_and_saveexec_b64 s[0:1], vcc
	s_cbranch_execz .LBB63_371
; %bb.370:
	scratch_load_dwordx2 v[2:3], off, off offset:104
	v_mov_b32_e32 v135, v134
	scratch_store_dwordx2 off, v[134:135], off offset:104
	s_waitcnt vmcnt(1)
	ds_write_b64 v1, v[2:3]
.LBB63_371:
	s_or_b64 exec, exec, s[0:1]
	s_waitcnt lgkmcnt(0)
	; wave barrier
	ds_read_b128 v[14:17], v134 offset:624
	ds_read_b128 v[10:13], v134 offset:640
	;; [unrolled: 1-line block ×4, first 2 shown]
	scratch_load_dwordx4 v[18:21], off, off offset:112
	scratch_load_dwordx4 v[38:41], off, off offset:176
	;; [unrolled: 1-line block ×15, first 2 shown]
	v_cmp_lt_u32_e32 vcc, 12, v0
	scratch_load_dwordx4 v[46:49], off, off offset:192
	scratch_load_dwordx4 v[54:57], off, off offset:208
	;; [unrolled: 1-line block ×3, first 2 shown]
	ds_read_b128 v[184:187], v134 offset:928
	ds_read_b128 v[192:195], v134 offset:944
	s_waitcnt vmcnt(17) lgkmcnt(5)
	v_mul_f32_e32 v22, v14, v19
	v_fmac_f32_e32 v22, v15, v18
	v_mul_f32_e32 v23, v16, v21
	v_add_f32_e32 v22, 0, v22
	v_fmac_f32_e32 v23, v17, v20
	v_add_f32_e32 v26, v22, v23
	scratch_load_dwordx4 v[22:25], off, off offset:128
	v_mul_f32_e32 v15, v15, v19
	v_fma_f32 v14, v14, v18, -v15
	v_mul_f32_e32 v15, v17, v21
	v_add_f32_e32 v14, 0, v14
	v_fma_f32 v15, v16, v20, -v15
	v_add_f32_e32 v14, v14, v15
	s_waitcnt vmcnt(4) lgkmcnt(0)
	v_mul_f32_e32 v159, v192, v197
	v_mul_f32_e32 v161, v194, v199
	v_fmac_f32_e32 v159, v193, v196
	v_fmac_f32_e32 v161, v195, v198
	s_waitcnt vmcnt(0)
	v_mul_f32_e32 v27, v10, v23
	v_fmac_f32_e32 v27, v11, v22
	v_add_f32_e32 v26, v26, v27
	v_mul_f32_e32 v27, v12, v25
	v_fmac_f32_e32 v27, v13, v24
	v_add_f32_e32 v30, v26, v27
	scratch_load_dwordx4 v[26:29], off, off offset:144
	v_mul_f32_e32 v11, v11, v23
	v_fma_f32 v10, v10, v22, -v11
	v_mul_f32_e32 v11, v13, v25
	v_add_f32_e32 v10, v14, v10
	v_fma_f32 v11, v12, v24, -v11
	v_add_f32_e32 v10, v10, v11
	s_waitcnt vmcnt(0)
	v_mul_f32_e32 v31, v6, v27
	v_fmac_f32_e32 v31, v7, v26
	v_add_f32_e32 v30, v30, v31
	v_mul_f32_e32 v31, v8, v29
	v_fmac_f32_e32 v31, v9, v28
	v_add_f32_e32 v34, v30, v31
	scratch_load_dwordx4 v[30:33], off, off offset:160
	v_mul_f32_e32 v7, v7, v27
	v_fma_f32 v6, v6, v26, -v7
	v_mul_f32_e32 v7, v9, v29
	v_add_f32_e32 v6, v10, v6
	v_fma_f32 v7, v8, v28, -v7
	v_add_f32_e32 v6, v6, v7
	s_waitcnt vmcnt(0)
	v_mul_f32_e32 v35, v2, v31
	v_fmac_f32_e32 v35, v3, v30
	v_add_f32_e32 v34, v34, v35
	v_mul_f32_e32 v35, v4, v33
	v_fmac_f32_e32 v35, v5, v32
	v_add_f32_e32 v42, v34, v35
	ds_read_b128 v[34:37], v134 offset:688
	v_mul_f32_e32 v3, v3, v31
	v_fma_f32 v2, v2, v30, -v3
	v_mul_f32_e32 v3, v5, v33
	v_add_f32_e32 v2, v6, v2
	s_waitcnt lgkmcnt(0)
	v_mul_f32_e32 v43, v34, v39
	v_fmac_f32_e32 v43, v35, v38
	v_add_f32_e32 v42, v42, v43
	v_mul_f32_e32 v43, v36, v41
	v_fmac_f32_e32 v43, v37, v40
	v_add_f32_e32 v50, v42, v43
	ds_read_b128 v[42:45], v134 offset:704
	v_fma_f32 v3, v4, v32, -v3
	v_add_f32_e32 v2, v2, v3
	v_mul_f32_e32 v3, v35, v39
	v_fma_f32 v3, v34, v38, -v3
	s_waitcnt lgkmcnt(0)
	v_mul_f32_e32 v51, v42, v47
	v_fmac_f32_e32 v51, v43, v46
	v_add_f32_e32 v50, v50, v51
	v_mul_f32_e32 v51, v44, v49
	v_fmac_f32_e32 v51, v45, v48
	v_add_f32_e32 v58, v50, v51
	ds_read_b128 v[50:53], v134 offset:720
	v_add_f32_e32 v2, v2, v3
	v_mul_f32_e32 v3, v37, v41
	v_fma_f32 v3, v36, v40, -v3
	v_add_f32_e32 v2, v2, v3
	s_waitcnt lgkmcnt(0)
	v_mul_f32_e32 v59, v50, v55
	v_fmac_f32_e32 v59, v51, v54
	v_add_f32_e32 v58, v58, v59
	v_mul_f32_e32 v59, v52, v57
	v_fmac_f32_e32 v59, v53, v56
	v_add_f32_e32 v66, v58, v59
	ds_read_b128 v[58:61], v134 offset:736
	v_mul_f32_e32 v3, v43, v47
	v_fma_f32 v3, v42, v46, -v3
	v_add_f32_e32 v2, v2, v3
	v_mul_f32_e32 v3, v45, v49
	s_waitcnt lgkmcnt(0)
	v_mul_f32_e32 v67, v58, v63
	v_fmac_f32_e32 v67, v59, v62
	v_add_f32_e32 v66, v66, v67
	v_mul_f32_e32 v67, v60, v65
	v_fmac_f32_e32 v67, v61, v64
	v_add_f32_e32 v74, v66, v67
	ds_read_b128 v[66:69], v134 offset:752
	v_fma_f32 v3, v44, v48, -v3
	v_add_f32_e32 v2, v2, v3
	v_mul_f32_e32 v3, v51, v55
	v_fma_f32 v3, v50, v54, -v3
	s_waitcnt lgkmcnt(0)
	v_mul_f32_e32 v75, v66, v71
	v_fmac_f32_e32 v75, v67, v70
	v_add_f32_e32 v74, v74, v75
	v_mul_f32_e32 v75, v68, v73
	v_fmac_f32_e32 v75, v69, v72
	v_add_f32_e32 v82, v74, v75
	ds_read_b128 v[74:77], v134 offset:768
	v_add_f32_e32 v2, v2, v3
	v_mul_f32_e32 v3, v53, v57
	v_fma_f32 v3, v52, v56, -v3
	v_add_f32_e32 v2, v2, v3
	s_waitcnt lgkmcnt(0)
	v_mul_f32_e32 v83, v74, v79
	v_fmac_f32_e32 v83, v75, v78
	v_add_f32_e32 v82, v82, v83
	v_mul_f32_e32 v83, v76, v81
	v_fmac_f32_e32 v83, v77, v80
	v_add_f32_e32 v90, v82, v83
	ds_read_b128 v[82:85], v134 offset:784
	v_mul_f32_e32 v3, v59, v63
	v_fma_f32 v3, v58, v62, -v3
	v_add_f32_e32 v2, v2, v3
	v_mul_f32_e32 v3, v61, v65
	;; [unrolled: 36-line block ×4, first 2 shown]
	s_waitcnt lgkmcnt(0)
	v_mul_f32_e32 v140, v130, v137
	v_fmac_f32_e32 v140, v131, v136
	v_add_f32_e32 v135, v135, v140
	v_mul_f32_e32 v140, v132, v139
	v_fmac_f32_e32 v140, v133, v138
	v_add_f32_e32 v135, v135, v140
	ds_read_b128 v[140:143], v134 offset:896
	v_fma_f32 v3, v92, v96, -v3
	v_add_f32_e32 v2, v2, v3
	v_mul_f32_e32 v3, v99, v103
	v_fma_f32 v3, v98, v102, -v3
	s_waitcnt lgkmcnt(0)
	v_mul_f32_e32 v148, v140, v145
	v_fmac_f32_e32 v148, v141, v144
	v_add_f32_e32 v135, v135, v148
	v_mul_f32_e32 v148, v142, v147
	v_fmac_f32_e32 v148, v143, v146
	v_add_f32_e32 v135, v135, v148
	ds_read_b128 v[148:151], v134 offset:912
	scratch_load_dwordx4 v[200:203], off, off offset:448
	scratch_load_dwordx4 v[204:207], off, off offset:464
	;; [unrolled: 1-line block ×4, first 2 shown]
	v_add_f32_e32 v2, v2, v3
	v_mul_f32_e32 v3, v101, v105
	v_fma_f32 v3, v100, v104, -v3
	v_add_f32_e32 v2, v2, v3
	v_mul_f32_e32 v3, v107, v111
	v_fma_f32 v3, v106, v110, -v3
	;; [unrolled: 3-line block ×11, first 2 shown]
	s_waitcnt lgkmcnt(0)
	v_mul_f32_e32 v156, v148, v153
	v_add_f32_e32 v2, v2, v3
	v_mul_f32_e32 v3, v149, v153
	v_fmac_f32_e32 v156, v149, v152
	v_fma_f32 v3, v148, v152, -v3
	v_add_f32_e32 v135, v135, v156
	v_mul_f32_e32 v156, v150, v155
	v_add_f32_e32 v2, v2, v3
	v_mul_f32_e32 v3, v151, v155
	v_fmac_f32_e32 v156, v151, v154
	v_fma_f32 v3, v150, v154, -v3
	v_add_f32_e32 v135, v135, v156
	;; [unrolled: 6-line block ×4, first 2 shown]
	v_add_f32_e32 v156, v2, v3
	v_mul_f32_e32 v2, v193, v197
	v_fma_f32 v158, v192, v196, -v2
	v_mul_f32_e32 v2, v195, v199
	v_fma_f32 v160, v194, v198, -v2
	ds_read_b128 v[2:5], v134 offset:960
	ds_read_b128 v[6:9], v134 offset:976
	;; [unrolled: 1-line block ×4, first 2 shown]
	v_pk_add_f32 v[18:19], v[156:157], v[158:159]
	s_waitcnt vmcnt(3) lgkmcnt(3)
	v_pk_mul_f32 v[20:21], v[2:3], v[200:201] op_sel:[1,1] op_sel_hi:[0,1]
	v_pk_fma_f32 v[22:23], v[2:3], v[200:201], v[20:21] neg_lo:[0,0,1] neg_hi:[0,0,1]
	v_pk_fma_f32 v[2:3], v[2:3], v[200:201], v[20:21] op_sel_hi:[1,0,1]
	v_pk_add_f32 v[18:19], v[18:19], v[160:161]
	v_mov_b32_e32 v23, v3
	v_pk_add_f32 v[2:3], v[18:19], v[22:23]
	v_mov_b32_e32 v18, v203
	v_pk_mul_f32 v[18:19], v[4:5], v[18:19] op_sel:[1,0] op_sel_hi:[0,0]
	v_pk_fma_f32 v[20:21], v[4:5], v[202:203], v[18:19] neg_lo:[0,0,1] neg_hi:[0,0,1]
	v_pk_fma_f32 v[4:5], v[4:5], v[202:203], v[18:19] op_sel_hi:[1,0,1]
	s_nop 0
	v_mov_b32_e32 v21, v5
	s_waitcnt vmcnt(2) lgkmcnt(2)
	v_pk_mul_f32 v[4:5], v[6:7], v[204:205] op_sel:[1,1] op_sel_hi:[0,1]
	v_pk_fma_f32 v[18:19], v[6:7], v[204:205], v[4:5] neg_lo:[0,0,1] neg_hi:[0,0,1]
	v_pk_fma_f32 v[4:5], v[6:7], v[204:205], v[4:5] op_sel_hi:[1,0,1]
	v_pk_add_f32 v[2:3], v[2:3], v[20:21]
	v_mov_b32_e32 v4, v207
	v_mov_b32_e32 v19, v5
	v_pk_mul_f32 v[4:5], v[8:9], v[4:5] op_sel:[1,0] op_sel_hi:[0,0]
	v_pk_fma_f32 v[6:7], v[8:9], v[206:207], v[4:5] neg_lo:[0,0,1] neg_hi:[0,0,1]
	v_pk_fma_f32 v[4:5], v[8:9], v[206:207], v[4:5] op_sel_hi:[1,0,1]
	v_pk_add_f32 v[2:3], v[2:3], v[18:19]
	v_mov_b32_e32 v7, v5
	s_waitcnt vmcnt(1) lgkmcnt(1)
	v_pk_mul_f32 v[4:5], v[10:11], v[208:209] op_sel:[1,1] op_sel_hi:[0,1]
	v_pk_add_f32 v[2:3], v[2:3], v[6:7]
	v_pk_fma_f32 v[6:7], v[10:11], v[208:209], v[4:5] neg_lo:[0,0,1] neg_hi:[0,0,1]
	v_pk_fma_f32 v[4:5], v[10:11], v[208:209], v[4:5] op_sel_hi:[1,0,1]
	s_nop 0
	v_mov_b32_e32 v4, v211
	v_mov_b32_e32 v7, v5
	v_pk_mul_f32 v[4:5], v[12:13], v[4:5] op_sel:[1,0] op_sel_hi:[0,0]
	v_pk_add_f32 v[2:3], v[2:3], v[6:7]
	v_pk_fma_f32 v[6:7], v[12:13], v[210:211], v[4:5] neg_lo:[0,0,1] neg_hi:[0,0,1]
	v_pk_fma_f32 v[4:5], v[12:13], v[210:211], v[4:5] op_sel_hi:[1,0,1]
	s_nop 0
	v_mov_b32_e32 v7, v5
	s_waitcnt vmcnt(0) lgkmcnt(0)
	v_pk_mul_f32 v[4:5], v[14:15], v[212:213] op_sel:[1,1] op_sel_hi:[0,1]
	v_pk_add_f32 v[2:3], v[2:3], v[6:7]
	v_pk_fma_f32 v[6:7], v[14:15], v[212:213], v[4:5] neg_lo:[0,0,1] neg_hi:[0,0,1]
	v_pk_fma_f32 v[4:5], v[14:15], v[212:213], v[4:5] op_sel_hi:[1,0,1]
	s_nop 0
	v_mov_b32_e32 v4, v215
	v_mov_b32_e32 v7, v5
	v_pk_mul_f32 v[4:5], v[16:17], v[4:5] op_sel:[1,0] op_sel_hi:[0,0]
	v_pk_add_f32 v[2:3], v[2:3], v[6:7]
	v_pk_fma_f32 v[6:7], v[16:17], v[214:215], v[4:5] neg_lo:[0,0,1] neg_hi:[0,0,1]
	v_pk_fma_f32 v[4:5], v[16:17], v[214:215], v[4:5] op_sel_hi:[1,0,1]
	s_nop 0
	v_mov_b32_e32 v7, v5
	scratch_load_dwordx2 v[4:5], off, off offset:104
	v_pk_add_f32 v[2:3], v[2:3], v[6:7]
	s_waitcnt vmcnt(0)
	v_pk_add_f32 v[2:3], v[4:5], v[2:3] neg_lo:[0,1] neg_hi:[0,1]
	scratch_store_dwordx2 off, v[2:3], off offset:104
	s_and_saveexec_b64 s[0:1], vcc
	s_cbranch_execz .LBB63_373
; %bb.372:
	scratch_load_dwordx2 v[2:3], off, off offset:96
	v_mov_b32_e32 v4, 0
	v_mov_b32_e32 v5, v4
	scratch_store_dwordx2 off, v[4:5], off offset:96
	s_waitcnt vmcnt(1)
	ds_write_b64 v1, v[2:3]
.LBB63_373:
	s_or_b64 exec, exec, s[0:1]
	s_waitcnt lgkmcnt(0)
	; wave barrier
	scratch_load_dwordx4 v[6:9], off, off offset:104
	scratch_load_dwordx4 v[14:17], off, off offset:120
	scratch_load_dwordx4 v[22:25], off, off offset:136
	scratch_load_dwordx4 v[30:33], off, off offset:152
	scratch_load_dwordx4 v[38:41], off, off offset:168
	scratch_load_dwordx4 v[46:49], off, off offset:184
	scratch_load_dwordx4 v[54:57], off, off offset:200
	scratch_load_dwordx4 v[62:65], off, off offset:216
	scratch_load_dwordx4 v[70:73], off, off offset:232
	scratch_load_dwordx4 v[78:81], off, off offset:248
	v_mov_b32_e32 v142, 0
	ds_read2_b64 v[2:5], v142 offset0:77 offset1:78
	ds_read2_b64 v[184:187], v142 offset0:115 offset1:116
	scratch_load_dwordx4 v[86:89], off, off offset:264
	scratch_load_dwordx4 v[94:97], off, off offset:280
	;; [unrolled: 1-line block ×12, first 2 shown]
	v_cmp_lt_u32_e32 vcc, 11, v0
	ds_read2_b64 v[192:195], v142 offset0:117 offset1:118
	ds_read2_b64 v[200:203], v142 offset0:119 offset1:120
	s_waitcnt vmcnt(21) lgkmcnt(3)
	v_mul_f32_e32 v10, v2, v7
	v_fmac_f32_e32 v10, v3, v6
	v_mul_f32_e32 v11, v4, v9
	v_add_f32_e32 v10, 0, v10
	v_fmac_f32_e32 v11, v5, v8
	v_add_f32_e32 v18, v10, v11
	ds_read2_b64 v[10:13], v142 offset0:79 offset1:80
	v_mul_f32_e32 v3, v3, v7
	v_fma_f32 v2, v2, v6, -v3
	v_mul_f32_e32 v3, v5, v9
	v_add_f32_e32 v2, 0, v2
	s_waitcnt vmcnt(20) lgkmcnt(0)
	v_mul_f32_e32 v19, v10, v15
	v_fmac_f32_e32 v19, v11, v14
	v_add_f32_e32 v18, v18, v19
	v_mul_f32_e32 v19, v12, v17
	v_fmac_f32_e32 v19, v13, v16
	v_add_f32_e32 v26, v18, v19
	ds_read2_b64 v[18:21], v142 offset0:81 offset1:82
	v_fma_f32 v3, v4, v8, -v3
	v_add_f32_e32 v2, v2, v3
	v_mul_f32_e32 v3, v11, v15
	v_fma_f32 v3, v10, v14, -v3
	s_waitcnt vmcnt(19) lgkmcnt(0)
	v_mul_f32_e32 v27, v18, v23
	v_fmac_f32_e32 v27, v19, v22
	v_add_f32_e32 v26, v26, v27
	v_mul_f32_e32 v27, v20, v25
	v_fmac_f32_e32 v27, v21, v24
	v_add_f32_e32 v34, v26, v27
	ds_read2_b64 v[26:29], v142 offset0:83 offset1:84
	v_add_f32_e32 v2, v2, v3
	v_mul_f32_e32 v3, v13, v17
	v_fma_f32 v3, v12, v16, -v3
	v_add_f32_e32 v2, v2, v3
	s_waitcnt vmcnt(18) lgkmcnt(0)
	v_mul_f32_e32 v35, v26, v31
	v_fmac_f32_e32 v35, v27, v30
	v_add_f32_e32 v34, v34, v35
	v_mul_f32_e32 v35, v28, v33
	v_fmac_f32_e32 v35, v29, v32
	v_add_f32_e32 v42, v34, v35
	ds_read2_b64 v[34:37], v142 offset0:85 offset1:86
	v_mul_f32_e32 v3, v19, v23
	v_fma_f32 v3, v18, v22, -v3
	v_add_f32_e32 v2, v2, v3
	v_mul_f32_e32 v3, v21, v25
	s_waitcnt vmcnt(17) lgkmcnt(0)
	v_mul_f32_e32 v43, v34, v39
	v_fmac_f32_e32 v43, v35, v38
	v_add_f32_e32 v42, v42, v43
	v_mul_f32_e32 v43, v36, v41
	v_fmac_f32_e32 v43, v37, v40
	v_add_f32_e32 v50, v42, v43
	ds_read2_b64 v[42:45], v142 offset0:87 offset1:88
	v_fma_f32 v3, v20, v24, -v3
	v_add_f32_e32 v2, v2, v3
	v_mul_f32_e32 v3, v27, v31
	v_fma_f32 v3, v26, v30, -v3
	s_waitcnt vmcnt(16) lgkmcnt(0)
	v_mul_f32_e32 v51, v42, v47
	v_fmac_f32_e32 v51, v43, v46
	v_add_f32_e32 v50, v50, v51
	v_mul_f32_e32 v51, v44, v49
	v_fmac_f32_e32 v51, v45, v48
	v_add_f32_e32 v58, v50, v51
	ds_read2_b64 v[50:53], v142 offset0:89 offset1:90
	v_add_f32_e32 v2, v2, v3
	v_mul_f32_e32 v3, v29, v33
	v_fma_f32 v3, v28, v32, -v3
	v_add_f32_e32 v2, v2, v3
	s_waitcnt vmcnt(15) lgkmcnt(0)
	v_mul_f32_e32 v59, v50, v55
	v_fmac_f32_e32 v59, v51, v54
	v_add_f32_e32 v58, v58, v59
	v_mul_f32_e32 v59, v52, v57
	v_fmac_f32_e32 v59, v53, v56
	v_add_f32_e32 v66, v58, v59
	ds_read2_b64 v[58:61], v142 offset0:91 offset1:92
	v_mul_f32_e32 v3, v35, v39
	v_fma_f32 v3, v34, v38, -v3
	v_add_f32_e32 v2, v2, v3
	v_mul_f32_e32 v3, v37, v41
	;; [unrolled: 36-line block ×5, first 2 shown]
	s_waitcnt vmcnt(5) lgkmcnt(0)
	v_mul_f32_e32 v139, v130, v135
	v_fmac_f32_e32 v139, v131, v134
	v_add_f32_e32 v138, v138, v139
	v_mul_f32_e32 v139, v132, v137
	v_fmac_f32_e32 v139, v133, v136
	v_add_f32_e32 v143, v138, v139
	ds_read2_b64 v[138:141], v142 offset0:111 offset1:112
	v_fma_f32 v3, v84, v88, -v3
	v_add_f32_e32 v2, v2, v3
	v_mul_f32_e32 v3, v91, v95
	v_fma_f32 v3, v90, v94, -v3
	s_waitcnt vmcnt(4) lgkmcnt(0)
	v_mul_f32_e32 v148, v138, v145
	v_fmac_f32_e32 v148, v139, v144
	v_add_f32_e32 v143, v143, v148
	v_mul_f32_e32 v148, v140, v147
	v_fmac_f32_e32 v148, v141, v146
	v_add_f32_e32 v143, v143, v148
	ds_read2_b64 v[148:151], v142 offset0:113 offset1:114
	scratch_load_dwordx4 v[208:211], off, off offset:456
	scratch_load_dwordx4 v[212:215], off, off offset:472
	;; [unrolled: 1-line block ×3, first 2 shown]
	scratch_load_dwordx2 v[162:163], off, off offset:504
	v_add_f32_e32 v2, v2, v3
	v_mul_f32_e32 v3, v93, v97
	v_fma_f32 v3, v92, v96, -v3
	v_add_f32_e32 v2, v2, v3
	v_mul_f32_e32 v3, v99, v103
	v_fma_f32 v3, v98, v102, -v3
	;; [unrolled: 3-line block ×13, first 2 shown]
	s_waitcnt vmcnt(7) lgkmcnt(0)
	v_mul_f32_e32 v156, v148, v153
	v_add_f32_e32 v2, v2, v3
	v_mul_f32_e32 v3, v149, v153
	v_fmac_f32_e32 v156, v149, v152
	v_fma_f32 v3, v148, v152, -v3
	v_add_f32_e32 v143, v143, v156
	v_mul_f32_e32 v156, v150, v155
	v_add_f32_e32 v2, v2, v3
	v_mul_f32_e32 v3, v151, v155
	v_fmac_f32_e32 v156, v151, v154
	v_fma_f32 v3, v150, v154, -v3
	v_add_f32_e32 v143, v143, v156
	s_waitcnt vmcnt(6)
	v_mul_f32_e32 v156, v184, v189
	v_add_f32_e32 v2, v2, v3
	v_mul_f32_e32 v3, v185, v189
	v_fmac_f32_e32 v156, v185, v188
	v_fma_f32 v3, v184, v188, -v3
	v_add_f32_e32 v143, v143, v156
	v_mul_f32_e32 v156, v186, v191
	v_add_f32_e32 v2, v2, v3
	v_mul_f32_e32 v3, v187, v191
	v_fmac_f32_e32 v156, v187, v190
	v_fma_f32 v3, v186, v190, -v3
	v_add_f32_e32 v143, v143, v156
	s_waitcnt vmcnt(5)
	v_mul_f32_e32 v156, v192, v197
	v_add_f32_e32 v2, v2, v3
	v_mul_f32_e32 v3, v193, v197
	v_fmac_f32_e32 v156, v193, v196
	v_fma_f32 v3, v192, v196, -v3
	v_add_f32_e32 v157, v143, v156
	v_add_f32_e32 v156, v2, v3
	v_mul_f32_e32 v2, v195, v199
	v_mul_f32_e32 v159, v194, v199
	v_fma_f32 v158, v194, v198, -v2
	s_waitcnt vmcnt(4)
	v_mul_f32_e32 v2, v201, v205
	v_mov_b32_e32 v18, v207
	v_fmac_f32_e32 v159, v195, v198
	v_mul_f32_e32 v161, v200, v205
	v_fma_f32 v160, v200, v204, -v2
	ds_read2_b64 v[2:5], v142 offset0:121 offset1:122
	ds_read2_b64 v[6:9], v142 offset0:123 offset1:124
	;; [unrolled: 1-line block ×3, first 2 shown]
	ds_read_b64 v[14:15], v142 offset:1016
	v_pk_mul_f32 v[18:19], v[202:203], v[18:19] op_sel:[1,0] op_sel_hi:[0,0]
	v_fmac_f32_e32 v161, v201, v204
	v_pk_add_f32 v[16:17], v[156:157], v[158:159]
	v_pk_fma_f32 v[20:21], v[202:203], v[206:207], v[18:19] neg_lo:[0,0,1] neg_hi:[0,0,1]
	v_pk_fma_f32 v[18:19], v[202:203], v[206:207], v[18:19] op_sel_hi:[1,0,1]
	v_pk_add_f32 v[16:17], v[16:17], v[160:161]
	v_mov_b32_e32 v21, v19
	s_waitcnt vmcnt(3) lgkmcnt(3)
	v_pk_mul_f32 v[18:19], v[2:3], v[208:209] op_sel:[1,1] op_sel_hi:[0,1]
	v_pk_add_f32 v[16:17], v[16:17], v[20:21]
	v_pk_fma_f32 v[20:21], v[2:3], v[208:209], v[18:19] neg_lo:[0,0,1] neg_hi:[0,0,1]
	v_pk_fma_f32 v[2:3], v[2:3], v[208:209], v[18:19] op_sel_hi:[1,0,1]
	s_nop 0
	v_mov_b32_e32 v21, v3
	v_pk_add_f32 v[2:3], v[16:17], v[20:21]
	v_mov_b32_e32 v16, v211
	v_pk_mul_f32 v[16:17], v[4:5], v[16:17] op_sel:[1,0] op_sel_hi:[0,0]
	v_pk_fma_f32 v[18:19], v[4:5], v[210:211], v[16:17] neg_lo:[0,0,1] neg_hi:[0,0,1]
	v_pk_fma_f32 v[4:5], v[4:5], v[210:211], v[16:17] op_sel_hi:[1,0,1]
	s_nop 0
	v_mov_b32_e32 v19, v5
	s_waitcnt vmcnt(2) lgkmcnt(2)
	v_pk_mul_f32 v[4:5], v[6:7], v[212:213] op_sel:[1,1] op_sel_hi:[0,1]
	v_pk_fma_f32 v[16:17], v[6:7], v[212:213], v[4:5] neg_lo:[0,0,1] neg_hi:[0,0,1]
	v_pk_fma_f32 v[4:5], v[6:7], v[212:213], v[4:5] op_sel_hi:[1,0,1]
	v_pk_add_f32 v[2:3], v[2:3], v[18:19]
	v_mov_b32_e32 v4, v215
	v_mov_b32_e32 v17, v5
	v_pk_mul_f32 v[4:5], v[8:9], v[4:5] op_sel:[1,0] op_sel_hi:[0,0]
	v_pk_fma_f32 v[6:7], v[8:9], v[214:215], v[4:5] neg_lo:[0,0,1] neg_hi:[0,0,1]
	v_pk_fma_f32 v[4:5], v[8:9], v[214:215], v[4:5] op_sel_hi:[1,0,1]
	v_pk_add_f32 v[2:3], v[2:3], v[16:17]
	v_mov_b32_e32 v7, v5
	s_waitcnt vmcnt(1) lgkmcnt(1)
	v_pk_mul_f32 v[4:5], v[10:11], v[216:217] op_sel:[1,1] op_sel_hi:[0,1]
	v_pk_add_f32 v[2:3], v[2:3], v[6:7]
	v_pk_fma_f32 v[6:7], v[10:11], v[216:217], v[4:5] neg_lo:[0,0,1] neg_hi:[0,0,1]
	v_pk_fma_f32 v[4:5], v[10:11], v[216:217], v[4:5] op_sel_hi:[1,0,1]
	s_nop 0
	v_mov_b32_e32 v4, v219
	v_mov_b32_e32 v7, v5
	v_pk_mul_f32 v[4:5], v[12:13], v[4:5] op_sel:[1,0] op_sel_hi:[0,0]
	v_pk_add_f32 v[2:3], v[2:3], v[6:7]
	v_pk_fma_f32 v[6:7], v[12:13], v[218:219], v[4:5] neg_lo:[0,0,1] neg_hi:[0,0,1]
	v_pk_fma_f32 v[4:5], v[12:13], v[218:219], v[4:5] op_sel_hi:[1,0,1]
	s_nop 0
	v_mov_b32_e32 v7, v5
	s_waitcnt vmcnt(0) lgkmcnt(0)
	v_pk_mul_f32 v[4:5], v[14:15], v[162:163] op_sel:[1,1] op_sel_hi:[0,1]
	v_pk_add_f32 v[2:3], v[2:3], v[6:7]
	v_pk_fma_f32 v[6:7], v[14:15], v[162:163], v[4:5] neg_lo:[0,0,1] neg_hi:[0,0,1]
	v_pk_fma_f32 v[4:5], v[14:15], v[162:163], v[4:5] op_sel_hi:[1,0,1]
	s_nop 0
	v_mov_b32_e32 v7, v5
	scratch_load_dwordx2 v[4:5], off, off offset:96
	v_pk_add_f32 v[2:3], v[2:3], v[6:7]
	s_waitcnt vmcnt(0)
	v_pk_add_f32 v[2:3], v[4:5], v[2:3] neg_lo:[0,1] neg_hi:[0,1]
	scratch_store_dwordx2 off, v[2:3], off offset:96
	s_and_saveexec_b64 s[0:1], vcc
	s_cbranch_execz .LBB63_375
; %bb.374:
	scratch_load_dwordx2 v[2:3], off, off offset:88
	v_mov_b32_e32 v143, v142
	scratch_store_dwordx2 off, v[142:143], off offset:88
	s_waitcnt vmcnt(1)
	ds_write_b64 v1, v[2:3]
.LBB63_375:
	s_or_b64 exec, exec, s[0:1]
	s_waitcnt lgkmcnt(0)
	; wave barrier
	ds_read_b128 v[14:17], v142 offset:608
	ds_read_b128 v[10:13], v142 offset:624
	;; [unrolled: 1-line block ×4, first 2 shown]
	scratch_load_dwordx4 v[18:21], off, off offset:96
	scratch_load_dwordx4 v[38:41], off, off offset:160
	scratch_load_dwordx4 v[70:73], off, off offset:224
	scratch_load_dwordx4 v[78:81], off, off offset:240
	scratch_load_dwordx4 v[86:89], off, off offset:256
	scratch_load_dwordx4 v[94:97], off, off offset:272
	scratch_load_dwordx4 v[102:105], off, off offset:288
	scratch_load_dwordx4 v[110:113], off, off offset:304
	scratch_load_dwordx4 v[118:121], off, off offset:320
	scratch_load_dwordx4 v[126:129], off, off offset:336
	scratch_load_dwordx4 v[134:137], off, off offset:352
	scratch_load_dwordx4 v[144:147], off, off offset:368
	scratch_load_dwordx4 v[152:155], off, off offset:384
	scratch_load_dwordx4 v[188:191], off, off offset:400
	scratch_load_dwordx4 v[196:199], off, off offset:416
	scratch_load_dwordx4 v[204:207], off, off offset:432
	v_cmp_lt_u32_e32 vcc, 10, v0
	scratch_load_dwordx4 v[46:49], off, off offset:176
	scratch_load_dwordx4 v[54:57], off, off offset:192
	;; [unrolled: 1-line block ×3, first 2 shown]
	ds_read_b128 v[184:187], v142 offset:912
	ds_read_b128 v[192:195], v142 offset:928
	;; [unrolled: 1-line block ×3, first 2 shown]
	s_waitcnt vmcnt(18) lgkmcnt(6)
	v_mul_f32_e32 v22, v14, v19
	v_fmac_f32_e32 v22, v15, v18
	v_mul_f32_e32 v23, v16, v21
	v_add_f32_e32 v22, 0, v22
	v_fmac_f32_e32 v23, v17, v20
	v_add_f32_e32 v26, v22, v23
	scratch_load_dwordx4 v[22:25], off, off offset:112
	v_mul_f32_e32 v15, v15, v19
	v_fma_f32 v14, v14, v18, -v15
	v_mul_f32_e32 v15, v17, v21
	v_add_f32_e32 v14, 0, v14
	v_fma_f32 v15, v16, v20, -v15
	v_add_f32_e32 v14, v14, v15
	s_waitcnt vmcnt(4) lgkmcnt(0)
	v_mul_f32_e32 v159, v200, v205
	v_mul_f32_e32 v161, v202, v207
	v_fmac_f32_e32 v159, v201, v204
	v_fmac_f32_e32 v161, v203, v206
	s_waitcnt vmcnt(0)
	v_mul_f32_e32 v27, v10, v23
	v_fmac_f32_e32 v27, v11, v22
	v_add_f32_e32 v26, v26, v27
	v_mul_f32_e32 v27, v12, v25
	v_fmac_f32_e32 v27, v13, v24
	v_add_f32_e32 v30, v26, v27
	scratch_load_dwordx4 v[26:29], off, off offset:128
	v_mul_f32_e32 v11, v11, v23
	v_fma_f32 v10, v10, v22, -v11
	v_mul_f32_e32 v11, v13, v25
	v_add_f32_e32 v10, v14, v10
	v_fma_f32 v11, v12, v24, -v11
	v_add_f32_e32 v10, v10, v11
	s_waitcnt vmcnt(0)
	v_mul_f32_e32 v31, v6, v27
	v_fmac_f32_e32 v31, v7, v26
	v_add_f32_e32 v30, v30, v31
	v_mul_f32_e32 v31, v8, v29
	v_fmac_f32_e32 v31, v9, v28
	v_add_f32_e32 v34, v30, v31
	scratch_load_dwordx4 v[30:33], off, off offset:144
	v_mul_f32_e32 v7, v7, v27
	v_fma_f32 v6, v6, v26, -v7
	v_mul_f32_e32 v7, v9, v29
	v_add_f32_e32 v6, v10, v6
	v_fma_f32 v7, v8, v28, -v7
	v_add_f32_e32 v6, v6, v7
	s_waitcnt vmcnt(0)
	v_mul_f32_e32 v35, v2, v31
	v_fmac_f32_e32 v35, v3, v30
	v_add_f32_e32 v34, v34, v35
	v_mul_f32_e32 v35, v4, v33
	v_fmac_f32_e32 v35, v5, v32
	v_add_f32_e32 v42, v34, v35
	ds_read_b128 v[34:37], v142 offset:672
	v_mul_f32_e32 v3, v3, v31
	v_fma_f32 v2, v2, v30, -v3
	v_mul_f32_e32 v3, v5, v33
	v_add_f32_e32 v2, v6, v2
	s_waitcnt lgkmcnt(0)
	v_mul_f32_e32 v43, v34, v39
	v_fmac_f32_e32 v43, v35, v38
	v_add_f32_e32 v42, v42, v43
	v_mul_f32_e32 v43, v36, v41
	v_fmac_f32_e32 v43, v37, v40
	v_add_f32_e32 v50, v42, v43
	ds_read_b128 v[42:45], v142 offset:688
	v_fma_f32 v3, v4, v32, -v3
	v_add_f32_e32 v2, v2, v3
	v_mul_f32_e32 v3, v35, v39
	v_fma_f32 v3, v34, v38, -v3
	s_waitcnt lgkmcnt(0)
	v_mul_f32_e32 v51, v42, v47
	v_fmac_f32_e32 v51, v43, v46
	v_add_f32_e32 v50, v50, v51
	v_mul_f32_e32 v51, v44, v49
	v_fmac_f32_e32 v51, v45, v48
	v_add_f32_e32 v58, v50, v51
	ds_read_b128 v[50:53], v142 offset:704
	v_add_f32_e32 v2, v2, v3
	v_mul_f32_e32 v3, v37, v41
	v_fma_f32 v3, v36, v40, -v3
	v_add_f32_e32 v2, v2, v3
	s_waitcnt lgkmcnt(0)
	v_mul_f32_e32 v59, v50, v55
	v_fmac_f32_e32 v59, v51, v54
	v_add_f32_e32 v58, v58, v59
	v_mul_f32_e32 v59, v52, v57
	v_fmac_f32_e32 v59, v53, v56
	v_add_f32_e32 v66, v58, v59
	ds_read_b128 v[58:61], v142 offset:720
	v_mul_f32_e32 v3, v43, v47
	v_fma_f32 v3, v42, v46, -v3
	v_add_f32_e32 v2, v2, v3
	v_mul_f32_e32 v3, v45, v49
	s_waitcnt lgkmcnt(0)
	v_mul_f32_e32 v67, v58, v63
	v_fmac_f32_e32 v67, v59, v62
	v_add_f32_e32 v66, v66, v67
	v_mul_f32_e32 v67, v60, v65
	v_fmac_f32_e32 v67, v61, v64
	v_add_f32_e32 v74, v66, v67
	ds_read_b128 v[66:69], v142 offset:736
	v_fma_f32 v3, v44, v48, -v3
	v_add_f32_e32 v2, v2, v3
	v_mul_f32_e32 v3, v51, v55
	v_fma_f32 v3, v50, v54, -v3
	s_waitcnt lgkmcnt(0)
	v_mul_f32_e32 v75, v66, v71
	v_fmac_f32_e32 v75, v67, v70
	v_add_f32_e32 v74, v74, v75
	v_mul_f32_e32 v75, v68, v73
	v_fmac_f32_e32 v75, v69, v72
	v_add_f32_e32 v82, v74, v75
	ds_read_b128 v[74:77], v142 offset:752
	v_add_f32_e32 v2, v2, v3
	v_mul_f32_e32 v3, v53, v57
	v_fma_f32 v3, v52, v56, -v3
	v_add_f32_e32 v2, v2, v3
	s_waitcnt lgkmcnt(0)
	v_mul_f32_e32 v83, v74, v79
	v_fmac_f32_e32 v83, v75, v78
	v_add_f32_e32 v82, v82, v83
	v_mul_f32_e32 v83, v76, v81
	v_fmac_f32_e32 v83, v77, v80
	v_add_f32_e32 v90, v82, v83
	ds_read_b128 v[82:85], v142 offset:768
	v_mul_f32_e32 v3, v59, v63
	v_fma_f32 v3, v58, v62, -v3
	v_add_f32_e32 v2, v2, v3
	v_mul_f32_e32 v3, v61, v65
	;; [unrolled: 36-line block ×4, first 2 shown]
	s_waitcnt lgkmcnt(0)
	v_mul_f32_e32 v139, v130, v135
	v_fmac_f32_e32 v139, v131, v134
	v_add_f32_e32 v138, v138, v139
	v_mul_f32_e32 v139, v132, v137
	v_fmac_f32_e32 v139, v133, v136
	v_add_f32_e32 v143, v138, v139
	ds_read_b128 v[138:141], v142 offset:880
	v_fma_f32 v3, v92, v96, -v3
	v_add_f32_e32 v2, v2, v3
	v_mul_f32_e32 v3, v99, v103
	v_fma_f32 v3, v98, v102, -v3
	s_waitcnt lgkmcnt(0)
	v_mul_f32_e32 v148, v138, v145
	v_fmac_f32_e32 v148, v139, v144
	v_add_f32_e32 v143, v143, v148
	v_mul_f32_e32 v148, v140, v147
	v_fmac_f32_e32 v148, v141, v146
	v_add_f32_e32 v143, v143, v148
	ds_read_b128 v[148:151], v142 offset:896
	scratch_load_dwordx4 v[208:211], off, off offset:448
	scratch_load_dwordx4 v[212:215], off, off offset:464
	;; [unrolled: 1-line block ×4, first 2 shown]
	v_add_f32_e32 v2, v2, v3
	v_mul_f32_e32 v3, v101, v105
	v_fma_f32 v3, v100, v104, -v3
	v_add_f32_e32 v2, v2, v3
	v_mul_f32_e32 v3, v107, v111
	v_fma_f32 v3, v106, v110, -v3
	;; [unrolled: 3-line block ×11, first 2 shown]
	s_waitcnt lgkmcnt(0)
	v_mul_f32_e32 v156, v148, v153
	v_add_f32_e32 v2, v2, v3
	v_mul_f32_e32 v3, v149, v153
	v_fmac_f32_e32 v156, v149, v152
	v_fma_f32 v3, v148, v152, -v3
	v_add_f32_e32 v143, v143, v156
	v_mul_f32_e32 v156, v150, v155
	v_add_f32_e32 v2, v2, v3
	v_mul_f32_e32 v3, v151, v155
	v_fmac_f32_e32 v156, v151, v154
	v_fma_f32 v3, v150, v154, -v3
	v_add_f32_e32 v143, v143, v156
	;; [unrolled: 6-line block ×6, first 2 shown]
	v_add_f32_e32 v156, v2, v3
	v_mul_f32_e32 v2, v201, v205
	v_fma_f32 v158, v200, v204, -v2
	v_mul_f32_e32 v2, v203, v207
	v_fma_f32 v160, v202, v206, -v2
	ds_read_b128 v[2:5], v142 offset:960
	ds_read_b128 v[6:9], v142 offset:976
	;; [unrolled: 1-line block ×4, first 2 shown]
	v_pk_add_f32 v[18:19], v[156:157], v[158:159]
	s_waitcnt vmcnt(3) lgkmcnt(3)
	v_pk_mul_f32 v[20:21], v[2:3], v[208:209] op_sel:[1,1] op_sel_hi:[0,1]
	v_pk_fma_f32 v[22:23], v[2:3], v[208:209], v[20:21] neg_lo:[0,0,1] neg_hi:[0,0,1]
	v_pk_fma_f32 v[2:3], v[2:3], v[208:209], v[20:21] op_sel_hi:[1,0,1]
	v_pk_add_f32 v[18:19], v[18:19], v[160:161]
	v_mov_b32_e32 v23, v3
	v_pk_add_f32 v[2:3], v[18:19], v[22:23]
	v_mov_b32_e32 v18, v211
	v_pk_mul_f32 v[18:19], v[4:5], v[18:19] op_sel:[1,0] op_sel_hi:[0,0]
	v_pk_fma_f32 v[20:21], v[4:5], v[210:211], v[18:19] neg_lo:[0,0,1] neg_hi:[0,0,1]
	v_pk_fma_f32 v[4:5], v[4:5], v[210:211], v[18:19] op_sel_hi:[1,0,1]
	s_nop 0
	v_mov_b32_e32 v21, v5
	s_waitcnt vmcnt(2) lgkmcnt(2)
	v_pk_mul_f32 v[4:5], v[6:7], v[212:213] op_sel:[1,1] op_sel_hi:[0,1]
	v_pk_fma_f32 v[18:19], v[6:7], v[212:213], v[4:5] neg_lo:[0,0,1] neg_hi:[0,0,1]
	v_pk_fma_f32 v[4:5], v[6:7], v[212:213], v[4:5] op_sel_hi:[1,0,1]
	v_pk_add_f32 v[2:3], v[2:3], v[20:21]
	v_mov_b32_e32 v4, v215
	v_mov_b32_e32 v19, v5
	v_pk_mul_f32 v[4:5], v[8:9], v[4:5] op_sel:[1,0] op_sel_hi:[0,0]
	v_pk_fma_f32 v[6:7], v[8:9], v[214:215], v[4:5] neg_lo:[0,0,1] neg_hi:[0,0,1]
	v_pk_fma_f32 v[4:5], v[8:9], v[214:215], v[4:5] op_sel_hi:[1,0,1]
	v_pk_add_f32 v[2:3], v[2:3], v[18:19]
	v_mov_b32_e32 v7, v5
	s_waitcnt vmcnt(1) lgkmcnt(1)
	v_pk_mul_f32 v[4:5], v[10:11], v[216:217] op_sel:[1,1] op_sel_hi:[0,1]
	v_pk_add_f32 v[2:3], v[2:3], v[6:7]
	v_pk_fma_f32 v[6:7], v[10:11], v[216:217], v[4:5] neg_lo:[0,0,1] neg_hi:[0,0,1]
	v_pk_fma_f32 v[4:5], v[10:11], v[216:217], v[4:5] op_sel_hi:[1,0,1]
	s_nop 0
	v_mov_b32_e32 v4, v219
	v_mov_b32_e32 v7, v5
	v_pk_mul_f32 v[4:5], v[12:13], v[4:5] op_sel:[1,0] op_sel_hi:[0,0]
	v_pk_add_f32 v[2:3], v[2:3], v[6:7]
	v_pk_fma_f32 v[6:7], v[12:13], v[218:219], v[4:5] neg_lo:[0,0,1] neg_hi:[0,0,1]
	v_pk_fma_f32 v[4:5], v[12:13], v[218:219], v[4:5] op_sel_hi:[1,0,1]
	s_nop 0
	v_mov_b32_e32 v7, v5
	s_waitcnt vmcnt(0) lgkmcnt(0)
	v_pk_mul_f32 v[4:5], v[14:15], v[220:221] op_sel:[1,1] op_sel_hi:[0,1]
	v_pk_add_f32 v[2:3], v[2:3], v[6:7]
	v_pk_fma_f32 v[6:7], v[14:15], v[220:221], v[4:5] neg_lo:[0,0,1] neg_hi:[0,0,1]
	v_pk_fma_f32 v[4:5], v[14:15], v[220:221], v[4:5] op_sel_hi:[1,0,1]
	s_nop 0
	v_mov_b32_e32 v4, v223
	v_mov_b32_e32 v7, v5
	v_pk_mul_f32 v[4:5], v[16:17], v[4:5] op_sel:[1,0] op_sel_hi:[0,0]
	v_pk_add_f32 v[2:3], v[2:3], v[6:7]
	v_pk_fma_f32 v[6:7], v[16:17], v[222:223], v[4:5] neg_lo:[0,0,1] neg_hi:[0,0,1]
	v_pk_fma_f32 v[4:5], v[16:17], v[222:223], v[4:5] op_sel_hi:[1,0,1]
	s_nop 0
	v_mov_b32_e32 v7, v5
	scratch_load_dwordx2 v[4:5], off, off offset:88
	v_pk_add_f32 v[2:3], v[2:3], v[6:7]
	s_waitcnt vmcnt(0)
	v_pk_add_f32 v[2:3], v[4:5], v[2:3] neg_lo:[0,1] neg_hi:[0,1]
	scratch_store_dwordx2 off, v[2:3], off offset:88
	s_and_saveexec_b64 s[0:1], vcc
	s_cbranch_execz .LBB63_377
; %bb.376:
	scratch_load_dwordx2 v[2:3], off, off offset:80
	v_mov_b32_e32 v4, 0
	v_mov_b32_e32 v5, v4
	scratch_store_dwordx2 off, v[4:5], off offset:80
	s_waitcnt vmcnt(1)
	ds_write_b64 v1, v[2:3]
.LBB63_377:
	s_or_b64 exec, exec, s[0:1]
	s_waitcnt lgkmcnt(0)
	; wave barrier
	scratch_load_dwordx4 v[6:9], off, off offset:88
	scratch_load_dwordx4 v[14:17], off, off offset:104
	;; [unrolled: 1-line block ×10, first 2 shown]
	v_mov_b32_e32 v150, 0
	ds_read2_b64 v[2:5], v150 offset0:75 offset1:76
	ds_read2_b64 v[184:187], v150 offset0:113 offset1:114
	scratch_load_dwordx4 v[86:89], off, off offset:248
	scratch_load_dwordx4 v[94:97], off, off offset:264
	;; [unrolled: 1-line block ×13, first 2 shown]
	v_cmp_lt_u32_e32 vcc, 9, v0
	ds_read2_b64 v[192:195], v150 offset0:115 offset1:116
	ds_read2_b64 v[200:203], v150 offset0:117 offset1:118
	;; [unrolled: 1-line block ×3, first 2 shown]
	s_waitcnt vmcnt(22) lgkmcnt(4)
	v_mul_f32_e32 v10, v2, v7
	v_fmac_f32_e32 v10, v3, v6
	v_mul_f32_e32 v11, v4, v9
	v_add_f32_e32 v10, 0, v10
	v_fmac_f32_e32 v11, v5, v8
	v_add_f32_e32 v18, v10, v11
	ds_read2_b64 v[10:13], v150 offset0:77 offset1:78
	v_mul_f32_e32 v3, v3, v7
	v_fma_f32 v2, v2, v6, -v3
	v_mul_f32_e32 v3, v5, v9
	v_add_f32_e32 v2, 0, v2
	s_waitcnt vmcnt(21) lgkmcnt(0)
	v_mul_f32_e32 v19, v10, v15
	v_fmac_f32_e32 v19, v11, v14
	v_add_f32_e32 v18, v18, v19
	v_mul_f32_e32 v19, v12, v17
	v_fmac_f32_e32 v19, v13, v16
	v_add_f32_e32 v26, v18, v19
	ds_read2_b64 v[18:21], v150 offset0:79 offset1:80
	v_fma_f32 v3, v4, v8, -v3
	v_add_f32_e32 v2, v2, v3
	v_mul_f32_e32 v3, v11, v15
	v_fma_f32 v3, v10, v14, -v3
	s_waitcnt vmcnt(20) lgkmcnt(0)
	v_mul_f32_e32 v27, v18, v23
	v_fmac_f32_e32 v27, v19, v22
	v_add_f32_e32 v26, v26, v27
	v_mul_f32_e32 v27, v20, v25
	v_fmac_f32_e32 v27, v21, v24
	v_add_f32_e32 v34, v26, v27
	ds_read2_b64 v[26:29], v150 offset0:81 offset1:82
	v_add_f32_e32 v2, v2, v3
	v_mul_f32_e32 v3, v13, v17
	v_fma_f32 v3, v12, v16, -v3
	v_add_f32_e32 v2, v2, v3
	s_waitcnt vmcnt(19) lgkmcnt(0)
	v_mul_f32_e32 v35, v26, v31
	v_fmac_f32_e32 v35, v27, v30
	v_add_f32_e32 v34, v34, v35
	v_mul_f32_e32 v35, v28, v33
	v_fmac_f32_e32 v35, v29, v32
	v_add_f32_e32 v42, v34, v35
	ds_read2_b64 v[34:37], v150 offset0:83 offset1:84
	v_mul_f32_e32 v3, v19, v23
	v_fma_f32 v3, v18, v22, -v3
	v_add_f32_e32 v2, v2, v3
	v_mul_f32_e32 v3, v21, v25
	s_waitcnt vmcnt(18) lgkmcnt(0)
	v_mul_f32_e32 v43, v34, v39
	v_fmac_f32_e32 v43, v35, v38
	v_add_f32_e32 v42, v42, v43
	v_mul_f32_e32 v43, v36, v41
	v_fmac_f32_e32 v43, v37, v40
	v_add_f32_e32 v50, v42, v43
	ds_read2_b64 v[42:45], v150 offset0:85 offset1:86
	v_fma_f32 v3, v20, v24, -v3
	v_add_f32_e32 v2, v2, v3
	v_mul_f32_e32 v3, v27, v31
	v_fma_f32 v3, v26, v30, -v3
	s_waitcnt vmcnt(17) lgkmcnt(0)
	v_mul_f32_e32 v51, v42, v47
	v_fmac_f32_e32 v51, v43, v46
	v_add_f32_e32 v50, v50, v51
	v_mul_f32_e32 v51, v44, v49
	v_fmac_f32_e32 v51, v45, v48
	v_add_f32_e32 v58, v50, v51
	ds_read2_b64 v[50:53], v150 offset0:87 offset1:88
	v_add_f32_e32 v2, v2, v3
	v_mul_f32_e32 v3, v29, v33
	v_fma_f32 v3, v28, v32, -v3
	v_add_f32_e32 v2, v2, v3
	s_waitcnt vmcnt(16) lgkmcnt(0)
	v_mul_f32_e32 v59, v50, v55
	v_fmac_f32_e32 v59, v51, v54
	v_add_f32_e32 v58, v58, v59
	v_mul_f32_e32 v59, v52, v57
	v_fmac_f32_e32 v59, v53, v56
	v_add_f32_e32 v66, v58, v59
	ds_read2_b64 v[58:61], v150 offset0:89 offset1:90
	v_mul_f32_e32 v3, v35, v39
	v_fma_f32 v3, v34, v38, -v3
	v_add_f32_e32 v2, v2, v3
	v_mul_f32_e32 v3, v37, v41
	s_waitcnt vmcnt(15) lgkmcnt(0)
	v_mul_f32_e32 v67, v58, v63
	v_fmac_f32_e32 v67, v59, v62
	v_add_f32_e32 v66, v66, v67
	v_mul_f32_e32 v67, v60, v65
	v_fmac_f32_e32 v67, v61, v64
	v_add_f32_e32 v74, v66, v67
	ds_read2_b64 v[66:69], v150 offset0:91 offset1:92
	v_fma_f32 v3, v36, v40, -v3
	v_add_f32_e32 v2, v2, v3
	v_mul_f32_e32 v3, v43, v47
	v_fma_f32 v3, v42, v46, -v3
	s_waitcnt vmcnt(14) lgkmcnt(0)
	v_mul_f32_e32 v75, v66, v71
	v_fmac_f32_e32 v75, v67, v70
	v_add_f32_e32 v74, v74, v75
	v_mul_f32_e32 v75, v68, v73
	v_fmac_f32_e32 v75, v69, v72
	v_add_f32_e32 v82, v74, v75
	ds_read2_b64 v[74:77], v150 offset0:93 offset1:94
	v_add_f32_e32 v2, v2, v3
	v_mul_f32_e32 v3, v45, v49
	v_fma_f32 v3, v44, v48, -v3
	v_add_f32_e32 v2, v2, v3
	s_waitcnt vmcnt(13) lgkmcnt(0)
	v_mul_f32_e32 v83, v74, v79
	v_fmac_f32_e32 v83, v75, v78
	v_add_f32_e32 v82, v82, v83
	v_mul_f32_e32 v83, v76, v81
	v_fmac_f32_e32 v83, v77, v80
	v_add_f32_e32 v90, v82, v83
	ds_read2_b64 v[82:85], v150 offset0:95 offset1:96
	v_mul_f32_e32 v3, v51, v55
	v_fma_f32 v3, v50, v54, -v3
	v_add_f32_e32 v2, v2, v3
	v_mul_f32_e32 v3, v53, v57
	s_waitcnt vmcnt(12) lgkmcnt(0)
	v_mul_f32_e32 v91, v82, v87
	v_fmac_f32_e32 v91, v83, v86
	v_add_f32_e32 v90, v90, v91
	v_mul_f32_e32 v91, v84, v89
	v_fmac_f32_e32 v91, v85, v88
	v_add_f32_e32 v98, v90, v91
	ds_read2_b64 v[90:93], v150 offset0:97 offset1:98
	v_fma_f32 v3, v52, v56, -v3
	v_add_f32_e32 v2, v2, v3
	v_mul_f32_e32 v3, v59, v63
	v_fma_f32 v3, v58, v62, -v3
	s_waitcnt vmcnt(11) lgkmcnt(0)
	v_mul_f32_e32 v99, v90, v95
	v_fmac_f32_e32 v99, v91, v94
	v_add_f32_e32 v98, v98, v99
	v_mul_f32_e32 v99, v92, v97
	v_fmac_f32_e32 v99, v93, v96
	v_add_f32_e32 v106, v98, v99
	ds_read2_b64 v[98:101], v150 offset0:99 offset1:100
	v_add_f32_e32 v2, v2, v3
	v_mul_f32_e32 v3, v61, v65
	v_fma_f32 v3, v60, v64, -v3
	v_add_f32_e32 v2, v2, v3
	s_waitcnt vmcnt(10) lgkmcnt(0)
	v_mul_f32_e32 v107, v98, v103
	v_fmac_f32_e32 v107, v99, v102
	v_add_f32_e32 v106, v106, v107
	v_mul_f32_e32 v107, v100, v105
	v_fmac_f32_e32 v107, v101, v104
	v_add_f32_e32 v114, v106, v107
	ds_read2_b64 v[106:109], v150 offset0:101 offset1:102
	v_mul_f32_e32 v3, v67, v71
	v_fma_f32 v3, v66, v70, -v3
	v_add_f32_e32 v2, v2, v3
	v_mul_f32_e32 v3, v69, v73
	s_waitcnt vmcnt(9) lgkmcnt(0)
	v_mul_f32_e32 v115, v106, v111
	v_fmac_f32_e32 v115, v107, v110
	v_add_f32_e32 v114, v114, v115
	v_mul_f32_e32 v115, v108, v113
	v_fmac_f32_e32 v115, v109, v112
	v_add_f32_e32 v122, v114, v115
	ds_read2_b64 v[114:117], v150 offset0:103 offset1:104
	v_fma_f32 v3, v68, v72, -v3
	v_add_f32_e32 v2, v2, v3
	v_mul_f32_e32 v3, v75, v79
	v_fma_f32 v3, v74, v78, -v3
	s_waitcnt vmcnt(8) lgkmcnt(0)
	v_mul_f32_e32 v123, v114, v119
	v_fmac_f32_e32 v123, v115, v118
	v_add_f32_e32 v122, v122, v123
	v_mul_f32_e32 v123, v116, v121
	v_fmac_f32_e32 v123, v117, v120
	v_add_f32_e32 v130, v122, v123
	ds_read2_b64 v[122:125], v150 offset0:105 offset1:106
	v_add_f32_e32 v2, v2, v3
	v_mul_f32_e32 v3, v77, v81
	v_fma_f32 v3, v76, v80, -v3
	v_add_f32_e32 v2, v2, v3
	s_waitcnt vmcnt(7) lgkmcnt(0)
	v_mul_f32_e32 v131, v122, v127
	v_fmac_f32_e32 v131, v123, v126
	v_add_f32_e32 v130, v130, v131
	v_mul_f32_e32 v131, v124, v129
	v_fmac_f32_e32 v131, v125, v128
	v_add_f32_e32 v138, v130, v131
	ds_read2_b64 v[130:133], v150 offset0:107 offset1:108
	v_mul_f32_e32 v3, v83, v87
	v_fma_f32 v3, v82, v86, -v3
	v_add_f32_e32 v2, v2, v3
	v_mul_f32_e32 v3, v85, v89
	s_waitcnt vmcnt(6) lgkmcnt(0)
	v_mul_f32_e32 v139, v130, v135
	v_fmac_f32_e32 v139, v131, v134
	v_add_f32_e32 v138, v138, v139
	v_mul_f32_e32 v139, v132, v137
	v_fmac_f32_e32 v139, v133, v136
	v_add_f32_e32 v146, v138, v139
	ds_read2_b64 v[138:141], v150 offset0:109 offset1:110
	v_fma_f32 v3, v84, v88, -v3
	v_add_f32_e32 v2, v2, v3
	v_mul_f32_e32 v3, v91, v95
	v_fma_f32 v3, v90, v94, -v3
	s_waitcnt vmcnt(5) lgkmcnt(0)
	v_mul_f32_e32 v147, v138, v143
	v_fmac_f32_e32 v147, v139, v142
	v_add_f32_e32 v146, v146, v147
	v_mul_f32_e32 v147, v140, v145
	v_fmac_f32_e32 v147, v141, v144
	v_add_f32_e32 v151, v146, v147
	ds_read2_b64 v[146:149], v150 offset0:111 offset1:112
	scratch_load_dwordx4 v[216:219], off, off offset:456
	scratch_load_dwordx4 v[220:223], off, off offset:472
	;; [unrolled: 1-line block ×3, first 2 shown]
	scratch_load_dwordx2 v[162:163], off, off offset:504
	v_add_f32_e32 v2, v2, v3
	v_mul_f32_e32 v3, v93, v97
	v_fma_f32 v3, v92, v96, -v3
	v_add_f32_e32 v2, v2, v3
	v_mul_f32_e32 v3, v99, v103
	v_fma_f32 v3, v98, v102, -v3
	;; [unrolled: 3-line block ×13, first 2 shown]
	s_waitcnt vmcnt(8) lgkmcnt(0)
	v_mul_f32_e32 v156, v146, v153
	v_add_f32_e32 v2, v2, v3
	v_mul_f32_e32 v3, v147, v153
	v_fmac_f32_e32 v156, v147, v152
	v_fma_f32 v3, v146, v152, -v3
	v_add_f32_e32 v151, v151, v156
	v_mul_f32_e32 v156, v148, v155
	v_add_f32_e32 v2, v2, v3
	v_mul_f32_e32 v3, v149, v155
	v_fmac_f32_e32 v156, v149, v154
	v_fma_f32 v3, v148, v154, -v3
	v_add_f32_e32 v151, v151, v156
	s_waitcnt vmcnt(7)
	v_mul_f32_e32 v156, v184, v189
	v_add_f32_e32 v2, v2, v3
	v_mul_f32_e32 v3, v185, v189
	v_fmac_f32_e32 v156, v185, v188
	v_fma_f32 v3, v184, v188, -v3
	v_add_f32_e32 v151, v151, v156
	v_mul_f32_e32 v156, v186, v191
	v_add_f32_e32 v2, v2, v3
	v_mul_f32_e32 v3, v187, v191
	v_fmac_f32_e32 v156, v187, v190
	v_fma_f32 v3, v186, v190, -v3
	v_add_f32_e32 v151, v151, v156
	s_waitcnt vmcnt(6)
	;; [unrolled: 13-line block ×3, first 2 shown]
	v_mul_f32_e32 v156, v200, v205
	v_add_f32_e32 v2, v2, v3
	v_mul_f32_e32 v3, v201, v205
	v_fmac_f32_e32 v156, v201, v204
	v_fma_f32 v3, v200, v204, -v3
	v_add_f32_e32 v157, v151, v156
	v_add_f32_e32 v156, v2, v3
	v_mul_f32_e32 v2, v203, v207
	v_mul_f32_e32 v159, v202, v207
	v_fma_f32 v158, v202, v206, -v2
	s_waitcnt vmcnt(4)
	v_mul_f32_e32 v2, v209, v213
	v_mov_b32_e32 v18, v215
	v_fmac_f32_e32 v159, v203, v206
	v_mul_f32_e32 v161, v208, v213
	v_fma_f32 v160, v208, v212, -v2
	ds_read2_b64 v[2:5], v150 offset0:121 offset1:122
	ds_read2_b64 v[6:9], v150 offset0:123 offset1:124
	;; [unrolled: 1-line block ×3, first 2 shown]
	ds_read_b64 v[14:15], v150 offset:1016
	v_pk_mul_f32 v[18:19], v[210:211], v[18:19] op_sel:[1,0] op_sel_hi:[0,0]
	v_fmac_f32_e32 v161, v209, v212
	v_pk_add_f32 v[16:17], v[156:157], v[158:159]
	v_pk_fma_f32 v[20:21], v[210:211], v[214:215], v[18:19] neg_lo:[0,0,1] neg_hi:[0,0,1]
	v_pk_fma_f32 v[18:19], v[210:211], v[214:215], v[18:19] op_sel_hi:[1,0,1]
	v_pk_add_f32 v[16:17], v[16:17], v[160:161]
	v_mov_b32_e32 v21, v19
	s_waitcnt vmcnt(3) lgkmcnt(3)
	v_pk_mul_f32 v[18:19], v[2:3], v[216:217] op_sel:[1,1] op_sel_hi:[0,1]
	v_pk_add_f32 v[16:17], v[16:17], v[20:21]
	v_pk_fma_f32 v[20:21], v[2:3], v[216:217], v[18:19] neg_lo:[0,0,1] neg_hi:[0,0,1]
	v_pk_fma_f32 v[2:3], v[2:3], v[216:217], v[18:19] op_sel_hi:[1,0,1]
	s_nop 0
	v_mov_b32_e32 v21, v3
	v_pk_add_f32 v[2:3], v[16:17], v[20:21]
	v_mov_b32_e32 v16, v219
	v_pk_mul_f32 v[16:17], v[4:5], v[16:17] op_sel:[1,0] op_sel_hi:[0,0]
	v_pk_fma_f32 v[18:19], v[4:5], v[218:219], v[16:17] neg_lo:[0,0,1] neg_hi:[0,0,1]
	v_pk_fma_f32 v[4:5], v[4:5], v[218:219], v[16:17] op_sel_hi:[1,0,1]
	s_nop 0
	v_mov_b32_e32 v19, v5
	s_waitcnt vmcnt(2) lgkmcnt(2)
	v_pk_mul_f32 v[4:5], v[6:7], v[220:221] op_sel:[1,1] op_sel_hi:[0,1]
	v_pk_fma_f32 v[16:17], v[6:7], v[220:221], v[4:5] neg_lo:[0,0,1] neg_hi:[0,0,1]
	v_pk_fma_f32 v[4:5], v[6:7], v[220:221], v[4:5] op_sel_hi:[1,0,1]
	v_pk_add_f32 v[2:3], v[2:3], v[18:19]
	v_mov_b32_e32 v4, v223
	v_mov_b32_e32 v17, v5
	v_pk_mul_f32 v[4:5], v[8:9], v[4:5] op_sel:[1,0] op_sel_hi:[0,0]
	v_pk_fma_f32 v[6:7], v[8:9], v[222:223], v[4:5] neg_lo:[0,0,1] neg_hi:[0,0,1]
	v_pk_fma_f32 v[4:5], v[8:9], v[222:223], v[4:5] op_sel_hi:[1,0,1]
	v_pk_add_f32 v[2:3], v[2:3], v[16:17]
	v_mov_b32_e32 v7, v5
	s_waitcnt vmcnt(1) lgkmcnt(1)
	v_pk_mul_f32 v[4:5], v[10:11], v[224:225] op_sel:[1,1] op_sel_hi:[0,1]
	v_pk_add_f32 v[2:3], v[2:3], v[6:7]
	v_pk_fma_f32 v[6:7], v[10:11], v[224:225], v[4:5] neg_lo:[0,0,1] neg_hi:[0,0,1]
	v_pk_fma_f32 v[4:5], v[10:11], v[224:225], v[4:5] op_sel_hi:[1,0,1]
	s_nop 0
	v_mov_b32_e32 v4, v227
	v_mov_b32_e32 v7, v5
	v_pk_mul_f32 v[4:5], v[12:13], v[4:5] op_sel:[1,0] op_sel_hi:[0,0]
	v_pk_add_f32 v[2:3], v[2:3], v[6:7]
	v_pk_fma_f32 v[6:7], v[12:13], v[226:227], v[4:5] neg_lo:[0,0,1] neg_hi:[0,0,1]
	v_pk_fma_f32 v[4:5], v[12:13], v[226:227], v[4:5] op_sel_hi:[1,0,1]
	s_nop 0
	v_mov_b32_e32 v7, v5
	s_waitcnt vmcnt(0) lgkmcnt(0)
	v_pk_mul_f32 v[4:5], v[14:15], v[162:163] op_sel:[1,1] op_sel_hi:[0,1]
	v_pk_add_f32 v[2:3], v[2:3], v[6:7]
	v_pk_fma_f32 v[6:7], v[14:15], v[162:163], v[4:5] neg_lo:[0,0,1] neg_hi:[0,0,1]
	v_pk_fma_f32 v[4:5], v[14:15], v[162:163], v[4:5] op_sel_hi:[1,0,1]
	s_nop 0
	v_mov_b32_e32 v7, v5
	scratch_load_dwordx2 v[4:5], off, off offset:80
	v_pk_add_f32 v[2:3], v[2:3], v[6:7]
	s_waitcnt vmcnt(0)
	v_pk_add_f32 v[2:3], v[4:5], v[2:3] neg_lo:[0,1] neg_hi:[0,1]
	scratch_store_dwordx2 off, v[2:3], off offset:80
	s_and_saveexec_b64 s[0:1], vcc
	s_cbranch_execz .LBB63_379
; %bb.378:
	scratch_load_dwordx2 v[2:3], off, off offset:72
	v_mov_b32_e32 v151, v150
	scratch_store_dwordx2 off, v[150:151], off offset:72
	s_waitcnt vmcnt(1)
	ds_write_b64 v1, v[2:3]
.LBB63_379:
	s_or_b64 exec, exec, s[0:1]
	s_waitcnt lgkmcnt(0)
	; wave barrier
	ds_read_b128 v[14:17], v150 offset:592
	ds_read_b128 v[10:13], v150 offset:608
	;; [unrolled: 1-line block ×4, first 2 shown]
	scratch_load_dwordx4 v[18:21], off, off offset:80
	scratch_load_dwordx4 v[38:41], off, off offset:144
	;; [unrolled: 1-line block ×17, first 2 shown]
	v_cmp_lt_u32_e32 vcc, 8, v0
	scratch_load_dwordx4 v[46:49], off, off offset:160
	scratch_load_dwordx4 v[54:57], off, off offset:176
	;; [unrolled: 1-line block ×3, first 2 shown]
	ds_read_b128 v[184:187], v150 offset:896
	ds_read_b128 v[192:195], v150 offset:912
	ds_read_b128 v[200:203], v150 offset:928
	ds_read_b128 v[208:211], v150 offset:944
	s_waitcnt vmcnt(19) lgkmcnt(7)
	v_mul_f32_e32 v22, v14, v19
	v_fmac_f32_e32 v22, v15, v18
	v_mul_f32_e32 v23, v16, v21
	v_add_f32_e32 v22, 0, v22
	v_fmac_f32_e32 v23, v17, v20
	v_add_f32_e32 v26, v22, v23
	scratch_load_dwordx4 v[22:25], off, off offset:96
	v_mul_f32_e32 v15, v15, v19
	v_fma_f32 v14, v14, v18, -v15
	v_mul_f32_e32 v15, v17, v21
	v_add_f32_e32 v14, 0, v14
	v_fma_f32 v15, v16, v20, -v15
	v_add_f32_e32 v14, v14, v15
	s_waitcnt vmcnt(4) lgkmcnt(0)
	v_mul_f32_e32 v159, v208, v213
	v_mul_f32_e32 v161, v210, v215
	v_fmac_f32_e32 v159, v209, v212
	v_fmac_f32_e32 v161, v211, v214
	s_waitcnt vmcnt(0)
	v_mul_f32_e32 v27, v10, v23
	v_fmac_f32_e32 v27, v11, v22
	v_add_f32_e32 v26, v26, v27
	v_mul_f32_e32 v27, v12, v25
	v_fmac_f32_e32 v27, v13, v24
	v_add_f32_e32 v30, v26, v27
	scratch_load_dwordx4 v[26:29], off, off offset:112
	v_mul_f32_e32 v11, v11, v23
	v_fma_f32 v10, v10, v22, -v11
	v_mul_f32_e32 v11, v13, v25
	v_add_f32_e32 v10, v14, v10
	v_fma_f32 v11, v12, v24, -v11
	v_add_f32_e32 v10, v10, v11
	s_waitcnt vmcnt(0)
	v_mul_f32_e32 v31, v6, v27
	v_fmac_f32_e32 v31, v7, v26
	v_add_f32_e32 v30, v30, v31
	v_mul_f32_e32 v31, v8, v29
	v_fmac_f32_e32 v31, v9, v28
	v_add_f32_e32 v34, v30, v31
	scratch_load_dwordx4 v[30:33], off, off offset:128
	v_mul_f32_e32 v7, v7, v27
	v_fma_f32 v6, v6, v26, -v7
	v_mul_f32_e32 v7, v9, v29
	v_add_f32_e32 v6, v10, v6
	v_fma_f32 v7, v8, v28, -v7
	v_add_f32_e32 v6, v6, v7
	s_waitcnt vmcnt(0)
	v_mul_f32_e32 v35, v2, v31
	v_fmac_f32_e32 v35, v3, v30
	v_add_f32_e32 v34, v34, v35
	v_mul_f32_e32 v35, v4, v33
	v_fmac_f32_e32 v35, v5, v32
	v_add_f32_e32 v42, v34, v35
	ds_read_b128 v[34:37], v150 offset:656
	v_mul_f32_e32 v3, v3, v31
	v_fma_f32 v2, v2, v30, -v3
	v_mul_f32_e32 v3, v5, v33
	v_add_f32_e32 v2, v6, v2
	s_waitcnt lgkmcnt(0)
	v_mul_f32_e32 v43, v34, v39
	v_fmac_f32_e32 v43, v35, v38
	v_add_f32_e32 v42, v42, v43
	v_mul_f32_e32 v43, v36, v41
	v_fmac_f32_e32 v43, v37, v40
	v_add_f32_e32 v50, v42, v43
	ds_read_b128 v[42:45], v150 offset:672
	v_fma_f32 v3, v4, v32, -v3
	v_add_f32_e32 v2, v2, v3
	v_mul_f32_e32 v3, v35, v39
	v_fma_f32 v3, v34, v38, -v3
	s_waitcnt lgkmcnt(0)
	v_mul_f32_e32 v51, v42, v47
	v_fmac_f32_e32 v51, v43, v46
	v_add_f32_e32 v50, v50, v51
	v_mul_f32_e32 v51, v44, v49
	v_fmac_f32_e32 v51, v45, v48
	v_add_f32_e32 v58, v50, v51
	ds_read_b128 v[50:53], v150 offset:688
	v_add_f32_e32 v2, v2, v3
	v_mul_f32_e32 v3, v37, v41
	v_fma_f32 v3, v36, v40, -v3
	v_add_f32_e32 v2, v2, v3
	s_waitcnt lgkmcnt(0)
	v_mul_f32_e32 v59, v50, v55
	v_fmac_f32_e32 v59, v51, v54
	v_add_f32_e32 v58, v58, v59
	v_mul_f32_e32 v59, v52, v57
	v_fmac_f32_e32 v59, v53, v56
	v_add_f32_e32 v66, v58, v59
	ds_read_b128 v[58:61], v150 offset:704
	v_mul_f32_e32 v3, v43, v47
	v_fma_f32 v3, v42, v46, -v3
	v_add_f32_e32 v2, v2, v3
	v_mul_f32_e32 v3, v45, v49
	s_waitcnt lgkmcnt(0)
	v_mul_f32_e32 v67, v58, v63
	v_fmac_f32_e32 v67, v59, v62
	v_add_f32_e32 v66, v66, v67
	v_mul_f32_e32 v67, v60, v65
	v_fmac_f32_e32 v67, v61, v64
	v_add_f32_e32 v74, v66, v67
	ds_read_b128 v[66:69], v150 offset:720
	v_fma_f32 v3, v44, v48, -v3
	v_add_f32_e32 v2, v2, v3
	v_mul_f32_e32 v3, v51, v55
	v_fma_f32 v3, v50, v54, -v3
	s_waitcnt lgkmcnt(0)
	v_mul_f32_e32 v75, v66, v71
	v_fmac_f32_e32 v75, v67, v70
	v_add_f32_e32 v74, v74, v75
	v_mul_f32_e32 v75, v68, v73
	v_fmac_f32_e32 v75, v69, v72
	v_add_f32_e32 v82, v74, v75
	ds_read_b128 v[74:77], v150 offset:736
	v_add_f32_e32 v2, v2, v3
	v_mul_f32_e32 v3, v53, v57
	v_fma_f32 v3, v52, v56, -v3
	v_add_f32_e32 v2, v2, v3
	s_waitcnt lgkmcnt(0)
	v_mul_f32_e32 v83, v74, v79
	v_fmac_f32_e32 v83, v75, v78
	v_add_f32_e32 v82, v82, v83
	v_mul_f32_e32 v83, v76, v81
	v_fmac_f32_e32 v83, v77, v80
	v_add_f32_e32 v90, v82, v83
	ds_read_b128 v[82:85], v150 offset:752
	v_mul_f32_e32 v3, v59, v63
	v_fma_f32 v3, v58, v62, -v3
	v_add_f32_e32 v2, v2, v3
	v_mul_f32_e32 v3, v61, v65
	;; [unrolled: 36-line block ×4, first 2 shown]
	s_waitcnt lgkmcnt(0)
	v_mul_f32_e32 v139, v130, v135
	v_fmac_f32_e32 v139, v131, v134
	v_add_f32_e32 v138, v138, v139
	v_mul_f32_e32 v139, v132, v137
	v_fmac_f32_e32 v139, v133, v136
	v_add_f32_e32 v146, v138, v139
	ds_read_b128 v[138:141], v150 offset:864
	v_fma_f32 v3, v92, v96, -v3
	v_add_f32_e32 v2, v2, v3
	v_mul_f32_e32 v3, v99, v103
	v_fma_f32 v3, v98, v102, -v3
	s_waitcnt lgkmcnt(0)
	v_mul_f32_e32 v147, v138, v143
	v_fmac_f32_e32 v147, v139, v142
	v_add_f32_e32 v146, v146, v147
	v_mul_f32_e32 v147, v140, v145
	v_fmac_f32_e32 v147, v141, v144
	v_add_f32_e32 v151, v146, v147
	ds_read_b128 v[146:149], v150 offset:880
	scratch_load_dwordx4 v[216:219], off, off offset:448
	scratch_load_dwordx4 v[220:223], off, off offset:464
	;; [unrolled: 1-line block ×4, first 2 shown]
	v_add_f32_e32 v2, v2, v3
	v_mul_f32_e32 v3, v101, v105
	v_fma_f32 v3, v100, v104, -v3
	v_add_f32_e32 v2, v2, v3
	v_mul_f32_e32 v3, v107, v111
	v_fma_f32 v3, v106, v110, -v3
	;; [unrolled: 3-line block ×11, first 2 shown]
	s_waitcnt lgkmcnt(0)
	v_mul_f32_e32 v156, v146, v153
	v_add_f32_e32 v2, v2, v3
	v_mul_f32_e32 v3, v147, v153
	v_fmac_f32_e32 v156, v147, v152
	v_fma_f32 v3, v146, v152, -v3
	v_add_f32_e32 v151, v151, v156
	v_mul_f32_e32 v156, v148, v155
	v_add_f32_e32 v2, v2, v3
	v_mul_f32_e32 v3, v149, v155
	v_fmac_f32_e32 v156, v149, v154
	v_fma_f32 v3, v148, v154, -v3
	v_add_f32_e32 v151, v151, v156
	;; [unrolled: 6-line block ×8, first 2 shown]
	v_add_f32_e32 v156, v2, v3
	v_mul_f32_e32 v2, v209, v213
	v_fma_f32 v158, v208, v212, -v2
	v_mul_f32_e32 v2, v211, v215
	v_fma_f32 v160, v210, v214, -v2
	ds_read_b128 v[2:5], v150 offset:960
	ds_read_b128 v[6:9], v150 offset:976
	;; [unrolled: 1-line block ×4, first 2 shown]
	v_pk_add_f32 v[18:19], v[156:157], v[158:159]
	s_waitcnt vmcnt(3) lgkmcnt(3)
	v_pk_mul_f32 v[20:21], v[2:3], v[216:217] op_sel:[1,1] op_sel_hi:[0,1]
	v_pk_fma_f32 v[22:23], v[2:3], v[216:217], v[20:21] neg_lo:[0,0,1] neg_hi:[0,0,1]
	v_pk_fma_f32 v[2:3], v[2:3], v[216:217], v[20:21] op_sel_hi:[1,0,1]
	v_pk_add_f32 v[18:19], v[18:19], v[160:161]
	v_mov_b32_e32 v23, v3
	v_pk_add_f32 v[2:3], v[18:19], v[22:23]
	v_mov_b32_e32 v18, v219
	v_pk_mul_f32 v[18:19], v[4:5], v[18:19] op_sel:[1,0] op_sel_hi:[0,0]
	v_pk_fma_f32 v[20:21], v[4:5], v[218:219], v[18:19] neg_lo:[0,0,1] neg_hi:[0,0,1]
	v_pk_fma_f32 v[4:5], v[4:5], v[218:219], v[18:19] op_sel_hi:[1,0,1]
	s_nop 0
	v_mov_b32_e32 v21, v5
	s_waitcnt vmcnt(2) lgkmcnt(2)
	v_pk_mul_f32 v[4:5], v[6:7], v[220:221] op_sel:[1,1] op_sel_hi:[0,1]
	v_pk_fma_f32 v[18:19], v[6:7], v[220:221], v[4:5] neg_lo:[0,0,1] neg_hi:[0,0,1]
	v_pk_fma_f32 v[4:5], v[6:7], v[220:221], v[4:5] op_sel_hi:[1,0,1]
	v_pk_add_f32 v[2:3], v[2:3], v[20:21]
	v_mov_b32_e32 v4, v223
	v_mov_b32_e32 v19, v5
	v_pk_mul_f32 v[4:5], v[8:9], v[4:5] op_sel:[1,0] op_sel_hi:[0,0]
	v_pk_fma_f32 v[6:7], v[8:9], v[222:223], v[4:5] neg_lo:[0,0,1] neg_hi:[0,0,1]
	v_pk_fma_f32 v[4:5], v[8:9], v[222:223], v[4:5] op_sel_hi:[1,0,1]
	v_pk_add_f32 v[2:3], v[2:3], v[18:19]
	v_mov_b32_e32 v7, v5
	s_waitcnt vmcnt(1) lgkmcnt(1)
	v_pk_mul_f32 v[4:5], v[10:11], v[224:225] op_sel:[1,1] op_sel_hi:[0,1]
	v_pk_add_f32 v[2:3], v[2:3], v[6:7]
	v_pk_fma_f32 v[6:7], v[10:11], v[224:225], v[4:5] neg_lo:[0,0,1] neg_hi:[0,0,1]
	v_pk_fma_f32 v[4:5], v[10:11], v[224:225], v[4:5] op_sel_hi:[1,0,1]
	s_nop 0
	v_mov_b32_e32 v4, v227
	v_mov_b32_e32 v7, v5
	v_pk_mul_f32 v[4:5], v[12:13], v[4:5] op_sel:[1,0] op_sel_hi:[0,0]
	v_pk_add_f32 v[2:3], v[2:3], v[6:7]
	v_pk_fma_f32 v[6:7], v[12:13], v[226:227], v[4:5] neg_lo:[0,0,1] neg_hi:[0,0,1]
	v_pk_fma_f32 v[4:5], v[12:13], v[226:227], v[4:5] op_sel_hi:[1,0,1]
	s_nop 0
	v_mov_b32_e32 v7, v5
	s_waitcnt vmcnt(0) lgkmcnt(0)
	v_pk_mul_f32 v[4:5], v[14:15], v[228:229] op_sel:[1,1] op_sel_hi:[0,1]
	v_pk_add_f32 v[2:3], v[2:3], v[6:7]
	v_pk_fma_f32 v[6:7], v[14:15], v[228:229], v[4:5] neg_lo:[0,0,1] neg_hi:[0,0,1]
	v_pk_fma_f32 v[4:5], v[14:15], v[228:229], v[4:5] op_sel_hi:[1,0,1]
	s_nop 0
	v_mov_b32_e32 v4, v231
	v_mov_b32_e32 v7, v5
	v_pk_mul_f32 v[4:5], v[16:17], v[4:5] op_sel:[1,0] op_sel_hi:[0,0]
	v_pk_add_f32 v[2:3], v[2:3], v[6:7]
	v_pk_fma_f32 v[6:7], v[16:17], v[230:231], v[4:5] neg_lo:[0,0,1] neg_hi:[0,0,1]
	v_pk_fma_f32 v[4:5], v[16:17], v[230:231], v[4:5] op_sel_hi:[1,0,1]
	s_nop 0
	v_mov_b32_e32 v7, v5
	scratch_load_dwordx2 v[4:5], off, off offset:72
	v_pk_add_f32 v[2:3], v[2:3], v[6:7]
	s_waitcnt vmcnt(0)
	v_pk_add_f32 v[2:3], v[4:5], v[2:3] neg_lo:[0,1] neg_hi:[0,1]
	scratch_store_dwordx2 off, v[2:3], off offset:72
	s_and_saveexec_b64 s[0:1], vcc
	s_cbranch_execz .LBB63_381
; %bb.380:
	scratch_load_dwordx2 v[2:3], off, off offset:64
	v_mov_b32_e32 v4, 0
	v_mov_b32_e32 v5, v4
	scratch_store_dwordx2 off, v[4:5], off offset:64
	s_waitcnt vmcnt(1)
	ds_write_b64 v1, v[2:3]
.LBB63_381:
	s_or_b64 exec, exec, s[0:1]
	s_waitcnt lgkmcnt(0)
	; wave barrier
	scratch_load_dwordx4 v[6:9], off, off offset:72
	scratch_load_dwordx4 v[14:17], off, off offset:88
	;; [unrolled: 1-line block ×10, first 2 shown]
	v_mov_b32_e32 v150, 0
	ds_read2_b64 v[2:5], v150 offset0:73 offset1:74
	ds_read2_b64 v[184:187], v150 offset0:111 offset1:112
	scratch_load_dwordx4 v[86:89], off, off offset:232
	scratch_load_dwordx4 v[94:97], off, off offset:248
	;; [unrolled: 1-line block ×14, first 2 shown]
	v_cmp_lt_u32_e32 vcc, 7, v0
	ds_read2_b64 v[192:195], v150 offset0:113 offset1:114
	ds_read2_b64 v[200:203], v150 offset0:115 offset1:116
	;; [unrolled: 1-line block ×4, first 2 shown]
	s_waitcnt vmcnt(23) lgkmcnt(5)
	v_mul_f32_e32 v10, v2, v7
	v_fmac_f32_e32 v10, v3, v6
	v_mul_f32_e32 v11, v4, v9
	v_add_f32_e32 v10, 0, v10
	v_fmac_f32_e32 v11, v5, v8
	v_add_f32_e32 v18, v10, v11
	ds_read2_b64 v[10:13], v150 offset0:75 offset1:76
	v_mul_f32_e32 v3, v3, v7
	v_fma_f32 v2, v2, v6, -v3
	v_mul_f32_e32 v3, v5, v9
	v_add_f32_e32 v2, 0, v2
	s_waitcnt vmcnt(22) lgkmcnt(0)
	v_mul_f32_e32 v19, v10, v15
	v_fmac_f32_e32 v19, v11, v14
	v_add_f32_e32 v18, v18, v19
	v_mul_f32_e32 v19, v12, v17
	v_fmac_f32_e32 v19, v13, v16
	v_add_f32_e32 v26, v18, v19
	ds_read2_b64 v[18:21], v150 offset0:77 offset1:78
	v_fma_f32 v3, v4, v8, -v3
	v_add_f32_e32 v2, v2, v3
	v_mul_f32_e32 v3, v11, v15
	v_fma_f32 v3, v10, v14, -v3
	s_waitcnt vmcnt(21) lgkmcnt(0)
	v_mul_f32_e32 v27, v18, v23
	v_fmac_f32_e32 v27, v19, v22
	v_add_f32_e32 v26, v26, v27
	v_mul_f32_e32 v27, v20, v25
	v_fmac_f32_e32 v27, v21, v24
	v_add_f32_e32 v34, v26, v27
	ds_read2_b64 v[26:29], v150 offset0:79 offset1:80
	v_add_f32_e32 v2, v2, v3
	v_mul_f32_e32 v3, v13, v17
	v_fma_f32 v3, v12, v16, -v3
	v_add_f32_e32 v2, v2, v3
	s_waitcnt vmcnt(20) lgkmcnt(0)
	v_mul_f32_e32 v35, v26, v31
	v_fmac_f32_e32 v35, v27, v30
	v_add_f32_e32 v34, v34, v35
	v_mul_f32_e32 v35, v28, v33
	v_fmac_f32_e32 v35, v29, v32
	v_add_f32_e32 v42, v34, v35
	ds_read2_b64 v[34:37], v150 offset0:81 offset1:82
	v_mul_f32_e32 v3, v19, v23
	v_fma_f32 v3, v18, v22, -v3
	v_add_f32_e32 v2, v2, v3
	v_mul_f32_e32 v3, v21, v25
	s_waitcnt vmcnt(19) lgkmcnt(0)
	v_mul_f32_e32 v43, v34, v39
	v_fmac_f32_e32 v43, v35, v38
	v_add_f32_e32 v42, v42, v43
	v_mul_f32_e32 v43, v36, v41
	v_fmac_f32_e32 v43, v37, v40
	v_add_f32_e32 v50, v42, v43
	ds_read2_b64 v[42:45], v150 offset0:83 offset1:84
	v_fma_f32 v3, v20, v24, -v3
	v_add_f32_e32 v2, v2, v3
	v_mul_f32_e32 v3, v27, v31
	v_fma_f32 v3, v26, v30, -v3
	s_waitcnt vmcnt(18) lgkmcnt(0)
	v_mul_f32_e32 v51, v42, v47
	v_fmac_f32_e32 v51, v43, v46
	v_add_f32_e32 v50, v50, v51
	v_mul_f32_e32 v51, v44, v49
	v_fmac_f32_e32 v51, v45, v48
	v_add_f32_e32 v58, v50, v51
	ds_read2_b64 v[50:53], v150 offset0:85 offset1:86
	v_add_f32_e32 v2, v2, v3
	v_mul_f32_e32 v3, v29, v33
	v_fma_f32 v3, v28, v32, -v3
	v_add_f32_e32 v2, v2, v3
	s_waitcnt vmcnt(17) lgkmcnt(0)
	v_mul_f32_e32 v59, v50, v55
	v_fmac_f32_e32 v59, v51, v54
	v_add_f32_e32 v58, v58, v59
	v_mul_f32_e32 v59, v52, v57
	v_fmac_f32_e32 v59, v53, v56
	v_add_f32_e32 v66, v58, v59
	ds_read2_b64 v[58:61], v150 offset0:87 offset1:88
	v_mul_f32_e32 v3, v35, v39
	v_fma_f32 v3, v34, v38, -v3
	v_add_f32_e32 v2, v2, v3
	v_mul_f32_e32 v3, v37, v41
	;; [unrolled: 36-line block ×5, first 2 shown]
	s_waitcnt vmcnt(7) lgkmcnt(0)
	v_mul_f32_e32 v139, v130, v135
	v_fmac_f32_e32 v139, v131, v134
	v_add_f32_e32 v138, v138, v139
	v_mul_f32_e32 v139, v132, v137
	v_fmac_f32_e32 v139, v133, v136
	v_add_f32_e32 v146, v138, v139
	ds_read2_b64 v[138:141], v150 offset0:107 offset1:108
	v_fma_f32 v3, v84, v88, -v3
	v_add_f32_e32 v2, v2, v3
	v_mul_f32_e32 v3, v91, v95
	v_fma_f32 v3, v90, v94, -v3
	s_waitcnt vmcnt(6) lgkmcnt(0)
	v_mul_f32_e32 v147, v138, v143
	v_fmac_f32_e32 v147, v139, v142
	v_add_f32_e32 v146, v146, v147
	v_mul_f32_e32 v147, v140, v145
	v_fmac_f32_e32 v147, v141, v144
	v_add_f32_e32 v151, v146, v147
	ds_read2_b64 v[146:149], v150 offset0:109 offset1:110
	scratch_load_dwordx4 v[224:227], off, off offset:456
	scratch_load_dwordx4 v[228:231], off, off offset:472
	;; [unrolled: 1-line block ×3, first 2 shown]
	scratch_load_dwordx2 v[162:163], off, off offset:504
	v_add_f32_e32 v2, v2, v3
	v_mul_f32_e32 v3, v93, v97
	v_fma_f32 v3, v92, v96, -v3
	v_add_f32_e32 v2, v2, v3
	v_mul_f32_e32 v3, v99, v103
	v_fma_f32 v3, v98, v102, -v3
	;; [unrolled: 3-line block ×13, first 2 shown]
	s_waitcnt vmcnt(9) lgkmcnt(0)
	v_mul_f32_e32 v156, v146, v153
	v_add_f32_e32 v2, v2, v3
	v_mul_f32_e32 v3, v147, v153
	v_fmac_f32_e32 v156, v147, v152
	v_fma_f32 v3, v146, v152, -v3
	v_add_f32_e32 v151, v151, v156
	v_mul_f32_e32 v156, v148, v155
	v_add_f32_e32 v2, v2, v3
	v_mul_f32_e32 v3, v149, v155
	v_fmac_f32_e32 v156, v149, v154
	v_fma_f32 v3, v148, v154, -v3
	v_add_f32_e32 v151, v151, v156
	s_waitcnt vmcnt(8)
	v_mul_f32_e32 v156, v184, v189
	v_add_f32_e32 v2, v2, v3
	v_mul_f32_e32 v3, v185, v189
	v_fmac_f32_e32 v156, v185, v188
	v_fma_f32 v3, v184, v188, -v3
	v_add_f32_e32 v151, v151, v156
	v_mul_f32_e32 v156, v186, v191
	v_add_f32_e32 v2, v2, v3
	v_mul_f32_e32 v3, v187, v191
	v_fmac_f32_e32 v156, v187, v190
	v_fma_f32 v3, v186, v190, -v3
	v_add_f32_e32 v151, v151, v156
	s_waitcnt vmcnt(7)
	;; [unrolled: 13-line block ×4, first 2 shown]
	v_mul_f32_e32 v156, v208, v213
	v_add_f32_e32 v2, v2, v3
	v_mul_f32_e32 v3, v209, v213
	v_fmac_f32_e32 v156, v209, v212
	v_fma_f32 v3, v208, v212, -v3
	v_add_f32_e32 v157, v151, v156
	v_add_f32_e32 v156, v2, v3
	v_mul_f32_e32 v2, v211, v215
	v_mul_f32_e32 v159, v210, v215
	v_fma_f32 v158, v210, v214, -v2
	s_waitcnt vmcnt(4)
	v_mul_f32_e32 v2, v217, v221
	v_mov_b32_e32 v18, v223
	v_fmac_f32_e32 v159, v211, v214
	v_mul_f32_e32 v161, v216, v221
	v_fma_f32 v160, v216, v220, -v2
	ds_read2_b64 v[2:5], v150 offset0:121 offset1:122
	ds_read2_b64 v[6:9], v150 offset0:123 offset1:124
	;; [unrolled: 1-line block ×3, first 2 shown]
	ds_read_b64 v[14:15], v150 offset:1016
	v_pk_mul_f32 v[18:19], v[218:219], v[18:19] op_sel:[1,0] op_sel_hi:[0,0]
	v_fmac_f32_e32 v161, v217, v220
	v_pk_add_f32 v[16:17], v[156:157], v[158:159]
	v_pk_fma_f32 v[20:21], v[218:219], v[222:223], v[18:19] neg_lo:[0,0,1] neg_hi:[0,0,1]
	v_pk_fma_f32 v[18:19], v[218:219], v[222:223], v[18:19] op_sel_hi:[1,0,1]
	v_pk_add_f32 v[16:17], v[16:17], v[160:161]
	v_mov_b32_e32 v21, v19
	s_waitcnt vmcnt(3) lgkmcnt(3)
	v_pk_mul_f32 v[18:19], v[2:3], v[224:225] op_sel:[1,1] op_sel_hi:[0,1]
	v_pk_add_f32 v[16:17], v[16:17], v[20:21]
	v_pk_fma_f32 v[20:21], v[2:3], v[224:225], v[18:19] neg_lo:[0,0,1] neg_hi:[0,0,1]
	v_pk_fma_f32 v[2:3], v[2:3], v[224:225], v[18:19] op_sel_hi:[1,0,1]
	s_nop 0
	v_mov_b32_e32 v21, v3
	v_pk_add_f32 v[2:3], v[16:17], v[20:21]
	v_mov_b32_e32 v16, v227
	v_pk_mul_f32 v[16:17], v[4:5], v[16:17] op_sel:[1,0] op_sel_hi:[0,0]
	v_pk_fma_f32 v[18:19], v[4:5], v[226:227], v[16:17] neg_lo:[0,0,1] neg_hi:[0,0,1]
	v_pk_fma_f32 v[4:5], v[4:5], v[226:227], v[16:17] op_sel_hi:[1,0,1]
	s_nop 0
	v_mov_b32_e32 v19, v5
	s_waitcnt vmcnt(2) lgkmcnt(2)
	v_pk_mul_f32 v[4:5], v[6:7], v[228:229] op_sel:[1,1] op_sel_hi:[0,1]
	v_pk_fma_f32 v[16:17], v[6:7], v[228:229], v[4:5] neg_lo:[0,0,1] neg_hi:[0,0,1]
	v_pk_fma_f32 v[4:5], v[6:7], v[228:229], v[4:5] op_sel_hi:[1,0,1]
	v_pk_add_f32 v[2:3], v[2:3], v[18:19]
	v_mov_b32_e32 v4, v231
	v_mov_b32_e32 v17, v5
	v_pk_mul_f32 v[4:5], v[8:9], v[4:5] op_sel:[1,0] op_sel_hi:[0,0]
	v_pk_fma_f32 v[6:7], v[8:9], v[230:231], v[4:5] neg_lo:[0,0,1] neg_hi:[0,0,1]
	v_pk_fma_f32 v[4:5], v[8:9], v[230:231], v[4:5] op_sel_hi:[1,0,1]
	v_pk_add_f32 v[2:3], v[2:3], v[16:17]
	v_mov_b32_e32 v7, v5
	s_waitcnt vmcnt(1) lgkmcnt(1)
	v_pk_mul_f32 v[4:5], v[10:11], v[232:233] op_sel:[1,1] op_sel_hi:[0,1]
	v_pk_add_f32 v[2:3], v[2:3], v[6:7]
	v_pk_fma_f32 v[6:7], v[10:11], v[232:233], v[4:5] neg_lo:[0,0,1] neg_hi:[0,0,1]
	v_pk_fma_f32 v[4:5], v[10:11], v[232:233], v[4:5] op_sel_hi:[1,0,1]
	s_nop 0
	v_mov_b32_e32 v4, v235
	v_mov_b32_e32 v7, v5
	v_pk_mul_f32 v[4:5], v[12:13], v[4:5] op_sel:[1,0] op_sel_hi:[0,0]
	v_pk_add_f32 v[2:3], v[2:3], v[6:7]
	v_pk_fma_f32 v[6:7], v[12:13], v[234:235], v[4:5] neg_lo:[0,0,1] neg_hi:[0,0,1]
	v_pk_fma_f32 v[4:5], v[12:13], v[234:235], v[4:5] op_sel_hi:[1,0,1]
	s_nop 0
	v_mov_b32_e32 v7, v5
	s_waitcnt vmcnt(0) lgkmcnt(0)
	v_pk_mul_f32 v[4:5], v[14:15], v[162:163] op_sel:[1,1] op_sel_hi:[0,1]
	v_pk_add_f32 v[2:3], v[2:3], v[6:7]
	v_pk_fma_f32 v[6:7], v[14:15], v[162:163], v[4:5] neg_lo:[0,0,1] neg_hi:[0,0,1]
	v_pk_fma_f32 v[4:5], v[14:15], v[162:163], v[4:5] op_sel_hi:[1,0,1]
	s_nop 0
	v_mov_b32_e32 v7, v5
	scratch_load_dwordx2 v[4:5], off, off offset:64
	v_pk_add_f32 v[2:3], v[2:3], v[6:7]
	s_waitcnt vmcnt(0)
	v_pk_add_f32 v[2:3], v[4:5], v[2:3] neg_lo:[0,1] neg_hi:[0,1]
	scratch_store_dwordx2 off, v[2:3], off offset:64
	s_and_saveexec_b64 s[0:1], vcc
	s_cbranch_execz .LBB63_383
; %bb.382:
	scratch_load_dwordx2 v[2:3], off, off offset:56
	v_mov_b32_e32 v151, v150
	scratch_store_dwordx2 off, v[150:151], off offset:56
	s_waitcnt vmcnt(1)
	ds_write_b64 v1, v[2:3]
.LBB63_383:
	s_or_b64 exec, exec, s[0:1]
	s_waitcnt lgkmcnt(0)
	; wave barrier
	ds_read_b128 v[14:17], v150 offset:576
	ds_read_b128 v[10:13], v150 offset:592
	;; [unrolled: 1-line block ×4, first 2 shown]
	scratch_load_dwordx4 v[18:21], off, off offset:64
	scratch_load_dwordx4 v[38:41], off, off offset:128
	;; [unrolled: 1-line block ×18, first 2 shown]
	v_cmp_lt_u32_e32 vcc, 6, v0
	scratch_load_dwordx4 v[46:49], off, off offset:144
	scratch_load_dwordx4 v[54:57], off, off offset:160
	;; [unrolled: 1-line block ×3, first 2 shown]
	ds_read_b128 v[184:187], v150 offset:880
	ds_read_b128 v[192:195], v150 offset:896
	;; [unrolled: 1-line block ×5, first 2 shown]
	s_waitcnt vmcnt(20) lgkmcnt(8)
	v_mul_f32_e32 v22, v14, v19
	v_fmac_f32_e32 v22, v15, v18
	v_mul_f32_e32 v23, v16, v21
	v_add_f32_e32 v22, 0, v22
	v_fmac_f32_e32 v23, v17, v20
	v_add_f32_e32 v26, v22, v23
	scratch_load_dwordx4 v[22:25], off, off offset:80
	v_mul_f32_e32 v15, v15, v19
	v_fma_f32 v14, v14, v18, -v15
	v_mul_f32_e32 v15, v17, v21
	v_add_f32_e32 v14, 0, v14
	v_fma_f32 v15, v16, v20, -v15
	v_add_f32_e32 v14, v14, v15
	s_waitcnt vmcnt(4) lgkmcnt(0)
	v_mul_f32_e32 v159, v216, v221
	v_mul_f32_e32 v161, v218, v223
	v_fmac_f32_e32 v159, v217, v220
	v_fmac_f32_e32 v161, v219, v222
	s_waitcnt vmcnt(0)
	v_mul_f32_e32 v27, v10, v23
	v_fmac_f32_e32 v27, v11, v22
	v_add_f32_e32 v26, v26, v27
	v_mul_f32_e32 v27, v12, v25
	v_fmac_f32_e32 v27, v13, v24
	v_add_f32_e32 v30, v26, v27
	scratch_load_dwordx4 v[26:29], off, off offset:96
	v_mul_f32_e32 v11, v11, v23
	v_fma_f32 v10, v10, v22, -v11
	v_mul_f32_e32 v11, v13, v25
	v_add_f32_e32 v10, v14, v10
	v_fma_f32 v11, v12, v24, -v11
	v_add_f32_e32 v10, v10, v11
	s_waitcnt vmcnt(0)
	v_mul_f32_e32 v31, v6, v27
	v_fmac_f32_e32 v31, v7, v26
	v_add_f32_e32 v30, v30, v31
	v_mul_f32_e32 v31, v8, v29
	v_fmac_f32_e32 v31, v9, v28
	v_add_f32_e32 v34, v30, v31
	scratch_load_dwordx4 v[30:33], off, off offset:112
	v_mul_f32_e32 v7, v7, v27
	v_fma_f32 v6, v6, v26, -v7
	v_mul_f32_e32 v7, v9, v29
	v_add_f32_e32 v6, v10, v6
	v_fma_f32 v7, v8, v28, -v7
	v_add_f32_e32 v6, v6, v7
	s_waitcnt vmcnt(0)
	v_mul_f32_e32 v35, v2, v31
	v_fmac_f32_e32 v35, v3, v30
	v_add_f32_e32 v34, v34, v35
	v_mul_f32_e32 v35, v4, v33
	v_fmac_f32_e32 v35, v5, v32
	v_add_f32_e32 v42, v34, v35
	ds_read_b128 v[34:37], v150 offset:640
	v_mul_f32_e32 v3, v3, v31
	v_fma_f32 v2, v2, v30, -v3
	v_mul_f32_e32 v3, v5, v33
	v_add_f32_e32 v2, v6, v2
	s_waitcnt lgkmcnt(0)
	v_mul_f32_e32 v43, v34, v39
	v_fmac_f32_e32 v43, v35, v38
	v_add_f32_e32 v42, v42, v43
	v_mul_f32_e32 v43, v36, v41
	v_fmac_f32_e32 v43, v37, v40
	v_add_f32_e32 v50, v42, v43
	ds_read_b128 v[42:45], v150 offset:656
	v_fma_f32 v3, v4, v32, -v3
	v_add_f32_e32 v2, v2, v3
	v_mul_f32_e32 v3, v35, v39
	v_fma_f32 v3, v34, v38, -v3
	s_waitcnt lgkmcnt(0)
	v_mul_f32_e32 v51, v42, v47
	v_fmac_f32_e32 v51, v43, v46
	v_add_f32_e32 v50, v50, v51
	v_mul_f32_e32 v51, v44, v49
	v_fmac_f32_e32 v51, v45, v48
	v_add_f32_e32 v58, v50, v51
	ds_read_b128 v[50:53], v150 offset:672
	v_add_f32_e32 v2, v2, v3
	v_mul_f32_e32 v3, v37, v41
	v_fma_f32 v3, v36, v40, -v3
	v_add_f32_e32 v2, v2, v3
	s_waitcnt lgkmcnt(0)
	v_mul_f32_e32 v59, v50, v55
	v_fmac_f32_e32 v59, v51, v54
	v_add_f32_e32 v58, v58, v59
	v_mul_f32_e32 v59, v52, v57
	v_fmac_f32_e32 v59, v53, v56
	v_add_f32_e32 v66, v58, v59
	ds_read_b128 v[58:61], v150 offset:688
	v_mul_f32_e32 v3, v43, v47
	v_fma_f32 v3, v42, v46, -v3
	v_add_f32_e32 v2, v2, v3
	v_mul_f32_e32 v3, v45, v49
	s_waitcnt lgkmcnt(0)
	v_mul_f32_e32 v67, v58, v63
	v_fmac_f32_e32 v67, v59, v62
	v_add_f32_e32 v66, v66, v67
	v_mul_f32_e32 v67, v60, v65
	v_fmac_f32_e32 v67, v61, v64
	v_add_f32_e32 v74, v66, v67
	ds_read_b128 v[66:69], v150 offset:704
	v_fma_f32 v3, v44, v48, -v3
	v_add_f32_e32 v2, v2, v3
	v_mul_f32_e32 v3, v51, v55
	v_fma_f32 v3, v50, v54, -v3
	s_waitcnt lgkmcnt(0)
	v_mul_f32_e32 v75, v66, v71
	v_fmac_f32_e32 v75, v67, v70
	v_add_f32_e32 v74, v74, v75
	v_mul_f32_e32 v75, v68, v73
	v_fmac_f32_e32 v75, v69, v72
	v_add_f32_e32 v82, v74, v75
	ds_read_b128 v[74:77], v150 offset:720
	v_add_f32_e32 v2, v2, v3
	v_mul_f32_e32 v3, v53, v57
	v_fma_f32 v3, v52, v56, -v3
	v_add_f32_e32 v2, v2, v3
	s_waitcnt lgkmcnt(0)
	v_mul_f32_e32 v83, v74, v79
	v_fmac_f32_e32 v83, v75, v78
	v_add_f32_e32 v82, v82, v83
	v_mul_f32_e32 v83, v76, v81
	v_fmac_f32_e32 v83, v77, v80
	v_add_f32_e32 v90, v82, v83
	ds_read_b128 v[82:85], v150 offset:736
	v_mul_f32_e32 v3, v59, v63
	v_fma_f32 v3, v58, v62, -v3
	v_add_f32_e32 v2, v2, v3
	v_mul_f32_e32 v3, v61, v65
	;; [unrolled: 36-line block ×4, first 2 shown]
	s_waitcnt lgkmcnt(0)
	v_mul_f32_e32 v139, v130, v135
	v_fmac_f32_e32 v139, v131, v134
	v_add_f32_e32 v138, v138, v139
	v_mul_f32_e32 v139, v132, v137
	v_fmac_f32_e32 v139, v133, v136
	v_add_f32_e32 v146, v138, v139
	ds_read_b128 v[138:141], v150 offset:848
	v_fma_f32 v3, v92, v96, -v3
	v_add_f32_e32 v2, v2, v3
	v_mul_f32_e32 v3, v99, v103
	v_fma_f32 v3, v98, v102, -v3
	s_waitcnt lgkmcnt(0)
	v_mul_f32_e32 v147, v138, v143
	v_fmac_f32_e32 v147, v139, v142
	v_add_f32_e32 v146, v146, v147
	v_mul_f32_e32 v147, v140, v145
	v_fmac_f32_e32 v147, v141, v144
	v_add_f32_e32 v151, v146, v147
	ds_read_b128 v[146:149], v150 offset:864
	scratch_load_dwordx4 v[224:227], off, off offset:448
	scratch_load_dwordx4 v[228:231], off, off offset:464
	;; [unrolled: 1-line block ×4, first 2 shown]
	v_add_f32_e32 v2, v2, v3
	v_mul_f32_e32 v3, v101, v105
	v_fma_f32 v3, v100, v104, -v3
	v_add_f32_e32 v2, v2, v3
	v_mul_f32_e32 v3, v107, v111
	v_fma_f32 v3, v106, v110, -v3
	v_add_f32_e32 v2, v2, v3
	v_mul_f32_e32 v3, v109, v113
	v_fma_f32 v3, v108, v112, -v3
	v_add_f32_e32 v2, v2, v3
	v_mul_f32_e32 v3, v115, v119
	v_fma_f32 v3, v114, v118, -v3
	v_add_f32_e32 v2, v2, v3
	v_mul_f32_e32 v3, v117, v121
	v_fma_f32 v3, v116, v120, -v3
	v_add_f32_e32 v2, v2, v3
	v_mul_f32_e32 v3, v123, v127
	v_fma_f32 v3, v122, v126, -v3
	v_add_f32_e32 v2, v2, v3
	v_mul_f32_e32 v3, v125, v129
	v_fma_f32 v3, v124, v128, -v3
	v_add_f32_e32 v2, v2, v3
	v_mul_f32_e32 v3, v131, v135
	v_fma_f32 v3, v130, v134, -v3
	v_add_f32_e32 v2, v2, v3
	v_mul_f32_e32 v3, v133, v137
	v_fma_f32 v3, v132, v136, -v3
	v_add_f32_e32 v2, v2, v3
	v_mul_f32_e32 v3, v139, v143
	v_fma_f32 v3, v138, v142, -v3
	v_add_f32_e32 v2, v2, v3
	v_mul_f32_e32 v3, v141, v145
	v_fma_f32 v3, v140, v144, -v3
	s_waitcnt lgkmcnt(0)
	v_mul_f32_e32 v156, v146, v153
	v_add_f32_e32 v2, v2, v3
	v_mul_f32_e32 v3, v147, v153
	v_fmac_f32_e32 v156, v147, v152
	v_fma_f32 v3, v146, v152, -v3
	v_add_f32_e32 v151, v151, v156
	v_mul_f32_e32 v156, v148, v155
	v_add_f32_e32 v2, v2, v3
	v_mul_f32_e32 v3, v149, v155
	v_fmac_f32_e32 v156, v149, v154
	v_fma_f32 v3, v148, v154, -v3
	v_add_f32_e32 v151, v151, v156
	;; [unrolled: 6-line block ×10, first 2 shown]
	v_add_f32_e32 v156, v2, v3
	v_mul_f32_e32 v2, v217, v221
	v_fma_f32 v158, v216, v220, -v2
	v_mul_f32_e32 v2, v219, v223
	v_fma_f32 v160, v218, v222, -v2
	ds_read_b128 v[2:5], v150 offset:960
	ds_read_b128 v[6:9], v150 offset:976
	;; [unrolled: 1-line block ×4, first 2 shown]
	v_pk_add_f32 v[18:19], v[156:157], v[158:159]
	s_waitcnt vmcnt(3) lgkmcnt(3)
	v_pk_mul_f32 v[20:21], v[2:3], v[224:225] op_sel:[1,1] op_sel_hi:[0,1]
	v_pk_fma_f32 v[22:23], v[2:3], v[224:225], v[20:21] neg_lo:[0,0,1] neg_hi:[0,0,1]
	v_pk_fma_f32 v[2:3], v[2:3], v[224:225], v[20:21] op_sel_hi:[1,0,1]
	v_pk_add_f32 v[18:19], v[18:19], v[160:161]
	v_mov_b32_e32 v23, v3
	v_pk_add_f32 v[2:3], v[18:19], v[22:23]
	v_mov_b32_e32 v18, v227
	v_pk_mul_f32 v[18:19], v[4:5], v[18:19] op_sel:[1,0] op_sel_hi:[0,0]
	v_pk_fma_f32 v[20:21], v[4:5], v[226:227], v[18:19] neg_lo:[0,0,1] neg_hi:[0,0,1]
	v_pk_fma_f32 v[4:5], v[4:5], v[226:227], v[18:19] op_sel_hi:[1,0,1]
	s_nop 0
	v_mov_b32_e32 v21, v5
	s_waitcnt vmcnt(2) lgkmcnt(2)
	v_pk_mul_f32 v[4:5], v[6:7], v[228:229] op_sel:[1,1] op_sel_hi:[0,1]
	v_pk_fma_f32 v[18:19], v[6:7], v[228:229], v[4:5] neg_lo:[0,0,1] neg_hi:[0,0,1]
	v_pk_fma_f32 v[4:5], v[6:7], v[228:229], v[4:5] op_sel_hi:[1,0,1]
	v_pk_add_f32 v[2:3], v[2:3], v[20:21]
	v_mov_b32_e32 v4, v231
	v_mov_b32_e32 v19, v5
	v_pk_mul_f32 v[4:5], v[8:9], v[4:5] op_sel:[1,0] op_sel_hi:[0,0]
	v_pk_fma_f32 v[6:7], v[8:9], v[230:231], v[4:5] neg_lo:[0,0,1] neg_hi:[0,0,1]
	v_pk_fma_f32 v[4:5], v[8:9], v[230:231], v[4:5] op_sel_hi:[1,0,1]
	v_pk_add_f32 v[2:3], v[2:3], v[18:19]
	v_mov_b32_e32 v7, v5
	s_waitcnt vmcnt(1) lgkmcnt(1)
	v_pk_mul_f32 v[4:5], v[10:11], v[232:233] op_sel:[1,1] op_sel_hi:[0,1]
	v_pk_add_f32 v[2:3], v[2:3], v[6:7]
	v_pk_fma_f32 v[6:7], v[10:11], v[232:233], v[4:5] neg_lo:[0,0,1] neg_hi:[0,0,1]
	v_pk_fma_f32 v[4:5], v[10:11], v[232:233], v[4:5] op_sel_hi:[1,0,1]
	s_nop 0
	v_mov_b32_e32 v4, v235
	v_mov_b32_e32 v7, v5
	v_pk_mul_f32 v[4:5], v[12:13], v[4:5] op_sel:[1,0] op_sel_hi:[0,0]
	v_pk_add_f32 v[2:3], v[2:3], v[6:7]
	v_pk_fma_f32 v[6:7], v[12:13], v[234:235], v[4:5] neg_lo:[0,0,1] neg_hi:[0,0,1]
	v_pk_fma_f32 v[4:5], v[12:13], v[234:235], v[4:5] op_sel_hi:[1,0,1]
	s_nop 0
	v_mov_b32_e32 v7, v5
	s_waitcnt vmcnt(0) lgkmcnt(0)
	v_pk_mul_f32 v[4:5], v[14:15], v[236:237] op_sel:[1,1] op_sel_hi:[0,1]
	v_pk_add_f32 v[2:3], v[2:3], v[6:7]
	v_pk_fma_f32 v[6:7], v[14:15], v[236:237], v[4:5] neg_lo:[0,0,1] neg_hi:[0,0,1]
	v_pk_fma_f32 v[4:5], v[14:15], v[236:237], v[4:5] op_sel_hi:[1,0,1]
	s_nop 0
	v_mov_b32_e32 v4, v239
	v_mov_b32_e32 v7, v5
	v_pk_mul_f32 v[4:5], v[16:17], v[4:5] op_sel:[1,0] op_sel_hi:[0,0]
	v_pk_add_f32 v[2:3], v[2:3], v[6:7]
	v_pk_fma_f32 v[6:7], v[16:17], v[238:239], v[4:5] neg_lo:[0,0,1] neg_hi:[0,0,1]
	v_pk_fma_f32 v[4:5], v[16:17], v[238:239], v[4:5] op_sel_hi:[1,0,1]
	s_nop 0
	v_mov_b32_e32 v7, v5
	scratch_load_dwordx2 v[4:5], off, off offset:56
	v_pk_add_f32 v[2:3], v[2:3], v[6:7]
	s_waitcnt vmcnt(0)
	v_pk_add_f32 v[2:3], v[4:5], v[2:3] neg_lo:[0,1] neg_hi:[0,1]
	scratch_store_dwordx2 off, v[2:3], off offset:56
	s_and_saveexec_b64 s[0:1], vcc
	s_cbranch_execz .LBB63_385
; %bb.384:
	scratch_load_dwordx2 v[2:3], off, off offset:48
	v_mov_b32_e32 v4, 0
	v_mov_b32_e32 v5, v4
	scratch_store_dwordx2 off, v[4:5], off offset:48
	s_waitcnt vmcnt(1)
	ds_write_b64 v1, v[2:3]
.LBB63_385:
	s_or_b64 exec, exec, s[0:1]
	s_waitcnt lgkmcnt(0)
	; wave barrier
	scratch_load_dwordx4 v[6:9], off, off offset:56
	scratch_load_dwordx4 v[14:17], off, off offset:72
	;; [unrolled: 1-line block ×10, first 2 shown]
	v_mov_b32_e32 v150, 0
	ds_read2_b64 v[2:5], v150 offset0:71 offset1:72
	ds_read2_b64 v[184:187], v150 offset0:109 offset1:110
	scratch_load_dwordx4 v[86:89], off, off offset:216
	scratch_load_dwordx4 v[94:97], off, off offset:232
	;; [unrolled: 1-line block ×15, first 2 shown]
	v_cmp_lt_u32_e32 vcc, 5, v0
	ds_read2_b64 v[192:195], v150 offset0:111 offset1:112
	ds_read2_b64 v[200:203], v150 offset0:113 offset1:114
	;; [unrolled: 1-line block ×5, first 2 shown]
	s_waitcnt vmcnt(24) lgkmcnt(6)
	v_mul_f32_e32 v10, v2, v7
	v_fmac_f32_e32 v10, v3, v6
	v_mul_f32_e32 v11, v4, v9
	v_add_f32_e32 v10, 0, v10
	v_fmac_f32_e32 v11, v5, v8
	v_add_f32_e32 v18, v10, v11
	ds_read2_b64 v[10:13], v150 offset0:73 offset1:74
	v_mul_f32_e32 v3, v3, v7
	v_fma_f32 v2, v2, v6, -v3
	v_mul_f32_e32 v3, v5, v9
	v_add_f32_e32 v2, 0, v2
	s_waitcnt vmcnt(23) lgkmcnt(0)
	v_mul_f32_e32 v19, v10, v15
	v_fmac_f32_e32 v19, v11, v14
	v_add_f32_e32 v18, v18, v19
	v_mul_f32_e32 v19, v12, v17
	v_fmac_f32_e32 v19, v13, v16
	v_add_f32_e32 v26, v18, v19
	ds_read2_b64 v[18:21], v150 offset0:75 offset1:76
	v_fma_f32 v3, v4, v8, -v3
	v_add_f32_e32 v2, v2, v3
	v_mul_f32_e32 v3, v11, v15
	v_fma_f32 v3, v10, v14, -v3
	s_waitcnt vmcnt(22) lgkmcnt(0)
	v_mul_f32_e32 v27, v18, v23
	v_fmac_f32_e32 v27, v19, v22
	v_add_f32_e32 v26, v26, v27
	v_mul_f32_e32 v27, v20, v25
	v_fmac_f32_e32 v27, v21, v24
	v_add_f32_e32 v34, v26, v27
	ds_read2_b64 v[26:29], v150 offset0:77 offset1:78
	v_add_f32_e32 v2, v2, v3
	v_mul_f32_e32 v3, v13, v17
	v_fma_f32 v3, v12, v16, -v3
	v_add_f32_e32 v2, v2, v3
	s_waitcnt vmcnt(21) lgkmcnt(0)
	v_mul_f32_e32 v35, v26, v31
	v_fmac_f32_e32 v35, v27, v30
	v_add_f32_e32 v34, v34, v35
	v_mul_f32_e32 v35, v28, v33
	v_fmac_f32_e32 v35, v29, v32
	v_add_f32_e32 v42, v34, v35
	ds_read2_b64 v[34:37], v150 offset0:79 offset1:80
	v_mul_f32_e32 v3, v19, v23
	v_fma_f32 v3, v18, v22, -v3
	v_add_f32_e32 v2, v2, v3
	v_mul_f32_e32 v3, v21, v25
	s_waitcnt vmcnt(20) lgkmcnt(0)
	v_mul_f32_e32 v43, v34, v39
	v_fmac_f32_e32 v43, v35, v38
	v_add_f32_e32 v42, v42, v43
	v_mul_f32_e32 v43, v36, v41
	v_fmac_f32_e32 v43, v37, v40
	v_add_f32_e32 v50, v42, v43
	ds_read2_b64 v[42:45], v150 offset0:81 offset1:82
	v_fma_f32 v3, v20, v24, -v3
	v_add_f32_e32 v2, v2, v3
	v_mul_f32_e32 v3, v27, v31
	v_fma_f32 v3, v26, v30, -v3
	s_waitcnt vmcnt(19) lgkmcnt(0)
	v_mul_f32_e32 v51, v42, v47
	v_fmac_f32_e32 v51, v43, v46
	v_add_f32_e32 v50, v50, v51
	v_mul_f32_e32 v51, v44, v49
	v_fmac_f32_e32 v51, v45, v48
	v_add_f32_e32 v58, v50, v51
	ds_read2_b64 v[50:53], v150 offset0:83 offset1:84
	v_add_f32_e32 v2, v2, v3
	v_mul_f32_e32 v3, v29, v33
	v_fma_f32 v3, v28, v32, -v3
	v_add_f32_e32 v2, v2, v3
	s_waitcnt vmcnt(18) lgkmcnt(0)
	v_mul_f32_e32 v59, v50, v55
	v_fmac_f32_e32 v59, v51, v54
	v_add_f32_e32 v58, v58, v59
	v_mul_f32_e32 v59, v52, v57
	v_fmac_f32_e32 v59, v53, v56
	v_add_f32_e32 v66, v58, v59
	ds_read2_b64 v[58:61], v150 offset0:85 offset1:86
	v_mul_f32_e32 v3, v35, v39
	v_fma_f32 v3, v34, v38, -v3
	v_add_f32_e32 v2, v2, v3
	v_mul_f32_e32 v3, v37, v41
	;; [unrolled: 36-line block ×5, first 2 shown]
	s_waitcnt vmcnt(8) lgkmcnt(0)
	v_mul_f32_e32 v139, v130, v135
	v_fmac_f32_e32 v139, v131, v134
	v_add_f32_e32 v138, v138, v139
	v_mul_f32_e32 v139, v132, v137
	v_fmac_f32_e32 v139, v133, v136
	v_add_f32_e32 v146, v138, v139
	ds_read2_b64 v[138:141], v150 offset0:105 offset1:106
	v_fma_f32 v3, v84, v88, -v3
	v_add_f32_e32 v2, v2, v3
	v_mul_f32_e32 v3, v91, v95
	v_fma_f32 v3, v90, v94, -v3
	s_waitcnt vmcnt(7) lgkmcnt(0)
	v_mul_f32_e32 v147, v138, v143
	v_fmac_f32_e32 v147, v139, v142
	v_add_f32_e32 v146, v146, v147
	v_mul_f32_e32 v147, v140, v145
	v_fmac_f32_e32 v147, v141, v144
	v_add_f32_e32 v151, v146, v147
	ds_read2_b64 v[146:149], v150 offset0:107 offset1:108
	scratch_load_dwordx4 v[232:235], off, off offset:456
	scratch_load_dwordx4 v[236:239], off, off offset:472
	;; [unrolled: 1-line block ×3, first 2 shown]
	scratch_load_dwordx2 v[162:163], off, off offset:504
	v_add_f32_e32 v2, v2, v3
	v_mul_f32_e32 v3, v93, v97
	v_fma_f32 v3, v92, v96, -v3
	v_add_f32_e32 v2, v2, v3
	v_mul_f32_e32 v3, v99, v103
	v_fma_f32 v3, v98, v102, -v3
	;; [unrolled: 3-line block ×13, first 2 shown]
	s_waitcnt vmcnt(10) lgkmcnt(0)
	v_mul_f32_e32 v156, v146, v153
	v_add_f32_e32 v2, v2, v3
	v_mul_f32_e32 v3, v147, v153
	v_fmac_f32_e32 v156, v147, v152
	v_fma_f32 v3, v146, v152, -v3
	v_add_f32_e32 v151, v151, v156
	v_mul_f32_e32 v156, v148, v155
	v_add_f32_e32 v2, v2, v3
	v_mul_f32_e32 v3, v149, v155
	v_fmac_f32_e32 v156, v149, v154
	v_fma_f32 v3, v148, v154, -v3
	v_add_f32_e32 v151, v151, v156
	s_waitcnt vmcnt(9)
	v_mul_f32_e32 v156, v184, v189
	v_add_f32_e32 v2, v2, v3
	v_mul_f32_e32 v3, v185, v189
	v_fmac_f32_e32 v156, v185, v188
	v_fma_f32 v3, v184, v188, -v3
	v_add_f32_e32 v151, v151, v156
	v_mul_f32_e32 v156, v186, v191
	v_add_f32_e32 v2, v2, v3
	v_mul_f32_e32 v3, v187, v191
	v_fmac_f32_e32 v156, v187, v190
	v_fma_f32 v3, v186, v190, -v3
	v_add_f32_e32 v151, v151, v156
	s_waitcnt vmcnt(8)
	;; [unrolled: 13-line block ×5, first 2 shown]
	v_mul_f32_e32 v156, v216, v221
	v_add_f32_e32 v2, v2, v3
	v_mul_f32_e32 v3, v217, v221
	v_fmac_f32_e32 v156, v217, v220
	v_fma_f32 v3, v216, v220, -v3
	v_add_f32_e32 v157, v151, v156
	v_add_f32_e32 v156, v2, v3
	v_mul_f32_e32 v2, v219, v223
	v_mul_f32_e32 v159, v218, v223
	v_fma_f32 v158, v218, v222, -v2
	s_waitcnt vmcnt(4)
	v_mul_f32_e32 v2, v225, v229
	v_mov_b32_e32 v18, v231
	v_fmac_f32_e32 v159, v219, v222
	v_mul_f32_e32 v161, v224, v229
	v_fma_f32 v160, v224, v228, -v2
	ds_read2_b64 v[2:5], v150 offset0:121 offset1:122
	ds_read2_b64 v[6:9], v150 offset0:123 offset1:124
	ds_read2_b64 v[10:13], v150 offset0:125 offset1:126
	ds_read_b64 v[14:15], v150 offset:1016
	v_pk_mul_f32 v[18:19], v[226:227], v[18:19] op_sel:[1,0] op_sel_hi:[0,0]
	v_fmac_f32_e32 v161, v225, v228
	v_pk_add_f32 v[16:17], v[156:157], v[158:159]
	v_pk_fma_f32 v[20:21], v[226:227], v[230:231], v[18:19] neg_lo:[0,0,1] neg_hi:[0,0,1]
	v_pk_fma_f32 v[18:19], v[226:227], v[230:231], v[18:19] op_sel_hi:[1,0,1]
	v_pk_add_f32 v[16:17], v[16:17], v[160:161]
	v_mov_b32_e32 v21, v19
	s_waitcnt vmcnt(3) lgkmcnt(3)
	v_pk_mul_f32 v[18:19], v[2:3], v[232:233] op_sel:[1,1] op_sel_hi:[0,1]
	v_pk_add_f32 v[16:17], v[16:17], v[20:21]
	v_pk_fma_f32 v[20:21], v[2:3], v[232:233], v[18:19] neg_lo:[0,0,1] neg_hi:[0,0,1]
	v_pk_fma_f32 v[2:3], v[2:3], v[232:233], v[18:19] op_sel_hi:[1,0,1]
	s_nop 0
	v_mov_b32_e32 v21, v3
	v_pk_add_f32 v[2:3], v[16:17], v[20:21]
	v_mov_b32_e32 v16, v235
	v_pk_mul_f32 v[16:17], v[4:5], v[16:17] op_sel:[1,0] op_sel_hi:[0,0]
	v_pk_fma_f32 v[18:19], v[4:5], v[234:235], v[16:17] neg_lo:[0,0,1] neg_hi:[0,0,1]
	v_pk_fma_f32 v[4:5], v[4:5], v[234:235], v[16:17] op_sel_hi:[1,0,1]
	s_nop 0
	v_mov_b32_e32 v19, v5
	s_waitcnt vmcnt(2) lgkmcnt(2)
	v_pk_mul_f32 v[4:5], v[6:7], v[236:237] op_sel:[1,1] op_sel_hi:[0,1]
	v_pk_fma_f32 v[16:17], v[6:7], v[236:237], v[4:5] neg_lo:[0,0,1] neg_hi:[0,0,1]
	v_pk_fma_f32 v[4:5], v[6:7], v[236:237], v[4:5] op_sel_hi:[1,0,1]
	v_pk_add_f32 v[2:3], v[2:3], v[18:19]
	v_mov_b32_e32 v4, v239
	v_mov_b32_e32 v17, v5
	v_pk_mul_f32 v[4:5], v[8:9], v[4:5] op_sel:[1,0] op_sel_hi:[0,0]
	v_pk_fma_f32 v[6:7], v[8:9], v[238:239], v[4:5] neg_lo:[0,0,1] neg_hi:[0,0,1]
	v_pk_fma_f32 v[4:5], v[8:9], v[238:239], v[4:5] op_sel_hi:[1,0,1]
	v_pk_add_f32 v[2:3], v[2:3], v[16:17]
	v_mov_b32_e32 v7, v5
	s_waitcnt vmcnt(1) lgkmcnt(1)
	v_pk_mul_f32 v[4:5], v[10:11], v[240:241] op_sel:[1,1] op_sel_hi:[0,1]
	v_pk_add_f32 v[2:3], v[2:3], v[6:7]
	v_pk_fma_f32 v[6:7], v[10:11], v[240:241], v[4:5] neg_lo:[0,0,1] neg_hi:[0,0,1]
	v_pk_fma_f32 v[4:5], v[10:11], v[240:241], v[4:5] op_sel_hi:[1,0,1]
	s_nop 0
	v_mov_b32_e32 v4, v243
	v_mov_b32_e32 v7, v5
	v_pk_mul_f32 v[4:5], v[12:13], v[4:5] op_sel:[1,0] op_sel_hi:[0,0]
	v_pk_add_f32 v[2:3], v[2:3], v[6:7]
	v_pk_fma_f32 v[6:7], v[12:13], v[242:243], v[4:5] neg_lo:[0,0,1] neg_hi:[0,0,1]
	v_pk_fma_f32 v[4:5], v[12:13], v[242:243], v[4:5] op_sel_hi:[1,0,1]
	s_nop 0
	v_mov_b32_e32 v7, v5
	s_waitcnt vmcnt(0) lgkmcnt(0)
	v_pk_mul_f32 v[4:5], v[14:15], v[162:163] op_sel:[1,1] op_sel_hi:[0,1]
	v_pk_add_f32 v[2:3], v[2:3], v[6:7]
	v_pk_fma_f32 v[6:7], v[14:15], v[162:163], v[4:5] neg_lo:[0,0,1] neg_hi:[0,0,1]
	v_pk_fma_f32 v[4:5], v[14:15], v[162:163], v[4:5] op_sel_hi:[1,0,1]
	s_nop 0
	v_mov_b32_e32 v7, v5
	scratch_load_dwordx2 v[4:5], off, off offset:48
	v_pk_add_f32 v[2:3], v[2:3], v[6:7]
	s_waitcnt vmcnt(0)
	v_pk_add_f32 v[2:3], v[4:5], v[2:3] neg_lo:[0,1] neg_hi:[0,1]
	scratch_store_dwordx2 off, v[2:3], off offset:48
	s_and_saveexec_b64 s[0:1], vcc
	s_cbranch_execz .LBB63_387
; %bb.386:
	scratch_load_dwordx2 v[2:3], off, off offset:40
	v_mov_b32_e32 v151, v150
	scratch_store_dwordx2 off, v[150:151], off offset:40
	s_waitcnt vmcnt(1)
	ds_write_b64 v1, v[2:3]
.LBB63_387:
	s_or_b64 exec, exec, s[0:1]
	s_waitcnt lgkmcnt(0)
	; wave barrier
	ds_read_b128 v[14:17], v150 offset:560
	ds_read_b128 v[10:13], v150 offset:576
	;; [unrolled: 1-line block ×4, first 2 shown]
	scratch_load_dwordx4 v[18:21], off, off offset:48
	scratch_load_dwordx4 v[38:41], off, off offset:112
	;; [unrolled: 1-line block ×19, first 2 shown]
	v_cmp_lt_u32_e32 vcc, 4, v0
	scratch_load_dwordx4 v[46:49], off, off offset:128
	scratch_load_dwordx4 v[54:57], off, off offset:144
	;; [unrolled: 1-line block ×3, first 2 shown]
	ds_read_b128 v[184:187], v150 offset:864
	ds_read_b128 v[192:195], v150 offset:880
	;; [unrolled: 1-line block ×6, first 2 shown]
	s_waitcnt vmcnt(21) lgkmcnt(9)
	v_mul_f32_e32 v22, v14, v19
	v_fmac_f32_e32 v22, v15, v18
	v_mul_f32_e32 v23, v16, v21
	v_add_f32_e32 v22, 0, v22
	v_fmac_f32_e32 v23, v17, v20
	v_add_f32_e32 v26, v22, v23
	scratch_load_dwordx4 v[22:25], off, off offset:64
	v_mul_f32_e32 v15, v15, v19
	v_fma_f32 v14, v14, v18, -v15
	v_mul_f32_e32 v15, v17, v21
	v_add_f32_e32 v14, 0, v14
	v_fma_f32 v15, v16, v20, -v15
	v_add_f32_e32 v14, v14, v15
	s_waitcnt vmcnt(4) lgkmcnt(0)
	v_mul_f32_e32 v159, v224, v229
	v_mul_f32_e32 v161, v226, v231
	v_fmac_f32_e32 v159, v225, v228
	v_fmac_f32_e32 v161, v227, v230
	s_waitcnt vmcnt(0)
	v_mul_f32_e32 v27, v10, v23
	v_fmac_f32_e32 v27, v11, v22
	v_add_f32_e32 v26, v26, v27
	v_mul_f32_e32 v27, v12, v25
	v_fmac_f32_e32 v27, v13, v24
	v_add_f32_e32 v30, v26, v27
	scratch_load_dwordx4 v[26:29], off, off offset:80
	v_mul_f32_e32 v11, v11, v23
	v_fma_f32 v10, v10, v22, -v11
	v_mul_f32_e32 v11, v13, v25
	v_add_f32_e32 v10, v14, v10
	v_fma_f32 v11, v12, v24, -v11
	v_add_f32_e32 v10, v10, v11
	s_waitcnt vmcnt(0)
	v_mul_f32_e32 v31, v6, v27
	v_fmac_f32_e32 v31, v7, v26
	v_add_f32_e32 v30, v30, v31
	v_mul_f32_e32 v31, v8, v29
	v_fmac_f32_e32 v31, v9, v28
	v_add_f32_e32 v34, v30, v31
	scratch_load_dwordx4 v[30:33], off, off offset:96
	v_mul_f32_e32 v7, v7, v27
	v_fma_f32 v6, v6, v26, -v7
	v_mul_f32_e32 v7, v9, v29
	v_add_f32_e32 v6, v10, v6
	v_fma_f32 v7, v8, v28, -v7
	v_add_f32_e32 v6, v6, v7
	s_waitcnt vmcnt(0)
	v_mul_f32_e32 v35, v2, v31
	v_fmac_f32_e32 v35, v3, v30
	v_add_f32_e32 v34, v34, v35
	v_mul_f32_e32 v35, v4, v33
	v_fmac_f32_e32 v35, v5, v32
	v_add_f32_e32 v42, v34, v35
	ds_read_b128 v[34:37], v150 offset:624
	v_mul_f32_e32 v3, v3, v31
	v_fma_f32 v2, v2, v30, -v3
	v_mul_f32_e32 v3, v5, v33
	v_add_f32_e32 v2, v6, v2
	s_waitcnt lgkmcnt(0)
	v_mul_f32_e32 v43, v34, v39
	v_fmac_f32_e32 v43, v35, v38
	v_add_f32_e32 v42, v42, v43
	v_mul_f32_e32 v43, v36, v41
	v_fmac_f32_e32 v43, v37, v40
	v_add_f32_e32 v50, v42, v43
	ds_read_b128 v[42:45], v150 offset:640
	v_fma_f32 v3, v4, v32, -v3
	v_add_f32_e32 v2, v2, v3
	v_mul_f32_e32 v3, v35, v39
	v_fma_f32 v3, v34, v38, -v3
	s_waitcnt lgkmcnt(0)
	v_mul_f32_e32 v51, v42, v47
	v_fmac_f32_e32 v51, v43, v46
	v_add_f32_e32 v50, v50, v51
	v_mul_f32_e32 v51, v44, v49
	v_fmac_f32_e32 v51, v45, v48
	v_add_f32_e32 v58, v50, v51
	ds_read_b128 v[50:53], v150 offset:656
	v_add_f32_e32 v2, v2, v3
	v_mul_f32_e32 v3, v37, v41
	v_fma_f32 v3, v36, v40, -v3
	v_add_f32_e32 v2, v2, v3
	s_waitcnt lgkmcnt(0)
	v_mul_f32_e32 v59, v50, v55
	v_fmac_f32_e32 v59, v51, v54
	v_add_f32_e32 v58, v58, v59
	v_mul_f32_e32 v59, v52, v57
	v_fmac_f32_e32 v59, v53, v56
	v_add_f32_e32 v66, v58, v59
	ds_read_b128 v[58:61], v150 offset:672
	v_mul_f32_e32 v3, v43, v47
	v_fma_f32 v3, v42, v46, -v3
	v_add_f32_e32 v2, v2, v3
	v_mul_f32_e32 v3, v45, v49
	s_waitcnt lgkmcnt(0)
	v_mul_f32_e32 v67, v58, v63
	v_fmac_f32_e32 v67, v59, v62
	v_add_f32_e32 v66, v66, v67
	v_mul_f32_e32 v67, v60, v65
	v_fmac_f32_e32 v67, v61, v64
	v_add_f32_e32 v74, v66, v67
	ds_read_b128 v[66:69], v150 offset:688
	v_fma_f32 v3, v44, v48, -v3
	v_add_f32_e32 v2, v2, v3
	v_mul_f32_e32 v3, v51, v55
	v_fma_f32 v3, v50, v54, -v3
	s_waitcnt lgkmcnt(0)
	v_mul_f32_e32 v75, v66, v71
	v_fmac_f32_e32 v75, v67, v70
	v_add_f32_e32 v74, v74, v75
	v_mul_f32_e32 v75, v68, v73
	v_fmac_f32_e32 v75, v69, v72
	v_add_f32_e32 v82, v74, v75
	ds_read_b128 v[74:77], v150 offset:704
	v_add_f32_e32 v2, v2, v3
	v_mul_f32_e32 v3, v53, v57
	v_fma_f32 v3, v52, v56, -v3
	v_add_f32_e32 v2, v2, v3
	s_waitcnt lgkmcnt(0)
	v_mul_f32_e32 v83, v74, v79
	v_fmac_f32_e32 v83, v75, v78
	v_add_f32_e32 v82, v82, v83
	v_mul_f32_e32 v83, v76, v81
	v_fmac_f32_e32 v83, v77, v80
	v_add_f32_e32 v90, v82, v83
	ds_read_b128 v[82:85], v150 offset:720
	v_mul_f32_e32 v3, v59, v63
	v_fma_f32 v3, v58, v62, -v3
	v_add_f32_e32 v2, v2, v3
	v_mul_f32_e32 v3, v61, v65
	;; [unrolled: 36-line block ×4, first 2 shown]
	s_waitcnt lgkmcnt(0)
	v_mul_f32_e32 v139, v130, v135
	v_fmac_f32_e32 v139, v131, v134
	v_add_f32_e32 v138, v138, v139
	v_mul_f32_e32 v139, v132, v137
	v_fmac_f32_e32 v139, v133, v136
	v_add_f32_e32 v146, v138, v139
	ds_read_b128 v[138:141], v150 offset:832
	v_fma_f32 v3, v92, v96, -v3
	v_add_f32_e32 v2, v2, v3
	v_mul_f32_e32 v3, v99, v103
	v_fma_f32 v3, v98, v102, -v3
	s_waitcnt lgkmcnt(0)
	v_mul_f32_e32 v147, v138, v143
	v_fmac_f32_e32 v147, v139, v142
	v_add_f32_e32 v146, v146, v147
	v_mul_f32_e32 v147, v140, v145
	v_fmac_f32_e32 v147, v141, v144
	v_add_f32_e32 v151, v146, v147
	ds_read_b128 v[146:149], v150 offset:848
	scratch_load_dwordx4 v[232:235], off, off offset:448
	scratch_load_dwordx4 v[236:239], off, off offset:464
	;; [unrolled: 1-line block ×4, first 2 shown]
	v_add_f32_e32 v2, v2, v3
	v_mul_f32_e32 v3, v101, v105
	v_fma_f32 v3, v100, v104, -v3
	v_add_f32_e32 v2, v2, v3
	v_mul_f32_e32 v3, v107, v111
	v_fma_f32 v3, v106, v110, -v3
	;; [unrolled: 3-line block ×11, first 2 shown]
	s_waitcnt lgkmcnt(0)
	v_mul_f32_e32 v156, v146, v153
	v_add_f32_e32 v2, v2, v3
	v_mul_f32_e32 v3, v147, v153
	v_fmac_f32_e32 v156, v147, v152
	v_fma_f32 v3, v146, v152, -v3
	v_add_f32_e32 v151, v151, v156
	v_mul_f32_e32 v156, v148, v155
	v_add_f32_e32 v2, v2, v3
	v_mul_f32_e32 v3, v149, v155
	v_fmac_f32_e32 v156, v149, v154
	v_fma_f32 v3, v148, v154, -v3
	v_add_f32_e32 v151, v151, v156
	v_mul_f32_e32 v156, v184, v189
	v_add_f32_e32 v2, v2, v3
	v_mul_f32_e32 v3, v185, v189
	v_fmac_f32_e32 v156, v185, v188
	v_fma_f32 v3, v184, v188, -v3
	v_add_f32_e32 v151, v151, v156
	v_mul_f32_e32 v156, v186, v191
	v_add_f32_e32 v2, v2, v3
	v_mul_f32_e32 v3, v187, v191
	v_fmac_f32_e32 v156, v187, v190
	v_fma_f32 v3, v186, v190, -v3
	v_add_f32_e32 v151, v151, v156
	v_mul_f32_e32 v156, v192, v197
	v_add_f32_e32 v2, v2, v3
	v_mul_f32_e32 v3, v193, v197
	v_fmac_f32_e32 v156, v193, v196
	v_fma_f32 v3, v192, v196, -v3
	v_add_f32_e32 v151, v151, v156
	v_mul_f32_e32 v156, v194, v199
	v_add_f32_e32 v2, v2, v3
	v_mul_f32_e32 v3, v195, v199
	v_fmac_f32_e32 v156, v195, v198
	v_fma_f32 v3, v194, v198, -v3
	v_add_f32_e32 v151, v151, v156
	v_mul_f32_e32 v156, v200, v205
	v_add_f32_e32 v2, v2, v3
	v_mul_f32_e32 v3, v201, v205
	v_fmac_f32_e32 v156, v201, v204
	v_fma_f32 v3, v200, v204, -v3
	v_add_f32_e32 v151, v151, v156
	v_mul_f32_e32 v156, v202, v207
	v_add_f32_e32 v2, v2, v3
	v_mul_f32_e32 v3, v203, v207
	v_fmac_f32_e32 v156, v203, v206
	v_fma_f32 v3, v202, v206, -v3
	v_add_f32_e32 v151, v151, v156
	v_mul_f32_e32 v156, v208, v213
	v_add_f32_e32 v2, v2, v3
	v_mul_f32_e32 v3, v209, v213
	v_fmac_f32_e32 v156, v209, v212
	v_fma_f32 v3, v208, v212, -v3
	v_add_f32_e32 v151, v151, v156
	v_mul_f32_e32 v156, v210, v215
	v_add_f32_e32 v2, v2, v3
	v_mul_f32_e32 v3, v211, v215
	v_fmac_f32_e32 v156, v211, v214
	v_fma_f32 v3, v210, v214, -v3
	v_add_f32_e32 v151, v151, v156
	v_mul_f32_e32 v156, v216, v221
	v_add_f32_e32 v2, v2, v3
	v_mul_f32_e32 v3, v217, v221
	v_fmac_f32_e32 v156, v217, v220
	v_fma_f32 v3, v216, v220, -v3
	v_add_f32_e32 v151, v151, v156
	v_mul_f32_e32 v156, v218, v223
	v_add_f32_e32 v2, v2, v3
	v_mul_f32_e32 v3, v219, v223
	v_fmac_f32_e32 v156, v219, v222
	v_fma_f32 v3, v218, v222, -v3
	v_add_f32_e32 v157, v151, v156
	v_add_f32_e32 v156, v2, v3
	v_mul_f32_e32 v2, v225, v229
	v_fma_f32 v158, v224, v228, -v2
	v_mul_f32_e32 v2, v227, v231
	v_fma_f32 v160, v226, v230, -v2
	ds_read_b128 v[2:5], v150 offset:960
	ds_read_b128 v[6:9], v150 offset:976
	;; [unrolled: 1-line block ×4, first 2 shown]
	v_pk_add_f32 v[18:19], v[156:157], v[158:159]
	s_waitcnt vmcnt(3) lgkmcnt(3)
	v_pk_mul_f32 v[20:21], v[2:3], v[232:233] op_sel:[1,1] op_sel_hi:[0,1]
	v_pk_fma_f32 v[22:23], v[2:3], v[232:233], v[20:21] neg_lo:[0,0,1] neg_hi:[0,0,1]
	v_pk_fma_f32 v[2:3], v[2:3], v[232:233], v[20:21] op_sel_hi:[1,0,1]
	v_pk_add_f32 v[18:19], v[18:19], v[160:161]
	v_mov_b32_e32 v23, v3
	v_pk_add_f32 v[2:3], v[18:19], v[22:23]
	v_mov_b32_e32 v18, v235
	v_pk_mul_f32 v[18:19], v[4:5], v[18:19] op_sel:[1,0] op_sel_hi:[0,0]
	v_pk_fma_f32 v[20:21], v[4:5], v[234:235], v[18:19] neg_lo:[0,0,1] neg_hi:[0,0,1]
	v_pk_fma_f32 v[4:5], v[4:5], v[234:235], v[18:19] op_sel_hi:[1,0,1]
	s_nop 0
	v_mov_b32_e32 v21, v5
	s_waitcnt vmcnt(2) lgkmcnt(2)
	v_pk_mul_f32 v[4:5], v[6:7], v[236:237] op_sel:[1,1] op_sel_hi:[0,1]
	v_pk_fma_f32 v[18:19], v[6:7], v[236:237], v[4:5] neg_lo:[0,0,1] neg_hi:[0,0,1]
	v_pk_fma_f32 v[4:5], v[6:7], v[236:237], v[4:5] op_sel_hi:[1,0,1]
	v_pk_add_f32 v[2:3], v[2:3], v[20:21]
	v_mov_b32_e32 v4, v239
	v_mov_b32_e32 v19, v5
	v_pk_mul_f32 v[4:5], v[8:9], v[4:5] op_sel:[1,0] op_sel_hi:[0,0]
	v_pk_fma_f32 v[6:7], v[8:9], v[238:239], v[4:5] neg_lo:[0,0,1] neg_hi:[0,0,1]
	v_pk_fma_f32 v[4:5], v[8:9], v[238:239], v[4:5] op_sel_hi:[1,0,1]
	v_pk_add_f32 v[2:3], v[2:3], v[18:19]
	v_mov_b32_e32 v7, v5
	s_waitcnt vmcnt(1) lgkmcnt(1)
	v_pk_mul_f32 v[4:5], v[10:11], v[240:241] op_sel:[1,1] op_sel_hi:[0,1]
	v_pk_add_f32 v[2:3], v[2:3], v[6:7]
	v_pk_fma_f32 v[6:7], v[10:11], v[240:241], v[4:5] neg_lo:[0,0,1] neg_hi:[0,0,1]
	v_pk_fma_f32 v[4:5], v[10:11], v[240:241], v[4:5] op_sel_hi:[1,0,1]
	s_nop 0
	v_mov_b32_e32 v4, v243
	v_mov_b32_e32 v7, v5
	v_pk_mul_f32 v[4:5], v[12:13], v[4:5] op_sel:[1,0] op_sel_hi:[0,0]
	v_pk_add_f32 v[2:3], v[2:3], v[6:7]
	v_pk_fma_f32 v[6:7], v[12:13], v[242:243], v[4:5] neg_lo:[0,0,1] neg_hi:[0,0,1]
	v_pk_fma_f32 v[4:5], v[12:13], v[242:243], v[4:5] op_sel_hi:[1,0,1]
	s_nop 0
	v_mov_b32_e32 v7, v5
	s_waitcnt vmcnt(0) lgkmcnt(0)
	v_pk_mul_f32 v[4:5], v[14:15], v[244:245] op_sel:[1,1] op_sel_hi:[0,1]
	v_pk_add_f32 v[2:3], v[2:3], v[6:7]
	v_pk_fma_f32 v[6:7], v[14:15], v[244:245], v[4:5] neg_lo:[0,0,1] neg_hi:[0,0,1]
	v_pk_fma_f32 v[4:5], v[14:15], v[244:245], v[4:5] op_sel_hi:[1,0,1]
	s_nop 0
	v_mov_b32_e32 v4, v247
	v_mov_b32_e32 v7, v5
	v_pk_mul_f32 v[4:5], v[16:17], v[4:5] op_sel:[1,0] op_sel_hi:[0,0]
	v_pk_add_f32 v[2:3], v[2:3], v[6:7]
	v_pk_fma_f32 v[6:7], v[16:17], v[246:247], v[4:5] neg_lo:[0,0,1] neg_hi:[0,0,1]
	v_pk_fma_f32 v[4:5], v[16:17], v[246:247], v[4:5] op_sel_hi:[1,0,1]
	s_nop 0
	v_mov_b32_e32 v7, v5
	scratch_load_dwordx2 v[4:5], off, off offset:40
	v_pk_add_f32 v[2:3], v[2:3], v[6:7]
	s_waitcnt vmcnt(0)
	v_pk_add_f32 v[2:3], v[4:5], v[2:3] neg_lo:[0,1] neg_hi:[0,1]
	scratch_store_dwordx2 off, v[2:3], off offset:40
	s_and_saveexec_b64 s[0:1], vcc
	s_cbranch_execz .LBB63_389
; %bb.388:
	scratch_load_dwordx2 v[2:3], off, off offset:32
	v_mov_b32_e32 v4, 0
	v_mov_b32_e32 v5, v4
	scratch_store_dwordx2 off, v[4:5], off offset:32
	s_waitcnt vmcnt(1)
	ds_write_b64 v1, v[2:3]
.LBB63_389:
	s_or_b64 exec, exec, s[0:1]
	s_waitcnt lgkmcnt(0)
	; wave barrier
	scratch_load_dwordx4 v[6:9], off, off offset:40
	scratch_load_dwordx4 v[14:17], off, off offset:56
	;; [unrolled: 1-line block ×10, first 2 shown]
	v_mov_b32_e32 v150, 0
	ds_read2_b64 v[2:5], v150 offset0:69 offset1:70
	ds_read2_b64 v[184:187], v150 offset0:107 offset1:108
	scratch_load_dwordx4 v[86:89], off, off offset:200
	scratch_load_dwordx4 v[94:97], off, off offset:216
	;; [unrolled: 1-line block ×16, first 2 shown]
	v_cmp_lt_u32_e32 vcc, 3, v0
	ds_read2_b64 v[192:195], v150 offset0:109 offset1:110
	ds_read2_b64 v[200:203], v150 offset0:111 offset1:112
	;; [unrolled: 1-line block ×6, first 2 shown]
	s_waitcnt vmcnt(25) lgkmcnt(7)
	v_mul_f32_e32 v10, v2, v7
	v_fmac_f32_e32 v10, v3, v6
	v_mul_f32_e32 v11, v4, v9
	v_add_f32_e32 v10, 0, v10
	v_fmac_f32_e32 v11, v5, v8
	v_add_f32_e32 v18, v10, v11
	ds_read2_b64 v[10:13], v150 offset0:71 offset1:72
	v_mul_f32_e32 v3, v3, v7
	v_fma_f32 v2, v2, v6, -v3
	v_mul_f32_e32 v3, v5, v9
	v_add_f32_e32 v2, 0, v2
	s_waitcnt vmcnt(24) lgkmcnt(0)
	v_mul_f32_e32 v19, v10, v15
	v_fmac_f32_e32 v19, v11, v14
	v_add_f32_e32 v18, v18, v19
	v_mul_f32_e32 v19, v12, v17
	v_fmac_f32_e32 v19, v13, v16
	v_add_f32_e32 v26, v18, v19
	ds_read2_b64 v[18:21], v150 offset0:73 offset1:74
	v_fma_f32 v3, v4, v8, -v3
	v_add_f32_e32 v2, v2, v3
	v_mul_f32_e32 v3, v11, v15
	v_fma_f32 v3, v10, v14, -v3
	s_waitcnt vmcnt(23) lgkmcnt(0)
	v_mul_f32_e32 v27, v18, v23
	v_fmac_f32_e32 v27, v19, v22
	v_add_f32_e32 v26, v26, v27
	v_mul_f32_e32 v27, v20, v25
	v_fmac_f32_e32 v27, v21, v24
	v_add_f32_e32 v34, v26, v27
	ds_read2_b64 v[26:29], v150 offset0:75 offset1:76
	v_add_f32_e32 v2, v2, v3
	v_mul_f32_e32 v3, v13, v17
	v_fma_f32 v3, v12, v16, -v3
	v_add_f32_e32 v2, v2, v3
	s_waitcnt vmcnt(22) lgkmcnt(0)
	v_mul_f32_e32 v35, v26, v31
	v_fmac_f32_e32 v35, v27, v30
	v_add_f32_e32 v34, v34, v35
	v_mul_f32_e32 v35, v28, v33
	v_fmac_f32_e32 v35, v29, v32
	v_add_f32_e32 v42, v34, v35
	ds_read2_b64 v[34:37], v150 offset0:77 offset1:78
	v_mul_f32_e32 v3, v19, v23
	v_fma_f32 v3, v18, v22, -v3
	v_add_f32_e32 v2, v2, v3
	v_mul_f32_e32 v3, v21, v25
	s_waitcnt vmcnt(21) lgkmcnt(0)
	v_mul_f32_e32 v43, v34, v39
	v_fmac_f32_e32 v43, v35, v38
	v_add_f32_e32 v42, v42, v43
	v_mul_f32_e32 v43, v36, v41
	v_fmac_f32_e32 v43, v37, v40
	v_add_f32_e32 v50, v42, v43
	ds_read2_b64 v[42:45], v150 offset0:79 offset1:80
	v_fma_f32 v3, v20, v24, -v3
	v_add_f32_e32 v2, v2, v3
	v_mul_f32_e32 v3, v27, v31
	v_fma_f32 v3, v26, v30, -v3
	s_waitcnt vmcnt(20) lgkmcnt(0)
	v_mul_f32_e32 v51, v42, v47
	v_fmac_f32_e32 v51, v43, v46
	v_add_f32_e32 v50, v50, v51
	v_mul_f32_e32 v51, v44, v49
	v_fmac_f32_e32 v51, v45, v48
	v_add_f32_e32 v58, v50, v51
	ds_read2_b64 v[50:53], v150 offset0:81 offset1:82
	v_add_f32_e32 v2, v2, v3
	v_mul_f32_e32 v3, v29, v33
	v_fma_f32 v3, v28, v32, -v3
	v_add_f32_e32 v2, v2, v3
	s_waitcnt vmcnt(19) lgkmcnt(0)
	v_mul_f32_e32 v59, v50, v55
	v_fmac_f32_e32 v59, v51, v54
	v_add_f32_e32 v58, v58, v59
	v_mul_f32_e32 v59, v52, v57
	v_fmac_f32_e32 v59, v53, v56
	v_add_f32_e32 v66, v58, v59
	ds_read2_b64 v[58:61], v150 offset0:83 offset1:84
	v_mul_f32_e32 v3, v35, v39
	v_fma_f32 v3, v34, v38, -v3
	v_add_f32_e32 v2, v2, v3
	v_mul_f32_e32 v3, v37, v41
	;; [unrolled: 36-line block ×5, first 2 shown]
	s_waitcnt vmcnt(9) lgkmcnt(0)
	v_mul_f32_e32 v139, v130, v135
	v_fmac_f32_e32 v139, v131, v134
	v_add_f32_e32 v138, v138, v139
	v_mul_f32_e32 v139, v132, v137
	v_fmac_f32_e32 v139, v133, v136
	v_add_f32_e32 v146, v138, v139
	ds_read2_b64 v[138:141], v150 offset0:103 offset1:104
	v_fma_f32 v3, v84, v88, -v3
	v_add_f32_e32 v2, v2, v3
	v_mul_f32_e32 v3, v91, v95
	v_fma_f32 v3, v90, v94, -v3
	s_waitcnt vmcnt(8) lgkmcnt(0)
	v_mul_f32_e32 v147, v138, v143
	v_fmac_f32_e32 v147, v139, v142
	v_add_f32_e32 v146, v146, v147
	v_mul_f32_e32 v147, v140, v145
	v_fmac_f32_e32 v147, v141, v144
	v_add_f32_e32 v151, v146, v147
	ds_read2_b64 v[146:149], v150 offset0:105 offset1:106
	scratch_load_dwordx4 v[240:243], off, off offset:456
	scratch_load_dwordx4 v[244:247], off, off offset:472
	;; [unrolled: 1-line block ×3, first 2 shown]
	scratch_load_dwordx2 v[162:163], off, off offset:504
	v_add_f32_e32 v2, v2, v3
	v_mul_f32_e32 v3, v93, v97
	v_fma_f32 v3, v92, v96, -v3
	v_add_f32_e32 v2, v2, v3
	v_mul_f32_e32 v3, v99, v103
	v_fma_f32 v3, v98, v102, -v3
	;; [unrolled: 3-line block ×13, first 2 shown]
	s_waitcnt vmcnt(11) lgkmcnt(0)
	v_mul_f32_e32 v156, v146, v153
	v_add_f32_e32 v2, v2, v3
	v_mul_f32_e32 v3, v147, v153
	v_fmac_f32_e32 v156, v147, v152
	v_fma_f32 v3, v146, v152, -v3
	v_add_f32_e32 v151, v151, v156
	v_mul_f32_e32 v156, v148, v155
	v_add_f32_e32 v2, v2, v3
	v_mul_f32_e32 v3, v149, v155
	v_fmac_f32_e32 v156, v149, v154
	v_fma_f32 v3, v148, v154, -v3
	v_add_f32_e32 v151, v151, v156
	s_waitcnt vmcnt(10)
	v_mul_f32_e32 v156, v184, v189
	v_add_f32_e32 v2, v2, v3
	v_mul_f32_e32 v3, v185, v189
	v_fmac_f32_e32 v156, v185, v188
	v_fma_f32 v3, v184, v188, -v3
	v_add_f32_e32 v151, v151, v156
	v_mul_f32_e32 v156, v186, v191
	v_add_f32_e32 v2, v2, v3
	v_mul_f32_e32 v3, v187, v191
	v_fmac_f32_e32 v156, v187, v190
	v_fma_f32 v3, v186, v190, -v3
	v_add_f32_e32 v151, v151, v156
	s_waitcnt vmcnt(9)
	;; [unrolled: 13-line block ×6, first 2 shown]
	v_mul_f32_e32 v156, v224, v229
	v_add_f32_e32 v2, v2, v3
	v_mul_f32_e32 v3, v225, v229
	v_fmac_f32_e32 v156, v225, v228
	v_fma_f32 v3, v224, v228, -v3
	v_add_f32_e32 v157, v151, v156
	v_add_f32_e32 v156, v2, v3
	v_mul_f32_e32 v2, v227, v231
	v_mul_f32_e32 v159, v226, v231
	v_fma_f32 v158, v226, v230, -v2
	s_waitcnt vmcnt(4)
	v_mul_f32_e32 v2, v233, v237
	v_mov_b32_e32 v18, v239
	v_fmac_f32_e32 v159, v227, v230
	v_mul_f32_e32 v161, v232, v237
	v_fma_f32 v160, v232, v236, -v2
	ds_read2_b64 v[2:5], v150 offset0:121 offset1:122
	ds_read2_b64 v[6:9], v150 offset0:123 offset1:124
	;; [unrolled: 1-line block ×3, first 2 shown]
	ds_read_b64 v[14:15], v150 offset:1016
	v_pk_mul_f32 v[18:19], v[234:235], v[18:19] op_sel:[1,0] op_sel_hi:[0,0]
	v_fmac_f32_e32 v161, v233, v236
	v_pk_add_f32 v[16:17], v[156:157], v[158:159]
	v_pk_fma_f32 v[20:21], v[234:235], v[238:239], v[18:19] neg_lo:[0,0,1] neg_hi:[0,0,1]
	v_pk_fma_f32 v[18:19], v[234:235], v[238:239], v[18:19] op_sel_hi:[1,0,1]
	v_pk_add_f32 v[16:17], v[16:17], v[160:161]
	v_mov_b32_e32 v21, v19
	s_waitcnt vmcnt(3) lgkmcnt(3)
	v_pk_mul_f32 v[18:19], v[2:3], v[240:241] op_sel:[1,1] op_sel_hi:[0,1]
	v_pk_add_f32 v[16:17], v[16:17], v[20:21]
	v_pk_fma_f32 v[20:21], v[2:3], v[240:241], v[18:19] neg_lo:[0,0,1] neg_hi:[0,0,1]
	v_pk_fma_f32 v[2:3], v[2:3], v[240:241], v[18:19] op_sel_hi:[1,0,1]
	s_nop 0
	v_mov_b32_e32 v21, v3
	v_pk_add_f32 v[2:3], v[16:17], v[20:21]
	v_mov_b32_e32 v16, v243
	v_pk_mul_f32 v[16:17], v[4:5], v[16:17] op_sel:[1,0] op_sel_hi:[0,0]
	v_pk_fma_f32 v[18:19], v[4:5], v[242:243], v[16:17] neg_lo:[0,0,1] neg_hi:[0,0,1]
	v_pk_fma_f32 v[4:5], v[4:5], v[242:243], v[16:17] op_sel_hi:[1,0,1]
	s_nop 0
	v_mov_b32_e32 v19, v5
	s_waitcnt vmcnt(2) lgkmcnt(2)
	v_pk_mul_f32 v[4:5], v[6:7], v[244:245] op_sel:[1,1] op_sel_hi:[0,1]
	v_pk_fma_f32 v[16:17], v[6:7], v[244:245], v[4:5] neg_lo:[0,0,1] neg_hi:[0,0,1]
	v_pk_fma_f32 v[4:5], v[6:7], v[244:245], v[4:5] op_sel_hi:[1,0,1]
	v_pk_add_f32 v[2:3], v[2:3], v[18:19]
	v_mov_b32_e32 v4, v247
	v_mov_b32_e32 v17, v5
	v_pk_mul_f32 v[4:5], v[8:9], v[4:5] op_sel:[1,0] op_sel_hi:[0,0]
	v_pk_fma_f32 v[6:7], v[8:9], v[246:247], v[4:5] neg_lo:[0,0,1] neg_hi:[0,0,1]
	v_pk_fma_f32 v[4:5], v[8:9], v[246:247], v[4:5] op_sel_hi:[1,0,1]
	v_pk_add_f32 v[2:3], v[2:3], v[16:17]
	v_mov_b32_e32 v7, v5
	s_waitcnt vmcnt(1) lgkmcnt(1)
	v_pk_mul_f32 v[4:5], v[10:11], v[248:249] op_sel:[1,1] op_sel_hi:[0,1]
	v_pk_add_f32 v[2:3], v[2:3], v[6:7]
	v_pk_fma_f32 v[6:7], v[10:11], v[248:249], v[4:5] neg_lo:[0,0,1] neg_hi:[0,0,1]
	v_pk_fma_f32 v[4:5], v[10:11], v[248:249], v[4:5] op_sel_hi:[1,0,1]
	s_nop 0
	v_mov_b32_e32 v4, v251
	v_mov_b32_e32 v7, v5
	v_pk_mul_f32 v[4:5], v[12:13], v[4:5] op_sel:[1,0] op_sel_hi:[0,0]
	v_pk_add_f32 v[2:3], v[2:3], v[6:7]
	v_pk_fma_f32 v[6:7], v[12:13], v[250:251], v[4:5] neg_lo:[0,0,1] neg_hi:[0,0,1]
	v_pk_fma_f32 v[4:5], v[12:13], v[250:251], v[4:5] op_sel_hi:[1,0,1]
	s_nop 0
	v_mov_b32_e32 v7, v5
	s_waitcnt vmcnt(0) lgkmcnt(0)
	v_pk_mul_f32 v[4:5], v[14:15], v[162:163] op_sel:[1,1] op_sel_hi:[0,1]
	v_pk_add_f32 v[2:3], v[2:3], v[6:7]
	v_pk_fma_f32 v[6:7], v[14:15], v[162:163], v[4:5] neg_lo:[0,0,1] neg_hi:[0,0,1]
	v_pk_fma_f32 v[4:5], v[14:15], v[162:163], v[4:5] op_sel_hi:[1,0,1]
	s_nop 0
	v_mov_b32_e32 v7, v5
	scratch_load_dwordx2 v[4:5], off, off offset:32
	v_pk_add_f32 v[2:3], v[2:3], v[6:7]
	s_waitcnt vmcnt(0)
	v_pk_add_f32 v[2:3], v[4:5], v[2:3] neg_lo:[0,1] neg_hi:[0,1]
	scratch_store_dwordx2 off, v[2:3], off offset:32
	s_and_saveexec_b64 s[0:1], vcc
	s_cbranch_execz .LBB63_391
; %bb.390:
	scratch_load_dwordx2 v[2:3], off, off offset:24
	v_mov_b32_e32 v151, v150
	scratch_store_dwordx2 off, v[150:151], off offset:24
	s_waitcnt vmcnt(1)
	ds_write_b64 v1, v[2:3]
.LBB63_391:
	s_or_b64 exec, exec, s[0:1]
	s_waitcnt lgkmcnt(0)
	; wave barrier
	ds_read_b128 v[14:17], v150 offset:544
	ds_read_b128 v[10:13], v150 offset:560
	;; [unrolled: 1-line block ×4, first 2 shown]
	scratch_load_dwordx4 v[18:21], off, off offset:32
	scratch_load_dwordx4 v[38:41], off, off offset:96
	;; [unrolled: 1-line block ×20, first 2 shown]
	v_cmp_lt_u32_e32 vcc, 2, v0
	scratch_load_dwordx4 v[46:49], off, off offset:112
	scratch_load_dwordx4 v[54:57], off, off offset:128
	;; [unrolled: 1-line block ×3, first 2 shown]
	ds_read_b128 v[184:187], v150 offset:848
	ds_read_b128 v[192:195], v150 offset:864
	;; [unrolled: 1-line block ×7, first 2 shown]
	s_waitcnt vmcnt(22) lgkmcnt(10)
	v_mul_f32_e32 v22, v14, v19
	v_fmac_f32_e32 v22, v15, v18
	v_mul_f32_e32 v23, v16, v21
	v_add_f32_e32 v22, 0, v22
	v_fmac_f32_e32 v23, v17, v20
	v_add_f32_e32 v26, v22, v23
	scratch_load_dwordx4 v[22:25], off, off offset:48
	v_mul_f32_e32 v15, v15, v19
	v_fma_f32 v14, v14, v18, -v15
	v_mul_f32_e32 v15, v17, v21
	v_add_f32_e32 v14, 0, v14
	v_fma_f32 v15, v16, v20, -v15
	v_add_f32_e32 v14, v14, v15
	s_waitcnt vmcnt(4) lgkmcnt(0)
	v_mul_f32_e32 v159, v232, v237
	v_mul_f32_e32 v161, v234, v239
	v_fmac_f32_e32 v159, v233, v236
	v_fmac_f32_e32 v161, v235, v238
	s_waitcnt vmcnt(0)
	v_mul_f32_e32 v27, v10, v23
	v_fmac_f32_e32 v27, v11, v22
	v_add_f32_e32 v26, v26, v27
	v_mul_f32_e32 v27, v12, v25
	v_fmac_f32_e32 v27, v13, v24
	v_add_f32_e32 v30, v26, v27
	scratch_load_dwordx4 v[26:29], off, off offset:64
	v_mul_f32_e32 v11, v11, v23
	v_fma_f32 v10, v10, v22, -v11
	v_mul_f32_e32 v11, v13, v25
	v_add_f32_e32 v10, v14, v10
	v_fma_f32 v11, v12, v24, -v11
	v_add_f32_e32 v10, v10, v11
	s_waitcnt vmcnt(0)
	v_mul_f32_e32 v31, v6, v27
	v_fmac_f32_e32 v31, v7, v26
	v_add_f32_e32 v30, v30, v31
	v_mul_f32_e32 v31, v8, v29
	v_fmac_f32_e32 v31, v9, v28
	v_add_f32_e32 v34, v30, v31
	scratch_load_dwordx4 v[30:33], off, off offset:80
	v_mul_f32_e32 v7, v7, v27
	v_fma_f32 v6, v6, v26, -v7
	v_mul_f32_e32 v7, v9, v29
	v_add_f32_e32 v6, v10, v6
	v_fma_f32 v7, v8, v28, -v7
	v_add_f32_e32 v6, v6, v7
	s_waitcnt vmcnt(0)
	v_mul_f32_e32 v35, v2, v31
	v_fmac_f32_e32 v35, v3, v30
	v_add_f32_e32 v34, v34, v35
	v_mul_f32_e32 v35, v4, v33
	v_fmac_f32_e32 v35, v5, v32
	v_add_f32_e32 v42, v34, v35
	ds_read_b128 v[34:37], v150 offset:608
	v_mul_f32_e32 v3, v3, v31
	v_fma_f32 v2, v2, v30, -v3
	v_mul_f32_e32 v3, v5, v33
	v_add_f32_e32 v2, v6, v2
	s_waitcnt lgkmcnt(0)
	v_mul_f32_e32 v43, v34, v39
	v_fmac_f32_e32 v43, v35, v38
	v_add_f32_e32 v42, v42, v43
	v_mul_f32_e32 v43, v36, v41
	v_fmac_f32_e32 v43, v37, v40
	v_add_f32_e32 v50, v42, v43
	ds_read_b128 v[42:45], v150 offset:624
	v_fma_f32 v3, v4, v32, -v3
	v_add_f32_e32 v2, v2, v3
	v_mul_f32_e32 v3, v35, v39
	v_fma_f32 v3, v34, v38, -v3
	s_waitcnt lgkmcnt(0)
	v_mul_f32_e32 v51, v42, v47
	v_fmac_f32_e32 v51, v43, v46
	v_add_f32_e32 v50, v50, v51
	v_mul_f32_e32 v51, v44, v49
	v_fmac_f32_e32 v51, v45, v48
	v_add_f32_e32 v58, v50, v51
	ds_read_b128 v[50:53], v150 offset:640
	v_add_f32_e32 v2, v2, v3
	v_mul_f32_e32 v3, v37, v41
	v_fma_f32 v3, v36, v40, -v3
	v_add_f32_e32 v2, v2, v3
	s_waitcnt lgkmcnt(0)
	v_mul_f32_e32 v59, v50, v55
	v_fmac_f32_e32 v59, v51, v54
	v_add_f32_e32 v58, v58, v59
	v_mul_f32_e32 v59, v52, v57
	v_fmac_f32_e32 v59, v53, v56
	v_add_f32_e32 v66, v58, v59
	ds_read_b128 v[58:61], v150 offset:656
	v_mul_f32_e32 v3, v43, v47
	v_fma_f32 v3, v42, v46, -v3
	v_add_f32_e32 v2, v2, v3
	v_mul_f32_e32 v3, v45, v49
	s_waitcnt lgkmcnt(0)
	v_mul_f32_e32 v67, v58, v63
	v_fmac_f32_e32 v67, v59, v62
	v_add_f32_e32 v66, v66, v67
	v_mul_f32_e32 v67, v60, v65
	v_fmac_f32_e32 v67, v61, v64
	v_add_f32_e32 v74, v66, v67
	ds_read_b128 v[66:69], v150 offset:672
	v_fma_f32 v3, v44, v48, -v3
	v_add_f32_e32 v2, v2, v3
	v_mul_f32_e32 v3, v51, v55
	v_fma_f32 v3, v50, v54, -v3
	s_waitcnt lgkmcnt(0)
	v_mul_f32_e32 v75, v66, v71
	v_fmac_f32_e32 v75, v67, v70
	v_add_f32_e32 v74, v74, v75
	v_mul_f32_e32 v75, v68, v73
	v_fmac_f32_e32 v75, v69, v72
	v_add_f32_e32 v82, v74, v75
	ds_read_b128 v[74:77], v150 offset:688
	v_add_f32_e32 v2, v2, v3
	v_mul_f32_e32 v3, v53, v57
	v_fma_f32 v3, v52, v56, -v3
	v_add_f32_e32 v2, v2, v3
	s_waitcnt lgkmcnt(0)
	v_mul_f32_e32 v83, v74, v79
	v_fmac_f32_e32 v83, v75, v78
	v_add_f32_e32 v82, v82, v83
	v_mul_f32_e32 v83, v76, v81
	v_fmac_f32_e32 v83, v77, v80
	v_add_f32_e32 v90, v82, v83
	ds_read_b128 v[82:85], v150 offset:704
	v_mul_f32_e32 v3, v59, v63
	v_fma_f32 v3, v58, v62, -v3
	v_add_f32_e32 v2, v2, v3
	v_mul_f32_e32 v3, v61, v65
	;; [unrolled: 36-line block ×4, first 2 shown]
	s_waitcnt lgkmcnt(0)
	v_mul_f32_e32 v139, v130, v135
	v_fmac_f32_e32 v139, v131, v134
	v_add_f32_e32 v138, v138, v139
	v_mul_f32_e32 v139, v132, v137
	v_fmac_f32_e32 v139, v133, v136
	v_add_f32_e32 v146, v138, v139
	ds_read_b128 v[138:141], v150 offset:816
	v_fma_f32 v3, v92, v96, -v3
	v_add_f32_e32 v2, v2, v3
	v_mul_f32_e32 v3, v99, v103
	v_fma_f32 v3, v98, v102, -v3
	s_waitcnt lgkmcnt(0)
	v_mul_f32_e32 v147, v138, v143
	v_fmac_f32_e32 v147, v139, v142
	v_add_f32_e32 v146, v146, v147
	v_mul_f32_e32 v147, v140, v145
	v_fmac_f32_e32 v147, v141, v144
	v_add_f32_e32 v151, v146, v147
	ds_read_b128 v[146:149], v150 offset:832
	scratch_load_dwordx4 v[240:243], off, off offset:448
	scratch_load_dwordx4 v[244:247], off, off offset:464
	;; [unrolled: 1-line block ×4, first 2 shown]
	v_add_f32_e32 v2, v2, v3
	v_mul_f32_e32 v3, v101, v105
	v_fma_f32 v3, v100, v104, -v3
	v_add_f32_e32 v2, v2, v3
	v_mul_f32_e32 v3, v107, v111
	v_fma_f32 v3, v106, v110, -v3
	;; [unrolled: 3-line block ×11, first 2 shown]
	s_waitcnt lgkmcnt(0)
	v_mul_f32_e32 v156, v146, v153
	v_add_f32_e32 v2, v2, v3
	v_mul_f32_e32 v3, v147, v153
	v_fmac_f32_e32 v156, v147, v152
	v_fma_f32 v3, v146, v152, -v3
	v_add_f32_e32 v151, v151, v156
	v_mul_f32_e32 v156, v148, v155
	v_add_f32_e32 v2, v2, v3
	v_mul_f32_e32 v3, v149, v155
	v_fmac_f32_e32 v156, v149, v154
	v_fma_f32 v3, v148, v154, -v3
	v_add_f32_e32 v151, v151, v156
	;; [unrolled: 6-line block ×14, first 2 shown]
	v_add_f32_e32 v156, v2, v3
	v_mul_f32_e32 v2, v233, v237
	v_fma_f32 v158, v232, v236, -v2
	v_mul_f32_e32 v2, v235, v239
	v_fma_f32 v160, v234, v238, -v2
	ds_read_b128 v[2:5], v150 offset:960
	ds_read_b128 v[6:9], v150 offset:976
	;; [unrolled: 1-line block ×4, first 2 shown]
	v_pk_add_f32 v[18:19], v[156:157], v[158:159]
	s_waitcnt vmcnt(3) lgkmcnt(3)
	v_pk_mul_f32 v[20:21], v[2:3], v[240:241] op_sel:[1,1] op_sel_hi:[0,1]
	v_pk_fma_f32 v[22:23], v[2:3], v[240:241], v[20:21] neg_lo:[0,0,1] neg_hi:[0,0,1]
	v_pk_fma_f32 v[2:3], v[2:3], v[240:241], v[20:21] op_sel_hi:[1,0,1]
	v_pk_add_f32 v[18:19], v[18:19], v[160:161]
	v_mov_b32_e32 v23, v3
	v_pk_add_f32 v[2:3], v[18:19], v[22:23]
	v_mov_b32_e32 v18, v243
	v_pk_mul_f32 v[18:19], v[4:5], v[18:19] op_sel:[1,0] op_sel_hi:[0,0]
	v_pk_fma_f32 v[20:21], v[4:5], v[242:243], v[18:19] neg_lo:[0,0,1] neg_hi:[0,0,1]
	v_pk_fma_f32 v[4:5], v[4:5], v[242:243], v[18:19] op_sel_hi:[1,0,1]
	s_nop 0
	v_mov_b32_e32 v21, v5
	s_waitcnt vmcnt(2) lgkmcnt(2)
	v_pk_mul_f32 v[4:5], v[6:7], v[244:245] op_sel:[1,1] op_sel_hi:[0,1]
	v_pk_fma_f32 v[18:19], v[6:7], v[244:245], v[4:5] neg_lo:[0,0,1] neg_hi:[0,0,1]
	v_pk_fma_f32 v[4:5], v[6:7], v[244:245], v[4:5] op_sel_hi:[1,0,1]
	v_pk_add_f32 v[2:3], v[2:3], v[20:21]
	v_mov_b32_e32 v4, v247
	v_mov_b32_e32 v19, v5
	v_pk_mul_f32 v[4:5], v[8:9], v[4:5] op_sel:[1,0] op_sel_hi:[0,0]
	v_pk_fma_f32 v[6:7], v[8:9], v[246:247], v[4:5] neg_lo:[0,0,1] neg_hi:[0,0,1]
	v_pk_fma_f32 v[4:5], v[8:9], v[246:247], v[4:5] op_sel_hi:[1,0,1]
	v_pk_add_f32 v[2:3], v[2:3], v[18:19]
	v_mov_b32_e32 v7, v5
	s_waitcnt vmcnt(1) lgkmcnt(1)
	v_pk_mul_f32 v[4:5], v[10:11], v[248:249] op_sel:[1,1] op_sel_hi:[0,1]
	v_pk_add_f32 v[2:3], v[2:3], v[6:7]
	v_pk_fma_f32 v[6:7], v[10:11], v[248:249], v[4:5] neg_lo:[0,0,1] neg_hi:[0,0,1]
	v_pk_fma_f32 v[4:5], v[10:11], v[248:249], v[4:5] op_sel_hi:[1,0,1]
	s_nop 0
	v_mov_b32_e32 v4, v251
	v_mov_b32_e32 v7, v5
	v_pk_mul_f32 v[4:5], v[12:13], v[4:5] op_sel:[1,0] op_sel_hi:[0,0]
	v_pk_add_f32 v[2:3], v[2:3], v[6:7]
	v_pk_fma_f32 v[6:7], v[12:13], v[250:251], v[4:5] neg_lo:[0,0,1] neg_hi:[0,0,1]
	v_pk_fma_f32 v[4:5], v[12:13], v[250:251], v[4:5] op_sel_hi:[1,0,1]
	s_nop 0
	v_mov_b32_e32 v7, v5
	s_waitcnt vmcnt(0) lgkmcnt(0)
	v_pk_mul_f32 v[4:5], v[14:15], v[252:253] op_sel:[1,1] op_sel_hi:[0,1]
	v_pk_add_f32 v[2:3], v[2:3], v[6:7]
	v_pk_fma_f32 v[6:7], v[14:15], v[252:253], v[4:5] neg_lo:[0,0,1] neg_hi:[0,0,1]
	v_pk_fma_f32 v[4:5], v[14:15], v[252:253], v[4:5] op_sel_hi:[1,0,1]
	s_nop 0
	v_mov_b32_e32 v4, v255
	v_mov_b32_e32 v7, v5
	v_pk_mul_f32 v[4:5], v[16:17], v[4:5] op_sel:[1,0] op_sel_hi:[0,0]
	v_pk_add_f32 v[2:3], v[2:3], v[6:7]
	v_pk_fma_f32 v[6:7], v[16:17], v[254:255], v[4:5] neg_lo:[0,0,1] neg_hi:[0,0,1]
	v_pk_fma_f32 v[4:5], v[16:17], v[254:255], v[4:5] op_sel_hi:[1,0,1]
	s_nop 0
	v_mov_b32_e32 v7, v5
	scratch_load_dwordx2 v[4:5], off, off offset:24
	v_pk_add_f32 v[2:3], v[2:3], v[6:7]
	s_waitcnt vmcnt(0)
	v_pk_add_f32 v[2:3], v[4:5], v[2:3] neg_lo:[0,1] neg_hi:[0,1]
	scratch_store_dwordx2 off, v[2:3], off offset:24
	s_and_saveexec_b64 s[0:1], vcc
	s_cbranch_execz .LBB63_393
; %bb.392:
	scratch_load_dwordx2 v[2:3], off, off offset:16
	v_mov_b32_e32 v4, 0
	v_mov_b32_e32 v5, v4
	scratch_store_dwordx2 off, v[4:5], off offset:16
	s_waitcnt vmcnt(1)
	ds_write_b64 v1, v[2:3]
.LBB63_393:
	s_or_b64 exec, exec, s[0:1]
	s_waitcnt lgkmcnt(0)
	; wave barrier
	scratch_load_dwordx4 v[6:9], off, off offset:24
	scratch_load_dwordx4 v[14:17], off, off offset:40
	;; [unrolled: 1-line block ×10, first 2 shown]
	v_mov_b32_e32 v150, 0
	ds_read2_b64 v[2:5], v150 offset0:67 offset1:68
	ds_read2_b64 v[184:187], v150 offset0:105 offset1:106
	scratch_load_dwordx4 v[86:89], off, off offset:184
	scratch_load_dwordx4 v[94:97], off, off offset:200
	;; [unrolled: 1-line block ×17, first 2 shown]
	v_cmp_lt_u32_e32 vcc, 1, v0
	ds_read2_b64 v[192:195], v150 offset0:107 offset1:108
	ds_read2_b64 v[200:203], v150 offset0:109 offset1:110
	;; [unrolled: 1-line block ×7, first 2 shown]
	s_waitcnt vmcnt(26) lgkmcnt(8)
	v_mul_f32_e32 v10, v2, v7
	v_fmac_f32_e32 v10, v3, v6
	v_mul_f32_e32 v11, v4, v9
	v_add_f32_e32 v10, 0, v10
	v_fmac_f32_e32 v11, v5, v8
	v_add_f32_e32 v18, v10, v11
	ds_read2_b64 v[10:13], v150 offset0:69 offset1:70
	v_mul_f32_e32 v3, v3, v7
	v_fma_f32 v2, v2, v6, -v3
	v_mul_f32_e32 v3, v5, v9
	v_add_f32_e32 v2, 0, v2
	s_waitcnt vmcnt(25) lgkmcnt(0)
	v_mul_f32_e32 v19, v10, v15
	v_fmac_f32_e32 v19, v11, v14
	v_add_f32_e32 v18, v18, v19
	v_mul_f32_e32 v19, v12, v17
	v_fmac_f32_e32 v19, v13, v16
	v_add_f32_e32 v26, v18, v19
	ds_read2_b64 v[18:21], v150 offset0:71 offset1:72
	v_fma_f32 v3, v4, v8, -v3
	v_add_f32_e32 v2, v2, v3
	v_mul_f32_e32 v3, v11, v15
	v_fma_f32 v3, v10, v14, -v3
	s_waitcnt vmcnt(24) lgkmcnt(0)
	v_mul_f32_e32 v27, v18, v23
	v_fmac_f32_e32 v27, v19, v22
	v_add_f32_e32 v26, v26, v27
	v_mul_f32_e32 v27, v20, v25
	v_fmac_f32_e32 v27, v21, v24
	v_add_f32_e32 v34, v26, v27
	ds_read2_b64 v[26:29], v150 offset0:73 offset1:74
	v_add_f32_e32 v2, v2, v3
	v_mul_f32_e32 v3, v13, v17
	v_fma_f32 v3, v12, v16, -v3
	v_add_f32_e32 v2, v2, v3
	s_waitcnt vmcnt(23) lgkmcnt(0)
	v_mul_f32_e32 v35, v26, v31
	v_fmac_f32_e32 v35, v27, v30
	v_add_f32_e32 v34, v34, v35
	v_mul_f32_e32 v35, v28, v33
	v_fmac_f32_e32 v35, v29, v32
	v_add_f32_e32 v42, v34, v35
	ds_read2_b64 v[34:37], v150 offset0:75 offset1:76
	v_mul_f32_e32 v3, v19, v23
	v_fma_f32 v3, v18, v22, -v3
	v_add_f32_e32 v2, v2, v3
	v_mul_f32_e32 v3, v21, v25
	s_waitcnt vmcnt(22) lgkmcnt(0)
	v_mul_f32_e32 v43, v34, v39
	v_fmac_f32_e32 v43, v35, v38
	v_add_f32_e32 v42, v42, v43
	v_mul_f32_e32 v43, v36, v41
	v_fmac_f32_e32 v43, v37, v40
	v_add_f32_e32 v50, v42, v43
	ds_read2_b64 v[42:45], v150 offset0:77 offset1:78
	v_fma_f32 v3, v20, v24, -v3
	v_add_f32_e32 v2, v2, v3
	v_mul_f32_e32 v3, v27, v31
	v_fma_f32 v3, v26, v30, -v3
	s_waitcnt vmcnt(21) lgkmcnt(0)
	v_mul_f32_e32 v51, v42, v47
	v_fmac_f32_e32 v51, v43, v46
	v_add_f32_e32 v50, v50, v51
	v_mul_f32_e32 v51, v44, v49
	v_fmac_f32_e32 v51, v45, v48
	v_add_f32_e32 v58, v50, v51
	ds_read2_b64 v[50:53], v150 offset0:79 offset1:80
	v_add_f32_e32 v2, v2, v3
	v_mul_f32_e32 v3, v29, v33
	v_fma_f32 v3, v28, v32, -v3
	v_add_f32_e32 v2, v2, v3
	s_waitcnt vmcnt(20) lgkmcnt(0)
	v_mul_f32_e32 v59, v50, v55
	v_fmac_f32_e32 v59, v51, v54
	v_add_f32_e32 v58, v58, v59
	v_mul_f32_e32 v59, v52, v57
	v_fmac_f32_e32 v59, v53, v56
	v_add_f32_e32 v66, v58, v59
	ds_read2_b64 v[58:61], v150 offset0:81 offset1:82
	v_mul_f32_e32 v3, v35, v39
	v_fma_f32 v3, v34, v38, -v3
	v_add_f32_e32 v2, v2, v3
	v_mul_f32_e32 v3, v37, v41
	;; [unrolled: 36-line block ×5, first 2 shown]
	s_waitcnt vmcnt(10) lgkmcnt(0)
	v_mul_f32_e32 v139, v130, v135
	v_fmac_f32_e32 v139, v131, v134
	v_add_f32_e32 v138, v138, v139
	v_mul_f32_e32 v139, v132, v137
	v_fmac_f32_e32 v139, v133, v136
	v_add_f32_e32 v146, v138, v139
	ds_read2_b64 v[138:141], v150 offset0:101 offset1:102
	v_fma_f32 v3, v84, v88, -v3
	v_add_f32_e32 v2, v2, v3
	v_mul_f32_e32 v3, v91, v95
	v_fma_f32 v3, v90, v94, -v3
	s_waitcnt vmcnt(9) lgkmcnt(0)
	v_mul_f32_e32 v147, v138, v143
	v_fmac_f32_e32 v147, v139, v142
	v_add_f32_e32 v146, v146, v147
	v_mul_f32_e32 v147, v140, v145
	v_fmac_f32_e32 v147, v141, v144
	v_add_f32_e32 v151, v146, v147
	ds_read2_b64 v[146:149], v150 offset0:103 offset1:104
	v_add_f32_e32 v2, v2, v3
	v_mul_f32_e32 v3, v93, v97
	v_fma_f32 v3, v92, v96, -v3
	v_add_f32_e32 v2, v2, v3
	s_waitcnt vmcnt(8) lgkmcnt(0)
	v_mul_f32_e32 v156, v146, v153
	v_fmac_f32_e32 v156, v147, v152
	v_add_f32_e32 v151, v151, v156
	v_mul_f32_e32 v156, v148, v155
	v_fmac_f32_e32 v156, v149, v154
	v_add_f32_e32 v151, v151, v156
	s_waitcnt vmcnt(7)
	v_mul_f32_e32 v156, v184, v189
	v_fmac_f32_e32 v156, v185, v188
	v_add_f32_e32 v151, v151, v156
	v_mul_f32_e32 v156, v186, v191
	v_fmac_f32_e32 v156, v187, v190
	v_add_f32_e32 v151, v151, v156
	s_waitcnt vmcnt(6)
	;; [unrolled: 7-line block ×7, first 2 shown]
	v_mul_f32_e32 v156, v232, v237
	v_fmac_f32_e32 v156, v233, v236
	v_add_f32_e32 v161, v151, v156
	scratch_load_dwordx4 v[248:251], off, off offset:456
	scratch_load_dwordx4 v[252:255], off, off offset:472
	scratch_load_dwordx4 v[156:159], off, off offset:488
	scratch_load_dwordx2 v[166:167], off, off offset:504
	v_mul_f32_e32 v3, v99, v103
	v_fma_f32 v3, v98, v102, -v3
	v_add_f32_e32 v2, v2, v3
	v_mul_f32_e32 v3, v101, v105
	v_fma_f32 v3, v100, v104, -v3
	v_add_f32_e32 v2, v2, v3
	;; [unrolled: 3-line block ×27, first 2 shown]
	v_mul_f32_e32 v2, v235, v239
	v_mul_f32_e32 v163, v234, v239
	v_fma_f32 v162, v234, v238, -v2
	s_waitcnt vmcnt(4)
	v_mul_f32_e32 v2, v241, v245
	v_mov_b32_e32 v18, v247
	v_fmac_f32_e32 v163, v235, v238
	v_mul_f32_e32 v165, v240, v245
	v_fma_f32 v164, v240, v244, -v2
	ds_read2_b64 v[2:5], v150 offset0:121 offset1:122
	ds_read2_b64 v[6:9], v150 offset0:123 offset1:124
	;; [unrolled: 1-line block ×3, first 2 shown]
	ds_read_b64 v[14:15], v150 offset:1016
	v_pk_mul_f32 v[18:19], v[242:243], v[18:19] op_sel:[1,0] op_sel_hi:[0,0]
	v_fmac_f32_e32 v165, v241, v244
	v_pk_add_f32 v[16:17], v[160:161], v[162:163]
	v_pk_fma_f32 v[20:21], v[242:243], v[246:247], v[18:19] neg_lo:[0,0,1] neg_hi:[0,0,1]
	v_pk_fma_f32 v[18:19], v[242:243], v[246:247], v[18:19] op_sel_hi:[1,0,1]
	v_pk_add_f32 v[16:17], v[16:17], v[164:165]
	v_mov_b32_e32 v21, v19
	s_waitcnt vmcnt(3) lgkmcnt(3)
	v_pk_mul_f32 v[18:19], v[2:3], v[248:249] op_sel:[1,1] op_sel_hi:[0,1]
	v_pk_add_f32 v[16:17], v[16:17], v[20:21]
	v_pk_fma_f32 v[20:21], v[2:3], v[248:249], v[18:19] neg_lo:[0,0,1] neg_hi:[0,0,1]
	v_pk_fma_f32 v[2:3], v[2:3], v[248:249], v[18:19] op_sel_hi:[1,0,1]
	s_nop 0
	v_mov_b32_e32 v21, v3
	v_pk_add_f32 v[2:3], v[16:17], v[20:21]
	v_mov_b32_e32 v16, v251
	v_pk_mul_f32 v[16:17], v[4:5], v[16:17] op_sel:[1,0] op_sel_hi:[0,0]
	v_pk_fma_f32 v[18:19], v[4:5], v[250:251], v[16:17] neg_lo:[0,0,1] neg_hi:[0,0,1]
	v_pk_fma_f32 v[4:5], v[4:5], v[250:251], v[16:17] op_sel_hi:[1,0,1]
	s_nop 0
	v_mov_b32_e32 v19, v5
	s_waitcnt vmcnt(2) lgkmcnt(2)
	v_pk_mul_f32 v[4:5], v[6:7], v[252:253] op_sel:[1,1] op_sel_hi:[0,1]
	v_pk_fma_f32 v[16:17], v[6:7], v[252:253], v[4:5] neg_lo:[0,0,1] neg_hi:[0,0,1]
	v_pk_fma_f32 v[4:5], v[6:7], v[252:253], v[4:5] op_sel_hi:[1,0,1]
	v_pk_add_f32 v[2:3], v[2:3], v[18:19]
	v_mov_b32_e32 v4, v255
	v_mov_b32_e32 v17, v5
	v_pk_mul_f32 v[4:5], v[8:9], v[4:5] op_sel:[1,0] op_sel_hi:[0,0]
	v_pk_fma_f32 v[6:7], v[8:9], v[254:255], v[4:5] neg_lo:[0,0,1] neg_hi:[0,0,1]
	v_pk_fma_f32 v[4:5], v[8:9], v[254:255], v[4:5] op_sel_hi:[1,0,1]
	v_pk_add_f32 v[2:3], v[2:3], v[16:17]
	v_mov_b32_e32 v7, v5
	s_waitcnt vmcnt(1) lgkmcnt(1)
	v_pk_mul_f32 v[4:5], v[10:11], v[156:157] op_sel:[1,1] op_sel_hi:[0,1]
	v_pk_add_f32 v[2:3], v[2:3], v[6:7]
	v_pk_fma_f32 v[6:7], v[10:11], v[156:157], v[4:5] neg_lo:[0,0,1] neg_hi:[0,0,1]
	v_pk_fma_f32 v[4:5], v[10:11], v[156:157], v[4:5] op_sel_hi:[1,0,1]
	s_nop 0
	v_mov_b32_e32 v4, v159
	v_mov_b32_e32 v7, v5
	v_pk_mul_f32 v[4:5], v[12:13], v[4:5] op_sel:[1,0] op_sel_hi:[0,0]
	v_pk_add_f32 v[2:3], v[2:3], v[6:7]
	v_pk_fma_f32 v[6:7], v[12:13], v[158:159], v[4:5] neg_lo:[0,0,1] neg_hi:[0,0,1]
	v_pk_fma_f32 v[4:5], v[12:13], v[158:159], v[4:5] op_sel_hi:[1,0,1]
	s_nop 0
	v_mov_b32_e32 v7, v5
	s_waitcnt vmcnt(0) lgkmcnt(0)
	v_pk_mul_f32 v[4:5], v[14:15], v[166:167] op_sel:[1,1] op_sel_hi:[0,1]
	v_pk_add_f32 v[2:3], v[2:3], v[6:7]
	v_pk_fma_f32 v[6:7], v[14:15], v[166:167], v[4:5] neg_lo:[0,0,1] neg_hi:[0,0,1]
	v_pk_fma_f32 v[4:5], v[14:15], v[166:167], v[4:5] op_sel_hi:[1,0,1]
	s_nop 0
	v_mov_b32_e32 v7, v5
	scratch_load_dwordx2 v[4:5], off, off offset:16
	v_pk_add_f32 v[2:3], v[2:3], v[6:7]
	s_waitcnt vmcnt(0)
	v_pk_add_f32 v[2:3], v[4:5], v[2:3] neg_lo:[0,1] neg_hi:[0,1]
	scratch_store_dwordx2 off, v[2:3], off offset:16
	s_and_saveexec_b64 s[0:1], vcc
	s_cbranch_execz .LBB63_395
; %bb.394:
	scratch_load_dwordx2 v[2:3], off, off offset:8
	v_mov_b32_e32 v151, v150
	scratch_store_dwordx2 off, v[150:151], off offset:8
	s_waitcnt vmcnt(1)
	ds_write_b64 v1, v[2:3]
.LBB63_395:
	s_or_b64 exec, exec, s[0:1]
	s_waitcnt lgkmcnt(0)
	; wave barrier
	ds_read_b128 v[14:17], v150 offset:528
	ds_read_b128 v[10:13], v150 offset:544
	;; [unrolled: 1-line block ×4, first 2 shown]
	scratch_load_dwordx4 v[18:21], off, off offset:16
	scratch_load_dwordx4 v[38:41], off, off offset:80
	;; [unrolled: 1-line block ×21, first 2 shown]
	v_cmp_ne_u32_e32 vcc, 0, v0
	scratch_load_dwordx4 v[46:49], off, off offset:96
	scratch_load_dwordx4 v[54:57], off, off offset:112
	;; [unrolled: 1-line block ×3, first 2 shown]
	ds_read_b128 v[188:191], v150 offset:848
	ds_read_b128 v[196:199], v150 offset:864
	;; [unrolled: 1-line block ×7, first 2 shown]
	s_waitcnt vmcnt(23) lgkmcnt(10)
	v_mul_f32_e32 v22, v14, v19
	v_fmac_f32_e32 v22, v15, v18
	v_mul_f32_e32 v23, v16, v21
	v_add_f32_e32 v22, 0, v22
	v_fmac_f32_e32 v23, v17, v20
	v_add_f32_e32 v26, v22, v23
	scratch_load_dwordx4 v[22:25], off, off offset:32
	v_mul_f32_e32 v15, v15, v19
	v_fma_f32 v14, v14, v18, -v15
	v_mul_f32_e32 v15, v17, v21
	v_add_f32_e32 v14, 0, v14
	v_fma_f32 v15, v16, v20, -v15
	v_add_f32_e32 v14, v14, v15
	s_waitcnt vmcnt(4) lgkmcnt(0)
	v_mul_f32_e32 v167, v236, v241
	v_mul_f32_e32 v169, v238, v243
	v_fmac_f32_e32 v167, v237, v240
	v_fmac_f32_e32 v169, v239, v242
	s_waitcnt vmcnt(0)
	v_mul_f32_e32 v27, v10, v23
	v_fmac_f32_e32 v27, v11, v22
	v_add_f32_e32 v26, v26, v27
	v_mul_f32_e32 v27, v12, v25
	v_fmac_f32_e32 v27, v13, v24
	v_add_f32_e32 v30, v26, v27
	scratch_load_dwordx4 v[26:29], off, off offset:48
	v_mul_f32_e32 v11, v11, v23
	v_fma_f32 v10, v10, v22, -v11
	v_mul_f32_e32 v11, v13, v25
	v_add_f32_e32 v10, v14, v10
	v_fma_f32 v11, v12, v24, -v11
	v_add_f32_e32 v10, v10, v11
	s_waitcnt vmcnt(0)
	v_mul_f32_e32 v31, v6, v27
	v_fmac_f32_e32 v31, v7, v26
	v_add_f32_e32 v30, v30, v31
	v_mul_f32_e32 v31, v8, v29
	v_fmac_f32_e32 v31, v9, v28
	v_add_f32_e32 v34, v30, v31
	scratch_load_dwordx4 v[30:33], off, off offset:64
	v_mul_f32_e32 v7, v7, v27
	v_fma_f32 v6, v6, v26, -v7
	v_mul_f32_e32 v7, v9, v29
	v_add_f32_e32 v6, v10, v6
	v_fma_f32 v7, v8, v28, -v7
	v_add_f32_e32 v6, v6, v7
	s_waitcnt vmcnt(0)
	v_mul_f32_e32 v35, v2, v31
	v_fmac_f32_e32 v35, v3, v30
	v_add_f32_e32 v34, v34, v35
	v_mul_f32_e32 v35, v4, v33
	v_fmac_f32_e32 v35, v5, v32
	v_add_f32_e32 v42, v34, v35
	ds_read_b128 v[34:37], v150 offset:592
	v_mul_f32_e32 v3, v3, v31
	v_fma_f32 v2, v2, v30, -v3
	v_mul_f32_e32 v3, v5, v33
	v_add_f32_e32 v2, v6, v2
	s_waitcnt lgkmcnt(0)
	v_mul_f32_e32 v43, v34, v39
	v_fmac_f32_e32 v43, v35, v38
	v_add_f32_e32 v42, v42, v43
	v_mul_f32_e32 v43, v36, v41
	v_fmac_f32_e32 v43, v37, v40
	v_add_f32_e32 v50, v42, v43
	ds_read_b128 v[42:45], v150 offset:608
	v_fma_f32 v3, v4, v32, -v3
	v_add_f32_e32 v2, v2, v3
	v_mul_f32_e32 v3, v35, v39
	v_fma_f32 v3, v34, v38, -v3
	s_waitcnt lgkmcnt(0)
	v_mul_f32_e32 v51, v42, v47
	v_fmac_f32_e32 v51, v43, v46
	v_add_f32_e32 v50, v50, v51
	v_mul_f32_e32 v51, v44, v49
	v_fmac_f32_e32 v51, v45, v48
	v_add_f32_e32 v58, v50, v51
	ds_read_b128 v[50:53], v150 offset:624
	v_add_f32_e32 v2, v2, v3
	v_mul_f32_e32 v3, v37, v41
	v_fma_f32 v3, v36, v40, -v3
	v_add_f32_e32 v2, v2, v3
	s_waitcnt lgkmcnt(0)
	v_mul_f32_e32 v59, v50, v55
	v_fmac_f32_e32 v59, v51, v54
	v_add_f32_e32 v58, v58, v59
	v_mul_f32_e32 v59, v52, v57
	v_fmac_f32_e32 v59, v53, v56
	v_add_f32_e32 v66, v58, v59
	ds_read_b128 v[58:61], v150 offset:640
	v_mul_f32_e32 v3, v43, v47
	v_fma_f32 v3, v42, v46, -v3
	v_add_f32_e32 v2, v2, v3
	v_mul_f32_e32 v3, v45, v49
	s_waitcnt lgkmcnt(0)
	v_mul_f32_e32 v67, v58, v63
	v_fmac_f32_e32 v67, v59, v62
	v_add_f32_e32 v66, v66, v67
	v_mul_f32_e32 v67, v60, v65
	v_fmac_f32_e32 v67, v61, v64
	v_add_f32_e32 v74, v66, v67
	ds_read_b128 v[66:69], v150 offset:656
	v_fma_f32 v3, v44, v48, -v3
	v_add_f32_e32 v2, v2, v3
	v_mul_f32_e32 v3, v51, v55
	v_fma_f32 v3, v50, v54, -v3
	s_waitcnt lgkmcnt(0)
	v_mul_f32_e32 v75, v66, v71
	v_fmac_f32_e32 v75, v67, v70
	v_add_f32_e32 v74, v74, v75
	v_mul_f32_e32 v75, v68, v73
	v_fmac_f32_e32 v75, v69, v72
	v_add_f32_e32 v82, v74, v75
	ds_read_b128 v[74:77], v150 offset:672
	v_add_f32_e32 v2, v2, v3
	v_mul_f32_e32 v3, v53, v57
	v_fma_f32 v3, v52, v56, -v3
	v_add_f32_e32 v2, v2, v3
	s_waitcnt lgkmcnt(0)
	v_mul_f32_e32 v83, v74, v79
	v_fmac_f32_e32 v83, v75, v78
	v_add_f32_e32 v82, v82, v83
	v_mul_f32_e32 v83, v76, v81
	v_fmac_f32_e32 v83, v77, v80
	v_add_f32_e32 v90, v82, v83
	ds_read_b128 v[82:85], v150 offset:688
	v_mul_f32_e32 v3, v59, v63
	v_fma_f32 v3, v58, v62, -v3
	v_add_f32_e32 v2, v2, v3
	v_mul_f32_e32 v3, v61, v65
	;; [unrolled: 36-line block ×5, first 2 shown]
	s_waitcnt lgkmcnt(0)
	v_mul_f32_e32 v160, v156, v185
	v_fmac_f32_e32 v160, v157, v184
	v_add_f32_e32 v151, v151, v160
	v_mul_f32_e32 v160, v158, v187
	v_fmac_f32_e32 v160, v159, v186
	v_add_f32_e32 v151, v151, v160
	;; [unrolled: 3-line block ×14, first 2 shown]
	scratch_load_dwordx4 v[244:247], off, off offset:448
	scratch_load_dwordx4 v[248:251], off, off offset:464
	;; [unrolled: 1-line block ×4, first 2 shown]
	v_fma_f32 v3, v108, v112, -v3
	v_add_f32_e32 v2, v2, v3
	v_mul_f32_e32 v3, v115, v119
	v_fma_f32 v3, v114, v118, -v3
	v_add_f32_e32 v2, v2, v3
	v_mul_f32_e32 v3, v117, v121
	;; [unrolled: 3-line block ×25, first 2 shown]
	v_fma_f32 v166, v236, v240, -v2
	v_mul_f32_e32 v2, v239, v243
	v_fma_f32 v168, v238, v242, -v2
	ds_read_b128 v[2:5], v150 offset:960
	ds_read_b128 v[6:9], v150 offset:976
	;; [unrolled: 1-line block ×4, first 2 shown]
	v_pk_add_f32 v[18:19], v[164:165], v[166:167]
	s_waitcnt vmcnt(3) lgkmcnt(3)
	v_pk_mul_f32 v[20:21], v[2:3], v[244:245] op_sel:[1,1] op_sel_hi:[0,1]
	v_pk_fma_f32 v[22:23], v[2:3], v[244:245], v[20:21] neg_lo:[0,0,1] neg_hi:[0,0,1]
	v_pk_fma_f32 v[2:3], v[2:3], v[244:245], v[20:21] op_sel_hi:[1,0,1]
	v_pk_add_f32 v[18:19], v[18:19], v[168:169]
	v_mov_b32_e32 v23, v3
	v_pk_add_f32 v[2:3], v[18:19], v[22:23]
	v_mov_b32_e32 v18, v247
	v_pk_mul_f32 v[18:19], v[4:5], v[18:19] op_sel:[1,0] op_sel_hi:[0,0]
	v_pk_fma_f32 v[20:21], v[4:5], v[246:247], v[18:19] neg_lo:[0,0,1] neg_hi:[0,0,1]
	v_pk_fma_f32 v[4:5], v[4:5], v[246:247], v[18:19] op_sel_hi:[1,0,1]
	s_nop 0
	v_mov_b32_e32 v21, v5
	s_waitcnt vmcnt(2) lgkmcnt(2)
	v_pk_mul_f32 v[4:5], v[6:7], v[248:249] op_sel:[1,1] op_sel_hi:[0,1]
	v_pk_fma_f32 v[18:19], v[6:7], v[248:249], v[4:5] neg_lo:[0,0,1] neg_hi:[0,0,1]
	v_pk_fma_f32 v[4:5], v[6:7], v[248:249], v[4:5] op_sel_hi:[1,0,1]
	v_pk_add_f32 v[2:3], v[2:3], v[20:21]
	v_mov_b32_e32 v4, v251
	v_mov_b32_e32 v19, v5
	v_pk_mul_f32 v[4:5], v[8:9], v[4:5] op_sel:[1,0] op_sel_hi:[0,0]
	v_pk_fma_f32 v[6:7], v[8:9], v[250:251], v[4:5] neg_lo:[0,0,1] neg_hi:[0,0,1]
	v_pk_fma_f32 v[4:5], v[8:9], v[250:251], v[4:5] op_sel_hi:[1,0,1]
	v_pk_add_f32 v[2:3], v[2:3], v[18:19]
	v_mov_b32_e32 v7, v5
	s_waitcnt vmcnt(1) lgkmcnt(1)
	v_pk_mul_f32 v[4:5], v[10:11], v[252:253] op_sel:[1,1] op_sel_hi:[0,1]
	v_pk_add_f32 v[2:3], v[2:3], v[6:7]
	v_pk_fma_f32 v[6:7], v[10:11], v[252:253], v[4:5] neg_lo:[0,0,1] neg_hi:[0,0,1]
	v_pk_fma_f32 v[4:5], v[10:11], v[252:253], v[4:5] op_sel_hi:[1,0,1]
	s_nop 0
	v_mov_b32_e32 v4, v255
	v_mov_b32_e32 v7, v5
	v_pk_mul_f32 v[4:5], v[12:13], v[4:5] op_sel:[1,0] op_sel_hi:[0,0]
	v_pk_add_f32 v[2:3], v[2:3], v[6:7]
	v_pk_fma_f32 v[6:7], v[12:13], v[254:255], v[4:5] neg_lo:[0,0,1] neg_hi:[0,0,1]
	v_pk_fma_f32 v[4:5], v[12:13], v[254:255], v[4:5] op_sel_hi:[1,0,1]
	s_nop 0
	v_mov_b32_e32 v7, v5
	s_waitcnt vmcnt(0) lgkmcnt(0)
	v_pk_mul_f32 v[4:5], v[14:15], v[160:161] op_sel:[1,1] op_sel_hi:[0,1]
	v_pk_add_f32 v[2:3], v[2:3], v[6:7]
	v_pk_fma_f32 v[6:7], v[14:15], v[160:161], v[4:5] neg_lo:[0,0,1] neg_hi:[0,0,1]
	v_pk_fma_f32 v[4:5], v[14:15], v[160:161], v[4:5] op_sel_hi:[1,0,1]
	s_nop 0
	v_mov_b32_e32 v4, v163
	v_mov_b32_e32 v7, v5
	v_pk_mul_f32 v[4:5], v[16:17], v[4:5] op_sel:[1,0] op_sel_hi:[0,0]
	v_pk_add_f32 v[2:3], v[2:3], v[6:7]
	v_pk_fma_f32 v[6:7], v[16:17], v[162:163], v[4:5] neg_lo:[0,0,1] neg_hi:[0,0,1]
	v_pk_fma_f32 v[4:5], v[16:17], v[162:163], v[4:5] op_sel_hi:[1,0,1]
	s_nop 0
	v_mov_b32_e32 v7, v5
	scratch_load_dwordx2 v[4:5], off, off offset:8
	v_pk_add_f32 v[2:3], v[2:3], v[6:7]
	s_waitcnt vmcnt(0)
	v_pk_add_f32 v[2:3], v[4:5], v[2:3] neg_lo:[0,1] neg_hi:[0,1]
	scratch_store_dwordx2 off, v[2:3], off offset:8
	s_and_saveexec_b64 s[0:1], vcc
	s_cbranch_execz .LBB63_397
; %bb.396:
	scratch_load_dwordx2 v[2:3], off, off
	v_mov_b32_e32 v4, 0
	v_mov_b32_e32 v5, v4
	scratch_store_dwordx2 off, v[4:5], off
	s_waitcnt vmcnt(1)
	ds_write_b64 v1, v[2:3]
.LBB63_397:
	s_or_b64 exec, exec, s[0:1]
	s_waitcnt lgkmcnt(0)
	; wave barrier
	scratch_load_dwordx4 v[60:63], off, off offset:8
	scratch_load_dwordx4 v[64:67], off, off offset:24
	;; [unrolled: 1-line block ×22, first 2 shown]
	v_mov_b32_e32 v190, 0
	ds_read2_b64 v[156:159], v190 offset0:65 offset1:66
	ds_read2_b64 v[160:163], v190 offset0:67 offset1:68
	ds_read2_b64 v[192:195], v190 offset0:69 offset1:70
	ds_read2_b64 v[196:199], v190 offset0:71 offset1:72
	ds_read2_b64 v[200:203], v190 offset0:73 offset1:74
	ds_read2_b64 v[204:207], v190 offset0:75 offset1:76
	ds_read2_b64 v[208:211], v190 offset0:77 offset1:78
	ds_read2_b64 v[212:215], v190 offset0:79 offset1:80
	ds_read2_b64 v[216:219], v190 offset0:81 offset1:82
	ds_read2_b64 v[220:223], v190 offset0:83 offset1:84
	ds_read2_b64 v[152:155], v190 offset0:85 offset1:86
	ds_read2_b64 v[148:151], v190 offset0:87 offset1:88
	ds_read2_b64 v[224:227], v190 offset0:89 offset1:90
	ds_read2_b64 v[228:231], v190 offset0:91 offset1:92
	ds_read2_b64 v[232:235], v190 offset0:93 offset1:94
	ds_read2_b64 v[236:239], v190 offset0:95 offset1:96
	ds_read2_b64 v[240:243], v190 offset0:97 offset1:98
	ds_read2_b64 v[244:247], v190 offset0:99 offset1:100
	ds_read2_b64 v[248:251], v190 offset0:101 offset1:102
	ds_read2_b64 v[252:255], v190 offset0:103 offset1:104
	ds_read2_b64 v[164:167], v190 offset0:105 offset1:106
	ds_read2_b64 v[168:171], v190 offset0:107 offset1:108
	ds_read2_b64 v[40:43], v190 offset0:109 offset1:110
	ds_read2_b64 v[44:47], v190 offset0:111 offset1:112
	ds_read2_b64 v[48:51], v190 offset0:113 offset1:114
	ds_read2_b64 v[52:55], v190 offset0:115 offset1:116
	ds_read2_b64 v[56:59], v190 offset0:117 offset1:118
	ds_read2_b64 v[36:39], v190 offset0:119 offset1:120
	s_and_b64 vcc, exec, s[18:19]
	s_waitcnt vmcnt(21) lgkmcnt(14)
	v_mul_f32_e32 v0, v156, v61
	v_mul_f32_e32 v1, v158, v63
	v_fmac_f32_e32 v0, v157, v60
	s_waitcnt vmcnt(20)
	v_mul_f32_e32 v2, v160, v65
	v_fmac_f32_e32 v1, v159, v62
	v_add_f32_e32 v0, 0, v0
	v_mul_f32_e32 v3, v162, v67
	v_fmac_f32_e32 v2, v161, v64
	v_add_f32_e32 v0, v0, v1
	s_waitcnt vmcnt(19)
	v_mul_f32_e32 v4, v192, v69
	v_fmac_f32_e32 v3, v163, v66
	v_add_f32_e32 v0, v0, v2
	v_mul_f32_e32 v5, v194, v71
	v_fmac_f32_e32 v4, v193, v68
	v_add_f32_e32 v0, v0, v3
	;; [unrolled: 7-line block ×4, first 2 shown]
	scratch_load_dwordx4 v[4:7], off, off offset:360
	s_waitcnt vmcnt(17)
	v_mul_f32_e32 v10, v204, v81
	v_fmac_f32_e32 v9, v203, v78
	v_add_f32_e32 v0, v0, v8
	v_mul_f32_e32 v11, v206, v83
	v_fmac_f32_e32 v10, v205, v80
	v_add_f32_e32 v0, v0, v9
	s_waitcnt vmcnt(16)
	v_mul_f32_e32 v12, v208, v85
	v_fmac_f32_e32 v11, v207, v82
	v_add_f32_e32 v0, v0, v10
	v_mul_f32_e32 v13, v210, v87
	v_fmac_f32_e32 v12, v209, v84
	v_add_f32_e32 v0, v0, v11
	scratch_load_dwordx4 v[8:11], off, off offset:376
	s_waitcnt vmcnt(16)
	v_mul_f32_e32 v14, v212, v89
	v_fmac_f32_e32 v13, v211, v86
	v_add_f32_e32 v0, v0, v12
	v_mul_f32_e32 v15, v214, v91
	v_fmac_f32_e32 v14, v213, v88
	v_add_f32_e32 v0, v0, v13
	s_waitcnt vmcnt(15)
	v_mul_f32_e32 v16, v216, v93
	v_fmac_f32_e32 v15, v215, v90
	v_add_f32_e32 v0, v0, v14
	v_mul_f32_e32 v17, v218, v95
	v_fmac_f32_e32 v16, v217, v92
	v_add_f32_e32 v0, v0, v15
	scratch_load_dwordx4 v[12:15], off, off offset:392
	s_waitcnt vmcnt(15)
	v_mul_f32_e32 v18, v220, v97
	v_fmac_f32_e32 v17, v219, v94
	v_add_f32_e32 v0, v0, v16
	v_mul_f32_e32 v19, v222, v99
	v_fmac_f32_e32 v18, v221, v96
	v_add_f32_e32 v0, v0, v17
	v_fmac_f32_e32 v19, v223, v98
	v_add_f32_e32 v0, v0, v18
	s_waitcnt vmcnt(14)
	v_mul_f32_e32 v20, v152, v101
	v_add_f32_e32 v0, v0, v19
	scratch_load_dwordx4 v[16:19], off, off offset:408
	v_mul_f32_e32 v21, v154, v103
	v_fmac_f32_e32 v20, v153, v100
	s_waitcnt vmcnt(14)
	v_mul_f32_e32 v22, v148, v105
	v_fmac_f32_e32 v21, v155, v102
	v_add_f32_e32 v0, v0, v20
	v_add_f32_e32 v0, v0, v21
	v_fmac_f32_e32 v22, v149, v104
	v_add_f32_e32 v0, v0, v22
	scratch_load_dwordx4 v[20:23], off, off offset:424
	v_mul_f32_e32 v1, v150, v107
	v_fmac_f32_e32 v1, v151, v106
	v_add_f32_e32 v0, v0, v1
	s_waitcnt vmcnt(14)
	v_mul_f32_e32 v1, v224, v109
	v_fmac_f32_e32 v1, v225, v108
	v_add_f32_e32 v0, v0, v1
	v_mul_f32_e32 v1, v226, v111
	v_fmac_f32_e32 v1, v227, v110
	v_add_f32_e32 v0, v0, v1
	s_waitcnt vmcnt(13)
	v_mul_f32_e32 v1, v228, v113
	v_fmac_f32_e32 v1, v229, v112
	v_add_f32_e32 v0, v0, v1
	v_mul_f32_e32 v1, v230, v115
	v_fmac_f32_e32 v1, v231, v114
	v_add_f32_e32 v0, v0, v1
	s_waitcnt vmcnt(12) lgkmcnt(13)
	v_mul_f32_e32 v1, v232, v117
	v_fmac_f32_e32 v1, v233, v116
	v_add_f32_e32 v0, v0, v1
	v_mul_f32_e32 v1, v234, v119
	v_fmac_f32_e32 v1, v235, v118
	v_add_f32_e32 v0, v0, v1
	s_waitcnt vmcnt(11) lgkmcnt(12)
	v_mul_f32_e32 v1, v236, v121
	v_fmac_f32_e32 v1, v237, v120
	v_mul_f32_e32 v25, v238, v123
	v_add_f32_e32 v24, v0, v1
	v_fmac_f32_e32 v25, v239, v122
	v_add_f32_e32 v24, v24, v25
	s_waitcnt vmcnt(10) lgkmcnt(11)
	v_mul_f32_e32 v25, v240, v125
	v_fmac_f32_e32 v25, v241, v124
	v_add_f32_e32 v24, v24, v25
	v_mul_f32_e32 v25, v242, v127
	v_fmac_f32_e32 v25, v243, v126
	v_add_f32_e32 v24, v24, v25
	s_waitcnt vmcnt(9) lgkmcnt(10)
	v_mul_f32_e32 v25, v244, v129
	v_fmac_f32_e32 v25, v245, v128
	v_add_f32_e32 v24, v24, v25
	v_mul_f32_e32 v25, v246, v131
	;; [unrolled: 7-line block ×4, first 2 shown]
	v_mul_f32_e32 v61, v157, v61
	v_fmac_f32_e32 v25, v255, v138
	v_fma_f32 v156, v156, v60, -v61
	v_mul_f32_e32 v60, v159, v63
	v_add_f32_e32 v24, v24, v25
	s_waitcnt vmcnt(6) lgkmcnt(7)
	v_mul_f32_e32 v25, v164, v141
	v_fma_f32 v62, v158, v62, -v60
	v_add_f32_e32 v63, 0, v156
	v_fmac_f32_e32 v25, v165, v140
	v_add_f32_e32 v62, v63, v62
	v_mul_f32_e32 v63, v161, v65
	v_add_f32_e32 v24, v24, v25
	v_mul_f32_e32 v25, v166, v143
	v_fma_f32 v63, v160, v64, -v63
	v_fmac_f32_e32 v25, v167, v142
	v_add_f32_e32 v62, v62, v63
	v_mul_f32_e32 v63, v163, v67
	v_add_f32_e32 v24, v24, v25
	s_waitcnt vmcnt(5) lgkmcnt(6)
	v_mul_f32_e32 v25, v168, v145
	v_fma_f32 v63, v162, v66, -v63
	v_fmac_f32_e32 v25, v169, v144
	v_add_f32_e32 v62, v62, v63
	v_mul_f32_e32 v63, v193, v69
	v_add_f32_e32 v24, v24, v25
	v_mul_f32_e32 v25, v170, v147
	v_fma_f32 v63, v192, v68, -v63
	v_fmac_f32_e32 v25, v171, v146
	v_add_f32_e32 v62, v62, v63
	v_mul_f32_e32 v63, v195, v71
	v_add_f32_e32 v24, v24, v25
	s_waitcnt vmcnt(4) lgkmcnt(5)
	v_mul_f32_e32 v25, v40, v5
	v_fma_f32 v63, v194, v70, -v63
	;; [unrolled: 13-line block ×4, first 2 shown]
	v_fmac_f32_e32 v25, v49, v12
	v_add_f32_e32 v62, v62, v63
	v_mul_f32_e32 v63, v205, v81
	v_add_f32_e32 v24, v24, v25
	v_mul_f32_e32 v25, v50, v15
	v_fma_f32 v63, v204, v80, -v63
	v_fmac_f32_e32 v25, v51, v14
	v_add_f32_e32 v62, v62, v63
	v_mul_f32_e32 v63, v207, v83
	scratch_load_dwordx4 v[0:3], off, off offset:440
	v_add_f32_e32 v24, v24, v25
	s_waitcnt vmcnt(2) lgkmcnt(2)
	v_mul_f32_e32 v25, v52, v17
	v_fma_f32 v63, v206, v82, -v63
	v_fmac_f32_e32 v25, v53, v16
	v_add_f32_e32 v62, v62, v63
	v_mul_f32_e32 v63, v209, v85
	v_add_f32_e32 v24, v24, v25
	v_mul_f32_e32 v25, v54, v19
	v_fma_f32 v63, v208, v84, -v63
	v_fmac_f32_e32 v25, v55, v18
	v_add_f32_e32 v62, v62, v63
	v_mul_f32_e32 v63, v211, v87
	v_add_f32_e32 v24, v24, v25
	s_waitcnt vmcnt(1) lgkmcnt(1)
	v_mul_f32_e32 v25, v56, v21
	v_fma_f32 v63, v210, v86, -v63
	v_fmac_f32_e32 v25, v57, v20
	v_add_f32_e32 v62, v62, v63
	v_mul_f32_e32 v63, v213, v89
	v_add_f32_e32 v185, v24, v25
	scratch_load_dwordx4 v[32:35], off, off offset:456
	scratch_load_dwordx4 v[28:31], off, off offset:472
	;; [unrolled: 1-line block ×3, first 2 shown]
	v_fma_f32 v63, v212, v88, -v63
	v_add_f32_e32 v62, v62, v63
	v_mul_f32_e32 v63, v215, v91
	v_fma_f32 v63, v214, v90, -v63
	v_add_f32_e32 v62, v62, v63
	v_mul_f32_e32 v63, v217, v93
	;; [unrolled: 3-line block ×6, first 2 shown]
	v_fma_f32 v63, v152, v100, -v63
	scratch_load_dwordx2 v[60:61], off, off offset:504
	v_add_f32_e32 v62, v62, v63
	v_mul_f32_e32 v63, v155, v103
	v_fma_f32 v63, v154, v102, -v63
	v_add_f32_e32 v62, v62, v63
	v_mul_f32_e32 v63, v149, v105
	v_fma_f32 v63, v148, v104, -v63
	v_mul_f32_e32 v5, v41, v5
	v_add_f32_e32 v62, v62, v63
	v_mul_f32_e32 v63, v151, v107
	v_fma_f32 v40, v40, v4, -v5
	scratch_load_dwordx2 v[4:5], off, off
	v_fma_f32 v63, v150, v106, -v63
	v_add_f32_e32 v62, v62, v63
	v_mul_f32_e32 v63, v225, v109
	v_fma_f32 v63, v224, v108, -v63
	v_add_f32_e32 v62, v62, v63
	v_mul_f32_e32 v63, v227, v111
	v_fma_f32 v63, v226, v110, -v63
	v_add_f32_e32 v62, v62, v63
	v_mul_f32_e32 v63, v229, v113
	v_fma_f32 v63, v228, v112, -v63
	v_add_f32_e32 v62, v62, v63
	v_mul_f32_e32 v63, v231, v115
	v_fma_f32 v63, v230, v114, -v63
	v_add_f32_e32 v62, v62, v63
	v_mul_f32_e32 v63, v233, v117
	v_fma_f32 v63, v232, v116, -v63
	v_add_f32_e32 v62, v62, v63
	v_mul_f32_e32 v63, v235, v119
	v_fma_f32 v63, v234, v118, -v63
	v_add_f32_e32 v62, v62, v63
	v_mul_f32_e32 v63, v237, v121
	v_fma_f32 v63, v236, v120, -v63
	v_add_f32_e32 v62, v62, v63
	v_mul_f32_e32 v63, v239, v123
	v_fma_f32 v63, v238, v122, -v63
	v_add_f32_e32 v62, v62, v63
	v_mul_f32_e32 v63, v241, v125
	v_fma_f32 v63, v240, v124, -v63
	v_add_f32_e32 v62, v62, v63
	v_mul_f32_e32 v63, v243, v127
	v_fma_f32 v63, v242, v126, -v63
	v_add_f32_e32 v62, v62, v63
	v_mul_f32_e32 v63, v245, v129
	v_fma_f32 v63, v244, v128, -v63
	v_add_f32_e32 v62, v62, v63
	v_mul_f32_e32 v63, v247, v131
	v_fma_f32 v63, v246, v130, -v63
	v_add_f32_e32 v62, v62, v63
	v_mul_f32_e32 v63, v249, v133
	v_fma_f32 v63, v248, v132, -v63
	v_add_f32_e32 v62, v62, v63
	v_mul_f32_e32 v63, v251, v135
	v_fma_f32 v63, v250, v134, -v63
	v_add_f32_e32 v62, v62, v63
	v_mul_f32_e32 v63, v253, v137
	v_fma_f32 v63, v252, v136, -v63
	v_add_f32_e32 v62, v62, v63
	v_mul_f32_e32 v63, v255, v139
	v_fma_f32 v63, v254, v138, -v63
	v_add_f32_e32 v62, v62, v63
	v_mul_f32_e32 v63, v165, v141
	v_fma_f32 v63, v164, v140, -v63
	v_add_f32_e32 v62, v62, v63
	v_mul_f32_e32 v63, v167, v143
	v_fma_f32 v63, v166, v142, -v63
	v_add_f32_e32 v62, v62, v63
	v_mul_f32_e32 v63, v169, v145
	v_fma_f32 v63, v168, v144, -v63
	v_add_f32_e32 v62, v62, v63
	v_mul_f32_e32 v63, v171, v147
	v_fma_f32 v63, v170, v146, -v63
	v_add_f32_e32 v62, v62, v63
	v_mul_f32_e32 v7, v43, v7
	v_add_f32_e32 v40, v62, v40
	v_fma_f32 v6, v42, v6, -v7
	v_mul_f32_e32 v7, v45, v9
	v_add_f32_e32 v6, v40, v6
	v_fma_f32 v7, v44, v8, -v7
	v_add_f32_e32 v6, v6, v7
	v_mul_f32_e32 v7, v47, v11
	v_fma_f32 v7, v46, v10, -v7
	v_add_f32_e32 v6, v6, v7
	v_mul_f32_e32 v7, v49, v13
	;; [unrolled: 3-line block ×6, first 2 shown]
	v_fma_f32 v7, v56, v20, -v7
	v_mul_f32_e32 v187, v58, v23
	v_add_f32_e32 v184, v6, v7
	v_mul_f32_e32 v6, v59, v23
	s_waitcnt vmcnt(5)
	v_mov_b32_e32 v20, v3
	v_fmac_f32_e32 v187, v59, v22
	s_waitcnt lgkmcnt(0)
	v_mul_f32_e32 v189, v36, v1
	v_fma_f32 v186, v58, v22, -v6
	v_mul_f32_e32 v1, v37, v1
	v_pk_mul_f32 v[20:21], v[38:39], v[20:21] op_sel:[1,0] op_sel_hi:[0,0]
	v_fmac_f32_e32 v189, v37, v0
	v_fma_f32 v188, v36, v0, -v1
	ds_read2_b64 v[6:9], v190 offset0:121 offset1:122
	ds_read2_b64 v[10:13], v190 offset0:123 offset1:124
	;; [unrolled: 1-line block ×3, first 2 shown]
	ds_read_b64 v[0:1], v190 offset:1016
	v_pk_add_f32 v[18:19], v[184:185], v[186:187]
	v_pk_fma_f32 v[22:23], v[38:39], v[2:3], v[20:21] neg_lo:[0,0,1] neg_hi:[0,0,1]
	v_pk_fma_f32 v[2:3], v[38:39], v[2:3], v[20:21] op_sel_hi:[1,0,1]
	v_pk_add_f32 v[18:19], v[18:19], v[188:189]
	v_mov_b32_e32 v23, v3
	v_pk_add_f32 v[2:3], v[18:19], v[22:23]
	s_waitcnt vmcnt(4) lgkmcnt(3)
	v_pk_mul_f32 v[18:19], v[6:7], v[32:33] op_sel:[1,1] op_sel_hi:[0,1]
	v_pk_fma_f32 v[20:21], v[6:7], v[32:33], v[18:19] neg_lo:[0,0,1] neg_hi:[0,0,1]
	v_pk_fma_f32 v[6:7], v[6:7], v[32:33], v[18:19] op_sel_hi:[1,0,1]
	s_nop 0
	v_mov_b32_e32 v6, v35
	v_mov_b32_e32 v21, v7
	v_pk_mul_f32 v[6:7], v[8:9], v[6:7] op_sel:[1,0] op_sel_hi:[0,0]
	v_pk_fma_f32 v[18:19], v[8:9], v[34:35], v[6:7] neg_lo:[0,0,1] neg_hi:[0,0,1]
	v_pk_fma_f32 v[6:7], v[8:9], v[34:35], v[6:7] op_sel_hi:[1,0,1]
	v_pk_add_f32 v[2:3], v[2:3], v[20:21]
	v_mov_b32_e32 v19, v7
	s_waitcnt vmcnt(3) lgkmcnt(2)
	v_pk_mul_f32 v[6:7], v[10:11], v[28:29] op_sel:[1,1] op_sel_hi:[0,1]
	v_pk_fma_f32 v[8:9], v[10:11], v[28:29], v[6:7] neg_lo:[0,0,1] neg_hi:[0,0,1]
	v_pk_fma_f32 v[6:7], v[10:11], v[28:29], v[6:7] op_sel_hi:[1,0,1]
	v_pk_add_f32 v[2:3], v[2:3], v[18:19]
	v_mov_b32_e32 v6, v31
	v_mov_b32_e32 v9, v7
	v_pk_mul_f32 v[6:7], v[12:13], v[6:7] op_sel:[1,0] op_sel_hi:[0,0]
	v_pk_add_f32 v[2:3], v[2:3], v[8:9]
	v_pk_fma_f32 v[8:9], v[12:13], v[30:31], v[6:7] neg_lo:[0,0,1] neg_hi:[0,0,1]
	v_pk_fma_f32 v[6:7], v[12:13], v[30:31], v[6:7] op_sel_hi:[1,0,1]
	s_nop 0
	v_mov_b32_e32 v9, v7
	s_waitcnt vmcnt(2) lgkmcnt(1)
	v_pk_mul_f32 v[6:7], v[14:15], v[24:25] op_sel:[1,1] op_sel_hi:[0,1]
	v_pk_add_f32 v[2:3], v[2:3], v[8:9]
	v_pk_fma_f32 v[8:9], v[14:15], v[24:25], v[6:7] neg_lo:[0,0,1] neg_hi:[0,0,1]
	v_pk_fma_f32 v[6:7], v[14:15], v[24:25], v[6:7] op_sel_hi:[1,0,1]
	s_nop 0
	v_mov_b32_e32 v6, v27
	v_mov_b32_e32 v9, v7
	v_pk_mul_f32 v[6:7], v[16:17], v[6:7] op_sel:[1,0] op_sel_hi:[0,0]
	v_pk_add_f32 v[2:3], v[2:3], v[8:9]
	v_pk_fma_f32 v[8:9], v[16:17], v[26:27], v[6:7] neg_lo:[0,0,1] neg_hi:[0,0,1]
	v_pk_fma_f32 v[6:7], v[16:17], v[26:27], v[6:7] op_sel_hi:[1,0,1]
	s_nop 0
	v_mov_b32_e32 v9, v7
	s_waitcnt vmcnt(1) lgkmcnt(0)
	v_pk_mul_f32 v[6:7], v[0:1], v[60:61] op_sel:[1,1] op_sel_hi:[0,1]
	v_pk_add_f32 v[2:3], v[2:3], v[8:9]
	v_pk_fma_f32 v[8:9], v[0:1], v[60:61], v[6:7] neg_lo:[0,0,1] neg_hi:[0,0,1]
	v_pk_fma_f32 v[0:1], v[0:1], v[60:61], v[6:7] op_sel_hi:[1,0,1]
	s_nop 0
	v_mov_b32_e32 v9, v1
	v_pk_add_f32 v[0:1], v[2:3], v[8:9]
	s_waitcnt vmcnt(0)
	v_pk_add_f32 v[0:1], v[4:5], v[0:1] neg_lo:[0,1] neg_hi:[0,1]
	scratch_store_dwordx2 off, v[0:1], off
	s_cbranch_vccz .LBB63_524
; %bb.398:
	global_load_dword v0, v190, s[16:17] offset:248
	s_waitcnt vmcnt(0)
	v_readfirstlane_b32 s0, v0
	s_add_i32 s0, s0, -1
	s_cmp_lg_u32 s0, 62
	s_cbranch_scc0 .LBB63_400
; %bb.399:
	s_lshl_b32 s0, s0, 3
	s_nop 0
	scratch_load_dwordx2 v[0:1], off, s0
	scratch_load_dwordx2 v[2:3], off, off offset:496
	s_waitcnt vmcnt(1)
	scratch_store_dwordx2 off, v[0:1], off offset:496
	s_waitcnt vmcnt(1)
	scratch_store_dwordx2 off, v[2:3], s0
.LBB63_400:
	v_mov_b32_e32 v0, 0
	global_load_dword v1, v0, s[16:17] offset:244
	s_waitcnt vmcnt(0)
	v_readfirstlane_b32 s0, v1
	s_add_i32 s0, s0, -1
	s_cmp_eq_u32 s0, 61
	s_cbranch_scc1 .LBB63_402
; %bb.401:
	s_lshl_b32 s0, s0, 3
	s_nop 0
	scratch_load_dwordx2 v[2:3], off, s0
	scratch_load_dwordx2 v[4:5], off, off offset:488
	s_waitcnt vmcnt(1)
	scratch_store_dwordx2 off, v[2:3], off offset:488
	s_waitcnt vmcnt(1)
	scratch_store_dwordx2 off, v[4:5], s0
.LBB63_402:
	global_load_dword v0, v0, s[16:17] offset:240
	s_waitcnt vmcnt(0)
	v_readfirstlane_b32 s0, v0
	s_add_i32 s0, s0, -1
	s_cmp_eq_u32 s0, 60
	s_cbranch_scc1 .LBB63_404
; %bb.403:
	s_lshl_b32 s0, s0, 3
	s_nop 0
	scratch_load_dwordx2 v[0:1], off, s0
	scratch_load_dwordx2 v[2:3], off, off offset:480
	s_waitcnt vmcnt(1)
	scratch_store_dwordx2 off, v[0:1], off offset:480
	s_waitcnt vmcnt(1)
	scratch_store_dwordx2 off, v[2:3], s0
.LBB63_404:
	v_mov_b32_e32 v0, 0
	global_load_dword v1, v0, s[16:17] offset:236
	s_waitcnt vmcnt(0)
	v_readfirstlane_b32 s0, v1
	s_add_i32 s0, s0, -1
	s_cmp_eq_u32 s0, 59
	s_cbranch_scc1 .LBB63_406
; %bb.405:
	s_lshl_b32 s0, s0, 3
	s_nop 0
	scratch_load_dwordx2 v[2:3], off, s0
	scratch_load_dwordx2 v[4:5], off, off offset:472
	s_waitcnt vmcnt(1)
	scratch_store_dwordx2 off, v[2:3], off offset:472
	s_waitcnt vmcnt(1)
	scratch_store_dwordx2 off, v[4:5], s0
.LBB63_406:
	global_load_dword v0, v0, s[16:17] offset:232
	s_waitcnt vmcnt(0)
	v_readfirstlane_b32 s0, v0
	s_add_i32 s0, s0, -1
	s_cmp_eq_u32 s0, 58
	s_cbranch_scc1 .LBB63_408
; %bb.407:
	s_lshl_b32 s0, s0, 3
	s_nop 0
	scratch_load_dwordx2 v[0:1], off, s0
	scratch_load_dwordx2 v[2:3], off, off offset:464
	s_waitcnt vmcnt(1)
	scratch_store_dwordx2 off, v[0:1], off offset:464
	s_waitcnt vmcnt(1)
	scratch_store_dwordx2 off, v[2:3], s0
.LBB63_408:
	;; [unrolled: 33-line block ×30, first 2 shown]
	v_mov_b32_e32 v0, 0
	global_load_dword v1, v0, s[16:17] offset:4
	s_waitcnt vmcnt(0)
	v_readfirstlane_b32 s0, v1
	s_add_i32 s0, s0, -1
	s_cmp_eq_u32 s0, 1
	s_cbranch_scc1 .LBB63_522
; %bb.521:
	s_lshl_b32 s0, s0, 3
	s_nop 0
	scratch_load_dwordx2 v[2:3], off, s0
	scratch_load_dwordx2 v[4:5], off, off offset:8
	s_waitcnt vmcnt(1)
	scratch_store_dwordx2 off, v[2:3], off offset:8
	s_waitcnt vmcnt(1)
	scratch_store_dwordx2 off, v[4:5], s0
.LBB63_522:
	global_load_dword v2, v0, s[16:17]
	s_nop 0
	scratch_load_dwordx2 v[0:1], off, off
	s_waitcnt vmcnt(1)
	v_readfirstlane_b32 s0, v2
	s_add_i32 s0, s0, -1
	s_cmp_eq_u32 s0, 0
	s_cbranch_scc1 .LBB63_524
; %bb.523:
	s_lshl_b32 s0, s0, 3
	s_nop 0
	scratch_load_dwordx2 v[2:3], off, s0
	s_waitcnt vmcnt(0)
	scratch_store_dwordx2 off, v[2:3], off
	scratch_store_dwordx2 off, v[0:1], s0
	scratch_load_dwordx2 v[0:1], off, off
.LBB63_524:
	s_nop 0
	scratch_load_dwordx4 v[4:7], off, off offset:8
	scratch_load_dwordx4 v[8:11], off, off offset:24
	;; [unrolled: 1-line block ×31, first 2 shown]
	scratch_load_dwordx2 v[2:3], off, off offset:504
	v_accvgpr_read_b32 v129, a1
	v_accvgpr_read_b32 v128, a0
	s_waitcnt vmcnt(32)
	global_store_dwordx2 v[128:129], v[0:1], off
	v_accvgpr_read_b32 v0, a2
	v_accvgpr_read_b32 v1, a3
	s_waitcnt vmcnt(32)
	global_store_dwordx2 v[0:1], v[4:5], off
	v_accvgpr_read_b32 v0, a4
	v_accvgpr_read_b32 v1, a5
	global_store_dwordx2 v[0:1], v[6:7], off
	v_accvgpr_read_b32 v0, a6
	v_accvgpr_read_b32 v1, a7
	s_waitcnt vmcnt(33)
	global_store_dwordx2 v[0:1], v[8:9], off
	v_accvgpr_read_b32 v0, a8
	v_accvgpr_read_b32 v1, a9
	;; [unrolled: 7-line block ×28, first 2 shown]
	global_store_dwordx2 v[0:1], v[114:115], off
	v_accvgpr_read_b32 v0, a114
	v_accvgpr_read_b32 v1, a115
	s_waitcnt vmcnt(60)
	global_store_dwordx2 v[0:1], v[116:117], off
	global_store_dwordx2 v[172:173], v[118:119], off
	s_waitcnt vmcnt(61)
	global_store_dwordx2 v[174:175], v[120:121], off
	global_store_dwordx2 v[176:177], v[122:123], off
	;; [unrolled: 3-line block ×3, first 2 shown]
	s_waitcnt vmcnt(62)
	global_store_dwordx2 v[182:183], v[2:3], off
	s_endpgm
	.section	.rodata,"a",@progbits
	.p2align	6, 0x0
	.amdhsa_kernel _ZN9rocsolver6v33100L18getri_kernel_smallILi64E19rocblas_complex_numIfEPS3_EEvT1_iilPiilS6_bb
		.amdhsa_group_segment_fixed_size 1028
		.amdhsa_private_segment_fixed_size 528
		.amdhsa_kernarg_size 60
		.amdhsa_user_sgpr_count 2
		.amdhsa_user_sgpr_dispatch_ptr 0
		.amdhsa_user_sgpr_queue_ptr 0
		.amdhsa_user_sgpr_kernarg_segment_ptr 1
		.amdhsa_user_sgpr_dispatch_id 0
		.amdhsa_user_sgpr_kernarg_preload_length 0
		.amdhsa_user_sgpr_kernarg_preload_offset 0
		.amdhsa_user_sgpr_private_segment_size 0
		.amdhsa_uses_dynamic_stack 0
		.amdhsa_enable_private_segment 1
		.amdhsa_system_sgpr_workgroup_id_x 1
		.amdhsa_system_sgpr_workgroup_id_y 0
		.amdhsa_system_sgpr_workgroup_id_z 0
		.amdhsa_system_sgpr_workgroup_info 0
		.amdhsa_system_vgpr_workitem_id 0
		.amdhsa_next_free_vgpr 372
		.amdhsa_next_free_sgpr 20
		.amdhsa_accum_offset 256
		.amdhsa_reserve_vcc 1
		.amdhsa_float_round_mode_32 0
		.amdhsa_float_round_mode_16_64 0
		.amdhsa_float_denorm_mode_32 3
		.amdhsa_float_denorm_mode_16_64 3
		.amdhsa_dx10_clamp 1
		.amdhsa_ieee_mode 1
		.amdhsa_fp16_overflow 0
		.amdhsa_tg_split 0
		.amdhsa_exception_fp_ieee_invalid_op 0
		.amdhsa_exception_fp_denorm_src 0
		.amdhsa_exception_fp_ieee_div_zero 0
		.amdhsa_exception_fp_ieee_overflow 0
		.amdhsa_exception_fp_ieee_underflow 0
		.amdhsa_exception_fp_ieee_inexact 0
		.amdhsa_exception_int_div_zero 0
	.end_amdhsa_kernel
	.section	.text._ZN9rocsolver6v33100L18getri_kernel_smallILi64E19rocblas_complex_numIfEPS3_EEvT1_iilPiilS6_bb,"axG",@progbits,_ZN9rocsolver6v33100L18getri_kernel_smallILi64E19rocblas_complex_numIfEPS3_EEvT1_iilPiilS6_bb,comdat
.Lfunc_end63:
	.size	_ZN9rocsolver6v33100L18getri_kernel_smallILi64E19rocblas_complex_numIfEPS3_EEvT1_iilPiilS6_bb, .Lfunc_end63-_ZN9rocsolver6v33100L18getri_kernel_smallILi64E19rocblas_complex_numIfEPS3_EEvT1_iilPiilS6_bb
                                        ; -- End function
	.set _ZN9rocsolver6v33100L18getri_kernel_smallILi64E19rocblas_complex_numIfEPS3_EEvT1_iilPiilS6_bb.num_vgpr, 256
	.set _ZN9rocsolver6v33100L18getri_kernel_smallILi64E19rocblas_complex_numIfEPS3_EEvT1_iilPiilS6_bb.num_agpr, 116
	.set _ZN9rocsolver6v33100L18getri_kernel_smallILi64E19rocblas_complex_numIfEPS3_EEvT1_iilPiilS6_bb.numbered_sgpr, 20
	.set _ZN9rocsolver6v33100L18getri_kernel_smallILi64E19rocblas_complex_numIfEPS3_EEvT1_iilPiilS6_bb.num_named_barrier, 0
	.set _ZN9rocsolver6v33100L18getri_kernel_smallILi64E19rocblas_complex_numIfEPS3_EEvT1_iilPiilS6_bb.private_seg_size, 528
	.set _ZN9rocsolver6v33100L18getri_kernel_smallILi64E19rocblas_complex_numIfEPS3_EEvT1_iilPiilS6_bb.uses_vcc, 1
	.set _ZN9rocsolver6v33100L18getri_kernel_smallILi64E19rocblas_complex_numIfEPS3_EEvT1_iilPiilS6_bb.uses_flat_scratch, 0
	.set _ZN9rocsolver6v33100L18getri_kernel_smallILi64E19rocblas_complex_numIfEPS3_EEvT1_iilPiilS6_bb.has_dyn_sized_stack, 0
	.set _ZN9rocsolver6v33100L18getri_kernel_smallILi64E19rocblas_complex_numIfEPS3_EEvT1_iilPiilS6_bb.has_recursion, 0
	.set _ZN9rocsolver6v33100L18getri_kernel_smallILi64E19rocblas_complex_numIfEPS3_EEvT1_iilPiilS6_bb.has_indirect_call, 0
	.section	.AMDGPU.csdata,"",@progbits
; Kernel info:
; codeLenInByte = 111948
; TotalNumSgprs: 26
; NumVgprs: 256
; NumAgprs: 116
; TotalNumVgprs: 372
; ScratchSize: 528
; MemoryBound: 0
; FloatMode: 240
; IeeeMode: 1
; LDSByteSize: 1028 bytes/workgroup (compile time only)
; SGPRBlocks: 3
; VGPRBlocks: 46
; NumSGPRsForWavesPerEU: 26
; NumVGPRsForWavesPerEU: 372
; AccumOffset: 256
; Occupancy: 1
; WaveLimiterHint : 1
; COMPUTE_PGM_RSRC2:SCRATCH_EN: 1
; COMPUTE_PGM_RSRC2:USER_SGPR: 2
; COMPUTE_PGM_RSRC2:TRAP_HANDLER: 0
; COMPUTE_PGM_RSRC2:TGID_X_EN: 1
; COMPUTE_PGM_RSRC2:TGID_Y_EN: 0
; COMPUTE_PGM_RSRC2:TGID_Z_EN: 0
; COMPUTE_PGM_RSRC2:TIDIG_COMP_CNT: 0
; COMPUTE_PGM_RSRC3_GFX90A:ACCUM_OFFSET: 63
; COMPUTE_PGM_RSRC3_GFX90A:TG_SPLIT: 0
	.section	.text._ZN9rocsolver6v33100L18getri_kernel_smallILi1E19rocblas_complex_numIfEPKPS3_EEvT1_iilPiilS8_bb,"axG",@progbits,_ZN9rocsolver6v33100L18getri_kernel_smallILi1E19rocblas_complex_numIfEPKPS3_EEvT1_iilPiilS8_bb,comdat
	.globl	_ZN9rocsolver6v33100L18getri_kernel_smallILi1E19rocblas_complex_numIfEPKPS3_EEvT1_iilPiilS8_bb ; -- Begin function _ZN9rocsolver6v33100L18getri_kernel_smallILi1E19rocblas_complex_numIfEPKPS3_EEvT1_iilPiilS8_bb
	.p2align	8
	.type	_ZN9rocsolver6v33100L18getri_kernel_smallILi1E19rocblas_complex_numIfEPKPS3_EEvT1_iilPiilS8_bb,@function
_ZN9rocsolver6v33100L18getri_kernel_smallILi1E19rocblas_complex_numIfEPKPS3_EEvT1_iilPiilS8_bb: ; @_ZN9rocsolver6v33100L18getri_kernel_smallILi1E19rocblas_complex_numIfEPKPS3_EEvT1_iilPiilS8_bb
; %bb.0:
	v_cmp_eq_u32_e32 vcc, 0, v0
	s_and_saveexec_b64 s[4:5], vcc
	s_cbranch_execz .LBB64_18
; %bb.1:
	s_load_dword s4, s[0:1], 0x8
	s_load_dword s3, s[0:1], 0x38
	s_load_dwordx2 s[8:9], s[0:1], 0x0
	s_load_dwordx2 s[6:7], s[0:1], 0x30
	s_waitcnt lgkmcnt(0)
	s_ashr_i32 s5, s4, 31
	s_bitcmp1_b32 s3, 0
	s_cselect_b64 s[0:1], -1, 0
	s_ashr_i32 s3, s2, 31
	s_lshl_b64 s[10:11], s[2:3], 3
	s_add_u32 s8, s8, s10
	s_addc_u32 s9, s9, s11
	s_load_dwordx2 s[8:9], s[8:9], 0x0
	s_lshl_b64 s[4:5], s[4:5], 3
	s_waitcnt lgkmcnt(0)
	s_add_u32 s4, s8, s4
	s_addc_u32 s5, s9, s5
	v_mov_b64_e32 v[0:1], s[4:5]
	flat_load_dwordx2 v[0:1], v[0:1]
	s_and_b64 vcc, exec, s[0:1]
	s_cbranch_vccnz .LBB64_4
; %bb.2:
	s_lshl_b64 s[0:1], s[2:3], 2
	s_add_u32 s0, s6, s0
	s_addc_u32 s1, s7, s1
	s_load_dword s8, s[0:1], 0x0
	s_mov_b64 s[0:1], 0
	s_waitcnt lgkmcnt(0)
	s_cmp_eq_u32 s8, 0
	s_mov_b64 s[8:9], 0
	s_cbranch_scc0 .LBB64_5
; %bb.3:
	s_mov_b64 s[8:9], -1
	s_branch .LBB64_5
.LBB64_4:
	s_mov_b64 s[0:1], -1
	s_mov_b64 s[8:9], 0
.LBB64_5:
	s_and_b64 vcc, exec, s[0:1]
	s_cbranch_vccz .LBB64_16
; %bb.6:
	s_waitcnt vmcnt(0) lgkmcnt(0)
	v_cmp_eq_f32_e32 vcc, 0, v0
	v_cmp_eq_f32_e64 s[0:1], 0, v1
	v_mov_b32_e32 v2, 0
	s_and_b64 s[0:1], vcc, s[0:1]
	ds_write_b32 v2, v2
	s_waitcnt lgkmcnt(0)
	; wave barrier
	s_and_saveexec_b64 s[10:11], s[0:1]
	s_cbranch_execz .LBB64_10
; %bb.7:
	ds_read_b32 v3, v2
	s_waitcnt lgkmcnt(0)
	v_cmp_ne_u32_e32 vcc, 0, v3
	v_cmp_gt_i32_e64 s[0:1], 2, v3
	s_and_b64 s[0:1], vcc, s[0:1]
	s_and_b64 vcc, exec, s[0:1]
	s_cbranch_vccnz .LBB64_10
; %bb.8:
	s_mov_b64 s[12:13], 0
	v_mov_b32_e32 v4, 1
	v_mov_b32_e32 v5, 0
.LBB64_9:                               ; =>This Inner Loop Header: Depth=1
	ds_cmpst_rtn_b32 v3, v5, v3, v4
	s_waitcnt lgkmcnt(0)
	v_cmp_ne_u32_e32 vcc, 0, v3
	v_cmp_gt_i32_e64 s[0:1], 2, v3
	s_and_b64 s[0:1], vcc, s[0:1]
	s_and_b64 s[0:1], exec, s[0:1]
	s_or_b64 s[12:13], s[0:1], s[12:13]
	s_andn2_b64 exec, exec, s[12:13]
	s_cbranch_execnz .LBB64_9
.LBB64_10:
	s_or_b64 exec, exec, s[10:11]
	; wave barrier
	ds_read_b32 v3, v2
	s_lshl_b64 s[0:1], s[2:3], 2
	s_add_u32 s0, s6, s0
	s_addc_u32 s1, s7, s1
	s_waitcnt lgkmcnt(0)
	v_cmp_ne_u32_e32 vcc, 0, v3
	global_store_dword v2, v3, s[0:1]
	s_cbranch_vccnz .LBB64_16
; %bb.11:
	v_cmp_ngt_f32_e64 s[0:1], |v0|, |v1|
	s_and_saveexec_b64 s[2:3], s[0:1]
	s_xor_b64 s[0:1], exec, s[2:3]
	s_cbranch_execz .LBB64_13
; %bb.12:
	v_div_scale_f32 v2, s[2:3], v1, v1, v0
	v_rcp_f32_e32 v3, v2
	v_div_scale_f32 v4, vcc, v0, v1, v0
	v_fma_f32 v5, -v2, v3, 1.0
	v_fmac_f32_e32 v3, v5, v3
	v_mul_f32_e32 v5, v4, v3
	v_fma_f32 v6, -v2, v5, v4
	v_fmac_f32_e32 v5, v6, v3
	v_fma_f32 v2, -v2, v5, v4
	v_div_fmas_f32 v2, v2, v3, v5
	v_div_fixup_f32 v2, v2, v1, v0
	v_fmac_f32_e32 v1, v0, v2
	v_div_scale_f32 v0, s[2:3], v1, v1, 1.0
	v_rcp_f32_e32 v3, v0
	s_nop 0
	v_fma_f32 v4, -v0, v3, 1.0
	v_fmac_f32_e32 v3, v4, v3
	v_div_scale_f32 v4, vcc, 1.0, v1, 1.0
	v_mul_f32_e32 v5, v4, v3
	v_fma_f32 v6, -v0, v5, v4
	v_fmac_f32_e32 v5, v6, v3
	v_fma_f32 v0, -v0, v5, v4
	v_div_fmas_f32 v0, v0, v3, v5
	v_div_fixup_f32 v1, v0, v1, 1.0
	v_mul_f32_e32 v0, v2, v1
	v_xor_b32_e32 v1, 0x80000000, v1
.LBB64_13:
	s_andn2_saveexec_b64 s[0:1], s[0:1]
	s_cbranch_execz .LBB64_15
; %bb.14:
	v_div_scale_f32 v2, s[2:3], v0, v0, v1
	v_rcp_f32_e32 v3, v2
	v_div_scale_f32 v4, vcc, v1, v0, v1
	v_fma_f32 v5, -v2, v3, 1.0
	v_fmac_f32_e32 v3, v5, v3
	v_mul_f32_e32 v5, v4, v3
	v_fma_f32 v6, -v2, v5, v4
	v_fmac_f32_e32 v5, v6, v3
	v_fma_f32 v2, -v2, v5, v4
	v_div_fmas_f32 v2, v2, v3, v5
	v_div_fixup_f32 v2, v2, v0, v1
	v_fmac_f32_e32 v0, v1, v2
	v_div_scale_f32 v1, s[2:3], v0, v0, 1.0
	v_rcp_f32_e32 v3, v1
	s_nop 0
	v_fma_f32 v4, -v1, v3, 1.0
	v_fmac_f32_e32 v3, v4, v3
	v_div_scale_f32 v4, vcc, 1.0, v0, 1.0
	v_mul_f32_e32 v5, v4, v3
	v_fma_f32 v6, -v1, v5, v4
	v_fmac_f32_e32 v5, v6, v3
	v_fma_f32 v1, -v1, v5, v4
	v_div_fmas_f32 v1, v1, v3, v5
	v_div_fixup_f32 v0, v1, v0, 1.0
	v_mul_f32_e64 v1, v2, -v0
.LBB64_15:
	s_or_b64 exec, exec, s[0:1]
	s_mov_b64 s[8:9], -1
.LBB64_16:
	s_and_b64 vcc, exec, s[8:9]
	s_cbranch_vccz .LBB64_18
; %bb.17:
	v_mov_b64_e32 v[2:3], s[4:5]
	s_waitcnt vmcnt(0) lgkmcnt(0)
	flat_store_dwordx2 v[2:3], v[0:1]
.LBB64_18:
	s_endpgm
	.section	.rodata,"a",@progbits
	.p2align	6, 0x0
	.amdhsa_kernel _ZN9rocsolver6v33100L18getri_kernel_smallILi1E19rocblas_complex_numIfEPKPS3_EEvT1_iilPiilS8_bb
		.amdhsa_group_segment_fixed_size 4
		.amdhsa_private_segment_fixed_size 0
		.amdhsa_kernarg_size 60
		.amdhsa_user_sgpr_count 2
		.amdhsa_user_sgpr_dispatch_ptr 0
		.amdhsa_user_sgpr_queue_ptr 0
		.amdhsa_user_sgpr_kernarg_segment_ptr 1
		.amdhsa_user_sgpr_dispatch_id 0
		.amdhsa_user_sgpr_kernarg_preload_length 0
		.amdhsa_user_sgpr_kernarg_preload_offset 0
		.amdhsa_user_sgpr_private_segment_size 0
		.amdhsa_uses_dynamic_stack 0
		.amdhsa_enable_private_segment 0
		.amdhsa_system_sgpr_workgroup_id_x 1
		.amdhsa_system_sgpr_workgroup_id_y 0
		.amdhsa_system_sgpr_workgroup_id_z 0
		.amdhsa_system_sgpr_workgroup_info 0
		.amdhsa_system_vgpr_workitem_id 0
		.amdhsa_next_free_vgpr 7
		.amdhsa_next_free_sgpr 14
		.amdhsa_accum_offset 8
		.amdhsa_reserve_vcc 1
		.amdhsa_float_round_mode_32 0
		.amdhsa_float_round_mode_16_64 0
		.amdhsa_float_denorm_mode_32 3
		.amdhsa_float_denorm_mode_16_64 3
		.amdhsa_dx10_clamp 1
		.amdhsa_ieee_mode 1
		.amdhsa_fp16_overflow 0
		.amdhsa_tg_split 0
		.amdhsa_exception_fp_ieee_invalid_op 0
		.amdhsa_exception_fp_denorm_src 0
		.amdhsa_exception_fp_ieee_div_zero 0
		.amdhsa_exception_fp_ieee_overflow 0
		.amdhsa_exception_fp_ieee_underflow 0
		.amdhsa_exception_fp_ieee_inexact 0
		.amdhsa_exception_int_div_zero 0
	.end_amdhsa_kernel
	.section	.text._ZN9rocsolver6v33100L18getri_kernel_smallILi1E19rocblas_complex_numIfEPKPS3_EEvT1_iilPiilS8_bb,"axG",@progbits,_ZN9rocsolver6v33100L18getri_kernel_smallILi1E19rocblas_complex_numIfEPKPS3_EEvT1_iilPiilS8_bb,comdat
.Lfunc_end64:
	.size	_ZN9rocsolver6v33100L18getri_kernel_smallILi1E19rocblas_complex_numIfEPKPS3_EEvT1_iilPiilS8_bb, .Lfunc_end64-_ZN9rocsolver6v33100L18getri_kernel_smallILi1E19rocblas_complex_numIfEPKPS3_EEvT1_iilPiilS8_bb
                                        ; -- End function
	.set _ZN9rocsolver6v33100L18getri_kernel_smallILi1E19rocblas_complex_numIfEPKPS3_EEvT1_iilPiilS8_bb.num_vgpr, 7
	.set _ZN9rocsolver6v33100L18getri_kernel_smallILi1E19rocblas_complex_numIfEPKPS3_EEvT1_iilPiilS8_bb.num_agpr, 0
	.set _ZN9rocsolver6v33100L18getri_kernel_smallILi1E19rocblas_complex_numIfEPKPS3_EEvT1_iilPiilS8_bb.numbered_sgpr, 14
	.set _ZN9rocsolver6v33100L18getri_kernel_smallILi1E19rocblas_complex_numIfEPKPS3_EEvT1_iilPiilS8_bb.num_named_barrier, 0
	.set _ZN9rocsolver6v33100L18getri_kernel_smallILi1E19rocblas_complex_numIfEPKPS3_EEvT1_iilPiilS8_bb.private_seg_size, 0
	.set _ZN9rocsolver6v33100L18getri_kernel_smallILi1E19rocblas_complex_numIfEPKPS3_EEvT1_iilPiilS8_bb.uses_vcc, 1
	.set _ZN9rocsolver6v33100L18getri_kernel_smallILi1E19rocblas_complex_numIfEPKPS3_EEvT1_iilPiilS8_bb.uses_flat_scratch, 0
	.set _ZN9rocsolver6v33100L18getri_kernel_smallILi1E19rocblas_complex_numIfEPKPS3_EEvT1_iilPiilS8_bb.has_dyn_sized_stack, 0
	.set _ZN9rocsolver6v33100L18getri_kernel_smallILi1E19rocblas_complex_numIfEPKPS3_EEvT1_iilPiilS8_bb.has_recursion, 0
	.set _ZN9rocsolver6v33100L18getri_kernel_smallILi1E19rocblas_complex_numIfEPKPS3_EEvT1_iilPiilS8_bb.has_indirect_call, 0
	.section	.AMDGPU.csdata,"",@progbits
; Kernel info:
; codeLenInByte = 752
; TotalNumSgprs: 20
; NumVgprs: 7
; NumAgprs: 0
; TotalNumVgprs: 7
; ScratchSize: 0
; MemoryBound: 0
; FloatMode: 240
; IeeeMode: 1
; LDSByteSize: 4 bytes/workgroup (compile time only)
; SGPRBlocks: 2
; VGPRBlocks: 0
; NumSGPRsForWavesPerEU: 20
; NumVGPRsForWavesPerEU: 7
; AccumOffset: 8
; Occupancy: 8
; WaveLimiterHint : 1
; COMPUTE_PGM_RSRC2:SCRATCH_EN: 0
; COMPUTE_PGM_RSRC2:USER_SGPR: 2
; COMPUTE_PGM_RSRC2:TRAP_HANDLER: 0
; COMPUTE_PGM_RSRC2:TGID_X_EN: 1
; COMPUTE_PGM_RSRC2:TGID_Y_EN: 0
; COMPUTE_PGM_RSRC2:TGID_Z_EN: 0
; COMPUTE_PGM_RSRC2:TIDIG_COMP_CNT: 0
; COMPUTE_PGM_RSRC3_GFX90A:ACCUM_OFFSET: 1
; COMPUTE_PGM_RSRC3_GFX90A:TG_SPLIT: 0
	.section	.text._ZN9rocsolver6v33100L18getri_kernel_smallILi2E19rocblas_complex_numIfEPKPS3_EEvT1_iilPiilS8_bb,"axG",@progbits,_ZN9rocsolver6v33100L18getri_kernel_smallILi2E19rocblas_complex_numIfEPKPS3_EEvT1_iilPiilS8_bb,comdat
	.globl	_ZN9rocsolver6v33100L18getri_kernel_smallILi2E19rocblas_complex_numIfEPKPS3_EEvT1_iilPiilS8_bb ; -- Begin function _ZN9rocsolver6v33100L18getri_kernel_smallILi2E19rocblas_complex_numIfEPKPS3_EEvT1_iilPiilS8_bb
	.p2align	8
	.type	_ZN9rocsolver6v33100L18getri_kernel_smallILi2E19rocblas_complex_numIfEPKPS3_EEvT1_iilPiilS8_bb,@function
_ZN9rocsolver6v33100L18getri_kernel_smallILi2E19rocblas_complex_numIfEPKPS3_EEvT1_iilPiilS8_bb: ; @_ZN9rocsolver6v33100L18getri_kernel_smallILi2E19rocblas_complex_numIfEPKPS3_EEvT1_iilPiilS8_bb
; %bb.0:
	v_cmp_gt_u32_e32 vcc, 2, v0
	s_and_saveexec_b64 s[4:5], vcc
	s_cbranch_execz .LBB65_22
; %bb.1:
	s_load_dword s14, s[0:1], 0x38
	s_load_dwordx2 s[10:11], s[0:1], 0x0
	s_load_dwordx4 s[4:7], s[0:1], 0x28
	s_waitcnt lgkmcnt(0)
	s_bitcmp1_b32 s14, 8
	s_cselect_b64 s[8:9], -1, 0
	s_ashr_i32 s3, s2, 31
	s_lshl_b64 s[12:13], s[2:3], 3
	s_add_u32 s10, s10, s12
	s_addc_u32 s11, s11, s13
	s_load_dwordx2 s[12:13], s[10:11], 0x0
	s_bfe_u32 s10, s14, 0x10008
	s_cmp_eq_u32 s10, 0
                                        ; implicit-def: $sgpr10_sgpr11
	s_cbranch_scc1 .LBB65_3
; %bb.2:
	s_load_dword s10, s[0:1], 0x20
	s_load_dwordx2 s[14:15], s[0:1], 0x18
	s_mul_i32 s11, s4, s3
	s_mul_hi_u32 s16, s4, s2
	s_add_i32 s16, s16, s11
	s_mul_i32 s5, s5, s2
	s_add_i32 s5, s16, s5
	s_mul_i32 s4, s4, s2
	s_waitcnt lgkmcnt(0)
	s_ashr_i32 s11, s10, 31
	s_lshl_b64 s[4:5], s[4:5], 2
	s_add_u32 s14, s14, s4
	s_addc_u32 s15, s15, s5
	s_lshl_b64 s[4:5], s[10:11], 2
	s_add_u32 s10, s14, s4
	s_addc_u32 s11, s15, s5
.LBB65_3:
	s_load_dwordx2 s[4:5], s[0:1], 0x8
	s_load_dword s14, s[0:1], 0x38
	v_lshlrev_b32_e32 v2, 3, v0
	v_mov_b32_e32 v3, 0
	s_waitcnt lgkmcnt(0)
	s_ashr_i32 s1, s4, 31
	s_mov_b32 s0, s4
	s_lshl_b64 s[0:1], s[0:1], 3
	s_add_u32 s0, s12, s0
	s_addc_u32 s1, s13, s1
	v_lshl_add_u64 v[4:5], s[0:1], 0, v[2:3]
	s_ashr_i32 s1, s5, 31
	s_mov_b32 s0, s5
	v_lshl_add_u64 v[6:7], s[0:1], 3, v[4:5]
	flat_load_dwordx2 v[8:9], v[4:5]
	flat_load_dwordx2 v[10:11], v[6:7]
	s_bitcmp0_b32 s14, 0
	s_mov_b64 s[4:5], -1
	s_waitcnt vmcnt(0) lgkmcnt(0)
	scratch_store_dwordx4 off, v[8:11], off
	s_cbranch_scc1 .LBB65_20
; %bb.4:
	v_cmp_eq_u32_e64 s[0:1], 0, v0
	s_and_saveexec_b64 s[4:5], s[0:1]
; %bb.5:
	v_mov_b32_e32 v1, 0
	ds_write_b32 v1, v1 offset:32
; %bb.6:
	s_or_b64 exec, exec, s[4:5]
	s_waitcnt lgkmcnt(0)
	; wave barrier
	scratch_load_dwordx2 v[8:9], v2, off
	s_waitcnt vmcnt(0)
	v_cmp_eq_f32_e32 vcc, 0, v8
	v_cmp_eq_f32_e64 s[4:5], 0, v9
	s_and_b64 s[4:5], vcc, s[4:5]
	s_and_saveexec_b64 s[12:13], s[4:5]
	s_cbranch_execz .LBB65_10
; %bb.7:
	v_mov_b32_e32 v1, 0
	ds_read_b32 v8, v1 offset:32
	v_add_u32_e32 v3, 1, v0
	s_waitcnt lgkmcnt(0)
	v_readfirstlane_b32 s4, v8
	s_cmp_eq_u32 s4, 0
	s_cselect_b64 s[14:15], -1, 0
	v_cmp_gt_i32_e32 vcc, s4, v3
	s_or_b64 s[14:15], s[14:15], vcc
	s_and_b64 exec, exec, s[14:15]
	s_cbranch_execz .LBB65_10
; %bb.8:
	s_mov_b64 s[14:15], 0
	v_mov_b32_e32 v8, s4
.LBB65_9:                               ; =>This Inner Loop Header: Depth=1
	ds_cmpst_rtn_b32 v8, v1, v8, v3 offset:32
	s_waitcnt lgkmcnt(0)
	v_cmp_ne_u32_e32 vcc, 0, v8
	v_cmp_le_i32_e64 s[4:5], v8, v3
	s_and_b64 s[4:5], vcc, s[4:5]
	s_and_b64 s[4:5], exec, s[4:5]
	s_or_b64 s[14:15], s[4:5], s[14:15]
	s_andn2_b64 exec, exec, s[14:15]
	s_cbranch_execnz .LBB65_9
.LBB65_10:
	s_or_b64 exec, exec, s[12:13]
	v_mov_b32_e32 v3, 0
	; wave barrier
	ds_read_b32 v1, v3 offset:32
	s_and_saveexec_b64 s[4:5], s[0:1]
	s_cbranch_execz .LBB65_12
; %bb.11:
	s_lshl_b64 s[12:13], s[2:3], 2
	s_add_u32 s12, s6, s12
	s_addc_u32 s13, s7, s13
	s_waitcnt lgkmcnt(0)
	global_store_dword v3, v1, s[12:13]
.LBB65_12:
	s_or_b64 exec, exec, s[4:5]
	s_waitcnt lgkmcnt(0)
	v_cmp_ne_u32_e32 vcc, 0, v1
	s_mov_b64 s[4:5], 0
	s_cbranch_vccnz .LBB65_20
; %bb.13:
	v_mov_b32_e32 v1, v2
	scratch_load_dwordx2 v[8:9], v1, off
                                        ; implicit-def: $vgpr11
                                        ; implicit-def: $vgpr12
	s_waitcnt vmcnt(0)
	v_cmp_ngt_f32_e64 s[4:5], |v8|, |v9|
	s_and_saveexec_b64 s[12:13], s[4:5]
	s_xor_b64 s[4:5], exec, s[12:13]
	s_cbranch_execz .LBB65_15
; %bb.14:
	v_div_scale_f32 v3, s[12:13], v9, v9, v8
	v_rcp_f32_e32 v10, v3
	v_div_scale_f32 v11, vcc, v8, v9, v8
	v_fma_f32 v12, -v3, v10, 1.0
	v_fmac_f32_e32 v10, v12, v10
	v_mul_f32_e32 v12, v11, v10
	v_fma_f32 v13, -v3, v12, v11
	v_fmac_f32_e32 v12, v13, v10
	v_fma_f32 v3, -v3, v12, v11
	v_div_fmas_f32 v3, v3, v10, v12
	v_div_fixup_f32 v3, v3, v9, v8
	v_fmac_f32_e32 v9, v8, v3
	v_div_scale_f32 v8, s[12:13], v9, v9, -1.0
	v_rcp_f32_e32 v10, v8
	s_nop 0
	v_fma_f32 v11, -v8, v10, 1.0
	v_fmac_f32_e32 v10, v11, v10
	v_div_scale_f32 v11, vcc, -1.0, v9, -1.0
	v_mul_f32_e32 v12, v11, v10
	v_fma_f32 v13, -v8, v12, v11
	v_fmac_f32_e32 v12, v13, v10
	v_fma_f32 v8, -v8, v12, v11
	v_div_fmas_f32 v8, v8, v10, v12
	v_div_fixup_f32 v11, v8, v9, -1.0
	v_mul_f32_e32 v12, v3, v11
	v_xor_b32_e32 v10, 0x80000000, v12
                                        ; implicit-def: $vgpr8_vgpr9
.LBB65_15:
	s_andn2_saveexec_b64 s[4:5], s[4:5]
	s_cbranch_execz .LBB65_17
; %bb.16:
	v_div_scale_f32 v3, s[12:13], v8, v8, v9
	v_rcp_f32_e32 v10, v3
	v_div_scale_f32 v11, vcc, v9, v8, v9
	v_fma_f32 v12, -v3, v10, 1.0
	v_fmac_f32_e32 v10, v12, v10
	v_mul_f32_e32 v12, v11, v10
	v_fma_f32 v13, -v3, v12, v11
	v_fmac_f32_e32 v12, v13, v10
	v_fma_f32 v3, -v3, v12, v11
	v_div_fmas_f32 v3, v3, v10, v12
	v_div_fixup_f32 v3, v3, v8, v9
	v_fmac_f32_e32 v8, v9, v3
	v_div_scale_f32 v9, s[12:13], v8, v8, 1.0
	v_rcp_f32_e32 v10, v9
	s_nop 0
	v_fma_f32 v11, -v9, v10, 1.0
	v_fmac_f32_e32 v10, v11, v10
	v_div_scale_f32 v11, vcc, 1.0, v8, 1.0
	v_mul_f32_e32 v12, v11, v10
	v_fma_f32 v13, -v9, v12, v11
	v_fmac_f32_e32 v12, v13, v10
	v_fma_f32 v9, -v9, v12, v11
	v_div_fmas_f32 v9, v9, v10, v12
	v_div_fixup_f32 v10, v9, v8, 1.0
	v_xor_b32_e32 v12, 0x80000000, v10
	v_mul_f32_e64 v11, v3, -v10
.LBB65_17:
	s_or_b64 exec, exec, s[4:5]
	scratch_store_dwordx2 v1, v[10:11], off
	scratch_load_dwordx2 v[8:9], off, off offset:8
	v_xor_b32_e32 v13, 0x80000000, v11
	s_waitcnt vmcnt(0)
	ds_write2_b64 v2, v[12:13], v[8:9] offset1:2
	s_waitcnt lgkmcnt(0)
	; wave barrier
	s_and_saveexec_b64 s[4:5], s[0:1]
	s_cbranch_execz .LBB65_19
; %bb.18:
	scratch_load_dwordx2 v[2:3], off, off
	v_mov_b32_e32 v1, 0
	ds_read2_b64 v[8:11], v1 offset0:1 offset1:2
	s_waitcnt vmcnt(0) lgkmcnt(0)
	v_pk_mul_f32 v[12:13], v[10:11], v[2:3] op_sel:[1,1] op_sel_hi:[0,1]
	v_pk_fma_f32 v[14:15], v[10:11], v[2:3], v[12:13] neg_lo:[0,0,1] neg_hi:[0,0,1]
	v_pk_fma_f32 v[2:3], v[10:11], v[2:3], v[12:13] op_sel_hi:[1,0,1]
	s_nop 0
	v_mov_b32_e32 v15, v3
	v_pk_add_f32 v[2:3], v[14:15], 0 op_sel_hi:[1,0]
	s_nop 0
	v_pk_mul_f32 v[10:11], v[2:3], v[8:9] op_sel:[1,1] op_sel_hi:[0,1]
	v_pk_fma_f32 v[12:13], v[2:3], v[8:9], v[10:11] neg_lo:[0,0,1] neg_hi:[0,0,1]
	v_pk_fma_f32 v[2:3], v[2:3], v[8:9], v[10:11] op_sel_hi:[1,0,1]
	s_nop 0
	v_mov_b32_e32 v13, v3
	scratch_store_dwordx2 off, v[12:13], off offset:8
.LBB65_19:
	s_or_b64 exec, exec, s[4:5]
	s_mov_b64 s[4:5], -1
	; wave barrier
.LBB65_20:
	s_and_b64 vcc, exec, s[4:5]
	s_cbranch_vccz .LBB65_22
; %bb.21:
	s_lshl_b64 s[0:1], s[2:3], 2
	s_add_u32 s0, s6, s0
	s_addc_u32 s1, s7, s1
	v_mov_b32_e32 v1, 0
	global_load_dword v1, v1, s[0:1]
	s_waitcnt vmcnt(0)
	v_cmp_ne_u32_e32 vcc, 0, v1
	s_cbranch_vccz .LBB65_23
.LBB65_22:
	s_endpgm
.LBB65_23:
	v_cmp_eq_u32_e32 vcc, 1, v0
	s_and_saveexec_b64 s[0:1], vcc
	s_cbranch_execz .LBB65_25
; %bb.24:
	scratch_load_dwordx2 v[0:1], off, off
	v_mov_b32_e32 v2, 0
	v_mov_b32_e32 v3, v2
	scratch_store_dwordx2 off, v[2:3], off
	s_waitcnt vmcnt(1)
	ds_write_b64 v2, v[0:1] offset:24
.LBB65_25:
	s_or_b64 exec, exec, s[0:1]
	s_waitcnt lgkmcnt(0)
	; wave barrier
	scratch_load_dwordx2 v[2:3], off, off offset:8
	scratch_load_dwordx2 v[0:1], off, off
	v_mov_b32_e32 v8, 0
	ds_read_b64 v[10:11], v8 offset:24
	s_and_b64 vcc, exec, s[8:9]
	s_waitcnt vmcnt(1) lgkmcnt(0)
	v_pk_mul_f32 v[12:13], v[10:11], v[2:3] op_sel:[1,1] op_sel_hi:[0,1]
	v_pk_fma_f32 v[14:15], v[10:11], v[2:3], v[12:13] neg_lo:[0,0,1] neg_hi:[0,0,1]
	v_pk_fma_f32 v[10:11], v[10:11], v[2:3], v[12:13] op_sel_hi:[1,0,1]
	s_nop 0
	v_mov_b32_e32 v15, v11
	v_pk_add_f32 v[10:11], v[14:15], 0 op_sel_hi:[1,0]
	s_waitcnt vmcnt(0)
	v_pk_add_f32 v[0:1], v[0:1], v[10:11] neg_lo:[0,1] neg_hi:[0,1]
	scratch_store_dwordx2 off, v[0:1], off
	s_cbranch_vccz .LBB65_28
; %bb.26:
	global_load_dword v8, v8, s[10:11]
	s_waitcnt vmcnt(0)
	v_readfirstlane_b32 s0, v8
	s_add_i32 s0, s0, -1
	s_cmp_lg_u32 s0, 0
	s_cbranch_scc0 .LBB65_28
; %bb.27:
	s_lshl_b32 s0, s0, 3
	s_nop 0
	scratch_load_dwordx2 v[2:3], off, s0
	s_waitcnt vmcnt(0)
	scratch_store_dwordx2 off, v[2:3], off
	scratch_store_dwordx2 off, v[0:1], s0
	scratch_load_dwordx4 v[0:3], off, off
.LBB65_28:
	s_waitcnt vmcnt(0)
	flat_store_dwordx2 v[4:5], v[0:1]
	flat_store_dwordx2 v[6:7], v[2:3]
	s_endpgm
	.section	.rodata,"a",@progbits
	.p2align	6, 0x0
	.amdhsa_kernel _ZN9rocsolver6v33100L18getri_kernel_smallILi2E19rocblas_complex_numIfEPKPS3_EEvT1_iilPiilS8_bb
		.amdhsa_group_segment_fixed_size 36
		.amdhsa_private_segment_fixed_size 32
		.amdhsa_kernarg_size 60
		.amdhsa_user_sgpr_count 2
		.amdhsa_user_sgpr_dispatch_ptr 0
		.amdhsa_user_sgpr_queue_ptr 0
		.amdhsa_user_sgpr_kernarg_segment_ptr 1
		.amdhsa_user_sgpr_dispatch_id 0
		.amdhsa_user_sgpr_kernarg_preload_length 0
		.amdhsa_user_sgpr_kernarg_preload_offset 0
		.amdhsa_user_sgpr_private_segment_size 0
		.amdhsa_uses_dynamic_stack 0
		.amdhsa_enable_private_segment 1
		.amdhsa_system_sgpr_workgroup_id_x 1
		.amdhsa_system_sgpr_workgroup_id_y 0
		.amdhsa_system_sgpr_workgroup_id_z 0
		.amdhsa_system_sgpr_workgroup_info 0
		.amdhsa_system_vgpr_workitem_id 0
		.amdhsa_next_free_vgpr 16
		.amdhsa_next_free_sgpr 17
		.amdhsa_accum_offset 16
		.amdhsa_reserve_vcc 1
		.amdhsa_float_round_mode_32 0
		.amdhsa_float_round_mode_16_64 0
		.amdhsa_float_denorm_mode_32 3
		.amdhsa_float_denorm_mode_16_64 3
		.amdhsa_dx10_clamp 1
		.amdhsa_ieee_mode 1
		.amdhsa_fp16_overflow 0
		.amdhsa_tg_split 0
		.amdhsa_exception_fp_ieee_invalid_op 0
		.amdhsa_exception_fp_denorm_src 0
		.amdhsa_exception_fp_ieee_div_zero 0
		.amdhsa_exception_fp_ieee_overflow 0
		.amdhsa_exception_fp_ieee_underflow 0
		.amdhsa_exception_fp_ieee_inexact 0
		.amdhsa_exception_int_div_zero 0
	.end_amdhsa_kernel
	.section	.text._ZN9rocsolver6v33100L18getri_kernel_smallILi2E19rocblas_complex_numIfEPKPS3_EEvT1_iilPiilS8_bb,"axG",@progbits,_ZN9rocsolver6v33100L18getri_kernel_smallILi2E19rocblas_complex_numIfEPKPS3_EEvT1_iilPiilS8_bb,comdat
.Lfunc_end65:
	.size	_ZN9rocsolver6v33100L18getri_kernel_smallILi2E19rocblas_complex_numIfEPKPS3_EEvT1_iilPiilS8_bb, .Lfunc_end65-_ZN9rocsolver6v33100L18getri_kernel_smallILi2E19rocblas_complex_numIfEPKPS3_EEvT1_iilPiilS8_bb
                                        ; -- End function
	.set _ZN9rocsolver6v33100L18getri_kernel_smallILi2E19rocblas_complex_numIfEPKPS3_EEvT1_iilPiilS8_bb.num_vgpr, 16
	.set _ZN9rocsolver6v33100L18getri_kernel_smallILi2E19rocblas_complex_numIfEPKPS3_EEvT1_iilPiilS8_bb.num_agpr, 0
	.set _ZN9rocsolver6v33100L18getri_kernel_smallILi2E19rocblas_complex_numIfEPKPS3_EEvT1_iilPiilS8_bb.numbered_sgpr, 17
	.set _ZN9rocsolver6v33100L18getri_kernel_smallILi2E19rocblas_complex_numIfEPKPS3_EEvT1_iilPiilS8_bb.num_named_barrier, 0
	.set _ZN9rocsolver6v33100L18getri_kernel_smallILi2E19rocblas_complex_numIfEPKPS3_EEvT1_iilPiilS8_bb.private_seg_size, 32
	.set _ZN9rocsolver6v33100L18getri_kernel_smallILi2E19rocblas_complex_numIfEPKPS3_EEvT1_iilPiilS8_bb.uses_vcc, 1
	.set _ZN9rocsolver6v33100L18getri_kernel_smallILi2E19rocblas_complex_numIfEPKPS3_EEvT1_iilPiilS8_bb.uses_flat_scratch, 0
	.set _ZN9rocsolver6v33100L18getri_kernel_smallILi2E19rocblas_complex_numIfEPKPS3_EEvT1_iilPiilS8_bb.has_dyn_sized_stack, 0
	.set _ZN9rocsolver6v33100L18getri_kernel_smallILi2E19rocblas_complex_numIfEPKPS3_EEvT1_iilPiilS8_bb.has_recursion, 0
	.set _ZN9rocsolver6v33100L18getri_kernel_smallILi2E19rocblas_complex_numIfEPKPS3_EEvT1_iilPiilS8_bb.has_indirect_call, 0
	.section	.AMDGPU.csdata,"",@progbits
; Kernel info:
; codeLenInByte = 1352
; TotalNumSgprs: 23
; NumVgprs: 16
; NumAgprs: 0
; TotalNumVgprs: 16
; ScratchSize: 32
; MemoryBound: 0
; FloatMode: 240
; IeeeMode: 1
; LDSByteSize: 36 bytes/workgroup (compile time only)
; SGPRBlocks: 2
; VGPRBlocks: 1
; NumSGPRsForWavesPerEU: 23
; NumVGPRsForWavesPerEU: 16
; AccumOffset: 16
; Occupancy: 8
; WaveLimiterHint : 1
; COMPUTE_PGM_RSRC2:SCRATCH_EN: 1
; COMPUTE_PGM_RSRC2:USER_SGPR: 2
; COMPUTE_PGM_RSRC2:TRAP_HANDLER: 0
; COMPUTE_PGM_RSRC2:TGID_X_EN: 1
; COMPUTE_PGM_RSRC2:TGID_Y_EN: 0
; COMPUTE_PGM_RSRC2:TGID_Z_EN: 0
; COMPUTE_PGM_RSRC2:TIDIG_COMP_CNT: 0
; COMPUTE_PGM_RSRC3_GFX90A:ACCUM_OFFSET: 3
; COMPUTE_PGM_RSRC3_GFX90A:TG_SPLIT: 0
	.section	.text._ZN9rocsolver6v33100L18getri_kernel_smallILi3E19rocblas_complex_numIfEPKPS3_EEvT1_iilPiilS8_bb,"axG",@progbits,_ZN9rocsolver6v33100L18getri_kernel_smallILi3E19rocblas_complex_numIfEPKPS3_EEvT1_iilPiilS8_bb,comdat
	.globl	_ZN9rocsolver6v33100L18getri_kernel_smallILi3E19rocblas_complex_numIfEPKPS3_EEvT1_iilPiilS8_bb ; -- Begin function _ZN9rocsolver6v33100L18getri_kernel_smallILi3E19rocblas_complex_numIfEPKPS3_EEvT1_iilPiilS8_bb
	.p2align	8
	.type	_ZN9rocsolver6v33100L18getri_kernel_smallILi3E19rocblas_complex_numIfEPKPS3_EEvT1_iilPiilS8_bb,@function
_ZN9rocsolver6v33100L18getri_kernel_smallILi3E19rocblas_complex_numIfEPKPS3_EEvT1_iilPiilS8_bb: ; @_ZN9rocsolver6v33100L18getri_kernel_smallILi3E19rocblas_complex_numIfEPKPS3_EEvT1_iilPiilS8_bb
; %bb.0:
	v_cmp_gt_u32_e32 vcc, 3, v0
	s_and_saveexec_b64 s[4:5], vcc
	s_cbranch_execz .LBB66_26
; %bb.1:
	s_load_dword s14, s[0:1], 0x38
	s_load_dwordx2 s[8:9], s[0:1], 0x0
	s_load_dwordx4 s[4:7], s[0:1], 0x28
	s_waitcnt lgkmcnt(0)
	s_bitcmp1_b32 s14, 8
	s_cselect_b64 s[10:11], -1, 0
	s_ashr_i32 s3, s2, 31
	s_lshl_b64 s[12:13], s[2:3], 3
	s_add_u32 s8, s8, s12
	s_addc_u32 s9, s9, s13
	s_load_dwordx2 s[12:13], s[8:9], 0x0
	s_bfe_u32 s8, s14, 0x10008
	s_cmp_eq_u32 s8, 0
                                        ; implicit-def: $sgpr8_sgpr9
	s_cbranch_scc1 .LBB66_3
; %bb.2:
	s_load_dword s8, s[0:1], 0x20
	s_load_dwordx2 s[14:15], s[0:1], 0x18
	s_mul_i32 s9, s4, s3
	s_mul_hi_u32 s16, s4, s2
	s_add_i32 s16, s16, s9
	s_mul_i32 s5, s5, s2
	s_add_i32 s5, s16, s5
	s_mul_i32 s4, s4, s2
	s_waitcnt lgkmcnt(0)
	s_ashr_i32 s9, s8, 31
	s_lshl_b64 s[4:5], s[4:5], 2
	s_add_u32 s14, s14, s4
	s_addc_u32 s15, s15, s5
	s_lshl_b64 s[4:5], s[8:9], 2
	s_add_u32 s8, s14, s4
	s_addc_u32 s9, s15, s5
.LBB66_3:
	s_load_dwordx2 s[4:5], s[0:1], 0x8
	s_load_dword s14, s[0:1], 0x38
	v_lshlrev_b32_e32 v2, 3, v0
	v_mov_b32_e32 v3, 0
	s_waitcnt lgkmcnt(0)
	s_ashr_i32 s1, s4, 31
	s_mov_b32 s0, s4
	s_lshl_b64 s[0:1], s[0:1], 3
	s_add_u32 s0, s12, s0
	s_addc_u32 s1, s13, s1
	s_add_i32 s4, s5, s5
	v_add_u32_e32 v8, s4, v0
	v_lshl_add_u64 v[4:5], s[0:1], 0, v[2:3]
	s_ashr_i32 s13, s5, 31
	s_mov_b32 s12, s5
	v_ashrrev_i32_e32 v9, 31, v8
	v_lshl_add_u64 v[6:7], s[12:13], 3, v[4:5]
	v_lshl_add_u64 v[8:9], v[8:9], 3, s[0:1]
	flat_load_dwordx2 v[12:13], v[4:5]
	flat_load_dwordx2 v[14:15], v[6:7]
	;; [unrolled: 1-line block ×3, first 2 shown]
	s_bitcmp0_b32 s14, 0
	s_mov_b64 s[4:5], -1
	s_waitcnt vmcnt(0) lgkmcnt(0)
	scratch_store_dwordx4 off, v[12:15], off
	scratch_store_dwordx2 off, v[10:11], off offset:16
	s_cbranch_scc1 .LBB66_24
; %bb.4:
	v_cmp_eq_u32_e64 s[0:1], 0, v0
	s_and_saveexec_b64 s[4:5], s[0:1]
; %bb.5:
	v_mov_b32_e32 v1, 0
	ds_write_b32 v1, v1 offset:24
; %bb.6:
	s_or_b64 exec, exec, s[4:5]
	s_waitcnt lgkmcnt(0)
	; wave barrier
	scratch_load_dwordx2 v[10:11], v2, off
	s_waitcnt vmcnt(0)
	v_cmp_eq_f32_e32 vcc, 0, v10
	v_cmp_eq_f32_e64 s[4:5], 0, v11
	s_and_b64 s[4:5], vcc, s[4:5]
	s_and_saveexec_b64 s[12:13], s[4:5]
	s_cbranch_execz .LBB66_10
; %bb.7:
	v_mov_b32_e32 v1, 0
	ds_read_b32 v10, v1 offset:24
	v_add_u32_e32 v3, 1, v0
	s_waitcnt lgkmcnt(0)
	v_readfirstlane_b32 s4, v10
	s_cmp_eq_u32 s4, 0
	s_cselect_b64 s[14:15], -1, 0
	v_cmp_gt_i32_e32 vcc, s4, v3
	s_or_b64 s[14:15], s[14:15], vcc
	s_and_b64 exec, exec, s[14:15]
	s_cbranch_execz .LBB66_10
; %bb.8:
	s_mov_b64 s[14:15], 0
	v_mov_b32_e32 v10, s4
.LBB66_9:                               ; =>This Inner Loop Header: Depth=1
	ds_cmpst_rtn_b32 v10, v1, v10, v3 offset:24
	s_waitcnt lgkmcnt(0)
	v_cmp_ne_u32_e32 vcc, 0, v10
	v_cmp_le_i32_e64 s[4:5], v10, v3
	s_and_b64 s[4:5], vcc, s[4:5]
	s_and_b64 s[4:5], exec, s[4:5]
	s_or_b64 s[14:15], s[4:5], s[14:15]
	s_andn2_b64 exec, exec, s[14:15]
	s_cbranch_execnz .LBB66_9
.LBB66_10:
	s_or_b64 exec, exec, s[12:13]
	v_mov_b32_e32 v3, 0
	; wave barrier
	ds_read_b32 v1, v3 offset:24
	s_and_saveexec_b64 s[4:5], s[0:1]
	s_cbranch_execz .LBB66_12
; %bb.11:
	s_lshl_b64 s[12:13], s[2:3], 2
	s_add_u32 s12, s6, s12
	s_addc_u32 s13, s7, s13
	s_waitcnt lgkmcnt(0)
	global_store_dword v3, v1, s[12:13]
.LBB66_12:
	s_or_b64 exec, exec, s[4:5]
	s_waitcnt lgkmcnt(0)
	v_cmp_ne_u32_e32 vcc, 0, v1
	s_mov_b64 s[4:5], 0
	s_cbranch_vccnz .LBB66_24
; %bb.13:
	v_mov_b32_e32 v1, v2
	scratch_load_dwordx2 v[10:11], v1, off
                                        ; implicit-def: $vgpr13
                                        ; implicit-def: $vgpr14
	s_waitcnt vmcnt(0)
	v_cmp_ngt_f32_e64 s[4:5], |v10|, |v11|
	s_and_saveexec_b64 s[12:13], s[4:5]
	s_xor_b64 s[4:5], exec, s[12:13]
	s_cbranch_execz .LBB66_15
; %bb.14:
	v_div_scale_f32 v3, s[12:13], v11, v11, v10
	v_rcp_f32_e32 v12, v3
	v_div_scale_f32 v13, vcc, v10, v11, v10
	v_fma_f32 v14, -v3, v12, 1.0
	v_fmac_f32_e32 v12, v14, v12
	v_mul_f32_e32 v14, v13, v12
	v_fma_f32 v15, -v3, v14, v13
	v_fmac_f32_e32 v14, v15, v12
	v_fma_f32 v3, -v3, v14, v13
	v_div_fmas_f32 v3, v3, v12, v14
	v_div_fixup_f32 v3, v3, v11, v10
	v_fmac_f32_e32 v11, v10, v3
	v_div_scale_f32 v10, s[12:13], v11, v11, -1.0
	v_rcp_f32_e32 v12, v10
	s_nop 0
	v_fma_f32 v13, -v10, v12, 1.0
	v_fmac_f32_e32 v12, v13, v12
	v_div_scale_f32 v13, vcc, -1.0, v11, -1.0
	v_mul_f32_e32 v14, v13, v12
	v_fma_f32 v15, -v10, v14, v13
	v_fmac_f32_e32 v14, v15, v12
	v_fma_f32 v10, -v10, v14, v13
	v_div_fmas_f32 v10, v10, v12, v14
	v_div_fixup_f32 v13, v10, v11, -1.0
	v_mul_f32_e32 v14, v3, v13
	v_xor_b32_e32 v12, 0x80000000, v14
                                        ; implicit-def: $vgpr10_vgpr11
.LBB66_15:
	s_andn2_saveexec_b64 s[4:5], s[4:5]
	s_cbranch_execz .LBB66_17
; %bb.16:
	v_div_scale_f32 v3, s[12:13], v10, v10, v11
	v_rcp_f32_e32 v12, v3
	v_div_scale_f32 v13, vcc, v11, v10, v11
	v_fma_f32 v14, -v3, v12, 1.0
	v_fmac_f32_e32 v12, v14, v12
	v_mul_f32_e32 v14, v13, v12
	v_fma_f32 v15, -v3, v14, v13
	v_fmac_f32_e32 v14, v15, v12
	v_fma_f32 v3, -v3, v14, v13
	v_div_fmas_f32 v3, v3, v12, v14
	v_div_fixup_f32 v3, v3, v10, v11
	v_fmac_f32_e32 v10, v11, v3
	v_div_scale_f32 v11, s[12:13], v10, v10, 1.0
	v_rcp_f32_e32 v12, v11
	s_nop 0
	v_fma_f32 v13, -v11, v12, 1.0
	v_fmac_f32_e32 v12, v13, v12
	v_div_scale_f32 v13, vcc, 1.0, v10, 1.0
	v_mul_f32_e32 v14, v13, v12
	v_fma_f32 v15, -v11, v14, v13
	v_fmac_f32_e32 v14, v15, v12
	v_fma_f32 v11, -v11, v14, v13
	v_div_fmas_f32 v11, v11, v12, v14
	v_div_fixup_f32 v12, v11, v10, 1.0
	v_xor_b32_e32 v14, 0x80000000, v12
	v_mul_f32_e64 v13, v3, -v12
.LBB66_17:
	s_or_b64 exec, exec, s[4:5]
	scratch_store_dwordx2 v1, v[12:13], off
	scratch_load_dwordx2 v[10:11], off, off offset:8
	v_xor_b32_e32 v15, 0x80000000, v13
	v_add_u32_e32 v3, 32, v2
	s_waitcnt vmcnt(0)
	ds_write2_b64 v2, v[14:15], v[10:11] offset1:4
	s_waitcnt lgkmcnt(0)
	; wave barrier
	s_and_saveexec_b64 s[4:5], s[0:1]
	s_cbranch_execz .LBB66_19
; %bb.18:
	scratch_load_dwordx2 v[10:11], v1, off
	ds_read_b64 v[12:13], v3
	v_mov_b32_e32 v2, 0
	ds_read_b64 v[14:15], v2 offset:8
	s_waitcnt vmcnt(0) lgkmcnt(1)
	v_pk_mul_f32 v[16:17], v[12:13], v[10:11] op_sel:[1,1] op_sel_hi:[0,1]
	v_pk_fma_f32 v[18:19], v[12:13], v[10:11], v[16:17] neg_lo:[0,0,1] neg_hi:[0,0,1]
	v_pk_fma_f32 v[10:11], v[12:13], v[10:11], v[16:17] op_sel_hi:[1,0,1]
	s_nop 0
	v_mov_b32_e32 v19, v11
	v_pk_add_f32 v[10:11], v[18:19], 0 op_sel_hi:[1,0]
	s_waitcnt lgkmcnt(0)
	v_pk_mul_f32 v[12:13], v[10:11], v[14:15] op_sel:[1,1] op_sel_hi:[0,1]
	v_pk_fma_f32 v[16:17], v[10:11], v[14:15], v[12:13] neg_lo:[0,0,1] neg_hi:[0,0,1]
	v_pk_fma_f32 v[10:11], v[10:11], v[14:15], v[12:13] op_sel_hi:[1,0,1]
	s_nop 0
	v_mov_b32_e32 v17, v11
	scratch_store_dwordx2 off, v[16:17], off offset:8
.LBB66_19:
	s_or_b64 exec, exec, s[4:5]
	; wave barrier
	scratch_load_dwordx2 v[10:11], off, off offset:16
	v_cmp_ne_u32_e32 vcc, 2, v0
	s_waitcnt vmcnt(0)
	ds_write_b64 v3, v[10:11]
	s_waitcnt lgkmcnt(0)
	; wave barrier
	s_and_saveexec_b64 s[4:5], vcc
	s_cbranch_execz .LBB66_23
; %bb.20:
	scratch_load_dwordx2 v[10:11], v1, off
	ds_read_b64 v[2:3], v3
	s_waitcnt vmcnt(0) lgkmcnt(0)
	v_pk_mul_f32 v[12:13], v[2:3], v[10:11] op_sel:[1,1] op_sel_hi:[0,1]
	v_pk_fma_f32 v[14:15], v[2:3], v[10:11], v[12:13] neg_lo:[0,0,1] neg_hi:[0,0,1]
	v_pk_fma_f32 v[2:3], v[2:3], v[10:11], v[12:13] op_sel_hi:[1,0,1]
	s_nop 0
	v_mov_b32_e32 v15, v3
	v_pk_add_f32 v[2:3], v[14:15], 0 op_sel_hi:[1,0]
	s_and_saveexec_b64 s[12:13], s[0:1]
	s_cbranch_execz .LBB66_22
; %bb.21:
	scratch_load_dwordx2 v[10:11], off, off offset:8
	v_mov_b32_e32 v1, 0
	ds_read_b64 v[12:13], v1 offset:40
	s_waitcnt vmcnt(0) lgkmcnt(0)
	v_pk_mul_f32 v[14:15], v[12:13], v[10:11] op_sel:[1,1] op_sel_hi:[0,1]
	v_pk_fma_f32 v[16:17], v[12:13], v[10:11], v[14:15] neg_lo:[0,0,1] neg_hi:[0,0,1]
	v_pk_fma_f32 v[10:11], v[12:13], v[10:11], v[14:15] op_sel_hi:[1,0,1]
	s_nop 0
	v_mov_b32_e32 v17, v11
	v_pk_add_f32 v[2:3], v[2:3], v[16:17]
.LBB66_22:
	s_or_b64 exec, exec, s[12:13]
	v_mov_b32_e32 v1, 0
	ds_read_b64 v[10:11], v1 offset:16
	s_waitcnt lgkmcnt(0)
	v_pk_mul_f32 v[12:13], v[2:3], v[10:11] op_sel:[1,1] op_sel_hi:[0,1]
	v_pk_fma_f32 v[14:15], v[2:3], v[10:11], v[12:13] neg_lo:[0,0,1] neg_hi:[0,0,1]
	v_pk_fma_f32 v[2:3], v[2:3], v[10:11], v[12:13] op_sel_hi:[1,0,1]
	s_nop 0
	v_mov_b32_e32 v15, v3
	scratch_store_dwordx2 off, v[14:15], off offset:16
.LBB66_23:
	s_or_b64 exec, exec, s[4:5]
	s_mov_b64 s[4:5], -1
	; wave barrier
.LBB66_24:
	s_and_b64 vcc, exec, s[4:5]
	s_cbranch_vccz .LBB66_26
; %bb.25:
	s_lshl_b64 s[0:1], s[2:3], 2
	s_add_u32 s0, s6, s0
	s_addc_u32 s1, s7, s1
	v_mov_b32_e32 v1, 0
	global_load_dword v1, v1, s[0:1]
	s_waitcnt vmcnt(0)
	v_cmp_ne_u32_e32 vcc, 0, v1
	s_cbranch_vccz .LBB66_27
.LBB66_26:
	s_endpgm
.LBB66_27:
	v_lshl_add_u32 v1, v0, 3, 32
	v_cmp_eq_u32_e32 vcc, 2, v0
	s_and_saveexec_b64 s[0:1], vcc
	s_cbranch_execz .LBB66_29
; %bb.28:
	scratch_load_dwordx2 v[2:3], off, off offset:8
	v_mov_b32_e32 v10, 0
	v_mov_b32_e32 v11, v10
	scratch_store_dwordx2 off, v[10:11], off offset:8
	s_waitcnt vmcnt(1)
	ds_write_b64 v1, v[2:3]
.LBB66_29:
	s_or_b64 exec, exec, s[0:1]
	s_waitcnt lgkmcnt(0)
	; wave barrier
	scratch_load_dwordx2 v[2:3], off, off offset:16
	scratch_load_dwordx2 v[12:13], off, off offset:8
	v_mov_b32_e32 v10, 0
	ds_read_b64 v[14:15], v10 offset:48
	v_cmp_ne_u32_e32 vcc, 0, v0
	s_waitcnt vmcnt(1) lgkmcnt(0)
	v_pk_mul_f32 v[16:17], v[14:15], v[2:3] op_sel:[1,1] op_sel_hi:[0,1]
	v_pk_fma_f32 v[18:19], v[14:15], v[2:3], v[16:17] neg_lo:[0,0,1] neg_hi:[0,0,1]
	v_pk_fma_f32 v[2:3], v[14:15], v[2:3], v[16:17] op_sel_hi:[1,0,1]
	s_nop 0
	v_mov_b32_e32 v19, v3
	v_pk_add_f32 v[2:3], v[18:19], 0 op_sel_hi:[1,0]
	s_waitcnt vmcnt(0)
	v_pk_add_f32 v[2:3], v[12:13], v[2:3] neg_lo:[0,1] neg_hi:[0,1]
	scratch_store_dwordx2 off, v[2:3], off offset:8
	s_and_saveexec_b64 s[0:1], vcc
	s_cbranch_execz .LBB66_31
; %bb.30:
	scratch_load_dwordx2 v[2:3], off, off
	v_mov_b32_e32 v11, v10
	scratch_store_dwordx2 off, v[10:11], off
	s_waitcnt vmcnt(1)
	ds_write_b64 v1, v[2:3]
.LBB66_31:
	s_or_b64 exec, exec, s[0:1]
	s_waitcnt lgkmcnt(0)
	; wave barrier
	scratch_load_dwordx4 v[0:3], off, off offset:8
	scratch_load_dwordx2 v[14:15], off, off
	ds_read2_b64 v[10:13], v10 offset0:5 offset1:6
	s_and_b64 vcc, exec, s[10:11]
	s_waitcnt vmcnt(1) lgkmcnt(0)
	v_pk_mul_f32 v[16:17], v[10:11], v[0:1] op_sel:[1,1] op_sel_hi:[0,1]
	v_mov_b32_e32 v18, v3
	v_pk_fma_f32 v[20:21], v[10:11], v[0:1], v[16:17] neg_lo:[0,0,1] neg_hi:[0,0,1]
	v_pk_fma_f32 v[10:11], v[10:11], v[0:1], v[16:17] op_sel_hi:[1,0,1]
	v_pk_mul_f32 v[16:17], v[12:13], v[18:19] op_sel:[1,0] op_sel_hi:[0,0]
	v_mov_b32_e32 v21, v11
	v_pk_fma_f32 v[10:11], v[12:13], v[2:3], v[16:17] neg_lo:[0,0,1] neg_hi:[0,0,1]
	v_pk_fma_f32 v[2:3], v[12:13], v[2:3], v[16:17] op_sel_hi:[1,0,1]
	v_pk_add_f32 v[12:13], v[20:21], 0 op_sel_hi:[1,0]
	v_mov_b32_e32 v11, v3
	v_pk_add_f32 v[2:3], v[12:13], v[10:11]
	s_waitcnt vmcnt(0)
	v_pk_add_f32 v[2:3], v[14:15], v[2:3] neg_lo:[0,1] neg_hi:[0,1]
	scratch_store_dwordx2 off, v[2:3], off
	s_cbranch_vccz .LBB66_36
; %bb.32:
	v_mov_b32_e32 v10, 0
	global_load_dword v11, v10, s[8:9] offset:4
	s_waitcnt vmcnt(0)
	v_readfirstlane_b32 s0, v11
	s_add_i32 s0, s0, -1
	s_cmp_lg_u32 s0, 1
	s_cbranch_scc0 .LBB66_34
; %bb.33:
	s_lshl_b32 s0, s0, 3
	s_nop 0
	scratch_load_dwordx2 v[2:3], off, s0
	s_waitcnt vmcnt(0)
	scratch_store_dwordx2 off, v[2:3], off offset:8
	scratch_store_dwordx2 off, v[0:1], s0
	scratch_load_dwordx2 v[2:3], off, off
.LBB66_34:
	s_nop 0
	global_load_dword v0, v10, s[8:9]
	s_waitcnt vmcnt(0)
	v_readfirstlane_b32 s0, v0
	s_add_i32 s0, s0, -1
	s_cmp_eq_u32 s0, 0
	s_cbranch_scc1 .LBB66_36
; %bb.35:
	s_lshl_b32 s0, s0, 3
	s_nop 0
	scratch_load_dwordx2 v[0:1], off, s0
	s_waitcnt vmcnt(0)
	scratch_store_dwordx2 off, v[0:1], off
	scratch_store_dwordx2 off, v[2:3], s0
	scratch_load_dwordx2 v[2:3], off, off
.LBB66_36:
	s_nop 0
	scratch_load_dwordx4 v[10:13], off, off offset:8
	s_waitcnt vmcnt(1)
	flat_store_dwordx2 v[4:5], v[2:3]
	s_waitcnt vmcnt(0)
	flat_store_dwordx2 v[6:7], v[10:11]
	flat_store_dwordx2 v[8:9], v[12:13]
	s_endpgm
	.section	.rodata,"a",@progbits
	.p2align	6, 0x0
	.amdhsa_kernel _ZN9rocsolver6v33100L18getri_kernel_smallILi3E19rocblas_complex_numIfEPKPS3_EEvT1_iilPiilS8_bb
		.amdhsa_group_segment_fixed_size 56
		.amdhsa_private_segment_fixed_size 32
		.amdhsa_kernarg_size 60
		.amdhsa_user_sgpr_count 2
		.amdhsa_user_sgpr_dispatch_ptr 0
		.amdhsa_user_sgpr_queue_ptr 0
		.amdhsa_user_sgpr_kernarg_segment_ptr 1
		.amdhsa_user_sgpr_dispatch_id 0
		.amdhsa_user_sgpr_kernarg_preload_length 0
		.amdhsa_user_sgpr_kernarg_preload_offset 0
		.amdhsa_user_sgpr_private_segment_size 0
		.amdhsa_uses_dynamic_stack 0
		.amdhsa_enable_private_segment 1
		.amdhsa_system_sgpr_workgroup_id_x 1
		.amdhsa_system_sgpr_workgroup_id_y 0
		.amdhsa_system_sgpr_workgroup_id_z 0
		.amdhsa_system_sgpr_workgroup_info 0
		.amdhsa_system_vgpr_workitem_id 0
		.amdhsa_next_free_vgpr 22
		.amdhsa_next_free_sgpr 17
		.amdhsa_accum_offset 24
		.amdhsa_reserve_vcc 1
		.amdhsa_float_round_mode_32 0
		.amdhsa_float_round_mode_16_64 0
		.amdhsa_float_denorm_mode_32 3
		.amdhsa_float_denorm_mode_16_64 3
		.amdhsa_dx10_clamp 1
		.amdhsa_ieee_mode 1
		.amdhsa_fp16_overflow 0
		.amdhsa_tg_split 0
		.amdhsa_exception_fp_ieee_invalid_op 0
		.amdhsa_exception_fp_denorm_src 0
		.amdhsa_exception_fp_ieee_div_zero 0
		.amdhsa_exception_fp_ieee_overflow 0
		.amdhsa_exception_fp_ieee_underflow 0
		.amdhsa_exception_fp_ieee_inexact 0
		.amdhsa_exception_int_div_zero 0
	.end_amdhsa_kernel
	.section	.text._ZN9rocsolver6v33100L18getri_kernel_smallILi3E19rocblas_complex_numIfEPKPS3_EEvT1_iilPiilS8_bb,"axG",@progbits,_ZN9rocsolver6v33100L18getri_kernel_smallILi3E19rocblas_complex_numIfEPKPS3_EEvT1_iilPiilS8_bb,comdat
.Lfunc_end66:
	.size	_ZN9rocsolver6v33100L18getri_kernel_smallILi3E19rocblas_complex_numIfEPKPS3_EEvT1_iilPiilS8_bb, .Lfunc_end66-_ZN9rocsolver6v33100L18getri_kernel_smallILi3E19rocblas_complex_numIfEPKPS3_EEvT1_iilPiilS8_bb
                                        ; -- End function
	.set _ZN9rocsolver6v33100L18getri_kernel_smallILi3E19rocblas_complex_numIfEPKPS3_EEvT1_iilPiilS8_bb.num_vgpr, 22
	.set _ZN9rocsolver6v33100L18getri_kernel_smallILi3E19rocblas_complex_numIfEPKPS3_EEvT1_iilPiilS8_bb.num_agpr, 0
	.set _ZN9rocsolver6v33100L18getri_kernel_smallILi3E19rocblas_complex_numIfEPKPS3_EEvT1_iilPiilS8_bb.numbered_sgpr, 17
	.set _ZN9rocsolver6v33100L18getri_kernel_smallILi3E19rocblas_complex_numIfEPKPS3_EEvT1_iilPiilS8_bb.num_named_barrier, 0
	.set _ZN9rocsolver6v33100L18getri_kernel_smallILi3E19rocblas_complex_numIfEPKPS3_EEvT1_iilPiilS8_bb.private_seg_size, 32
	.set _ZN9rocsolver6v33100L18getri_kernel_smallILi3E19rocblas_complex_numIfEPKPS3_EEvT1_iilPiilS8_bb.uses_vcc, 1
	.set _ZN9rocsolver6v33100L18getri_kernel_smallILi3E19rocblas_complex_numIfEPKPS3_EEvT1_iilPiilS8_bb.uses_flat_scratch, 0
	.set _ZN9rocsolver6v33100L18getri_kernel_smallILi3E19rocblas_complex_numIfEPKPS3_EEvT1_iilPiilS8_bb.has_dyn_sized_stack, 0
	.set _ZN9rocsolver6v33100L18getri_kernel_smallILi3E19rocblas_complex_numIfEPKPS3_EEvT1_iilPiilS8_bb.has_recursion, 0
	.set _ZN9rocsolver6v33100L18getri_kernel_smallILi3E19rocblas_complex_numIfEPKPS3_EEvT1_iilPiilS8_bb.has_indirect_call, 0
	.section	.AMDGPU.csdata,"",@progbits
; Kernel info:
; codeLenInByte = 1920
; TotalNumSgprs: 23
; NumVgprs: 22
; NumAgprs: 0
; TotalNumVgprs: 22
; ScratchSize: 32
; MemoryBound: 0
; FloatMode: 240
; IeeeMode: 1
; LDSByteSize: 56 bytes/workgroup (compile time only)
; SGPRBlocks: 2
; VGPRBlocks: 2
; NumSGPRsForWavesPerEU: 23
; NumVGPRsForWavesPerEU: 22
; AccumOffset: 24
; Occupancy: 8
; WaveLimiterHint : 1
; COMPUTE_PGM_RSRC2:SCRATCH_EN: 1
; COMPUTE_PGM_RSRC2:USER_SGPR: 2
; COMPUTE_PGM_RSRC2:TRAP_HANDLER: 0
; COMPUTE_PGM_RSRC2:TGID_X_EN: 1
; COMPUTE_PGM_RSRC2:TGID_Y_EN: 0
; COMPUTE_PGM_RSRC2:TGID_Z_EN: 0
; COMPUTE_PGM_RSRC2:TIDIG_COMP_CNT: 0
; COMPUTE_PGM_RSRC3_GFX90A:ACCUM_OFFSET: 5
; COMPUTE_PGM_RSRC3_GFX90A:TG_SPLIT: 0
	.section	.text._ZN9rocsolver6v33100L18getri_kernel_smallILi4E19rocblas_complex_numIfEPKPS3_EEvT1_iilPiilS8_bb,"axG",@progbits,_ZN9rocsolver6v33100L18getri_kernel_smallILi4E19rocblas_complex_numIfEPKPS3_EEvT1_iilPiilS8_bb,comdat
	.globl	_ZN9rocsolver6v33100L18getri_kernel_smallILi4E19rocblas_complex_numIfEPKPS3_EEvT1_iilPiilS8_bb ; -- Begin function _ZN9rocsolver6v33100L18getri_kernel_smallILi4E19rocblas_complex_numIfEPKPS3_EEvT1_iilPiilS8_bb
	.p2align	8
	.type	_ZN9rocsolver6v33100L18getri_kernel_smallILi4E19rocblas_complex_numIfEPKPS3_EEvT1_iilPiilS8_bb,@function
_ZN9rocsolver6v33100L18getri_kernel_smallILi4E19rocblas_complex_numIfEPKPS3_EEvT1_iilPiilS8_bb: ; @_ZN9rocsolver6v33100L18getri_kernel_smallILi4E19rocblas_complex_numIfEPKPS3_EEvT1_iilPiilS8_bb
; %bb.0:
	v_cmp_gt_u32_e32 vcc, 4, v0
	s_and_saveexec_b64 s[4:5], vcc
	s_cbranch_execz .LBB67_30
; %bb.1:
	s_load_dword s14, s[0:1], 0x38
	s_load_dwordx2 s[8:9], s[0:1], 0x0
	s_load_dwordx4 s[4:7], s[0:1], 0x28
	s_waitcnt lgkmcnt(0)
	s_bitcmp1_b32 s14, 8
	s_cselect_b64 s[10:11], -1, 0
	s_ashr_i32 s3, s2, 31
	s_lshl_b64 s[12:13], s[2:3], 3
	s_add_u32 s8, s8, s12
	s_addc_u32 s9, s9, s13
	s_load_dwordx2 s[12:13], s[8:9], 0x0
	s_bfe_u32 s8, s14, 0x10008
	s_cmp_eq_u32 s8, 0
                                        ; implicit-def: $sgpr8_sgpr9
	s_cbranch_scc1 .LBB67_3
; %bb.2:
	s_load_dword s8, s[0:1], 0x20
	s_load_dwordx2 s[14:15], s[0:1], 0x18
	s_mul_i32 s9, s4, s3
	s_mul_hi_u32 s16, s4, s2
	s_add_i32 s16, s16, s9
	s_mul_i32 s5, s5, s2
	s_add_i32 s5, s16, s5
	s_mul_i32 s4, s4, s2
	s_waitcnt lgkmcnt(0)
	s_ashr_i32 s9, s8, 31
	s_lshl_b64 s[4:5], s[4:5], 2
	s_add_u32 s14, s14, s4
	s_addc_u32 s15, s15, s5
	s_lshl_b64 s[4:5], s[8:9], 2
	s_add_u32 s8, s14, s4
	s_addc_u32 s9, s15, s5
.LBB67_3:
	s_load_dwordx2 s[4:5], s[0:1], 0x8
	s_load_dword s14, s[0:1], 0x38
	v_lshlrev_b32_e32 v2, 3, v0
	v_mov_b32_e32 v3, 0
	s_waitcnt lgkmcnt(0)
	s_ashr_i32 s1, s4, 31
	s_mov_b32 s0, s4
	s_lshl_b64 s[0:1], s[0:1], 3
	s_add_u32 s0, s12, s0
	s_addc_u32 s1, s13, s1
	s_add_i32 s4, s5, s5
	v_add_u32_e32 v10, s4, v0
	v_ashrrev_i32_e32 v11, 31, v10
	v_lshl_add_u64 v[8:9], v[10:11], 3, s[0:1]
	v_add_u32_e32 v10, s5, v10
	v_lshl_add_u64 v[4:5], s[0:1], 0, v[2:3]
	s_ashr_i32 s13, s5, 31
	s_mov_b32 s12, s5
	v_ashrrev_i32_e32 v11, 31, v10
	v_lshl_add_u64 v[6:7], s[12:13], 3, v[4:5]
	v_lshl_add_u64 v[10:11], v[10:11], 3, s[0:1]
	flat_load_dwordx2 v[12:13], v[4:5]
	flat_load_dwordx2 v[14:15], v[6:7]
	;; [unrolled: 1-line block ×4, first 2 shown]
	s_bitcmp0_b32 s14, 0
	s_mov_b64 s[4:5], -1
	s_waitcnt vmcnt(0) lgkmcnt(0)
	scratch_store_dwordx4 off, v[12:15], off
	scratch_store_dwordx4 off, v[16:19], off offset:16
	s_cbranch_scc1 .LBB67_28
; %bb.4:
	v_cmp_eq_u32_e64 s[0:1], 0, v0
	s_and_saveexec_b64 s[4:5], s[0:1]
; %bb.5:
	v_mov_b32_e32 v1, 0
	ds_write_b32 v1, v1 offset:64
; %bb.6:
	s_or_b64 exec, exec, s[4:5]
	s_waitcnt lgkmcnt(0)
	; wave barrier
	scratch_load_dwordx2 v[12:13], v2, off
	s_waitcnt vmcnt(0)
	v_cmp_eq_f32_e32 vcc, 0, v12
	v_cmp_eq_f32_e64 s[4:5], 0, v13
	s_and_b64 s[4:5], vcc, s[4:5]
	s_and_saveexec_b64 s[12:13], s[4:5]
	s_cbranch_execz .LBB67_10
; %bb.7:
	v_mov_b32_e32 v1, 0
	ds_read_b32 v12, v1 offset:64
	v_add_u32_e32 v3, 1, v0
	s_waitcnt lgkmcnt(0)
	v_readfirstlane_b32 s4, v12
	s_cmp_eq_u32 s4, 0
	s_cselect_b64 s[14:15], -1, 0
	v_cmp_gt_i32_e32 vcc, s4, v3
	s_or_b64 s[14:15], s[14:15], vcc
	s_and_b64 exec, exec, s[14:15]
	s_cbranch_execz .LBB67_10
; %bb.8:
	s_mov_b64 s[14:15], 0
	v_mov_b32_e32 v12, s4
.LBB67_9:                               ; =>This Inner Loop Header: Depth=1
	ds_cmpst_rtn_b32 v12, v1, v12, v3 offset:64
	s_waitcnt lgkmcnt(0)
	v_cmp_ne_u32_e32 vcc, 0, v12
	v_cmp_le_i32_e64 s[4:5], v12, v3
	s_and_b64 s[4:5], vcc, s[4:5]
	s_and_b64 s[4:5], exec, s[4:5]
	s_or_b64 s[14:15], s[4:5], s[14:15]
	s_andn2_b64 exec, exec, s[14:15]
	s_cbranch_execnz .LBB67_9
.LBB67_10:
	s_or_b64 exec, exec, s[12:13]
	v_mov_b32_e32 v3, 0
	; wave barrier
	ds_read_b32 v1, v3 offset:64
	s_and_saveexec_b64 s[4:5], s[0:1]
	s_cbranch_execz .LBB67_12
; %bb.11:
	s_lshl_b64 s[12:13], s[2:3], 2
	s_add_u32 s12, s6, s12
	s_addc_u32 s13, s7, s13
	s_waitcnt lgkmcnt(0)
	global_store_dword v3, v1, s[12:13]
.LBB67_12:
	s_or_b64 exec, exec, s[4:5]
	s_waitcnt lgkmcnt(0)
	v_cmp_ne_u32_e32 vcc, 0, v1
	s_mov_b64 s[4:5], 0
	s_cbranch_vccnz .LBB67_28
; %bb.13:
	v_mov_b32_e32 v1, v2
	scratch_load_dwordx2 v[12:13], v1, off
                                        ; implicit-def: $vgpr15
                                        ; implicit-def: $vgpr16
	s_waitcnt vmcnt(0)
	v_cmp_ngt_f32_e64 s[4:5], |v12|, |v13|
	s_and_saveexec_b64 s[12:13], s[4:5]
	s_xor_b64 s[4:5], exec, s[12:13]
	s_cbranch_execz .LBB67_15
; %bb.14:
	v_div_scale_f32 v3, s[12:13], v13, v13, v12
	v_rcp_f32_e32 v14, v3
	v_div_scale_f32 v15, vcc, v12, v13, v12
	v_fma_f32 v16, -v3, v14, 1.0
	v_fmac_f32_e32 v14, v16, v14
	v_mul_f32_e32 v16, v15, v14
	v_fma_f32 v17, -v3, v16, v15
	v_fmac_f32_e32 v16, v17, v14
	v_fma_f32 v3, -v3, v16, v15
	v_div_fmas_f32 v3, v3, v14, v16
	v_div_fixup_f32 v3, v3, v13, v12
	v_fmac_f32_e32 v13, v12, v3
	v_div_scale_f32 v12, s[12:13], v13, v13, -1.0
	v_rcp_f32_e32 v14, v12
	s_nop 0
	v_fma_f32 v15, -v12, v14, 1.0
	v_fmac_f32_e32 v14, v15, v14
	v_div_scale_f32 v15, vcc, -1.0, v13, -1.0
	v_mul_f32_e32 v16, v15, v14
	v_fma_f32 v17, -v12, v16, v15
	v_fmac_f32_e32 v16, v17, v14
	v_fma_f32 v12, -v12, v16, v15
	v_div_fmas_f32 v12, v12, v14, v16
	v_div_fixup_f32 v15, v12, v13, -1.0
	v_mul_f32_e32 v16, v3, v15
	v_xor_b32_e32 v14, 0x80000000, v16
                                        ; implicit-def: $vgpr12_vgpr13
.LBB67_15:
	s_andn2_saveexec_b64 s[4:5], s[4:5]
	s_cbranch_execz .LBB67_17
; %bb.16:
	v_div_scale_f32 v3, s[12:13], v12, v12, v13
	v_rcp_f32_e32 v14, v3
	v_div_scale_f32 v15, vcc, v13, v12, v13
	v_fma_f32 v16, -v3, v14, 1.0
	v_fmac_f32_e32 v14, v16, v14
	v_mul_f32_e32 v16, v15, v14
	v_fma_f32 v17, -v3, v16, v15
	v_fmac_f32_e32 v16, v17, v14
	v_fma_f32 v3, -v3, v16, v15
	v_div_fmas_f32 v3, v3, v14, v16
	v_div_fixup_f32 v3, v3, v12, v13
	v_fmac_f32_e32 v12, v13, v3
	v_div_scale_f32 v13, s[12:13], v12, v12, 1.0
	v_rcp_f32_e32 v14, v13
	s_nop 0
	v_fma_f32 v15, -v13, v14, 1.0
	v_fmac_f32_e32 v14, v15, v14
	v_div_scale_f32 v15, vcc, 1.0, v12, 1.0
	v_mul_f32_e32 v16, v15, v14
	v_fma_f32 v17, -v13, v16, v15
	v_fmac_f32_e32 v16, v17, v14
	v_fma_f32 v13, -v13, v16, v15
	v_div_fmas_f32 v13, v13, v14, v16
	v_div_fixup_f32 v14, v13, v12, 1.0
	v_xor_b32_e32 v16, 0x80000000, v14
	v_mul_f32_e64 v15, v3, -v14
.LBB67_17:
	s_or_b64 exec, exec, s[4:5]
	scratch_store_dwordx2 v1, v[14:15], off
	scratch_load_dwordx2 v[12:13], off, off offset:8
	v_xor_b32_e32 v17, 0x80000000, v15
	v_add_u32_e32 v14, 32, v2
	s_waitcnt vmcnt(0)
	ds_write2_b64 v2, v[16:17], v[12:13] offset1:4
	s_waitcnt lgkmcnt(0)
	; wave barrier
	s_and_saveexec_b64 s[4:5], s[0:1]
	s_cbranch_execz .LBB67_19
; %bb.18:
	scratch_load_dwordx2 v[12:13], v1, off
	ds_read_b64 v[16:17], v14
	v_mov_b32_e32 v3, 0
	ds_read_b64 v[18:19], v3 offset:8
	s_waitcnt vmcnt(0) lgkmcnt(1)
	v_pk_mul_f32 v[20:21], v[16:17], v[12:13] op_sel:[1,1] op_sel_hi:[0,1]
	v_pk_fma_f32 v[22:23], v[16:17], v[12:13], v[20:21] neg_lo:[0,0,1] neg_hi:[0,0,1]
	v_pk_fma_f32 v[12:13], v[16:17], v[12:13], v[20:21] op_sel_hi:[1,0,1]
	s_nop 0
	v_mov_b32_e32 v23, v13
	v_pk_add_f32 v[12:13], v[22:23], 0 op_sel_hi:[1,0]
	s_waitcnt lgkmcnt(0)
	v_pk_mul_f32 v[16:17], v[12:13], v[18:19] op_sel:[1,1] op_sel_hi:[0,1]
	v_pk_fma_f32 v[20:21], v[12:13], v[18:19], v[16:17] neg_lo:[0,0,1] neg_hi:[0,0,1]
	v_pk_fma_f32 v[12:13], v[12:13], v[18:19], v[16:17] op_sel_hi:[1,0,1]
	s_nop 0
	v_mov_b32_e32 v21, v13
	scratch_store_dwordx2 off, v[20:21], off offset:8
.LBB67_19:
	s_or_b64 exec, exec, s[4:5]
	; wave barrier
	scratch_load_dwordx2 v[12:13], off, off offset:16
	v_cmp_gt_u32_e32 vcc, 2, v0
	s_waitcnt vmcnt(0)
	ds_write_b64 v14, v[12:13]
	s_waitcnt lgkmcnt(0)
	; wave barrier
	s_and_saveexec_b64 s[4:5], vcc
	s_cbranch_execz .LBB67_23
; %bb.20:
	scratch_load_dwordx2 v[12:13], v1, off
	ds_read_b64 v[16:17], v14
	s_waitcnt vmcnt(0) lgkmcnt(0)
	v_pk_mul_f32 v[18:19], v[16:17], v[12:13] op_sel:[1,1] op_sel_hi:[0,1]
	v_pk_fma_f32 v[20:21], v[16:17], v[12:13], v[18:19] neg_lo:[0,0,1] neg_hi:[0,0,1]
	v_pk_fma_f32 v[12:13], v[16:17], v[12:13], v[18:19] op_sel_hi:[1,0,1]
	s_nop 0
	v_mov_b32_e32 v21, v13
	v_pk_add_f32 v[12:13], v[20:21], 0 op_sel_hi:[1,0]
	s_and_saveexec_b64 s[12:13], s[0:1]
	s_cbranch_execz .LBB67_22
; %bb.21:
	scratch_load_dwordx2 v[16:17], off, off offset:8
	v_mov_b32_e32 v1, 0
	ds_read_b64 v[18:19], v1 offset:40
	s_waitcnt vmcnt(0) lgkmcnt(0)
	v_pk_mul_f32 v[20:21], v[18:19], v[16:17] op_sel:[1,1] op_sel_hi:[0,1]
	v_pk_fma_f32 v[22:23], v[18:19], v[16:17], v[20:21] neg_lo:[0,0,1] neg_hi:[0,0,1]
	v_pk_fma_f32 v[16:17], v[18:19], v[16:17], v[20:21] op_sel_hi:[1,0,1]
	s_nop 0
	v_mov_b32_e32 v23, v17
	v_pk_add_f32 v[12:13], v[12:13], v[22:23]
.LBB67_22:
	s_or_b64 exec, exec, s[12:13]
	v_mov_b32_e32 v1, 0
	ds_read_b64 v[16:17], v1 offset:16
	s_waitcnt lgkmcnt(0)
	v_pk_mul_f32 v[18:19], v[12:13], v[16:17] op_sel:[1,1] op_sel_hi:[0,1]
	v_pk_fma_f32 v[20:21], v[12:13], v[16:17], v[18:19] neg_lo:[0,0,1] neg_hi:[0,0,1]
	v_pk_fma_f32 v[12:13], v[12:13], v[16:17], v[18:19] op_sel_hi:[1,0,1]
	s_nop 0
	v_mov_b32_e32 v21, v13
	scratch_store_dwordx2 off, v[20:21], off offset:16
.LBB67_23:
	s_or_b64 exec, exec, s[4:5]
	; wave barrier
	scratch_load_dwordx2 v[12:13], off, off offset:24
	v_cmp_ne_u32_e32 vcc, 3, v0
	s_waitcnt vmcnt(0)
	ds_write_b64 v14, v[12:13]
	s_waitcnt lgkmcnt(0)
	; wave barrier
	s_and_saveexec_b64 s[0:1], vcc
	s_cbranch_execz .LBB67_27
; %bb.24:
	v_mov_b32_e32 v12, v2
	v_mov_b32_e32 v2, 0
	v_add_u32_e32 v1, -1, v0
	s_mov_b64 s[4:5], 0
	v_mov_b32_e32 v3, v2
.LBB67_25:                              ; =>This Inner Loop Header: Depth=1
	scratch_load_dwordx2 v[16:17], v12, off
	ds_read_b64 v[18:19], v14
	v_add_u32_e32 v1, 1, v1
	v_cmp_lt_u32_e32 vcc, 1, v1
	v_add_u32_e32 v14, 8, v14
	v_add_u32_e32 v12, 8, v12
	s_or_b64 s[4:5], vcc, s[4:5]
	s_waitcnt vmcnt(0) lgkmcnt(0)
	v_pk_mul_f32 v[20:21], v[18:19], v[16:17] op_sel:[1,1] op_sel_hi:[0,1]
	v_pk_fma_f32 v[22:23], v[18:19], v[16:17], v[20:21] neg_lo:[0,0,1] neg_hi:[0,0,1]
	v_pk_fma_f32 v[16:17], v[18:19], v[16:17], v[20:21] op_sel_hi:[1,0,1]
	s_nop 0
	v_mov_b32_e32 v23, v17
	v_pk_add_f32 v[2:3], v[2:3], v[22:23]
	s_andn2_b64 exec, exec, s[4:5]
	s_cbranch_execnz .LBB67_25
; %bb.26:
	s_or_b64 exec, exec, s[4:5]
	v_mov_b32_e32 v1, 0
	ds_read_b64 v[12:13], v1 offset:24
	s_waitcnt lgkmcnt(0)
	v_pk_mul_f32 v[14:15], v[2:3], v[12:13] op_sel:[1,1] op_sel_hi:[0,1]
	v_pk_fma_f32 v[16:17], v[2:3], v[12:13], v[14:15] neg_lo:[0,0,1] neg_hi:[0,0,1]
	v_pk_fma_f32 v[2:3], v[2:3], v[12:13], v[14:15] op_sel_hi:[1,0,1]
	s_nop 0
	v_mov_b32_e32 v17, v3
	scratch_store_dwordx2 off, v[16:17], off offset:24
.LBB67_27:
	s_or_b64 exec, exec, s[0:1]
	s_mov_b64 s[4:5], -1
	; wave barrier
.LBB67_28:
	s_and_b64 vcc, exec, s[4:5]
	s_cbranch_vccz .LBB67_30
; %bb.29:
	s_lshl_b64 s[0:1], s[2:3], 2
	s_add_u32 s0, s6, s0
	s_addc_u32 s1, s7, s1
	v_mov_b32_e32 v1, 0
	global_load_dword v1, v1, s[0:1]
	s_waitcnt vmcnt(0)
	v_cmp_ne_u32_e32 vcc, 0, v1
	s_cbranch_vccz .LBB67_31
.LBB67_30:
	s_endpgm
.LBB67_31:
	v_lshl_add_u32 v1, v0, 3, 32
	v_cmp_eq_u32_e32 vcc, 3, v0
	s_and_saveexec_b64 s[0:1], vcc
	s_cbranch_execz .LBB67_33
; %bb.32:
	scratch_load_dwordx2 v[2:3], off, off offset:16
	v_mov_b32_e32 v12, 0
	v_mov_b32_e32 v13, v12
	scratch_store_dwordx2 off, v[12:13], off offset:16
	s_waitcnt vmcnt(1)
	ds_write_b64 v1, v[2:3]
.LBB67_33:
	s_or_b64 exec, exec, s[0:1]
	s_waitcnt lgkmcnt(0)
	; wave barrier
	scratch_load_dwordx2 v[12:13], off, off offset:24
	scratch_load_dwordx2 v[14:15], off, off offset:16
	v_mov_b32_e32 v2, 0
	ds_read_b64 v[16:17], v2 offset:56
	v_cmp_lt_u32_e32 vcc, 1, v0
	s_waitcnt vmcnt(1) lgkmcnt(0)
	v_pk_mul_f32 v[18:19], v[16:17], v[12:13] op_sel:[1,1] op_sel_hi:[0,1]
	v_pk_fma_f32 v[20:21], v[16:17], v[12:13], v[18:19] neg_lo:[0,0,1] neg_hi:[0,0,1]
	v_pk_fma_f32 v[12:13], v[16:17], v[12:13], v[18:19] op_sel_hi:[1,0,1]
	s_nop 0
	v_mov_b32_e32 v21, v13
	v_pk_add_f32 v[12:13], v[20:21], 0 op_sel_hi:[1,0]
	s_waitcnt vmcnt(0)
	v_pk_add_f32 v[12:13], v[14:15], v[12:13] neg_lo:[0,1] neg_hi:[0,1]
	scratch_store_dwordx2 off, v[12:13], off offset:16
	s_and_saveexec_b64 s[0:1], vcc
	s_cbranch_execz .LBB67_35
; %bb.34:
	scratch_load_dwordx2 v[12:13], off, off offset:8
	v_mov_b32_e32 v3, v2
	scratch_store_dwordx2 off, v[2:3], off offset:8
	s_waitcnt vmcnt(1)
	ds_write_b64 v1, v[12:13]
.LBB67_35:
	s_or_b64 exec, exec, s[0:1]
	s_waitcnt lgkmcnt(0)
	; wave barrier
	scratch_load_dwordx4 v[12:15], off, off offset:16
	scratch_load_dwordx2 v[20:21], off, off offset:8
	ds_read_b128 v[16:19], v2 offset:48
	v_cmp_ne_u32_e32 vcc, 0, v0
	s_waitcnt vmcnt(1) lgkmcnt(0)
	v_pk_mul_f32 v[2:3], v[16:17], v[12:13] op_sel:[1,1] op_sel_hi:[0,1]
	v_mov_b32_e32 v22, v15
	v_pk_fma_f32 v[24:25], v[16:17], v[12:13], v[2:3] neg_lo:[0,0,1] neg_hi:[0,0,1]
	v_pk_fma_f32 v[2:3], v[16:17], v[12:13], v[2:3] op_sel_hi:[1,0,1]
	v_pk_mul_f32 v[12:13], v[18:19], v[22:23] op_sel:[1,0] op_sel_hi:[0,0]
	v_mov_b32_e32 v25, v3
	v_pk_fma_f32 v[2:3], v[18:19], v[14:15], v[12:13] neg_lo:[0,0,1] neg_hi:[0,0,1]
	v_pk_fma_f32 v[12:13], v[18:19], v[14:15], v[12:13] op_sel_hi:[1,0,1]
	v_pk_add_f32 v[14:15], v[24:25], 0 op_sel_hi:[1,0]
	v_mov_b32_e32 v3, v13
	v_pk_add_f32 v[2:3], v[14:15], v[2:3]
	s_waitcnt vmcnt(0)
	v_pk_add_f32 v[2:3], v[20:21], v[2:3] neg_lo:[0,1] neg_hi:[0,1]
	scratch_store_dwordx2 off, v[2:3], off offset:8
	s_and_saveexec_b64 s[0:1], vcc
	s_cbranch_execz .LBB67_37
; %bb.36:
	scratch_load_dwordx2 v[2:3], off, off
	v_mov_b32_e32 v12, 0
	v_mov_b32_e32 v13, v12
	scratch_store_dwordx2 off, v[12:13], off
	s_waitcnt vmcnt(1)
	ds_write_b64 v1, v[2:3]
.LBB67_37:
	s_or_b64 exec, exec, s[0:1]
	s_waitcnt lgkmcnt(0)
	; wave barrier
	scratch_load_dwordx4 v[0:3], off, off offset:8
	scratch_load_dwordx2 v[18:19], off, off offset:24
	scratch_load_dwordx2 v[20:21], off, off
	v_mov_b32_e32 v12, 0
	ds_read2_b64 v[14:17], v12 offset0:5 offset1:6
	ds_read_b64 v[22:23], v12 offset:56
	s_and_b64 vcc, exec, s[10:11]
	s_waitcnt vmcnt(2) lgkmcnt(1)
	v_pk_mul_f32 v[24:25], v[14:15], v[0:1] op_sel:[1,1] op_sel_hi:[0,1]
	v_mov_b32_e32 v26, v3
	v_pk_fma_f32 v[30:31], v[14:15], v[0:1], v[24:25] neg_lo:[0,0,1] neg_hi:[0,0,1]
	v_pk_fma_f32 v[0:1], v[14:15], v[0:1], v[24:25] op_sel_hi:[1,0,1]
	v_pk_mul_f32 v[14:15], v[16:17], v[26:27] op_sel:[1,0] op_sel_hi:[0,0]
	s_waitcnt vmcnt(1) lgkmcnt(0)
	v_pk_mul_f32 v[28:29], v[22:23], v[18:19] op_sel:[1,1] op_sel_hi:[0,1]
	v_mov_b32_e32 v31, v1
	v_pk_fma_f32 v[0:1], v[16:17], v[2:3], v[14:15] neg_lo:[0,0,1] neg_hi:[0,0,1]
	v_pk_fma_f32 v[14:15], v[16:17], v[2:3], v[14:15] op_sel_hi:[1,0,1]
	v_pk_fma_f32 v[24:25], v[22:23], v[18:19], v[28:29] neg_lo:[0,0,1] neg_hi:[0,0,1]
	v_pk_fma_f32 v[18:19], v[22:23], v[18:19], v[28:29] op_sel_hi:[1,0,1]
	v_pk_add_f32 v[16:17], v[30:31], 0 op_sel_hi:[1,0]
	v_mov_b32_e32 v1, v15
	v_mov_b32_e32 v25, v19
	v_pk_add_f32 v[0:1], v[16:17], v[0:1]
	s_nop 0
	v_pk_add_f32 v[0:1], v[0:1], v[24:25]
	s_waitcnt vmcnt(0)
	v_pk_add_f32 v[0:1], v[20:21], v[0:1] neg_lo:[0,1] neg_hi:[0,1]
	scratch_store_dwordx2 off, v[0:1], off
	s_cbranch_vccz .LBB67_44
; %bb.38:
	global_load_dword v0, v12, s[8:9] offset:8
	s_waitcnt vmcnt(0)
	v_readfirstlane_b32 s0, v0
	s_add_i32 s0, s0, -1
	s_cmp_lg_u32 s0, 2
	s_cbranch_scc0 .LBB67_40
; %bb.39:
	s_lshl_b32 s0, s0, 3
	s_nop 0
	scratch_load_dwordx2 v[0:1], off, s0
	s_waitcnt vmcnt(0)
	scratch_store_dwordx2 off, v[0:1], off offset:16
	scratch_store_dwordx2 off, v[2:3], s0
.LBB67_40:
	v_mov_b32_e32 v0, 0
	global_load_dword v1, v0, s[8:9] offset:4
	s_waitcnt vmcnt(0)
	v_readfirstlane_b32 s0, v1
	s_add_i32 s0, s0, -1
	s_cmp_eq_u32 s0, 1
	s_cbranch_scc1 .LBB67_42
; %bb.41:
	s_lshl_b32 s0, s0, 3
	s_nop 0
	scratch_load_dwordx2 v[2:3], off, s0
	scratch_load_dwordx2 v[12:13], off, off offset:8
	s_waitcnt vmcnt(1)
	scratch_store_dwordx2 off, v[2:3], off offset:8
	s_waitcnt vmcnt(1)
	scratch_store_dwordx2 off, v[12:13], s0
.LBB67_42:
	global_load_dword v2, v0, s[8:9]
	s_nop 0
	scratch_load_dwordx2 v[0:1], off, off
	s_waitcnt vmcnt(1)
	v_readfirstlane_b32 s0, v2
	s_add_i32 s0, s0, -1
	s_cmp_eq_u32 s0, 0
	s_cbranch_scc1 .LBB67_44
; %bb.43:
	s_lshl_b32 s0, s0, 3
	s_nop 0
	scratch_load_dwordx2 v[2:3], off, s0
	s_waitcnt vmcnt(0)
	scratch_store_dwordx2 off, v[2:3], off
	scratch_store_dwordx2 off, v[0:1], s0
	scratch_load_dwordx2 v[0:1], off, off
.LBB67_44:
	s_nop 0
	scratch_load_dwordx4 v[12:15], off, off offset:8
	scratch_load_dwordx2 v[2:3], off, off offset:24
	s_waitcnt vmcnt(2)
	flat_store_dwordx2 v[4:5], v[0:1]
	s_waitcnt vmcnt(0)
	flat_store_dwordx2 v[6:7], v[12:13]
	flat_store_dwordx2 v[8:9], v[14:15]
	;; [unrolled: 1-line block ×3, first 2 shown]
	s_endpgm
	.section	.rodata,"a",@progbits
	.p2align	6, 0x0
	.amdhsa_kernel _ZN9rocsolver6v33100L18getri_kernel_smallILi4E19rocblas_complex_numIfEPKPS3_EEvT1_iilPiilS8_bb
		.amdhsa_group_segment_fixed_size 68
		.amdhsa_private_segment_fixed_size 48
		.amdhsa_kernarg_size 60
		.amdhsa_user_sgpr_count 2
		.amdhsa_user_sgpr_dispatch_ptr 0
		.amdhsa_user_sgpr_queue_ptr 0
		.amdhsa_user_sgpr_kernarg_segment_ptr 1
		.amdhsa_user_sgpr_dispatch_id 0
		.amdhsa_user_sgpr_kernarg_preload_length 0
		.amdhsa_user_sgpr_kernarg_preload_offset 0
		.amdhsa_user_sgpr_private_segment_size 0
		.amdhsa_uses_dynamic_stack 0
		.amdhsa_enable_private_segment 1
		.amdhsa_system_sgpr_workgroup_id_x 1
		.amdhsa_system_sgpr_workgroup_id_y 0
		.amdhsa_system_sgpr_workgroup_id_z 0
		.amdhsa_system_sgpr_workgroup_info 0
		.amdhsa_system_vgpr_workitem_id 0
		.amdhsa_next_free_vgpr 32
		.amdhsa_next_free_sgpr 17
		.amdhsa_accum_offset 32
		.amdhsa_reserve_vcc 1
		.amdhsa_float_round_mode_32 0
		.amdhsa_float_round_mode_16_64 0
		.amdhsa_float_denorm_mode_32 3
		.amdhsa_float_denorm_mode_16_64 3
		.amdhsa_dx10_clamp 1
		.amdhsa_ieee_mode 1
		.amdhsa_fp16_overflow 0
		.amdhsa_tg_split 0
		.amdhsa_exception_fp_ieee_invalid_op 0
		.amdhsa_exception_fp_denorm_src 0
		.amdhsa_exception_fp_ieee_div_zero 0
		.amdhsa_exception_fp_ieee_overflow 0
		.amdhsa_exception_fp_ieee_underflow 0
		.amdhsa_exception_fp_ieee_inexact 0
		.amdhsa_exception_int_div_zero 0
	.end_amdhsa_kernel
	.section	.text._ZN9rocsolver6v33100L18getri_kernel_smallILi4E19rocblas_complex_numIfEPKPS3_EEvT1_iilPiilS8_bb,"axG",@progbits,_ZN9rocsolver6v33100L18getri_kernel_smallILi4E19rocblas_complex_numIfEPKPS3_EEvT1_iilPiilS8_bb,comdat
.Lfunc_end67:
	.size	_ZN9rocsolver6v33100L18getri_kernel_smallILi4E19rocblas_complex_numIfEPKPS3_EEvT1_iilPiilS8_bb, .Lfunc_end67-_ZN9rocsolver6v33100L18getri_kernel_smallILi4E19rocblas_complex_numIfEPKPS3_EEvT1_iilPiilS8_bb
                                        ; -- End function
	.set _ZN9rocsolver6v33100L18getri_kernel_smallILi4E19rocblas_complex_numIfEPKPS3_EEvT1_iilPiilS8_bb.num_vgpr, 32
	.set _ZN9rocsolver6v33100L18getri_kernel_smallILi4E19rocblas_complex_numIfEPKPS3_EEvT1_iilPiilS8_bb.num_agpr, 0
	.set _ZN9rocsolver6v33100L18getri_kernel_smallILi4E19rocblas_complex_numIfEPKPS3_EEvT1_iilPiilS8_bb.numbered_sgpr, 17
	.set _ZN9rocsolver6v33100L18getri_kernel_smallILi4E19rocblas_complex_numIfEPKPS3_EEvT1_iilPiilS8_bb.num_named_barrier, 0
	.set _ZN9rocsolver6v33100L18getri_kernel_smallILi4E19rocblas_complex_numIfEPKPS3_EEvT1_iilPiilS8_bb.private_seg_size, 48
	.set _ZN9rocsolver6v33100L18getri_kernel_smallILi4E19rocblas_complex_numIfEPKPS3_EEvT1_iilPiilS8_bb.uses_vcc, 1
	.set _ZN9rocsolver6v33100L18getri_kernel_smallILi4E19rocblas_complex_numIfEPKPS3_EEvT1_iilPiilS8_bb.uses_flat_scratch, 0
	.set _ZN9rocsolver6v33100L18getri_kernel_smallILi4E19rocblas_complex_numIfEPKPS3_EEvT1_iilPiilS8_bb.has_dyn_sized_stack, 0
	.set _ZN9rocsolver6v33100L18getri_kernel_smallILi4E19rocblas_complex_numIfEPKPS3_EEvT1_iilPiilS8_bb.has_recursion, 0
	.set _ZN9rocsolver6v33100L18getri_kernel_smallILi4E19rocblas_complex_numIfEPKPS3_EEvT1_iilPiilS8_bb.has_indirect_call, 0
	.section	.AMDGPU.csdata,"",@progbits
; Kernel info:
; codeLenInByte = 2488
; TotalNumSgprs: 23
; NumVgprs: 32
; NumAgprs: 0
; TotalNumVgprs: 32
; ScratchSize: 48
; MemoryBound: 0
; FloatMode: 240
; IeeeMode: 1
; LDSByteSize: 68 bytes/workgroup (compile time only)
; SGPRBlocks: 2
; VGPRBlocks: 3
; NumSGPRsForWavesPerEU: 23
; NumVGPRsForWavesPerEU: 32
; AccumOffset: 32
; Occupancy: 8
; WaveLimiterHint : 1
; COMPUTE_PGM_RSRC2:SCRATCH_EN: 1
; COMPUTE_PGM_RSRC2:USER_SGPR: 2
; COMPUTE_PGM_RSRC2:TRAP_HANDLER: 0
; COMPUTE_PGM_RSRC2:TGID_X_EN: 1
; COMPUTE_PGM_RSRC2:TGID_Y_EN: 0
; COMPUTE_PGM_RSRC2:TGID_Z_EN: 0
; COMPUTE_PGM_RSRC2:TIDIG_COMP_CNT: 0
; COMPUTE_PGM_RSRC3_GFX90A:ACCUM_OFFSET: 7
; COMPUTE_PGM_RSRC3_GFX90A:TG_SPLIT: 0
	.section	.text._ZN9rocsolver6v33100L18getri_kernel_smallILi5E19rocblas_complex_numIfEPKPS3_EEvT1_iilPiilS8_bb,"axG",@progbits,_ZN9rocsolver6v33100L18getri_kernel_smallILi5E19rocblas_complex_numIfEPKPS3_EEvT1_iilPiilS8_bb,comdat
	.globl	_ZN9rocsolver6v33100L18getri_kernel_smallILi5E19rocblas_complex_numIfEPKPS3_EEvT1_iilPiilS8_bb ; -- Begin function _ZN9rocsolver6v33100L18getri_kernel_smallILi5E19rocblas_complex_numIfEPKPS3_EEvT1_iilPiilS8_bb
	.p2align	8
	.type	_ZN9rocsolver6v33100L18getri_kernel_smallILi5E19rocblas_complex_numIfEPKPS3_EEvT1_iilPiilS8_bb,@function
_ZN9rocsolver6v33100L18getri_kernel_smallILi5E19rocblas_complex_numIfEPKPS3_EEvT1_iilPiilS8_bb: ; @_ZN9rocsolver6v33100L18getri_kernel_smallILi5E19rocblas_complex_numIfEPKPS3_EEvT1_iilPiilS8_bb
; %bb.0:
	v_cmp_gt_u32_e32 vcc, 5, v0
	s_and_saveexec_b64 s[4:5], vcc
	s_cbranch_execz .LBB68_34
; %bb.1:
	s_load_dword s14, s[0:1], 0x38
	s_load_dwordx2 s[8:9], s[0:1], 0x0
	s_load_dwordx4 s[4:7], s[0:1], 0x28
	s_waitcnt lgkmcnt(0)
	s_bitcmp1_b32 s14, 8
	s_cselect_b64 s[10:11], -1, 0
	s_ashr_i32 s3, s2, 31
	s_lshl_b64 s[12:13], s[2:3], 3
	s_add_u32 s8, s8, s12
	s_addc_u32 s9, s9, s13
	s_load_dwordx2 s[12:13], s[8:9], 0x0
	s_bfe_u32 s8, s14, 0x10008
	s_cmp_eq_u32 s8, 0
                                        ; implicit-def: $sgpr8_sgpr9
	s_cbranch_scc1 .LBB68_3
; %bb.2:
	s_load_dword s8, s[0:1], 0x20
	s_load_dwordx2 s[14:15], s[0:1], 0x18
	s_mul_i32 s9, s4, s3
	s_mul_hi_u32 s16, s4, s2
	s_add_i32 s16, s16, s9
	s_mul_i32 s5, s5, s2
	s_add_i32 s5, s16, s5
	s_mul_i32 s4, s4, s2
	s_waitcnt lgkmcnt(0)
	s_ashr_i32 s9, s8, 31
	s_lshl_b64 s[4:5], s[4:5], 2
	s_add_u32 s14, s14, s4
	s_addc_u32 s15, s15, s5
	s_lshl_b64 s[4:5], s[8:9], 2
	s_add_u32 s8, s14, s4
	s_addc_u32 s9, s15, s5
.LBB68_3:
	s_load_dwordx2 s[4:5], s[0:1], 0x8
	s_load_dword s14, s[0:1], 0x38
	v_lshlrev_b32_e32 v2, 3, v0
	v_mov_b32_e32 v3, 0
	s_waitcnt lgkmcnt(0)
	s_ashr_i32 s1, s4, 31
	s_mov_b32 s0, s4
	s_lshl_b64 s[0:1], s[0:1], 3
	s_add_u32 s0, s12, s0
	s_addc_u32 s1, s13, s1
	v_lshl_add_u64 v[4:5], s[0:1], 0, v[2:3]
	flat_load_dwordx2 v[8:9], v[4:5]
	s_mov_b32 s12, s5
	s_ashr_i32 s13, s5, 31
	v_lshl_add_u64 v[6:7], s[12:13], 3, v[4:5]
	s_add_i32 s4, s5, s5
	v_add_u32_e32 v12, s4, v0
	v_ashrrev_i32_e32 v13, 31, v12
	s_bitcmp0_b32 s14, 0
	s_waitcnt vmcnt(0) lgkmcnt(0)
	scratch_store_dwordx2 off, v[8:9], off
	flat_load_dwordx2 v[10:11], v[6:7]
	v_lshl_add_u64 v[8:9], v[12:13], 3, s[0:1]
	v_add_u32_e32 v12, s5, v12
	v_ashrrev_i32_e32 v13, 31, v12
	s_waitcnt vmcnt(0) lgkmcnt(0)
	scratch_store_dwordx2 off, v[10:11], off offset:8
	flat_load_dwordx2 v[14:15], v[8:9]
	v_lshl_add_u64 v[10:11], v[12:13], 3, s[0:1]
	v_add_u32_e32 v12, s5, v12
	v_ashrrev_i32_e32 v13, 31, v12
	v_lshl_add_u64 v[12:13], v[12:13], 3, s[0:1]
	s_mov_b64 s[4:5], -1
	s_waitcnt vmcnt(0) lgkmcnt(0)
	scratch_store_dwordx2 off, v[14:15], off offset:16
	flat_load_dwordx2 v[14:15], v[10:11]
	s_waitcnt vmcnt(0) lgkmcnt(0)
	scratch_store_dwordx2 off, v[14:15], off offset:24
	flat_load_dwordx2 v[14:15], v[12:13]
	s_waitcnt vmcnt(0) lgkmcnt(0)
	scratch_store_dwordx2 off, v[14:15], off offset:32
	s_cbranch_scc1 .LBB68_32
; %bb.4:
	v_cmp_eq_u32_e64 s[0:1], 0, v0
	s_and_saveexec_b64 s[4:5], s[0:1]
; %bb.5:
	v_mov_b32_e32 v1, 0
	ds_write_b32 v1, v1 offset:40
; %bb.6:
	s_or_b64 exec, exec, s[4:5]
	s_waitcnt lgkmcnt(0)
	; wave barrier
	scratch_load_dwordx2 v[14:15], v2, off
	s_waitcnt vmcnt(0)
	v_cmp_eq_f32_e32 vcc, 0, v14
	v_cmp_eq_f32_e64 s[4:5], 0, v15
	s_and_b64 s[4:5], vcc, s[4:5]
	s_and_saveexec_b64 s[12:13], s[4:5]
	s_cbranch_execz .LBB68_10
; %bb.7:
	v_mov_b32_e32 v1, 0
	ds_read_b32 v14, v1 offset:40
	v_add_u32_e32 v3, 1, v0
	s_waitcnt lgkmcnt(0)
	v_readfirstlane_b32 s4, v14
	s_cmp_eq_u32 s4, 0
	s_cselect_b64 s[14:15], -1, 0
	v_cmp_gt_i32_e32 vcc, s4, v3
	s_or_b64 s[14:15], s[14:15], vcc
	s_and_b64 exec, exec, s[14:15]
	s_cbranch_execz .LBB68_10
; %bb.8:
	s_mov_b64 s[14:15], 0
	v_mov_b32_e32 v14, s4
.LBB68_9:                               ; =>This Inner Loop Header: Depth=1
	ds_cmpst_rtn_b32 v14, v1, v14, v3 offset:40
	s_waitcnt lgkmcnt(0)
	v_cmp_ne_u32_e32 vcc, 0, v14
	v_cmp_le_i32_e64 s[4:5], v14, v3
	s_and_b64 s[4:5], vcc, s[4:5]
	s_and_b64 s[4:5], exec, s[4:5]
	s_or_b64 s[14:15], s[4:5], s[14:15]
	s_andn2_b64 exec, exec, s[14:15]
	s_cbranch_execnz .LBB68_9
.LBB68_10:
	s_or_b64 exec, exec, s[12:13]
	v_mov_b32_e32 v3, 0
	; wave barrier
	ds_read_b32 v1, v3 offset:40
	s_and_saveexec_b64 s[4:5], s[0:1]
	s_cbranch_execz .LBB68_12
; %bb.11:
	s_lshl_b64 s[12:13], s[2:3], 2
	s_add_u32 s12, s6, s12
	s_addc_u32 s13, s7, s13
	s_waitcnt lgkmcnt(0)
	global_store_dword v3, v1, s[12:13]
.LBB68_12:
	s_or_b64 exec, exec, s[4:5]
	s_waitcnt lgkmcnt(0)
	v_cmp_ne_u32_e32 vcc, 0, v1
	s_mov_b64 s[4:5], 0
	s_cbranch_vccnz .LBB68_32
; %bb.13:
	v_mov_b32_e32 v3, v2
	scratch_load_dwordx2 v[14:15], v3, off
                                        ; implicit-def: $vgpr17
                                        ; implicit-def: $vgpr18
	s_waitcnt vmcnt(0)
	v_cmp_ngt_f32_e64 s[4:5], |v14|, |v15|
	s_and_saveexec_b64 s[12:13], s[4:5]
	s_xor_b64 s[4:5], exec, s[12:13]
	s_cbranch_execz .LBB68_15
; %bb.14:
	v_div_scale_f32 v1, s[12:13], v15, v15, v14
	v_rcp_f32_e32 v16, v1
	v_div_scale_f32 v17, vcc, v14, v15, v14
	v_fma_f32 v18, -v1, v16, 1.0
	v_fmac_f32_e32 v16, v18, v16
	v_mul_f32_e32 v18, v17, v16
	v_fma_f32 v19, -v1, v18, v17
	v_fmac_f32_e32 v18, v19, v16
	v_fma_f32 v1, -v1, v18, v17
	v_div_fmas_f32 v1, v1, v16, v18
	v_div_fixup_f32 v1, v1, v15, v14
	v_fmac_f32_e32 v15, v14, v1
	v_div_scale_f32 v14, s[12:13], v15, v15, -1.0
	v_rcp_f32_e32 v16, v14
	s_nop 0
	v_fma_f32 v17, -v14, v16, 1.0
	v_fmac_f32_e32 v16, v17, v16
	v_div_scale_f32 v17, vcc, -1.0, v15, -1.0
	v_mul_f32_e32 v18, v17, v16
	v_fma_f32 v19, -v14, v18, v17
	v_fmac_f32_e32 v18, v19, v16
	v_fma_f32 v14, -v14, v18, v17
	v_div_fmas_f32 v14, v14, v16, v18
	v_div_fixup_f32 v17, v14, v15, -1.0
	v_mul_f32_e32 v18, v1, v17
	v_xor_b32_e32 v16, 0x80000000, v18
                                        ; implicit-def: $vgpr14_vgpr15
.LBB68_15:
	s_andn2_saveexec_b64 s[4:5], s[4:5]
	s_cbranch_execz .LBB68_17
; %bb.16:
	v_div_scale_f32 v1, s[12:13], v14, v14, v15
	v_rcp_f32_e32 v16, v1
	v_div_scale_f32 v17, vcc, v15, v14, v15
	v_fma_f32 v18, -v1, v16, 1.0
	v_fmac_f32_e32 v16, v18, v16
	v_mul_f32_e32 v18, v17, v16
	v_fma_f32 v19, -v1, v18, v17
	v_fmac_f32_e32 v18, v19, v16
	v_fma_f32 v1, -v1, v18, v17
	v_div_fmas_f32 v1, v1, v16, v18
	v_div_fixup_f32 v1, v1, v14, v15
	v_fmac_f32_e32 v14, v15, v1
	v_div_scale_f32 v15, s[12:13], v14, v14, 1.0
	v_rcp_f32_e32 v16, v15
	s_nop 0
	v_fma_f32 v17, -v15, v16, 1.0
	v_fmac_f32_e32 v16, v17, v16
	v_div_scale_f32 v17, vcc, 1.0, v14, 1.0
	v_mul_f32_e32 v18, v17, v16
	v_fma_f32 v19, -v15, v18, v17
	v_fmac_f32_e32 v18, v19, v16
	v_fma_f32 v15, -v15, v18, v17
	v_div_fmas_f32 v15, v15, v16, v18
	v_div_fixup_f32 v16, v15, v14, 1.0
	v_xor_b32_e32 v18, 0x80000000, v16
	v_mul_f32_e64 v17, v1, -v16
.LBB68_17:
	s_or_b64 exec, exec, s[4:5]
	scratch_store_dwordx2 v3, v[16:17], off
	scratch_load_dwordx2 v[14:15], off, off offset:8
	v_xor_b32_e32 v19, 0x80000000, v17
	v_add_u32_e32 v1, 48, v2
	s_waitcnt vmcnt(0)
	ds_write2_b64 v2, v[18:19], v[14:15] offset1:6
	s_waitcnt lgkmcnt(0)
	; wave barrier
	s_and_saveexec_b64 s[4:5], s[0:1]
	s_cbranch_execz .LBB68_19
; %bb.18:
	scratch_load_dwordx2 v[14:15], v3, off
	ds_read_b64 v[16:17], v1
	v_mov_b32_e32 v18, 0
	ds_read_b64 v[18:19], v18 offset:8
	s_waitcnt vmcnt(0) lgkmcnt(1)
	v_pk_mul_f32 v[20:21], v[16:17], v[14:15] op_sel:[1,1] op_sel_hi:[0,1]
	v_pk_fma_f32 v[22:23], v[16:17], v[14:15], v[20:21] neg_lo:[0,0,1] neg_hi:[0,0,1]
	v_pk_fma_f32 v[14:15], v[16:17], v[14:15], v[20:21] op_sel_hi:[1,0,1]
	s_nop 0
	v_mov_b32_e32 v23, v15
	v_pk_add_f32 v[14:15], v[22:23], 0 op_sel_hi:[1,0]
	s_waitcnt lgkmcnt(0)
	v_pk_mul_f32 v[16:17], v[14:15], v[18:19] op_sel:[1,1] op_sel_hi:[0,1]
	v_pk_fma_f32 v[20:21], v[14:15], v[18:19], v[16:17] neg_lo:[0,0,1] neg_hi:[0,0,1]
	v_pk_fma_f32 v[14:15], v[14:15], v[18:19], v[16:17] op_sel_hi:[1,0,1]
	s_nop 0
	v_mov_b32_e32 v21, v15
	scratch_store_dwordx2 off, v[20:21], off offset:8
.LBB68_19:
	s_or_b64 exec, exec, s[4:5]
	; wave barrier
	scratch_load_dwordx2 v[14:15], off, off offset:16
	v_cmp_gt_u32_e32 vcc, 2, v0
	s_waitcnt vmcnt(0)
	ds_write_b64 v1, v[14:15]
	s_waitcnt lgkmcnt(0)
	; wave barrier
	s_and_saveexec_b64 s[4:5], vcc
	s_cbranch_execz .LBB68_23
; %bb.20:
	scratch_load_dwordx2 v[14:15], v3, off
	ds_read_b64 v[16:17], v1
	s_waitcnt vmcnt(0) lgkmcnt(0)
	v_pk_mul_f32 v[18:19], v[16:17], v[14:15] op_sel:[1,1] op_sel_hi:[0,1]
	v_pk_fma_f32 v[20:21], v[16:17], v[14:15], v[18:19] neg_lo:[0,0,1] neg_hi:[0,0,1]
	v_pk_fma_f32 v[14:15], v[16:17], v[14:15], v[18:19] op_sel_hi:[1,0,1]
	s_nop 0
	v_mov_b32_e32 v21, v15
	v_pk_add_f32 v[14:15], v[20:21], 0 op_sel_hi:[1,0]
	s_and_saveexec_b64 s[12:13], s[0:1]
	s_cbranch_execz .LBB68_22
; %bb.21:
	scratch_load_dwordx2 v[16:17], off, off offset:8
	v_mov_b32_e32 v3, 0
	ds_read_b64 v[18:19], v3 offset:56
	s_waitcnt vmcnt(0) lgkmcnt(0)
	v_pk_mul_f32 v[20:21], v[18:19], v[16:17] op_sel:[1,1] op_sel_hi:[0,1]
	v_pk_fma_f32 v[22:23], v[18:19], v[16:17], v[20:21] neg_lo:[0,0,1] neg_hi:[0,0,1]
	v_pk_fma_f32 v[16:17], v[18:19], v[16:17], v[20:21] op_sel_hi:[1,0,1]
	s_nop 0
	v_mov_b32_e32 v23, v17
	v_pk_add_f32 v[14:15], v[14:15], v[22:23]
.LBB68_22:
	s_or_b64 exec, exec, s[12:13]
	v_mov_b32_e32 v3, 0
	ds_read_b64 v[16:17], v3 offset:16
	s_waitcnt lgkmcnt(0)
	v_pk_mul_f32 v[18:19], v[14:15], v[16:17] op_sel:[1,1] op_sel_hi:[0,1]
	v_pk_fma_f32 v[20:21], v[14:15], v[16:17], v[18:19] neg_lo:[0,0,1] neg_hi:[0,0,1]
	v_pk_fma_f32 v[14:15], v[14:15], v[16:17], v[18:19] op_sel_hi:[1,0,1]
	s_nop 0
	v_mov_b32_e32 v21, v15
	scratch_store_dwordx2 off, v[20:21], off offset:16
.LBB68_23:
	s_or_b64 exec, exec, s[4:5]
	; wave barrier
	scratch_load_dwordx2 v[14:15], off, off offset:24
	v_cmp_gt_u32_e32 vcc, 3, v0
	v_add_u32_e32 v16, -1, v0
	s_waitcnt vmcnt(0)
	ds_write_b64 v1, v[14:15]
	s_waitcnt lgkmcnt(0)
	; wave barrier
	s_and_saveexec_b64 s[0:1], vcc
	s_cbranch_execz .LBB68_27
; %bb.24:
	v_mov_b32_e32 v14, 0
	v_add_u32_e32 v3, -1, v0
	v_add_u32_e32 v17, 48, v2
	v_mov_b32_e32 v18, v2
	s_mov_b64 s[4:5], 0
	v_mov_b32_e32 v15, v14
.LBB68_25:                              ; =>This Inner Loop Header: Depth=1
	scratch_load_dwordx2 v[20:21], v18, off
	ds_read_b64 v[22:23], v17
	v_add_u32_e32 v3, 1, v3
	v_cmp_lt_u32_e32 vcc, 1, v3
	v_add_u32_e32 v17, 8, v17
	v_add_u32_e32 v18, 8, v18
	s_or_b64 s[4:5], vcc, s[4:5]
	s_waitcnt vmcnt(0) lgkmcnt(0)
	v_pk_mul_f32 v[24:25], v[22:23], v[20:21] op_sel:[1,1] op_sel_hi:[0,1]
	v_pk_fma_f32 v[26:27], v[22:23], v[20:21], v[24:25] neg_lo:[0,0,1] neg_hi:[0,0,1]
	v_pk_fma_f32 v[20:21], v[22:23], v[20:21], v[24:25] op_sel_hi:[1,0,1]
	s_nop 0
	v_mov_b32_e32 v27, v21
	v_pk_add_f32 v[14:15], v[14:15], v[26:27]
	s_andn2_b64 exec, exec, s[4:5]
	s_cbranch_execnz .LBB68_25
; %bb.26:
	s_or_b64 exec, exec, s[4:5]
	v_mov_b32_e32 v3, 0
	ds_read_b64 v[18:19], v3 offset:24
	s_waitcnt lgkmcnt(0)
	v_pk_mul_f32 v[20:21], v[14:15], v[18:19] op_sel:[1,1] op_sel_hi:[0,1]
	v_pk_fma_f32 v[22:23], v[14:15], v[18:19], v[20:21] neg_lo:[0,0,1] neg_hi:[0,0,1]
	v_pk_fma_f32 v[14:15], v[14:15], v[18:19], v[20:21] op_sel_hi:[1,0,1]
	s_nop 0
	v_mov_b32_e32 v23, v15
	scratch_store_dwordx2 off, v[22:23], off offset:24
.LBB68_27:
	s_or_b64 exec, exec, s[0:1]
	; wave barrier
	scratch_load_dwordx2 v[14:15], off, off offset:32
	v_cmp_ne_u32_e32 vcc, 4, v0
	s_waitcnt vmcnt(0)
	ds_write_b64 v1, v[14:15]
	s_waitcnt lgkmcnt(0)
	; wave barrier
	s_and_saveexec_b64 s[0:1], vcc
	s_cbranch_execz .LBB68_31
; %bb.28:
	v_mov_b32_e32 v14, v2
	v_mov_b32_e32 v2, 0
	s_mov_b64 s[4:5], 0
	v_mov_b32_e32 v3, v2
.LBB68_29:                              ; =>This Inner Loop Header: Depth=1
	scratch_load_dwordx2 v[18:19], v14, off
	ds_read_b64 v[20:21], v1
	v_add_u32_e32 v16, 1, v16
	v_cmp_lt_u32_e32 vcc, 2, v16
	v_add_u32_e32 v1, 8, v1
	v_add_u32_e32 v14, 8, v14
	s_or_b64 s[4:5], vcc, s[4:5]
	s_waitcnt vmcnt(0) lgkmcnt(0)
	v_pk_mul_f32 v[22:23], v[20:21], v[18:19] op_sel:[1,1] op_sel_hi:[0,1]
	v_pk_fma_f32 v[24:25], v[20:21], v[18:19], v[22:23] neg_lo:[0,0,1] neg_hi:[0,0,1]
	v_pk_fma_f32 v[18:19], v[20:21], v[18:19], v[22:23] op_sel_hi:[1,0,1]
	s_nop 0
	v_mov_b32_e32 v25, v19
	v_pk_add_f32 v[2:3], v[2:3], v[24:25]
	s_andn2_b64 exec, exec, s[4:5]
	s_cbranch_execnz .LBB68_29
; %bb.30:
	s_or_b64 exec, exec, s[4:5]
	v_mov_b32_e32 v1, 0
	ds_read_b64 v[14:15], v1 offset:32
	s_waitcnt lgkmcnt(0)
	v_pk_mul_f32 v[16:17], v[2:3], v[14:15] op_sel:[1,1] op_sel_hi:[0,1]
	v_pk_fma_f32 v[18:19], v[2:3], v[14:15], v[16:17] neg_lo:[0,0,1] neg_hi:[0,0,1]
	v_pk_fma_f32 v[2:3], v[2:3], v[14:15], v[16:17] op_sel_hi:[1,0,1]
	s_nop 0
	v_mov_b32_e32 v19, v3
	scratch_store_dwordx2 off, v[18:19], off offset:32
.LBB68_31:
	s_or_b64 exec, exec, s[0:1]
	s_mov_b64 s[4:5], -1
	; wave barrier
.LBB68_32:
	s_and_b64 vcc, exec, s[4:5]
	s_cbranch_vccz .LBB68_34
; %bb.33:
	s_lshl_b64 s[0:1], s[2:3], 2
	s_add_u32 s0, s6, s0
	s_addc_u32 s1, s7, s1
	v_mov_b32_e32 v1, 0
	global_load_dword v1, v1, s[0:1]
	s_waitcnt vmcnt(0)
	v_cmp_ne_u32_e32 vcc, 0, v1
	s_cbranch_vccz .LBB68_35
.LBB68_34:
	s_endpgm
.LBB68_35:
	v_lshl_add_u32 v1, v0, 3, 48
	v_cmp_eq_u32_e32 vcc, 4, v0
	s_and_saveexec_b64 s[0:1], vcc
	s_cbranch_execz .LBB68_37
; %bb.36:
	scratch_load_dwordx2 v[2:3], off, off offset:24
	v_mov_b32_e32 v14, 0
	v_mov_b32_e32 v15, v14
	scratch_store_dwordx2 off, v[14:15], off offset:24
	s_waitcnt vmcnt(1)
	ds_write_b64 v1, v[2:3]
.LBB68_37:
	s_or_b64 exec, exec, s[0:1]
	s_waitcnt lgkmcnt(0)
	; wave barrier
	scratch_load_dwordx2 v[14:15], off, off offset:32
	scratch_load_dwordx2 v[16:17], off, off offset:24
	v_mov_b32_e32 v2, 0
	ds_read_b64 v[18:19], v2 offset:80
	v_cmp_lt_u32_e32 vcc, 2, v0
	s_waitcnt vmcnt(1) lgkmcnt(0)
	v_pk_mul_f32 v[20:21], v[18:19], v[14:15] op_sel:[1,1] op_sel_hi:[0,1]
	v_pk_fma_f32 v[22:23], v[18:19], v[14:15], v[20:21] neg_lo:[0,0,1] neg_hi:[0,0,1]
	v_pk_fma_f32 v[14:15], v[18:19], v[14:15], v[20:21] op_sel_hi:[1,0,1]
	s_nop 0
	v_mov_b32_e32 v23, v15
	v_pk_add_f32 v[14:15], v[22:23], 0 op_sel_hi:[1,0]
	s_waitcnt vmcnt(0)
	v_pk_add_f32 v[14:15], v[16:17], v[14:15] neg_lo:[0,1] neg_hi:[0,1]
	scratch_store_dwordx2 off, v[14:15], off offset:24
	s_and_saveexec_b64 s[0:1], vcc
	s_cbranch_execz .LBB68_39
; %bb.38:
	scratch_load_dwordx2 v[14:15], off, off offset:16
	v_mov_b32_e32 v3, v2
	scratch_store_dwordx2 off, v[2:3], off offset:16
	s_waitcnt vmcnt(1)
	ds_write_b64 v1, v[14:15]
.LBB68_39:
	s_or_b64 exec, exec, s[0:1]
	s_waitcnt lgkmcnt(0)
	; wave barrier
	scratch_load_dwordx4 v[14:17], off, off offset:24
	scratch_load_dwordx2 v[22:23], off, off offset:16
	ds_read2_b64 v[18:21], v2 offset0:9 offset1:10
	v_cmp_lt_u32_e32 vcc, 1, v0
	s_waitcnt vmcnt(1) lgkmcnt(0)
	v_pk_mul_f32 v[2:3], v[18:19], v[14:15] op_sel:[1,1] op_sel_hi:[0,1]
	v_mov_b32_e32 v24, v17
	v_pk_fma_f32 v[26:27], v[18:19], v[14:15], v[2:3] neg_lo:[0,0,1] neg_hi:[0,0,1]
	v_pk_fma_f32 v[2:3], v[18:19], v[14:15], v[2:3] op_sel_hi:[1,0,1]
	v_pk_mul_f32 v[14:15], v[20:21], v[24:25] op_sel:[1,0] op_sel_hi:[0,0]
	v_mov_b32_e32 v27, v3
	v_pk_fma_f32 v[2:3], v[20:21], v[16:17], v[14:15] neg_lo:[0,0,1] neg_hi:[0,0,1]
	v_pk_fma_f32 v[14:15], v[20:21], v[16:17], v[14:15] op_sel_hi:[1,0,1]
	v_pk_add_f32 v[16:17], v[26:27], 0 op_sel_hi:[1,0]
	v_mov_b32_e32 v3, v15
	v_pk_add_f32 v[2:3], v[16:17], v[2:3]
	s_waitcnt vmcnt(0)
	v_pk_add_f32 v[2:3], v[22:23], v[2:3] neg_lo:[0,1] neg_hi:[0,1]
	scratch_store_dwordx2 off, v[2:3], off offset:16
	s_and_saveexec_b64 s[0:1], vcc
	s_cbranch_execz .LBB68_41
; %bb.40:
	scratch_load_dwordx2 v[2:3], off, off offset:8
	v_mov_b32_e32 v14, 0
	v_mov_b32_e32 v15, v14
	scratch_store_dwordx2 off, v[14:15], off offset:8
	s_waitcnt vmcnt(1)
	ds_write_b64 v1, v[2:3]
.LBB68_41:
	s_or_b64 exec, exec, s[0:1]
	s_waitcnt lgkmcnt(0)
	; wave barrier
	scratch_load_dwordx4 v[16:19], off, off offset:16
	scratch_load_dwordx2 v[2:3], off, off offset:32
	scratch_load_dwordx2 v[24:25], off, off offset:8
	v_mov_b32_e32 v14, 0
	ds_read_b128 v[20:23], v14 offset:64
	ds_read_b64 v[26:27], v14 offset:80
	v_cmp_ne_u32_e32 vcc, 0, v0
	s_waitcnt vmcnt(2) lgkmcnt(1)
	v_pk_mul_f32 v[28:29], v[20:21], v[16:17] op_sel:[1,1] op_sel_hi:[0,1]
	v_mov_b32_e32 v30, v19
	s_waitcnt vmcnt(1) lgkmcnt(0)
	v_pk_mul_f32 v[32:33], v[26:27], v[2:3] op_sel:[1,1] op_sel_hi:[0,1]
	v_pk_fma_f32 v[34:35], v[20:21], v[16:17], v[28:29] neg_lo:[0,0,1] neg_hi:[0,0,1]
	v_pk_fma_f32 v[16:17], v[20:21], v[16:17], v[28:29] op_sel_hi:[1,0,1]
	v_pk_mul_f32 v[20:21], v[22:23], v[30:31] op_sel:[1,0] op_sel_hi:[0,0]
	v_pk_fma_f32 v[28:29], v[26:27], v[2:3], v[32:33] neg_lo:[0,0,1] neg_hi:[0,0,1]
	v_pk_fma_f32 v[2:3], v[26:27], v[2:3], v[32:33] op_sel_hi:[1,0,1]
	v_mov_b32_e32 v35, v17
	v_pk_fma_f32 v[16:17], v[22:23], v[18:19], v[20:21] neg_lo:[0,0,1] neg_hi:[0,0,1]
	v_pk_fma_f32 v[18:19], v[22:23], v[18:19], v[20:21] op_sel_hi:[1,0,1]
	v_mov_b32_e32 v29, v3
	v_pk_add_f32 v[2:3], v[34:35], 0 op_sel_hi:[1,0]
	v_mov_b32_e32 v17, v19
	v_pk_add_f32 v[2:3], v[2:3], v[16:17]
	s_nop 0
	v_pk_add_f32 v[2:3], v[2:3], v[28:29]
	s_waitcnt vmcnt(0)
	v_pk_add_f32 v[2:3], v[24:25], v[2:3] neg_lo:[0,1] neg_hi:[0,1]
	scratch_store_dwordx2 off, v[2:3], off offset:8
	s_and_saveexec_b64 s[0:1], vcc
	s_cbranch_execz .LBB68_43
; %bb.42:
	scratch_load_dwordx2 v[2:3], off, off
	v_mov_b32_e32 v15, v14
	scratch_store_dwordx2 off, v[14:15], off
	s_waitcnt vmcnt(1)
	ds_write_b64 v1, v[2:3]
.LBB68_43:
	s_or_b64 exec, exec, s[0:1]
	s_waitcnt lgkmcnt(0)
	; wave barrier
	scratch_load_dwordx4 v[16:19], off, off offset:8
	scratch_load_dwordx4 v[0:3], off, off offset:24
	scratch_load_dwordx2 v[28:29], off, off
	ds_read2_b64 v[20:23], v14 offset0:7 offset1:8
	ds_read2_b64 v[24:27], v14 offset0:9 offset1:10
	s_and_b64 vcc, exec, s[10:11]
	s_waitcnt vmcnt(2) lgkmcnt(1)
	v_pk_mul_f32 v[14:15], v[20:21], v[16:17] op_sel:[1,1] op_sel_hi:[0,1]
	v_mov_b32_e32 v30, v19
	s_waitcnt vmcnt(1)
	v_mov_b32_e32 v34, v3
	v_pk_fma_f32 v[36:37], v[20:21], v[16:17], v[14:15] neg_lo:[0,0,1] neg_hi:[0,0,1]
	v_pk_fma_f32 v[14:15], v[20:21], v[16:17], v[14:15] op_sel_hi:[1,0,1]
	v_pk_mul_f32 v[16:17], v[22:23], v[30:31] op_sel:[1,0] op_sel_hi:[0,0]
	s_waitcnt lgkmcnt(0)
	v_pk_mul_f32 v[32:33], v[24:25], v[0:1] op_sel:[1,1] op_sel_hi:[0,1]
	v_pk_mul_f32 v[30:31], v[26:27], v[34:35] op_sel:[1,0] op_sel_hi:[0,0]
	v_mov_b32_e32 v37, v15
	v_pk_fma_f32 v[14:15], v[22:23], v[18:19], v[16:17] neg_lo:[0,0,1] neg_hi:[0,0,1]
	v_pk_fma_f32 v[16:17], v[22:23], v[18:19], v[16:17] op_sel_hi:[1,0,1]
	v_pk_fma_f32 v[20:21], v[24:25], v[0:1], v[32:33] neg_lo:[0,0,1] neg_hi:[0,0,1]
	v_pk_fma_f32 v[24:25], v[24:25], v[0:1], v[32:33] op_sel_hi:[1,0,1]
	;; [unrolled: 2-line block ×3, first 2 shown]
	v_pk_add_f32 v[22:23], v[36:37], 0 op_sel_hi:[1,0]
	v_mov_b32_e32 v15, v17
	v_mov_b32_e32 v21, v25
	;; [unrolled: 1-line block ×3, first 2 shown]
	v_pk_add_f32 v[2:3], v[22:23], v[14:15]
	s_nop 0
	v_pk_add_f32 v[2:3], v[2:3], v[20:21]
	s_nop 0
	v_pk_add_f32 v[2:3], v[2:3], v[18:19]
	s_waitcnt vmcnt(0)
	v_pk_add_f32 v[2:3], v[28:29], v[2:3] neg_lo:[0,1] neg_hi:[0,1]
	scratch_store_dwordx2 off, v[2:3], off
	s_cbranch_vccz .LBB68_52
; %bb.44:
	v_mov_b32_e32 v2, 0
	global_load_dword v3, v2, s[8:9] offset:12
	s_waitcnt vmcnt(0)
	v_readfirstlane_b32 s0, v3
	s_add_i32 s0, s0, -1
	s_cmp_lg_u32 s0, 3
	s_cbranch_scc0 .LBB68_46
; %bb.45:
	s_lshl_b32 s0, s0, 3
	s_nop 0
	scratch_load_dwordx2 v[14:15], off, s0
	s_waitcnt vmcnt(0)
	scratch_store_dwordx2 off, v[14:15], off offset:24
	scratch_store_dwordx2 off, v[0:1], s0
.LBB68_46:
	global_load_dword v0, v2, s[8:9] offset:8
	s_waitcnt vmcnt(0)
	v_readfirstlane_b32 s0, v0
	s_add_i32 s0, s0, -1
	s_cmp_eq_u32 s0, 2
	s_cbranch_scc1 .LBB68_48
; %bb.47:
	s_lshl_b32 s0, s0, 3
	s_nop 0
	scratch_load_dwordx2 v[0:1], off, s0
	scratch_load_dwordx2 v[2:3], off, off offset:16
	s_waitcnt vmcnt(1)
	scratch_store_dwordx2 off, v[0:1], off offset:16
	s_waitcnt vmcnt(1)
	scratch_store_dwordx2 off, v[2:3], s0
.LBB68_48:
	v_mov_b32_e32 v0, 0
	global_load_dword v1, v0, s[8:9] offset:4
	s_waitcnt vmcnt(0)
	v_readfirstlane_b32 s0, v1
	s_add_i32 s0, s0, -1
	s_cmp_eq_u32 s0, 1
	s_cbranch_scc1 .LBB68_50
; %bb.49:
	s_lshl_b32 s0, s0, 3
	s_nop 0
	scratch_load_dwordx2 v[2:3], off, s0
	scratch_load_dwordx2 v[14:15], off, off offset:8
	s_waitcnt vmcnt(1)
	scratch_store_dwordx2 off, v[2:3], off offset:8
	s_waitcnt vmcnt(1)
	scratch_store_dwordx2 off, v[14:15], s0
.LBB68_50:
	global_load_dword v0, v0, s[8:9]
	s_nop 0
	scratch_load_dwordx2 v[2:3], off, off
	s_waitcnt vmcnt(1)
	v_readfirstlane_b32 s0, v0
	s_add_i32 s0, s0, -1
	s_cmp_eq_u32 s0, 0
	s_cbranch_scc1 .LBB68_52
; %bb.51:
	s_lshl_b32 s0, s0, 3
	s_nop 0
	scratch_load_dwordx2 v[0:1], off, s0
	s_waitcnt vmcnt(0)
	scratch_store_dwordx2 off, v[0:1], off
	scratch_store_dwordx2 off, v[2:3], s0
	scratch_load_dwordx2 v[2:3], off, off
.LBB68_52:
	s_waitcnt vmcnt(0)
	flat_store_dwordx2 v[4:5], v[2:3]
	scratch_load_dwordx2 v[0:1], off, off offset:8
	s_waitcnt vmcnt(0)
	flat_store_dwordx2 v[6:7], v[0:1]
	scratch_load_dwordx2 v[0:1], off, off offset:16
	;; [unrolled: 3-line block ×4, first 2 shown]
	s_waitcnt vmcnt(0)
	flat_store_dwordx2 v[12:13], v[0:1]
	s_endpgm
	.section	.rodata,"a",@progbits
	.p2align	6, 0x0
	.amdhsa_kernel _ZN9rocsolver6v33100L18getri_kernel_smallILi5E19rocblas_complex_numIfEPKPS3_EEvT1_iilPiilS8_bb
		.amdhsa_group_segment_fixed_size 88
		.amdhsa_private_segment_fixed_size 48
		.amdhsa_kernarg_size 60
		.amdhsa_user_sgpr_count 2
		.amdhsa_user_sgpr_dispatch_ptr 0
		.amdhsa_user_sgpr_queue_ptr 0
		.amdhsa_user_sgpr_kernarg_segment_ptr 1
		.amdhsa_user_sgpr_dispatch_id 0
		.amdhsa_user_sgpr_kernarg_preload_length 0
		.amdhsa_user_sgpr_kernarg_preload_offset 0
		.amdhsa_user_sgpr_private_segment_size 0
		.amdhsa_uses_dynamic_stack 0
		.amdhsa_enable_private_segment 1
		.amdhsa_system_sgpr_workgroup_id_x 1
		.amdhsa_system_sgpr_workgroup_id_y 0
		.amdhsa_system_sgpr_workgroup_id_z 0
		.amdhsa_system_sgpr_workgroup_info 0
		.amdhsa_system_vgpr_workitem_id 0
		.amdhsa_next_free_vgpr 38
		.amdhsa_next_free_sgpr 17
		.amdhsa_accum_offset 40
		.amdhsa_reserve_vcc 1
		.amdhsa_float_round_mode_32 0
		.amdhsa_float_round_mode_16_64 0
		.amdhsa_float_denorm_mode_32 3
		.amdhsa_float_denorm_mode_16_64 3
		.amdhsa_dx10_clamp 1
		.amdhsa_ieee_mode 1
		.amdhsa_fp16_overflow 0
		.amdhsa_tg_split 0
		.amdhsa_exception_fp_ieee_invalid_op 0
		.amdhsa_exception_fp_denorm_src 0
		.amdhsa_exception_fp_ieee_div_zero 0
		.amdhsa_exception_fp_ieee_overflow 0
		.amdhsa_exception_fp_ieee_underflow 0
		.amdhsa_exception_fp_ieee_inexact 0
		.amdhsa_exception_int_div_zero 0
	.end_amdhsa_kernel
	.section	.text._ZN9rocsolver6v33100L18getri_kernel_smallILi5E19rocblas_complex_numIfEPKPS3_EEvT1_iilPiilS8_bb,"axG",@progbits,_ZN9rocsolver6v33100L18getri_kernel_smallILi5E19rocblas_complex_numIfEPKPS3_EEvT1_iilPiilS8_bb,comdat
.Lfunc_end68:
	.size	_ZN9rocsolver6v33100L18getri_kernel_smallILi5E19rocblas_complex_numIfEPKPS3_EEvT1_iilPiilS8_bb, .Lfunc_end68-_ZN9rocsolver6v33100L18getri_kernel_smallILi5E19rocblas_complex_numIfEPKPS3_EEvT1_iilPiilS8_bb
                                        ; -- End function
	.set _ZN9rocsolver6v33100L18getri_kernel_smallILi5E19rocblas_complex_numIfEPKPS3_EEvT1_iilPiilS8_bb.num_vgpr, 38
	.set _ZN9rocsolver6v33100L18getri_kernel_smallILi5E19rocblas_complex_numIfEPKPS3_EEvT1_iilPiilS8_bb.num_agpr, 0
	.set _ZN9rocsolver6v33100L18getri_kernel_smallILi5E19rocblas_complex_numIfEPKPS3_EEvT1_iilPiilS8_bb.numbered_sgpr, 17
	.set _ZN9rocsolver6v33100L18getri_kernel_smallILi5E19rocblas_complex_numIfEPKPS3_EEvT1_iilPiilS8_bb.num_named_barrier, 0
	.set _ZN9rocsolver6v33100L18getri_kernel_smallILi5E19rocblas_complex_numIfEPKPS3_EEvT1_iilPiilS8_bb.private_seg_size, 48
	.set _ZN9rocsolver6v33100L18getri_kernel_smallILi5E19rocblas_complex_numIfEPKPS3_EEvT1_iilPiilS8_bb.uses_vcc, 1
	.set _ZN9rocsolver6v33100L18getri_kernel_smallILi5E19rocblas_complex_numIfEPKPS3_EEvT1_iilPiilS8_bb.uses_flat_scratch, 0
	.set _ZN9rocsolver6v33100L18getri_kernel_smallILi5E19rocblas_complex_numIfEPKPS3_EEvT1_iilPiilS8_bb.has_dyn_sized_stack, 0
	.set _ZN9rocsolver6v33100L18getri_kernel_smallILi5E19rocblas_complex_numIfEPKPS3_EEvT1_iilPiilS8_bb.has_recursion, 0
	.set _ZN9rocsolver6v33100L18getri_kernel_smallILi5E19rocblas_complex_numIfEPKPS3_EEvT1_iilPiilS8_bb.has_indirect_call, 0
	.section	.AMDGPU.csdata,"",@progbits
; Kernel info:
; codeLenInByte = 3160
; TotalNumSgprs: 23
; NumVgprs: 38
; NumAgprs: 0
; TotalNumVgprs: 38
; ScratchSize: 48
; MemoryBound: 0
; FloatMode: 240
; IeeeMode: 1
; LDSByteSize: 88 bytes/workgroup (compile time only)
; SGPRBlocks: 2
; VGPRBlocks: 4
; NumSGPRsForWavesPerEU: 23
; NumVGPRsForWavesPerEU: 38
; AccumOffset: 40
; Occupancy: 8
; WaveLimiterHint : 1
; COMPUTE_PGM_RSRC2:SCRATCH_EN: 1
; COMPUTE_PGM_RSRC2:USER_SGPR: 2
; COMPUTE_PGM_RSRC2:TRAP_HANDLER: 0
; COMPUTE_PGM_RSRC2:TGID_X_EN: 1
; COMPUTE_PGM_RSRC2:TGID_Y_EN: 0
; COMPUTE_PGM_RSRC2:TGID_Z_EN: 0
; COMPUTE_PGM_RSRC2:TIDIG_COMP_CNT: 0
; COMPUTE_PGM_RSRC3_GFX90A:ACCUM_OFFSET: 9
; COMPUTE_PGM_RSRC3_GFX90A:TG_SPLIT: 0
	.section	.text._ZN9rocsolver6v33100L18getri_kernel_smallILi6E19rocblas_complex_numIfEPKPS3_EEvT1_iilPiilS8_bb,"axG",@progbits,_ZN9rocsolver6v33100L18getri_kernel_smallILi6E19rocblas_complex_numIfEPKPS3_EEvT1_iilPiilS8_bb,comdat
	.globl	_ZN9rocsolver6v33100L18getri_kernel_smallILi6E19rocblas_complex_numIfEPKPS3_EEvT1_iilPiilS8_bb ; -- Begin function _ZN9rocsolver6v33100L18getri_kernel_smallILi6E19rocblas_complex_numIfEPKPS3_EEvT1_iilPiilS8_bb
	.p2align	8
	.type	_ZN9rocsolver6v33100L18getri_kernel_smallILi6E19rocblas_complex_numIfEPKPS3_EEvT1_iilPiilS8_bb,@function
_ZN9rocsolver6v33100L18getri_kernel_smallILi6E19rocblas_complex_numIfEPKPS3_EEvT1_iilPiilS8_bb: ; @_ZN9rocsolver6v33100L18getri_kernel_smallILi6E19rocblas_complex_numIfEPKPS3_EEvT1_iilPiilS8_bb
; %bb.0:
	v_cmp_gt_u32_e32 vcc, 6, v0
	s_and_saveexec_b64 s[4:5], vcc
	s_cbranch_execz .LBB69_38
; %bb.1:
	s_load_dword s14, s[0:1], 0x38
	s_load_dwordx2 s[8:9], s[0:1], 0x0
	s_load_dwordx4 s[4:7], s[0:1], 0x28
	s_waitcnt lgkmcnt(0)
	s_bitcmp1_b32 s14, 8
	s_cselect_b64 s[10:11], -1, 0
	s_ashr_i32 s3, s2, 31
	s_lshl_b64 s[12:13], s[2:3], 3
	s_add_u32 s8, s8, s12
	s_addc_u32 s9, s9, s13
	s_load_dwordx2 s[12:13], s[8:9], 0x0
	s_bfe_u32 s8, s14, 0x10008
	s_cmp_eq_u32 s8, 0
                                        ; implicit-def: $sgpr8_sgpr9
	s_cbranch_scc1 .LBB69_3
; %bb.2:
	s_load_dword s8, s[0:1], 0x20
	s_load_dwordx2 s[14:15], s[0:1], 0x18
	s_mul_i32 s9, s4, s3
	s_mul_hi_u32 s16, s4, s2
	s_add_i32 s16, s16, s9
	s_mul_i32 s5, s5, s2
	s_add_i32 s5, s16, s5
	s_mul_i32 s4, s4, s2
	s_waitcnt lgkmcnt(0)
	s_ashr_i32 s9, s8, 31
	s_lshl_b64 s[4:5], s[4:5], 2
	s_add_u32 s14, s14, s4
	s_addc_u32 s15, s15, s5
	s_lshl_b64 s[4:5], s[8:9], 2
	s_add_u32 s8, s14, s4
	s_addc_u32 s9, s15, s5
.LBB69_3:
	s_load_dwordx2 s[4:5], s[0:1], 0x8
	s_load_dword s14, s[0:1], 0x38
	v_lshlrev_b32_e32 v2, 3, v0
	v_mov_b32_e32 v3, 0
	s_waitcnt lgkmcnt(0)
	s_ashr_i32 s1, s4, 31
	s_mov_b32 s0, s4
	s_lshl_b64 s[0:1], s[0:1], 3
	s_add_u32 s0, s12, s0
	s_addc_u32 s1, s13, s1
	v_lshl_add_u64 v[4:5], s[0:1], 0, v[2:3]
	flat_load_dwordx2 v[8:9], v[4:5]
	s_mov_b32 s12, s5
	s_ashr_i32 s13, s5, 31
	v_lshl_add_u64 v[6:7], s[12:13], 3, v[4:5]
	s_add_i32 s4, s5, s5
	v_add_u32_e32 v12, s4, v0
	v_ashrrev_i32_e32 v13, 31, v12
	s_bitcmp0_b32 s14, 0
	s_waitcnt vmcnt(0) lgkmcnt(0)
	scratch_store_dwordx2 off, v[8:9], off
	flat_load_dwordx2 v[10:11], v[6:7]
	v_lshl_add_u64 v[8:9], v[12:13], 3, s[0:1]
	v_add_u32_e32 v12, s5, v12
	v_ashrrev_i32_e32 v13, 31, v12
	v_add_u32_e32 v16, s5, v12
	v_ashrrev_i32_e32 v17, 31, v16
	s_waitcnt vmcnt(0) lgkmcnt(0)
	scratch_store_dwordx2 off, v[10:11], off offset:8
	flat_load_dwordx2 v[14:15], v[8:9]
	v_lshl_add_u64 v[10:11], v[12:13], 3, s[0:1]
	v_lshl_add_u64 v[12:13], v[16:17], 3, s[0:1]
	s_waitcnt vmcnt(0) lgkmcnt(0)
	scratch_store_dwordx2 off, v[14:15], off offset:16
	flat_load_dwordx2 v[14:15], v[10:11]
	s_waitcnt vmcnt(0) lgkmcnt(0)
	scratch_store_dwordx2 off, v[14:15], off offset:24
	flat_load_dwordx2 v[18:19], v[12:13]
	v_add_u32_e32 v14, s5, v16
	v_ashrrev_i32_e32 v15, 31, v14
	v_lshl_add_u64 v[14:15], v[14:15], 3, s[0:1]
	s_mov_b64 s[4:5], -1
	s_waitcnt vmcnt(0) lgkmcnt(0)
	scratch_store_dwordx2 off, v[18:19], off offset:32
	flat_load_dwordx2 v[16:17], v[14:15]
	s_waitcnt vmcnt(0) lgkmcnt(0)
	scratch_store_dwordx2 off, v[16:17], off offset:40
	s_cbranch_scc1 .LBB69_36
; %bb.4:
	v_cmp_eq_u32_e64 s[0:1], 0, v0
	s_and_saveexec_b64 s[4:5], s[0:1]
; %bb.5:
	v_mov_b32_e32 v1, 0
	ds_write_b32 v1, v1 offset:96
; %bb.6:
	s_or_b64 exec, exec, s[4:5]
	s_waitcnt lgkmcnt(0)
	; wave barrier
	scratch_load_dwordx2 v[16:17], v2, off
	s_waitcnt vmcnt(0)
	v_cmp_eq_f32_e32 vcc, 0, v16
	v_cmp_eq_f32_e64 s[4:5], 0, v17
	s_and_b64 s[4:5], vcc, s[4:5]
	s_and_saveexec_b64 s[12:13], s[4:5]
	s_cbranch_execz .LBB69_10
; %bb.7:
	v_mov_b32_e32 v1, 0
	ds_read_b32 v16, v1 offset:96
	v_add_u32_e32 v3, 1, v0
	s_waitcnt lgkmcnt(0)
	v_readfirstlane_b32 s4, v16
	s_cmp_eq_u32 s4, 0
	s_cselect_b64 s[14:15], -1, 0
	v_cmp_gt_i32_e32 vcc, s4, v3
	s_or_b64 s[14:15], s[14:15], vcc
	s_and_b64 exec, exec, s[14:15]
	s_cbranch_execz .LBB69_10
; %bb.8:
	s_mov_b64 s[14:15], 0
	v_mov_b32_e32 v16, s4
.LBB69_9:                               ; =>This Inner Loop Header: Depth=1
	ds_cmpst_rtn_b32 v16, v1, v16, v3 offset:96
	s_waitcnt lgkmcnt(0)
	v_cmp_ne_u32_e32 vcc, 0, v16
	v_cmp_le_i32_e64 s[4:5], v16, v3
	s_and_b64 s[4:5], vcc, s[4:5]
	s_and_b64 s[4:5], exec, s[4:5]
	s_or_b64 s[14:15], s[4:5], s[14:15]
	s_andn2_b64 exec, exec, s[14:15]
	s_cbranch_execnz .LBB69_9
.LBB69_10:
	s_or_b64 exec, exec, s[12:13]
	v_mov_b32_e32 v3, 0
	; wave barrier
	ds_read_b32 v1, v3 offset:96
	s_and_saveexec_b64 s[4:5], s[0:1]
	s_cbranch_execz .LBB69_12
; %bb.11:
	s_lshl_b64 s[12:13], s[2:3], 2
	s_add_u32 s12, s6, s12
	s_addc_u32 s13, s7, s13
	s_waitcnt lgkmcnt(0)
	global_store_dword v3, v1, s[12:13]
.LBB69_12:
	s_or_b64 exec, exec, s[4:5]
	s_waitcnt lgkmcnt(0)
	v_cmp_ne_u32_e32 vcc, 0, v1
	s_mov_b64 s[4:5], 0
	s_cbranch_vccnz .LBB69_36
; %bb.13:
	v_mov_b32_e32 v3, v2
	scratch_load_dwordx2 v[16:17], v3, off
                                        ; implicit-def: $vgpr19
                                        ; implicit-def: $vgpr20
	s_waitcnt vmcnt(0)
	v_cmp_ngt_f32_e64 s[4:5], |v16|, |v17|
	s_and_saveexec_b64 s[12:13], s[4:5]
	s_xor_b64 s[4:5], exec, s[12:13]
	s_cbranch_execz .LBB69_15
; %bb.14:
	v_div_scale_f32 v1, s[12:13], v17, v17, v16
	v_rcp_f32_e32 v18, v1
	v_div_scale_f32 v19, vcc, v16, v17, v16
	v_fma_f32 v20, -v1, v18, 1.0
	v_fmac_f32_e32 v18, v20, v18
	v_mul_f32_e32 v20, v19, v18
	v_fma_f32 v21, -v1, v20, v19
	v_fmac_f32_e32 v20, v21, v18
	v_fma_f32 v1, -v1, v20, v19
	v_div_fmas_f32 v1, v1, v18, v20
	v_div_fixup_f32 v1, v1, v17, v16
	v_fmac_f32_e32 v17, v16, v1
	v_div_scale_f32 v16, s[12:13], v17, v17, -1.0
	v_rcp_f32_e32 v18, v16
	s_nop 0
	v_fma_f32 v19, -v16, v18, 1.0
	v_fmac_f32_e32 v18, v19, v18
	v_div_scale_f32 v19, vcc, -1.0, v17, -1.0
	v_mul_f32_e32 v20, v19, v18
	v_fma_f32 v21, -v16, v20, v19
	v_fmac_f32_e32 v20, v21, v18
	v_fma_f32 v16, -v16, v20, v19
	v_div_fmas_f32 v16, v16, v18, v20
	v_div_fixup_f32 v19, v16, v17, -1.0
	v_mul_f32_e32 v20, v1, v19
	v_xor_b32_e32 v18, 0x80000000, v20
                                        ; implicit-def: $vgpr16_vgpr17
.LBB69_15:
	s_andn2_saveexec_b64 s[4:5], s[4:5]
	s_cbranch_execz .LBB69_17
; %bb.16:
	v_div_scale_f32 v1, s[12:13], v16, v16, v17
	v_rcp_f32_e32 v18, v1
	v_div_scale_f32 v19, vcc, v17, v16, v17
	v_fma_f32 v20, -v1, v18, 1.0
	v_fmac_f32_e32 v18, v20, v18
	v_mul_f32_e32 v20, v19, v18
	v_fma_f32 v21, -v1, v20, v19
	v_fmac_f32_e32 v20, v21, v18
	v_fma_f32 v1, -v1, v20, v19
	v_div_fmas_f32 v1, v1, v18, v20
	v_div_fixup_f32 v1, v1, v16, v17
	v_fmac_f32_e32 v16, v17, v1
	v_div_scale_f32 v17, s[12:13], v16, v16, 1.0
	v_rcp_f32_e32 v18, v17
	s_nop 0
	v_fma_f32 v19, -v17, v18, 1.0
	v_fmac_f32_e32 v18, v19, v18
	v_div_scale_f32 v19, vcc, 1.0, v16, 1.0
	v_mul_f32_e32 v20, v19, v18
	v_fma_f32 v21, -v17, v20, v19
	v_fmac_f32_e32 v20, v21, v18
	v_fma_f32 v17, -v17, v20, v19
	v_div_fmas_f32 v17, v17, v18, v20
	v_div_fixup_f32 v18, v17, v16, 1.0
	v_xor_b32_e32 v20, 0x80000000, v18
	v_mul_f32_e64 v19, v1, -v18
.LBB69_17:
	s_or_b64 exec, exec, s[4:5]
	scratch_store_dwordx2 v3, v[18:19], off
	scratch_load_dwordx2 v[16:17], off, off offset:8
	v_xor_b32_e32 v21, 0x80000000, v19
	v_add_u32_e32 v1, 48, v2
	s_waitcnt vmcnt(0)
	ds_write2_b64 v2, v[20:21], v[16:17] offset1:6
	s_waitcnt lgkmcnt(0)
	; wave barrier
	s_and_saveexec_b64 s[4:5], s[0:1]
	s_cbranch_execz .LBB69_19
; %bb.18:
	scratch_load_dwordx2 v[16:17], v3, off
	ds_read_b64 v[18:19], v1
	v_mov_b32_e32 v20, 0
	ds_read_b64 v[20:21], v20 offset:8
	s_waitcnt vmcnt(0) lgkmcnt(1)
	v_pk_mul_f32 v[22:23], v[18:19], v[16:17] op_sel:[1,1] op_sel_hi:[0,1]
	v_pk_fma_f32 v[24:25], v[18:19], v[16:17], v[22:23] neg_lo:[0,0,1] neg_hi:[0,0,1]
	v_pk_fma_f32 v[16:17], v[18:19], v[16:17], v[22:23] op_sel_hi:[1,0,1]
	s_nop 0
	v_mov_b32_e32 v25, v17
	v_pk_add_f32 v[16:17], v[24:25], 0 op_sel_hi:[1,0]
	s_waitcnt lgkmcnt(0)
	v_pk_mul_f32 v[18:19], v[16:17], v[20:21] op_sel:[1,1] op_sel_hi:[0,1]
	v_pk_fma_f32 v[22:23], v[16:17], v[20:21], v[18:19] neg_lo:[0,0,1] neg_hi:[0,0,1]
	v_pk_fma_f32 v[16:17], v[16:17], v[20:21], v[18:19] op_sel_hi:[1,0,1]
	s_nop 0
	v_mov_b32_e32 v23, v17
	scratch_store_dwordx2 off, v[22:23], off offset:8
.LBB69_19:
	s_or_b64 exec, exec, s[4:5]
	; wave barrier
	scratch_load_dwordx2 v[16:17], off, off offset:16
	v_cmp_gt_u32_e32 vcc, 2, v0
	s_waitcnt vmcnt(0)
	ds_write_b64 v1, v[16:17]
	s_waitcnt lgkmcnt(0)
	; wave barrier
	s_and_saveexec_b64 s[4:5], vcc
	s_cbranch_execz .LBB69_23
; %bb.20:
	scratch_load_dwordx2 v[16:17], v3, off
	ds_read_b64 v[18:19], v1
	s_waitcnt vmcnt(0) lgkmcnt(0)
	v_pk_mul_f32 v[20:21], v[18:19], v[16:17] op_sel:[1,1] op_sel_hi:[0,1]
	v_pk_fma_f32 v[22:23], v[18:19], v[16:17], v[20:21] neg_lo:[0,0,1] neg_hi:[0,0,1]
	v_pk_fma_f32 v[16:17], v[18:19], v[16:17], v[20:21] op_sel_hi:[1,0,1]
	s_nop 0
	v_mov_b32_e32 v23, v17
	v_pk_add_f32 v[16:17], v[22:23], 0 op_sel_hi:[1,0]
	s_and_saveexec_b64 s[12:13], s[0:1]
	s_cbranch_execz .LBB69_22
; %bb.21:
	scratch_load_dwordx2 v[18:19], off, off offset:8
	v_mov_b32_e32 v3, 0
	ds_read_b64 v[20:21], v3 offset:56
	s_waitcnt vmcnt(0) lgkmcnt(0)
	v_pk_mul_f32 v[22:23], v[20:21], v[18:19] op_sel:[1,1] op_sel_hi:[0,1]
	v_pk_fma_f32 v[24:25], v[20:21], v[18:19], v[22:23] neg_lo:[0,0,1] neg_hi:[0,0,1]
	v_pk_fma_f32 v[18:19], v[20:21], v[18:19], v[22:23] op_sel_hi:[1,0,1]
	s_nop 0
	v_mov_b32_e32 v25, v19
	v_pk_add_f32 v[16:17], v[16:17], v[24:25]
.LBB69_22:
	s_or_b64 exec, exec, s[12:13]
	v_mov_b32_e32 v3, 0
	ds_read_b64 v[18:19], v3 offset:16
	s_waitcnt lgkmcnt(0)
	v_pk_mul_f32 v[20:21], v[16:17], v[18:19] op_sel:[1,1] op_sel_hi:[0,1]
	v_pk_fma_f32 v[22:23], v[16:17], v[18:19], v[20:21] neg_lo:[0,0,1] neg_hi:[0,0,1]
	v_pk_fma_f32 v[16:17], v[16:17], v[18:19], v[20:21] op_sel_hi:[1,0,1]
	s_nop 0
	v_mov_b32_e32 v23, v17
	scratch_store_dwordx2 off, v[22:23], off offset:16
.LBB69_23:
	s_or_b64 exec, exec, s[4:5]
	; wave barrier
	scratch_load_dwordx2 v[16:17], off, off offset:24
	v_cmp_gt_u32_e32 vcc, 3, v0
	v_add_u32_e32 v18, -1, v0
	s_waitcnt vmcnt(0)
	ds_write_b64 v1, v[16:17]
	s_waitcnt lgkmcnt(0)
	; wave barrier
	s_and_saveexec_b64 s[0:1], vcc
	s_cbranch_execz .LBB69_27
; %bb.24:
	v_mov_b32_e32 v16, 0
	v_add_u32_e32 v3, -1, v0
	v_add_u32_e32 v19, 48, v2
	v_mov_b32_e32 v20, v2
	s_mov_b64 s[4:5], 0
	v_mov_b32_e32 v17, v16
.LBB69_25:                              ; =>This Inner Loop Header: Depth=1
	scratch_load_dwordx2 v[22:23], v20, off
	ds_read_b64 v[24:25], v19
	v_add_u32_e32 v3, 1, v3
	v_cmp_lt_u32_e32 vcc, 1, v3
	v_add_u32_e32 v19, 8, v19
	v_add_u32_e32 v20, 8, v20
	s_or_b64 s[4:5], vcc, s[4:5]
	s_waitcnt vmcnt(0) lgkmcnt(0)
	v_pk_mul_f32 v[26:27], v[24:25], v[22:23] op_sel:[1,1] op_sel_hi:[0,1]
	v_pk_fma_f32 v[28:29], v[24:25], v[22:23], v[26:27] neg_lo:[0,0,1] neg_hi:[0,0,1]
	v_pk_fma_f32 v[22:23], v[24:25], v[22:23], v[26:27] op_sel_hi:[1,0,1]
	s_nop 0
	v_mov_b32_e32 v29, v23
	v_pk_add_f32 v[16:17], v[16:17], v[28:29]
	s_andn2_b64 exec, exec, s[4:5]
	s_cbranch_execnz .LBB69_25
; %bb.26:
	s_or_b64 exec, exec, s[4:5]
	v_mov_b32_e32 v3, 0
	ds_read_b64 v[20:21], v3 offset:24
	s_waitcnt lgkmcnt(0)
	v_pk_mul_f32 v[22:23], v[16:17], v[20:21] op_sel:[1,1] op_sel_hi:[0,1]
	v_pk_fma_f32 v[24:25], v[16:17], v[20:21], v[22:23] neg_lo:[0,0,1] neg_hi:[0,0,1]
	v_pk_fma_f32 v[16:17], v[16:17], v[20:21], v[22:23] op_sel_hi:[1,0,1]
	s_nop 0
	v_mov_b32_e32 v25, v17
	scratch_store_dwordx2 off, v[24:25], off offset:24
.LBB69_27:
	s_or_b64 exec, exec, s[0:1]
	; wave barrier
	scratch_load_dwordx2 v[16:17], off, off offset:32
	v_cmp_gt_u32_e32 vcc, 4, v0
	s_waitcnt vmcnt(0)
	ds_write_b64 v1, v[16:17]
	s_waitcnt lgkmcnt(0)
	; wave barrier
	s_and_saveexec_b64 s[0:1], vcc
	s_cbranch_execz .LBB69_31
; %bb.28:
	v_mov_b32_e32 v16, 0
	v_add_u32_e32 v3, -1, v0
	v_add_u32_e32 v19, 48, v2
	v_mov_b32_e32 v20, v2
	s_mov_b64 s[4:5], 0
	v_mov_b32_e32 v17, v16
.LBB69_29:                              ; =>This Inner Loop Header: Depth=1
	scratch_load_dwordx2 v[22:23], v20, off
	ds_read_b64 v[24:25], v19
	v_add_u32_e32 v3, 1, v3
	v_cmp_lt_u32_e32 vcc, 2, v3
	v_add_u32_e32 v19, 8, v19
	v_add_u32_e32 v20, 8, v20
	s_or_b64 s[4:5], vcc, s[4:5]
	s_waitcnt vmcnt(0) lgkmcnt(0)
	v_pk_mul_f32 v[26:27], v[24:25], v[22:23] op_sel:[1,1] op_sel_hi:[0,1]
	v_pk_fma_f32 v[28:29], v[24:25], v[22:23], v[26:27] neg_lo:[0,0,1] neg_hi:[0,0,1]
	v_pk_fma_f32 v[22:23], v[24:25], v[22:23], v[26:27] op_sel_hi:[1,0,1]
	s_nop 0
	v_mov_b32_e32 v29, v23
	v_pk_add_f32 v[16:17], v[16:17], v[28:29]
	s_andn2_b64 exec, exec, s[4:5]
	s_cbranch_execnz .LBB69_29
; %bb.30:
	s_or_b64 exec, exec, s[4:5]
	v_mov_b32_e32 v3, 0
	ds_read_b64 v[20:21], v3 offset:32
	s_waitcnt lgkmcnt(0)
	v_pk_mul_f32 v[22:23], v[16:17], v[20:21] op_sel:[1,1] op_sel_hi:[0,1]
	v_pk_fma_f32 v[24:25], v[16:17], v[20:21], v[22:23] neg_lo:[0,0,1] neg_hi:[0,0,1]
	v_pk_fma_f32 v[16:17], v[16:17], v[20:21], v[22:23] op_sel_hi:[1,0,1]
	s_nop 0
	v_mov_b32_e32 v25, v17
	scratch_store_dwordx2 off, v[24:25], off offset:32
.LBB69_31:
	s_or_b64 exec, exec, s[0:1]
	; wave barrier
	scratch_load_dwordx2 v[16:17], off, off offset:40
	v_cmp_ne_u32_e32 vcc, 5, v0
	s_waitcnt vmcnt(0)
	ds_write_b64 v1, v[16:17]
	s_waitcnt lgkmcnt(0)
	; wave barrier
	s_and_saveexec_b64 s[0:1], vcc
	s_cbranch_execz .LBB69_35
; %bb.32:
	v_mov_b32_e32 v16, v2
	v_mov_b32_e32 v2, 0
	s_mov_b64 s[4:5], 0
	v_mov_b32_e32 v3, v2
.LBB69_33:                              ; =>This Inner Loop Header: Depth=1
	scratch_load_dwordx2 v[20:21], v16, off
	ds_read_b64 v[22:23], v1
	v_add_u32_e32 v18, 1, v18
	v_cmp_lt_u32_e32 vcc, 3, v18
	v_add_u32_e32 v1, 8, v1
	v_add_u32_e32 v16, 8, v16
	s_or_b64 s[4:5], vcc, s[4:5]
	s_waitcnt vmcnt(0) lgkmcnt(0)
	v_pk_mul_f32 v[24:25], v[22:23], v[20:21] op_sel:[1,1] op_sel_hi:[0,1]
	v_pk_fma_f32 v[26:27], v[22:23], v[20:21], v[24:25] neg_lo:[0,0,1] neg_hi:[0,0,1]
	v_pk_fma_f32 v[20:21], v[22:23], v[20:21], v[24:25] op_sel_hi:[1,0,1]
	s_nop 0
	v_mov_b32_e32 v27, v21
	v_pk_add_f32 v[2:3], v[2:3], v[26:27]
	s_andn2_b64 exec, exec, s[4:5]
	s_cbranch_execnz .LBB69_33
; %bb.34:
	s_or_b64 exec, exec, s[4:5]
	v_mov_b32_e32 v1, 0
	ds_read_b64 v[16:17], v1 offset:40
	s_waitcnt lgkmcnt(0)
	v_pk_mul_f32 v[18:19], v[2:3], v[16:17] op_sel:[1,1] op_sel_hi:[0,1]
	v_pk_fma_f32 v[20:21], v[2:3], v[16:17], v[18:19] neg_lo:[0,0,1] neg_hi:[0,0,1]
	v_pk_fma_f32 v[2:3], v[2:3], v[16:17], v[18:19] op_sel_hi:[1,0,1]
	s_nop 0
	v_mov_b32_e32 v21, v3
	scratch_store_dwordx2 off, v[20:21], off offset:40
.LBB69_35:
	s_or_b64 exec, exec, s[0:1]
	s_mov_b64 s[4:5], -1
	; wave barrier
.LBB69_36:
	s_and_b64 vcc, exec, s[4:5]
	s_cbranch_vccz .LBB69_38
; %bb.37:
	s_lshl_b64 s[0:1], s[2:3], 2
	s_add_u32 s0, s6, s0
	s_addc_u32 s1, s7, s1
	v_mov_b32_e32 v1, 0
	global_load_dword v1, v1, s[0:1]
	s_waitcnt vmcnt(0)
	v_cmp_ne_u32_e32 vcc, 0, v1
	s_cbranch_vccz .LBB69_39
.LBB69_38:
	s_endpgm
.LBB69_39:
	v_lshl_add_u32 v1, v0, 3, 48
	v_cmp_eq_u32_e32 vcc, 5, v0
	s_and_saveexec_b64 s[0:1], vcc
	s_cbranch_execz .LBB69_41
; %bb.40:
	scratch_load_dwordx2 v[2:3], off, off offset:32
	v_mov_b32_e32 v16, 0
	v_mov_b32_e32 v17, v16
	scratch_store_dwordx2 off, v[16:17], off offset:32
	s_waitcnt vmcnt(1)
	ds_write_b64 v1, v[2:3]
.LBB69_41:
	s_or_b64 exec, exec, s[0:1]
	s_waitcnt lgkmcnt(0)
	; wave barrier
	scratch_load_dwordx2 v[16:17], off, off offset:40
	scratch_load_dwordx2 v[18:19], off, off offset:32
	v_mov_b32_e32 v2, 0
	ds_read_b64 v[20:21], v2 offset:88
	v_cmp_lt_u32_e32 vcc, 3, v0
	s_waitcnt vmcnt(1) lgkmcnt(0)
	v_pk_mul_f32 v[22:23], v[20:21], v[16:17] op_sel:[1,1] op_sel_hi:[0,1]
	v_pk_fma_f32 v[24:25], v[20:21], v[16:17], v[22:23] neg_lo:[0,0,1] neg_hi:[0,0,1]
	v_pk_fma_f32 v[16:17], v[20:21], v[16:17], v[22:23] op_sel_hi:[1,0,1]
	s_nop 0
	v_mov_b32_e32 v25, v17
	v_pk_add_f32 v[16:17], v[24:25], 0 op_sel_hi:[1,0]
	s_waitcnt vmcnt(0)
	v_pk_add_f32 v[16:17], v[18:19], v[16:17] neg_lo:[0,1] neg_hi:[0,1]
	scratch_store_dwordx2 off, v[16:17], off offset:32
	s_and_saveexec_b64 s[0:1], vcc
	s_cbranch_execz .LBB69_43
; %bb.42:
	scratch_load_dwordx2 v[16:17], off, off offset:24
	v_mov_b32_e32 v3, v2
	scratch_store_dwordx2 off, v[2:3], off offset:24
	s_waitcnt vmcnt(1)
	ds_write_b64 v1, v[16:17]
.LBB69_43:
	s_or_b64 exec, exec, s[0:1]
	s_waitcnt lgkmcnt(0)
	; wave barrier
	scratch_load_dwordx4 v[16:19], off, off offset:32
	scratch_load_dwordx2 v[24:25], off, off offset:24
	ds_read_b128 v[20:23], v2 offset:80
	v_cmp_lt_u32_e32 vcc, 2, v0
	s_waitcnt vmcnt(1) lgkmcnt(0)
	v_pk_mul_f32 v[2:3], v[20:21], v[16:17] op_sel:[1,1] op_sel_hi:[0,1]
	v_mov_b32_e32 v26, v19
	v_pk_fma_f32 v[28:29], v[20:21], v[16:17], v[2:3] neg_lo:[0,0,1] neg_hi:[0,0,1]
	v_pk_fma_f32 v[2:3], v[20:21], v[16:17], v[2:3] op_sel_hi:[1,0,1]
	v_pk_mul_f32 v[16:17], v[22:23], v[26:27] op_sel:[1,0] op_sel_hi:[0,0]
	v_mov_b32_e32 v29, v3
	v_pk_fma_f32 v[2:3], v[22:23], v[18:19], v[16:17] neg_lo:[0,0,1] neg_hi:[0,0,1]
	v_pk_fma_f32 v[16:17], v[22:23], v[18:19], v[16:17] op_sel_hi:[1,0,1]
	v_pk_add_f32 v[18:19], v[28:29], 0 op_sel_hi:[1,0]
	v_mov_b32_e32 v3, v17
	v_pk_add_f32 v[2:3], v[18:19], v[2:3]
	s_waitcnt vmcnt(0)
	v_pk_add_f32 v[2:3], v[24:25], v[2:3] neg_lo:[0,1] neg_hi:[0,1]
	scratch_store_dwordx2 off, v[2:3], off offset:24
	s_and_saveexec_b64 s[0:1], vcc
	s_cbranch_execz .LBB69_45
; %bb.44:
	scratch_load_dwordx2 v[2:3], off, off offset:16
	v_mov_b32_e32 v16, 0
	v_mov_b32_e32 v17, v16
	scratch_store_dwordx2 off, v[16:17], off offset:16
	s_waitcnt vmcnt(1)
	ds_write_b64 v1, v[2:3]
.LBB69_45:
	s_or_b64 exec, exec, s[0:1]
	s_waitcnt lgkmcnt(0)
	; wave barrier
	scratch_load_dwordx4 v[16:19], off, off offset:24
	scratch_load_dwordx2 v[24:25], off, off offset:40
	scratch_load_dwordx2 v[26:27], off, off offset:16
	v_mov_b32_e32 v2, 0
	ds_read2_b64 v[20:23], v2 offset0:9 offset1:10
	ds_read_b64 v[28:29], v2 offset:88
	v_cmp_lt_u32_e32 vcc, 1, v0
	s_waitcnt vmcnt(2) lgkmcnt(1)
	v_pk_mul_f32 v[30:31], v[20:21], v[16:17] op_sel:[1,1] op_sel_hi:[0,1]
	v_mov_b32_e32 v32, v19
	v_pk_fma_f32 v[36:37], v[20:21], v[16:17], v[30:31] neg_lo:[0,0,1] neg_hi:[0,0,1]
	v_pk_fma_f32 v[16:17], v[20:21], v[16:17], v[30:31] op_sel_hi:[1,0,1]
	v_pk_mul_f32 v[20:21], v[22:23], v[32:33] op_sel:[1,0] op_sel_hi:[0,0]
	s_waitcnt vmcnt(1) lgkmcnt(0)
	v_pk_mul_f32 v[34:35], v[28:29], v[24:25] op_sel:[1,1] op_sel_hi:[0,1]
	v_mov_b32_e32 v37, v17
	v_pk_fma_f32 v[16:17], v[22:23], v[18:19], v[20:21] neg_lo:[0,0,1] neg_hi:[0,0,1]
	v_pk_fma_f32 v[18:19], v[22:23], v[18:19], v[20:21] op_sel_hi:[1,0,1]
	v_pk_fma_f32 v[30:31], v[28:29], v[24:25], v[34:35] neg_lo:[0,0,1] neg_hi:[0,0,1]
	v_pk_fma_f32 v[24:25], v[28:29], v[24:25], v[34:35] op_sel_hi:[1,0,1]
	v_pk_add_f32 v[20:21], v[36:37], 0 op_sel_hi:[1,0]
	v_mov_b32_e32 v17, v19
	v_mov_b32_e32 v31, v25
	v_pk_add_f32 v[16:17], v[20:21], v[16:17]
	s_nop 0
	v_pk_add_f32 v[16:17], v[16:17], v[30:31]
	s_waitcnt vmcnt(0)
	v_pk_add_f32 v[16:17], v[26:27], v[16:17] neg_lo:[0,1] neg_hi:[0,1]
	scratch_store_dwordx2 off, v[16:17], off offset:16
	s_and_saveexec_b64 s[0:1], vcc
	s_cbranch_execz .LBB69_47
; %bb.46:
	scratch_load_dwordx2 v[16:17], off, off offset:8
	v_mov_b32_e32 v3, v2
	scratch_store_dwordx2 off, v[2:3], off offset:8
	s_waitcnt vmcnt(1)
	ds_write_b64 v1, v[16:17]
.LBB69_47:
	s_or_b64 exec, exec, s[0:1]
	s_waitcnt lgkmcnt(0)
	; wave barrier
	scratch_load_dwordx4 v[16:19], off, off offset:16
	scratch_load_dwordx4 v[20:23], off, off offset:32
	scratch_load_dwordx2 v[32:33], off, off offset:8
	ds_read_b128 v[24:27], v2 offset:64
	ds_read_b128 v[28:31], v2 offset:80
	v_cmp_ne_u32_e32 vcc, 0, v0
	s_waitcnt vmcnt(2) lgkmcnt(1)
	v_pk_mul_f32 v[2:3], v[24:25], v[16:17] op_sel:[1,1] op_sel_hi:[0,1]
	v_mov_b32_e32 v34, v19
	s_waitcnt vmcnt(1) lgkmcnt(0)
	v_pk_mul_f32 v[36:37], v[28:29], v[20:21] op_sel:[1,1] op_sel_hi:[0,1]
	v_mov_b32_e32 v38, v23
	v_pk_fma_f32 v[40:41], v[24:25], v[16:17], v[2:3] neg_lo:[0,0,1] neg_hi:[0,0,1]
	v_pk_fma_f32 v[2:3], v[24:25], v[16:17], v[2:3] op_sel_hi:[1,0,1]
	v_pk_mul_f32 v[16:17], v[26:27], v[34:35] op_sel:[1,0] op_sel_hi:[0,0]
	v_pk_fma_f32 v[24:25], v[28:29], v[20:21], v[36:37] neg_lo:[0,0,1] neg_hi:[0,0,1]
	v_pk_fma_f32 v[20:21], v[28:29], v[20:21], v[36:37] op_sel_hi:[1,0,1]
	v_pk_mul_f32 v[28:29], v[30:31], v[38:39] op_sel:[1,0] op_sel_hi:[0,0]
	v_mov_b32_e32 v41, v3
	v_pk_fma_f32 v[2:3], v[26:27], v[18:19], v[16:17] neg_lo:[0,0,1] neg_hi:[0,0,1]
	v_pk_fma_f32 v[16:17], v[26:27], v[18:19], v[16:17] op_sel_hi:[1,0,1]
	v_mov_b32_e32 v25, v21
	v_pk_fma_f32 v[18:19], v[30:31], v[22:23], v[28:29] neg_lo:[0,0,1] neg_hi:[0,0,1]
	v_pk_fma_f32 v[20:21], v[30:31], v[22:23], v[28:29] op_sel_hi:[1,0,1]
	v_pk_add_f32 v[22:23], v[40:41], 0 op_sel_hi:[1,0]
	v_mov_b32_e32 v3, v17
	v_pk_add_f32 v[2:3], v[22:23], v[2:3]
	v_mov_b32_e32 v19, v21
	v_pk_add_f32 v[2:3], v[2:3], v[24:25]
	s_nop 0
	v_pk_add_f32 v[2:3], v[2:3], v[18:19]
	s_waitcnt vmcnt(0)
	v_pk_add_f32 v[2:3], v[32:33], v[2:3] neg_lo:[0,1] neg_hi:[0,1]
	scratch_store_dwordx2 off, v[2:3], off offset:8
	s_and_saveexec_b64 s[0:1], vcc
	s_cbranch_execz .LBB69_49
; %bb.48:
	scratch_load_dwordx2 v[2:3], off, off
	v_mov_b32_e32 v16, 0
	v_mov_b32_e32 v17, v16
	scratch_store_dwordx2 off, v[16:17], off
	s_waitcnt vmcnt(1)
	ds_write_b64 v1, v[2:3]
.LBB69_49:
	s_or_b64 exec, exec, s[0:1]
	s_waitcnt lgkmcnt(0)
	; wave barrier
	scratch_load_dwordx4 v[18:21], off, off offset:8
	scratch_load_dwordx4 v[0:3], off, off offset:24
	scratch_load_dwordx2 v[30:31], off, off offset:40
	scratch_load_dwordx2 v[32:33], off, off
	v_mov_b32_e32 v16, 0
	ds_read2_b64 v[22:25], v16 offset0:7 offset1:8
	ds_read2_b64 v[26:29], v16 offset0:9 offset1:10
	ds_read_b64 v[34:35], v16 offset:88
	s_and_b64 vcc, exec, s[10:11]
	s_waitcnt vmcnt(3) lgkmcnt(2)
	v_pk_mul_f32 v[36:37], v[22:23], v[18:19] op_sel:[1,1] op_sel_hi:[0,1]
	v_mov_b32_e32 v38, v21
	v_pk_fma_f32 v[46:47], v[22:23], v[18:19], v[36:37] neg_lo:[0,0,1] neg_hi:[0,0,1]
	v_pk_fma_f32 v[18:19], v[22:23], v[18:19], v[36:37] op_sel_hi:[1,0,1]
	v_pk_mul_f32 v[22:23], v[24:25], v[38:39] op_sel:[1,0] op_sel_hi:[0,0]
	s_waitcnt vmcnt(2) lgkmcnt(1)
	v_pk_mul_f32 v[40:41], v[26:27], v[0:1] op_sel:[1,1] op_sel_hi:[0,1]
	v_mov_b32_e32 v42, v3
	v_mov_b32_e32 v47, v19
	v_pk_fma_f32 v[18:19], v[24:25], v[20:21], v[22:23] neg_lo:[0,0,1] neg_hi:[0,0,1]
	v_pk_fma_f32 v[20:21], v[24:25], v[20:21], v[22:23] op_sel_hi:[1,0,1]
	v_pk_fma_f32 v[36:37], v[26:27], v[0:1], v[40:41] neg_lo:[0,0,1] neg_hi:[0,0,1]
	v_pk_fma_f32 v[0:1], v[26:27], v[0:1], v[40:41] op_sel_hi:[1,0,1]
	v_pk_mul_f32 v[26:27], v[28:29], v[42:43] op_sel:[1,0] op_sel_hi:[0,0]
	v_pk_add_f32 v[24:25], v[46:47], 0 op_sel_hi:[1,0]
	v_mov_b32_e32 v19, v21
	s_waitcnt vmcnt(1) lgkmcnt(0)
	v_pk_mul_f32 v[44:45], v[34:35], v[30:31] op_sel:[1,1] op_sel_hi:[0,1]
	v_mov_b32_e32 v37, v1
	v_pk_fma_f32 v[0:1], v[28:29], v[2:3], v[26:27] neg_lo:[0,0,1] neg_hi:[0,0,1]
	v_pk_fma_f32 v[22:23], v[28:29], v[2:3], v[26:27] op_sel_hi:[1,0,1]
	v_pk_add_f32 v[18:19], v[24:25], v[18:19]
	v_pk_fma_f32 v[38:39], v[34:35], v[30:31], v[44:45] neg_lo:[0,0,1] neg_hi:[0,0,1]
	v_pk_fma_f32 v[30:31], v[34:35], v[30:31], v[44:45] op_sel_hi:[1,0,1]
	v_mov_b32_e32 v1, v23
	v_pk_add_f32 v[18:19], v[18:19], v[36:37]
	v_mov_b32_e32 v39, v31
	v_pk_add_f32 v[0:1], v[18:19], v[0:1]
	s_nop 0
	v_pk_add_f32 v[0:1], v[0:1], v[38:39]
	s_waitcnt vmcnt(0)
	v_pk_add_f32 v[0:1], v[32:33], v[0:1] neg_lo:[0,1] neg_hi:[0,1]
	scratch_store_dwordx2 off, v[0:1], off
	s_cbranch_vccz .LBB69_60
; %bb.50:
	global_load_dword v0, v16, s[8:9] offset:16
	s_waitcnt vmcnt(0)
	v_readfirstlane_b32 s0, v0
	s_add_i32 s0, s0, -1
	s_cmp_lg_u32 s0, 4
	s_cbranch_scc0 .LBB69_52
; %bb.51:
	s_lshl_b32 s0, s0, 3
	s_nop 0
	scratch_load_dwordx2 v[0:1], off, s0
	s_waitcnt vmcnt(0)
	scratch_store_dwordx2 off, v[0:1], off offset:32
	scratch_store_dwordx2 off, v[2:3], s0
.LBB69_52:
	v_mov_b32_e32 v0, 0
	global_load_dword v1, v0, s[8:9] offset:12
	s_waitcnt vmcnt(0)
	v_readfirstlane_b32 s0, v1
	s_add_i32 s0, s0, -1
	s_cmp_eq_u32 s0, 3
	s_cbranch_scc1 .LBB69_54
; %bb.53:
	s_lshl_b32 s0, s0, 3
	s_nop 0
	scratch_load_dwordx2 v[2:3], off, s0
	scratch_load_dwordx2 v[16:17], off, off offset:24
	s_waitcnt vmcnt(1)
	scratch_store_dwordx2 off, v[2:3], off offset:24
	s_waitcnt vmcnt(1)
	scratch_store_dwordx2 off, v[16:17], s0
.LBB69_54:
	global_load_dword v0, v0, s[8:9] offset:8
	s_waitcnt vmcnt(0)
	v_readfirstlane_b32 s0, v0
	s_add_i32 s0, s0, -1
	s_cmp_eq_u32 s0, 2
	s_cbranch_scc1 .LBB69_56
; %bb.55:
	s_lshl_b32 s0, s0, 3
	s_nop 0
	scratch_load_dwordx2 v[0:1], off, s0
	scratch_load_dwordx2 v[2:3], off, off offset:16
	s_waitcnt vmcnt(1)
	scratch_store_dwordx2 off, v[0:1], off offset:16
	s_waitcnt vmcnt(1)
	scratch_store_dwordx2 off, v[2:3], s0
.LBB69_56:
	v_mov_b32_e32 v0, 0
	global_load_dword v1, v0, s[8:9] offset:4
	s_waitcnt vmcnt(0)
	v_readfirstlane_b32 s0, v1
	s_add_i32 s0, s0, -1
	s_cmp_eq_u32 s0, 1
	s_cbranch_scc1 .LBB69_58
; %bb.57:
	s_lshl_b32 s0, s0, 3
	s_nop 0
	scratch_load_dwordx2 v[2:3], off, s0
	scratch_load_dwordx2 v[16:17], off, off offset:8
	s_waitcnt vmcnt(1)
	scratch_store_dwordx2 off, v[2:3], off offset:8
	s_waitcnt vmcnt(1)
	scratch_store_dwordx2 off, v[16:17], s0
.LBB69_58:
	global_load_dword v2, v0, s[8:9]
	s_nop 0
	scratch_load_dwordx2 v[0:1], off, off
	s_waitcnt vmcnt(1)
	v_readfirstlane_b32 s0, v2
	s_add_i32 s0, s0, -1
	s_cmp_eq_u32 s0, 0
	s_cbranch_scc1 .LBB69_60
; %bb.59:
	s_lshl_b32 s0, s0, 3
	s_nop 0
	scratch_load_dwordx2 v[2:3], off, s0
	s_waitcnt vmcnt(0)
	scratch_store_dwordx2 off, v[2:3], off
	scratch_store_dwordx2 off, v[0:1], s0
	scratch_load_dwordx2 v[0:1], off, off
.LBB69_60:
	s_waitcnt vmcnt(0)
	flat_store_dwordx2 v[4:5], v[0:1]
	scratch_load_dwordx2 v[0:1], off, off offset:8
	s_waitcnt vmcnt(0)
	flat_store_dwordx2 v[6:7], v[0:1]
	scratch_load_dwordx2 v[0:1], off, off offset:16
	;; [unrolled: 3-line block ×5, first 2 shown]
	s_waitcnt vmcnt(0)
	flat_store_dwordx2 v[14:15], v[0:1]
	s_endpgm
	.section	.rodata,"a",@progbits
	.p2align	6, 0x0
	.amdhsa_kernel _ZN9rocsolver6v33100L18getri_kernel_smallILi6E19rocblas_complex_numIfEPKPS3_EEvT1_iilPiilS8_bb
		.amdhsa_group_segment_fixed_size 100
		.amdhsa_private_segment_fixed_size 64
		.amdhsa_kernarg_size 60
		.amdhsa_user_sgpr_count 2
		.amdhsa_user_sgpr_dispatch_ptr 0
		.amdhsa_user_sgpr_queue_ptr 0
		.amdhsa_user_sgpr_kernarg_segment_ptr 1
		.amdhsa_user_sgpr_dispatch_id 0
		.amdhsa_user_sgpr_kernarg_preload_length 0
		.amdhsa_user_sgpr_kernarg_preload_offset 0
		.amdhsa_user_sgpr_private_segment_size 0
		.amdhsa_uses_dynamic_stack 0
		.amdhsa_enable_private_segment 1
		.amdhsa_system_sgpr_workgroup_id_x 1
		.amdhsa_system_sgpr_workgroup_id_y 0
		.amdhsa_system_sgpr_workgroup_id_z 0
		.amdhsa_system_sgpr_workgroup_info 0
		.amdhsa_system_vgpr_workitem_id 0
		.amdhsa_next_free_vgpr 48
		.amdhsa_next_free_sgpr 17
		.amdhsa_accum_offset 48
		.amdhsa_reserve_vcc 1
		.amdhsa_float_round_mode_32 0
		.amdhsa_float_round_mode_16_64 0
		.amdhsa_float_denorm_mode_32 3
		.amdhsa_float_denorm_mode_16_64 3
		.amdhsa_dx10_clamp 1
		.amdhsa_ieee_mode 1
		.amdhsa_fp16_overflow 0
		.amdhsa_tg_split 0
		.amdhsa_exception_fp_ieee_invalid_op 0
		.amdhsa_exception_fp_denorm_src 0
		.amdhsa_exception_fp_ieee_div_zero 0
		.amdhsa_exception_fp_ieee_overflow 0
		.amdhsa_exception_fp_ieee_underflow 0
		.amdhsa_exception_fp_ieee_inexact 0
		.amdhsa_exception_int_div_zero 0
	.end_amdhsa_kernel
	.section	.text._ZN9rocsolver6v33100L18getri_kernel_smallILi6E19rocblas_complex_numIfEPKPS3_EEvT1_iilPiilS8_bb,"axG",@progbits,_ZN9rocsolver6v33100L18getri_kernel_smallILi6E19rocblas_complex_numIfEPKPS3_EEvT1_iilPiilS8_bb,comdat
.Lfunc_end69:
	.size	_ZN9rocsolver6v33100L18getri_kernel_smallILi6E19rocblas_complex_numIfEPKPS3_EEvT1_iilPiilS8_bb, .Lfunc_end69-_ZN9rocsolver6v33100L18getri_kernel_smallILi6E19rocblas_complex_numIfEPKPS3_EEvT1_iilPiilS8_bb
                                        ; -- End function
	.set _ZN9rocsolver6v33100L18getri_kernel_smallILi6E19rocblas_complex_numIfEPKPS3_EEvT1_iilPiilS8_bb.num_vgpr, 48
	.set _ZN9rocsolver6v33100L18getri_kernel_smallILi6E19rocblas_complex_numIfEPKPS3_EEvT1_iilPiilS8_bb.num_agpr, 0
	.set _ZN9rocsolver6v33100L18getri_kernel_smallILi6E19rocblas_complex_numIfEPKPS3_EEvT1_iilPiilS8_bb.numbered_sgpr, 17
	.set _ZN9rocsolver6v33100L18getri_kernel_smallILi6E19rocblas_complex_numIfEPKPS3_EEvT1_iilPiilS8_bb.num_named_barrier, 0
	.set _ZN9rocsolver6v33100L18getri_kernel_smallILi6E19rocblas_complex_numIfEPKPS3_EEvT1_iilPiilS8_bb.private_seg_size, 64
	.set _ZN9rocsolver6v33100L18getri_kernel_smallILi6E19rocblas_complex_numIfEPKPS3_EEvT1_iilPiilS8_bb.uses_vcc, 1
	.set _ZN9rocsolver6v33100L18getri_kernel_smallILi6E19rocblas_complex_numIfEPKPS3_EEvT1_iilPiilS8_bb.uses_flat_scratch, 0
	.set _ZN9rocsolver6v33100L18getri_kernel_smallILi6E19rocblas_complex_numIfEPKPS3_EEvT1_iilPiilS8_bb.has_dyn_sized_stack, 0
	.set _ZN9rocsolver6v33100L18getri_kernel_smallILi6E19rocblas_complex_numIfEPKPS3_EEvT1_iilPiilS8_bb.has_recursion, 0
	.set _ZN9rocsolver6v33100L18getri_kernel_smallILi6E19rocblas_complex_numIfEPKPS3_EEvT1_iilPiilS8_bb.has_indirect_call, 0
	.section	.AMDGPU.csdata,"",@progbits
; Kernel info:
; codeLenInByte = 3836
; TotalNumSgprs: 23
; NumVgprs: 48
; NumAgprs: 0
; TotalNumVgprs: 48
; ScratchSize: 64
; MemoryBound: 0
; FloatMode: 240
; IeeeMode: 1
; LDSByteSize: 100 bytes/workgroup (compile time only)
; SGPRBlocks: 2
; VGPRBlocks: 5
; NumSGPRsForWavesPerEU: 23
; NumVGPRsForWavesPerEU: 48
; AccumOffset: 48
; Occupancy: 8
; WaveLimiterHint : 1
; COMPUTE_PGM_RSRC2:SCRATCH_EN: 1
; COMPUTE_PGM_RSRC2:USER_SGPR: 2
; COMPUTE_PGM_RSRC2:TRAP_HANDLER: 0
; COMPUTE_PGM_RSRC2:TGID_X_EN: 1
; COMPUTE_PGM_RSRC2:TGID_Y_EN: 0
; COMPUTE_PGM_RSRC2:TGID_Z_EN: 0
; COMPUTE_PGM_RSRC2:TIDIG_COMP_CNT: 0
; COMPUTE_PGM_RSRC3_GFX90A:ACCUM_OFFSET: 11
; COMPUTE_PGM_RSRC3_GFX90A:TG_SPLIT: 0
	.section	.text._ZN9rocsolver6v33100L18getri_kernel_smallILi7E19rocblas_complex_numIfEPKPS3_EEvT1_iilPiilS8_bb,"axG",@progbits,_ZN9rocsolver6v33100L18getri_kernel_smallILi7E19rocblas_complex_numIfEPKPS3_EEvT1_iilPiilS8_bb,comdat
	.globl	_ZN9rocsolver6v33100L18getri_kernel_smallILi7E19rocblas_complex_numIfEPKPS3_EEvT1_iilPiilS8_bb ; -- Begin function _ZN9rocsolver6v33100L18getri_kernel_smallILi7E19rocblas_complex_numIfEPKPS3_EEvT1_iilPiilS8_bb
	.p2align	8
	.type	_ZN9rocsolver6v33100L18getri_kernel_smallILi7E19rocblas_complex_numIfEPKPS3_EEvT1_iilPiilS8_bb,@function
_ZN9rocsolver6v33100L18getri_kernel_smallILi7E19rocblas_complex_numIfEPKPS3_EEvT1_iilPiilS8_bb: ; @_ZN9rocsolver6v33100L18getri_kernel_smallILi7E19rocblas_complex_numIfEPKPS3_EEvT1_iilPiilS8_bb
; %bb.0:
	v_cmp_gt_u32_e32 vcc, 7, v0
	s_and_saveexec_b64 s[4:5], vcc
	s_cbranch_execz .LBB70_42
; %bb.1:
	s_load_dword s14, s[0:1], 0x38
	s_load_dwordx2 s[8:9], s[0:1], 0x0
	s_load_dwordx4 s[4:7], s[0:1], 0x28
	s_waitcnt lgkmcnt(0)
	s_bitcmp1_b32 s14, 8
	s_cselect_b64 s[10:11], -1, 0
	s_ashr_i32 s3, s2, 31
	s_lshl_b64 s[12:13], s[2:3], 3
	s_add_u32 s8, s8, s12
	s_addc_u32 s9, s9, s13
	s_load_dwordx2 s[12:13], s[8:9], 0x0
	s_bfe_u32 s8, s14, 0x10008
	s_cmp_eq_u32 s8, 0
                                        ; implicit-def: $sgpr8_sgpr9
	s_cbranch_scc1 .LBB70_3
; %bb.2:
	s_load_dword s8, s[0:1], 0x20
	s_load_dwordx2 s[14:15], s[0:1], 0x18
	s_mul_i32 s9, s4, s3
	s_mul_hi_u32 s16, s4, s2
	s_add_i32 s16, s16, s9
	s_mul_i32 s5, s5, s2
	s_add_i32 s5, s16, s5
	s_mul_i32 s4, s4, s2
	s_waitcnt lgkmcnt(0)
	s_ashr_i32 s9, s8, 31
	s_lshl_b64 s[4:5], s[4:5], 2
	s_add_u32 s14, s14, s4
	s_addc_u32 s15, s15, s5
	s_lshl_b64 s[4:5], s[8:9], 2
	s_add_u32 s8, s14, s4
	s_addc_u32 s9, s15, s5
.LBB70_3:
	s_load_dwordx2 s[4:5], s[0:1], 0x8
	s_load_dword s14, s[0:1], 0x38
	v_lshlrev_b32_e32 v2, 3, v0
	v_mov_b32_e32 v3, 0
	s_waitcnt lgkmcnt(0)
	s_ashr_i32 s1, s4, 31
	s_mov_b32 s0, s4
	s_lshl_b64 s[0:1], s[0:1], 3
	s_add_u32 s0, s12, s0
	s_addc_u32 s1, s13, s1
	v_lshl_add_u64 v[4:5], s[0:1], 0, v[2:3]
	flat_load_dwordx2 v[8:9], v[4:5]
	s_mov_b32 s12, s5
	s_ashr_i32 s13, s5, 31
	v_lshl_add_u64 v[6:7], s[12:13], 3, v[4:5]
	s_add_i32 s4, s5, s5
	v_add_u32_e32 v12, s4, v0
	v_ashrrev_i32_e32 v13, 31, v12
	s_bitcmp0_b32 s14, 0
	s_waitcnt vmcnt(0) lgkmcnt(0)
	scratch_store_dwordx2 off, v[8:9], off
	flat_load_dwordx2 v[10:11], v[6:7]
	v_lshl_add_u64 v[8:9], v[12:13], 3, s[0:1]
	v_add_u32_e32 v12, s5, v12
	v_ashrrev_i32_e32 v13, 31, v12
	v_add_u32_e32 v16, s5, v12
	v_ashrrev_i32_e32 v17, 31, v16
	s_waitcnt vmcnt(0) lgkmcnt(0)
	scratch_store_dwordx2 off, v[10:11], off offset:8
	flat_load_dwordx2 v[14:15], v[8:9]
	v_lshl_add_u64 v[10:11], v[12:13], 3, s[0:1]
	v_lshl_add_u64 v[12:13], v[16:17], 3, s[0:1]
	v_add_u32_e32 v16, s5, v16
	v_ashrrev_i32_e32 v17, 31, v16
	s_waitcnt vmcnt(0) lgkmcnt(0)
	scratch_store_dwordx2 off, v[14:15], off offset:16
	flat_load_dwordx2 v[14:15], v[10:11]
	s_waitcnt vmcnt(0) lgkmcnt(0)
	scratch_store_dwordx2 off, v[14:15], off offset:24
	flat_load_dwordx2 v[18:19], v[12:13]
	v_lshl_add_u64 v[14:15], v[16:17], 3, s[0:1]
	v_add_u32_e32 v16, s5, v16
	v_ashrrev_i32_e32 v17, 31, v16
	v_lshl_add_u64 v[16:17], v[16:17], 3, s[0:1]
	s_mov_b64 s[4:5], -1
	s_waitcnt vmcnt(0) lgkmcnt(0)
	scratch_store_dwordx2 off, v[18:19], off offset:32
	flat_load_dwordx2 v[18:19], v[14:15]
	s_waitcnt vmcnt(0) lgkmcnt(0)
	scratch_store_dwordx2 off, v[18:19], off offset:40
	flat_load_dwordx2 v[18:19], v[16:17]
	s_waitcnt vmcnt(0) lgkmcnt(0)
	scratch_store_dwordx2 off, v[18:19], off offset:48
	s_cbranch_scc1 .LBB70_40
; %bb.4:
	v_cmp_eq_u32_e64 s[0:1], 0, v0
	s_and_saveexec_b64 s[4:5], s[0:1]
; %bb.5:
	v_mov_b32_e32 v1, 0
	ds_write_b32 v1, v1 offset:56
; %bb.6:
	s_or_b64 exec, exec, s[4:5]
	s_waitcnt lgkmcnt(0)
	; wave barrier
	scratch_load_dwordx2 v[18:19], v2, off
	s_waitcnt vmcnt(0)
	v_cmp_eq_f32_e32 vcc, 0, v18
	v_cmp_eq_f32_e64 s[4:5], 0, v19
	s_and_b64 s[4:5], vcc, s[4:5]
	s_and_saveexec_b64 s[12:13], s[4:5]
	s_cbranch_execz .LBB70_10
; %bb.7:
	v_mov_b32_e32 v1, 0
	ds_read_b32 v18, v1 offset:56
	v_add_u32_e32 v3, 1, v0
	s_waitcnt lgkmcnt(0)
	v_readfirstlane_b32 s4, v18
	s_cmp_eq_u32 s4, 0
	s_cselect_b64 s[14:15], -1, 0
	v_cmp_gt_i32_e32 vcc, s4, v3
	s_or_b64 s[14:15], s[14:15], vcc
	s_and_b64 exec, exec, s[14:15]
	s_cbranch_execz .LBB70_10
; %bb.8:
	s_mov_b64 s[14:15], 0
	v_mov_b32_e32 v18, s4
.LBB70_9:                               ; =>This Inner Loop Header: Depth=1
	ds_cmpst_rtn_b32 v18, v1, v18, v3 offset:56
	s_waitcnt lgkmcnt(0)
	v_cmp_ne_u32_e32 vcc, 0, v18
	v_cmp_le_i32_e64 s[4:5], v18, v3
	s_and_b64 s[4:5], vcc, s[4:5]
	s_and_b64 s[4:5], exec, s[4:5]
	s_or_b64 s[14:15], s[4:5], s[14:15]
	s_andn2_b64 exec, exec, s[14:15]
	s_cbranch_execnz .LBB70_9
.LBB70_10:
	s_or_b64 exec, exec, s[12:13]
	v_mov_b32_e32 v3, 0
	; wave barrier
	ds_read_b32 v1, v3 offset:56
	s_and_saveexec_b64 s[4:5], s[0:1]
	s_cbranch_execz .LBB70_12
; %bb.11:
	s_lshl_b64 s[12:13], s[2:3], 2
	s_add_u32 s12, s6, s12
	s_addc_u32 s13, s7, s13
	s_waitcnt lgkmcnt(0)
	global_store_dword v3, v1, s[12:13]
.LBB70_12:
	s_or_b64 exec, exec, s[4:5]
	s_waitcnt lgkmcnt(0)
	v_cmp_ne_u32_e32 vcc, 0, v1
	s_mov_b64 s[4:5], 0
	s_cbranch_vccnz .LBB70_40
; %bb.13:
	v_mov_b32_e32 v3, v2
	scratch_load_dwordx2 v[18:19], v3, off
                                        ; implicit-def: $vgpr21
                                        ; implicit-def: $vgpr22
	s_waitcnt vmcnt(0)
	v_cmp_ngt_f32_e64 s[4:5], |v18|, |v19|
	s_and_saveexec_b64 s[12:13], s[4:5]
	s_xor_b64 s[4:5], exec, s[12:13]
	s_cbranch_execz .LBB70_15
; %bb.14:
	v_div_scale_f32 v1, s[12:13], v19, v19, v18
	v_rcp_f32_e32 v20, v1
	v_div_scale_f32 v21, vcc, v18, v19, v18
	v_fma_f32 v22, -v1, v20, 1.0
	v_fmac_f32_e32 v20, v22, v20
	v_mul_f32_e32 v22, v21, v20
	v_fma_f32 v23, -v1, v22, v21
	v_fmac_f32_e32 v22, v23, v20
	v_fma_f32 v1, -v1, v22, v21
	v_div_fmas_f32 v1, v1, v20, v22
	v_div_fixup_f32 v1, v1, v19, v18
	v_fmac_f32_e32 v19, v18, v1
	v_div_scale_f32 v18, s[12:13], v19, v19, -1.0
	v_rcp_f32_e32 v20, v18
	s_nop 0
	v_fma_f32 v21, -v18, v20, 1.0
	v_fmac_f32_e32 v20, v21, v20
	v_div_scale_f32 v21, vcc, -1.0, v19, -1.0
	v_mul_f32_e32 v22, v21, v20
	v_fma_f32 v23, -v18, v22, v21
	v_fmac_f32_e32 v22, v23, v20
	v_fma_f32 v18, -v18, v22, v21
	v_div_fmas_f32 v18, v18, v20, v22
	v_div_fixup_f32 v21, v18, v19, -1.0
	v_mul_f32_e32 v22, v1, v21
	v_xor_b32_e32 v20, 0x80000000, v22
                                        ; implicit-def: $vgpr18_vgpr19
.LBB70_15:
	s_andn2_saveexec_b64 s[4:5], s[4:5]
	s_cbranch_execz .LBB70_17
; %bb.16:
	v_div_scale_f32 v1, s[12:13], v18, v18, v19
	v_rcp_f32_e32 v20, v1
	v_div_scale_f32 v21, vcc, v19, v18, v19
	v_fma_f32 v22, -v1, v20, 1.0
	v_fmac_f32_e32 v20, v22, v20
	v_mul_f32_e32 v22, v21, v20
	v_fma_f32 v23, -v1, v22, v21
	v_fmac_f32_e32 v22, v23, v20
	v_fma_f32 v1, -v1, v22, v21
	v_div_fmas_f32 v1, v1, v20, v22
	v_div_fixup_f32 v1, v1, v18, v19
	v_fmac_f32_e32 v18, v19, v1
	v_div_scale_f32 v19, s[12:13], v18, v18, 1.0
	v_rcp_f32_e32 v20, v19
	s_nop 0
	v_fma_f32 v21, -v19, v20, 1.0
	v_fmac_f32_e32 v20, v21, v20
	v_div_scale_f32 v21, vcc, 1.0, v18, 1.0
	v_mul_f32_e32 v22, v21, v20
	v_fma_f32 v23, -v19, v22, v21
	v_fmac_f32_e32 v22, v23, v20
	v_fma_f32 v19, -v19, v22, v21
	v_div_fmas_f32 v19, v19, v20, v22
	v_div_fixup_f32 v20, v19, v18, 1.0
	v_xor_b32_e32 v22, 0x80000000, v20
	v_mul_f32_e64 v21, v1, -v20
.LBB70_17:
	s_or_b64 exec, exec, s[4:5]
	scratch_store_dwordx2 v3, v[20:21], off
	scratch_load_dwordx2 v[18:19], off, off offset:8
	v_xor_b32_e32 v23, 0x80000000, v21
	v_add_u32_e32 v1, 64, v2
	s_waitcnt vmcnt(0)
	ds_write2_b64 v2, v[22:23], v[18:19] offset1:8
	s_waitcnt lgkmcnt(0)
	; wave barrier
	s_and_saveexec_b64 s[4:5], s[0:1]
	s_cbranch_execz .LBB70_19
; %bb.18:
	scratch_load_dwordx2 v[18:19], v3, off
	ds_read_b64 v[20:21], v1
	v_mov_b32_e32 v22, 0
	ds_read_b64 v[22:23], v22 offset:8
	s_waitcnt vmcnt(0) lgkmcnt(1)
	v_pk_mul_f32 v[24:25], v[20:21], v[18:19] op_sel:[1,1] op_sel_hi:[0,1]
	v_pk_fma_f32 v[26:27], v[20:21], v[18:19], v[24:25] neg_lo:[0,0,1] neg_hi:[0,0,1]
	v_pk_fma_f32 v[18:19], v[20:21], v[18:19], v[24:25] op_sel_hi:[1,0,1]
	s_nop 0
	v_mov_b32_e32 v27, v19
	v_pk_add_f32 v[18:19], v[26:27], 0 op_sel_hi:[1,0]
	s_waitcnt lgkmcnt(0)
	v_pk_mul_f32 v[20:21], v[18:19], v[22:23] op_sel:[1,1] op_sel_hi:[0,1]
	v_pk_fma_f32 v[24:25], v[18:19], v[22:23], v[20:21] neg_lo:[0,0,1] neg_hi:[0,0,1]
	v_pk_fma_f32 v[18:19], v[18:19], v[22:23], v[20:21] op_sel_hi:[1,0,1]
	s_nop 0
	v_mov_b32_e32 v25, v19
	scratch_store_dwordx2 off, v[24:25], off offset:8
.LBB70_19:
	s_or_b64 exec, exec, s[4:5]
	; wave barrier
	scratch_load_dwordx2 v[18:19], off, off offset:16
	v_cmp_gt_u32_e32 vcc, 2, v0
	s_waitcnt vmcnt(0)
	ds_write_b64 v1, v[18:19]
	s_waitcnt lgkmcnt(0)
	; wave barrier
	s_and_saveexec_b64 s[4:5], vcc
	s_cbranch_execz .LBB70_23
; %bb.20:
	scratch_load_dwordx2 v[18:19], v3, off
	ds_read_b64 v[20:21], v1
	s_waitcnt vmcnt(0) lgkmcnt(0)
	v_pk_mul_f32 v[22:23], v[20:21], v[18:19] op_sel:[1,1] op_sel_hi:[0,1]
	v_pk_fma_f32 v[24:25], v[20:21], v[18:19], v[22:23] neg_lo:[0,0,1] neg_hi:[0,0,1]
	v_pk_fma_f32 v[18:19], v[20:21], v[18:19], v[22:23] op_sel_hi:[1,0,1]
	s_nop 0
	v_mov_b32_e32 v25, v19
	v_pk_add_f32 v[18:19], v[24:25], 0 op_sel_hi:[1,0]
	s_and_saveexec_b64 s[12:13], s[0:1]
	s_cbranch_execz .LBB70_22
; %bb.21:
	scratch_load_dwordx2 v[20:21], off, off offset:8
	v_mov_b32_e32 v3, 0
	ds_read_b64 v[22:23], v3 offset:72
	s_waitcnt vmcnt(0) lgkmcnt(0)
	v_pk_mul_f32 v[24:25], v[22:23], v[20:21] op_sel:[1,1] op_sel_hi:[0,1]
	v_pk_fma_f32 v[26:27], v[22:23], v[20:21], v[24:25] neg_lo:[0,0,1] neg_hi:[0,0,1]
	v_pk_fma_f32 v[20:21], v[22:23], v[20:21], v[24:25] op_sel_hi:[1,0,1]
	s_nop 0
	v_mov_b32_e32 v27, v21
	v_pk_add_f32 v[18:19], v[18:19], v[26:27]
.LBB70_22:
	s_or_b64 exec, exec, s[12:13]
	v_mov_b32_e32 v3, 0
	ds_read_b64 v[20:21], v3 offset:16
	s_waitcnt lgkmcnt(0)
	v_pk_mul_f32 v[22:23], v[18:19], v[20:21] op_sel:[1,1] op_sel_hi:[0,1]
	v_pk_fma_f32 v[24:25], v[18:19], v[20:21], v[22:23] neg_lo:[0,0,1] neg_hi:[0,0,1]
	v_pk_fma_f32 v[18:19], v[18:19], v[20:21], v[22:23] op_sel_hi:[1,0,1]
	s_nop 0
	v_mov_b32_e32 v25, v19
	scratch_store_dwordx2 off, v[24:25], off offset:16
.LBB70_23:
	s_or_b64 exec, exec, s[4:5]
	; wave barrier
	scratch_load_dwordx2 v[18:19], off, off offset:24
	v_cmp_gt_u32_e32 vcc, 3, v0
	v_add_u32_e32 v20, -1, v0
	s_waitcnt vmcnt(0)
	ds_write_b64 v1, v[18:19]
	s_waitcnt lgkmcnt(0)
	; wave barrier
	s_and_saveexec_b64 s[0:1], vcc
	s_cbranch_execz .LBB70_27
; %bb.24:
	v_mov_b32_e32 v18, 0
	v_add_u32_e32 v3, -1, v0
	v_add_u32_e32 v21, 64, v2
	v_mov_b32_e32 v22, v2
	s_mov_b64 s[4:5], 0
	v_mov_b32_e32 v19, v18
.LBB70_25:                              ; =>This Inner Loop Header: Depth=1
	scratch_load_dwordx2 v[24:25], v22, off
	ds_read_b64 v[26:27], v21
	v_add_u32_e32 v3, 1, v3
	v_cmp_lt_u32_e32 vcc, 1, v3
	v_add_u32_e32 v21, 8, v21
	v_add_u32_e32 v22, 8, v22
	s_or_b64 s[4:5], vcc, s[4:5]
	s_waitcnt vmcnt(0) lgkmcnt(0)
	v_pk_mul_f32 v[28:29], v[26:27], v[24:25] op_sel:[1,1] op_sel_hi:[0,1]
	v_pk_fma_f32 v[30:31], v[26:27], v[24:25], v[28:29] neg_lo:[0,0,1] neg_hi:[0,0,1]
	v_pk_fma_f32 v[24:25], v[26:27], v[24:25], v[28:29] op_sel_hi:[1,0,1]
	s_nop 0
	v_mov_b32_e32 v31, v25
	v_pk_add_f32 v[18:19], v[18:19], v[30:31]
	s_andn2_b64 exec, exec, s[4:5]
	s_cbranch_execnz .LBB70_25
; %bb.26:
	s_or_b64 exec, exec, s[4:5]
	v_mov_b32_e32 v3, 0
	ds_read_b64 v[22:23], v3 offset:24
	s_waitcnt lgkmcnt(0)
	v_pk_mul_f32 v[24:25], v[18:19], v[22:23] op_sel:[1,1] op_sel_hi:[0,1]
	v_pk_fma_f32 v[26:27], v[18:19], v[22:23], v[24:25] neg_lo:[0,0,1] neg_hi:[0,0,1]
	v_pk_fma_f32 v[18:19], v[18:19], v[22:23], v[24:25] op_sel_hi:[1,0,1]
	s_nop 0
	v_mov_b32_e32 v27, v19
	scratch_store_dwordx2 off, v[26:27], off offset:24
.LBB70_27:
	s_or_b64 exec, exec, s[0:1]
	; wave barrier
	scratch_load_dwordx2 v[18:19], off, off offset:32
	v_cmp_gt_u32_e32 vcc, 4, v0
	s_waitcnt vmcnt(0)
	ds_write_b64 v1, v[18:19]
	s_waitcnt lgkmcnt(0)
	; wave barrier
	s_and_saveexec_b64 s[0:1], vcc
	s_cbranch_execz .LBB70_31
; %bb.28:
	v_mov_b32_e32 v18, 0
	v_add_u32_e32 v3, -1, v0
	v_add_u32_e32 v21, 64, v2
	v_mov_b32_e32 v22, v2
	s_mov_b64 s[4:5], 0
	v_mov_b32_e32 v19, v18
.LBB70_29:                              ; =>This Inner Loop Header: Depth=1
	scratch_load_dwordx2 v[24:25], v22, off
	ds_read_b64 v[26:27], v21
	v_add_u32_e32 v3, 1, v3
	v_cmp_lt_u32_e32 vcc, 2, v3
	v_add_u32_e32 v21, 8, v21
	v_add_u32_e32 v22, 8, v22
	s_or_b64 s[4:5], vcc, s[4:5]
	s_waitcnt vmcnt(0) lgkmcnt(0)
	v_pk_mul_f32 v[28:29], v[26:27], v[24:25] op_sel:[1,1] op_sel_hi:[0,1]
	v_pk_fma_f32 v[30:31], v[26:27], v[24:25], v[28:29] neg_lo:[0,0,1] neg_hi:[0,0,1]
	v_pk_fma_f32 v[24:25], v[26:27], v[24:25], v[28:29] op_sel_hi:[1,0,1]
	s_nop 0
	v_mov_b32_e32 v31, v25
	v_pk_add_f32 v[18:19], v[18:19], v[30:31]
	s_andn2_b64 exec, exec, s[4:5]
	s_cbranch_execnz .LBB70_29
; %bb.30:
	s_or_b64 exec, exec, s[4:5]
	v_mov_b32_e32 v3, 0
	ds_read_b64 v[22:23], v3 offset:32
	s_waitcnt lgkmcnt(0)
	v_pk_mul_f32 v[24:25], v[18:19], v[22:23] op_sel:[1,1] op_sel_hi:[0,1]
	v_pk_fma_f32 v[26:27], v[18:19], v[22:23], v[24:25] neg_lo:[0,0,1] neg_hi:[0,0,1]
	v_pk_fma_f32 v[18:19], v[18:19], v[22:23], v[24:25] op_sel_hi:[1,0,1]
	s_nop 0
	v_mov_b32_e32 v27, v19
	scratch_store_dwordx2 off, v[26:27], off offset:32
.LBB70_31:
	s_or_b64 exec, exec, s[0:1]
	; wave barrier
	scratch_load_dwordx2 v[18:19], off, off offset:40
	v_cmp_gt_u32_e32 vcc, 5, v0
	s_waitcnt vmcnt(0)
	ds_write_b64 v1, v[18:19]
	s_waitcnt lgkmcnt(0)
	; wave barrier
	s_and_saveexec_b64 s[0:1], vcc
	s_cbranch_execz .LBB70_35
; %bb.32:
	v_mov_b32_e32 v18, 0
	v_add_u32_e32 v3, -1, v0
	v_add_u32_e32 v21, 64, v2
	v_mov_b32_e32 v22, v2
	s_mov_b64 s[4:5], 0
	v_mov_b32_e32 v19, v18
.LBB70_33:                              ; =>This Inner Loop Header: Depth=1
	scratch_load_dwordx2 v[24:25], v22, off
	ds_read_b64 v[26:27], v21
	v_add_u32_e32 v3, 1, v3
	v_cmp_lt_u32_e32 vcc, 3, v3
	v_add_u32_e32 v21, 8, v21
	v_add_u32_e32 v22, 8, v22
	s_or_b64 s[4:5], vcc, s[4:5]
	s_waitcnt vmcnt(0) lgkmcnt(0)
	v_pk_mul_f32 v[28:29], v[26:27], v[24:25] op_sel:[1,1] op_sel_hi:[0,1]
	v_pk_fma_f32 v[30:31], v[26:27], v[24:25], v[28:29] neg_lo:[0,0,1] neg_hi:[0,0,1]
	v_pk_fma_f32 v[24:25], v[26:27], v[24:25], v[28:29] op_sel_hi:[1,0,1]
	s_nop 0
	v_mov_b32_e32 v31, v25
	v_pk_add_f32 v[18:19], v[18:19], v[30:31]
	s_andn2_b64 exec, exec, s[4:5]
	s_cbranch_execnz .LBB70_33
; %bb.34:
	s_or_b64 exec, exec, s[4:5]
	v_mov_b32_e32 v3, 0
	ds_read_b64 v[22:23], v3 offset:40
	s_waitcnt lgkmcnt(0)
	v_pk_mul_f32 v[24:25], v[18:19], v[22:23] op_sel:[1,1] op_sel_hi:[0,1]
	v_pk_fma_f32 v[26:27], v[18:19], v[22:23], v[24:25] neg_lo:[0,0,1] neg_hi:[0,0,1]
	v_pk_fma_f32 v[18:19], v[18:19], v[22:23], v[24:25] op_sel_hi:[1,0,1]
	s_nop 0
	v_mov_b32_e32 v27, v19
	scratch_store_dwordx2 off, v[26:27], off offset:40
.LBB70_35:
	s_or_b64 exec, exec, s[0:1]
	; wave barrier
	scratch_load_dwordx2 v[18:19], off, off offset:48
	v_cmp_ne_u32_e32 vcc, 6, v0
	s_waitcnt vmcnt(0)
	ds_write_b64 v1, v[18:19]
	s_waitcnt lgkmcnt(0)
	; wave barrier
	s_and_saveexec_b64 s[0:1], vcc
	s_cbranch_execz .LBB70_39
; %bb.36:
	v_mov_b32_e32 v18, v2
	v_mov_b32_e32 v2, 0
	s_mov_b64 s[4:5], 0
	v_mov_b32_e32 v3, v2
.LBB70_37:                              ; =>This Inner Loop Header: Depth=1
	scratch_load_dwordx2 v[22:23], v18, off
	ds_read_b64 v[24:25], v1
	v_add_u32_e32 v20, 1, v20
	v_cmp_lt_u32_e32 vcc, 4, v20
	v_add_u32_e32 v1, 8, v1
	v_add_u32_e32 v18, 8, v18
	s_or_b64 s[4:5], vcc, s[4:5]
	s_waitcnt vmcnt(0) lgkmcnt(0)
	v_pk_mul_f32 v[26:27], v[24:25], v[22:23] op_sel:[1,1] op_sel_hi:[0,1]
	v_pk_fma_f32 v[28:29], v[24:25], v[22:23], v[26:27] neg_lo:[0,0,1] neg_hi:[0,0,1]
	v_pk_fma_f32 v[22:23], v[24:25], v[22:23], v[26:27] op_sel_hi:[1,0,1]
	s_nop 0
	v_mov_b32_e32 v29, v23
	v_pk_add_f32 v[2:3], v[2:3], v[28:29]
	s_andn2_b64 exec, exec, s[4:5]
	s_cbranch_execnz .LBB70_37
; %bb.38:
	s_or_b64 exec, exec, s[4:5]
	v_mov_b32_e32 v1, 0
	ds_read_b64 v[18:19], v1 offset:48
	s_waitcnt lgkmcnt(0)
	v_pk_mul_f32 v[20:21], v[2:3], v[18:19] op_sel:[1,1] op_sel_hi:[0,1]
	v_pk_fma_f32 v[22:23], v[2:3], v[18:19], v[20:21] neg_lo:[0,0,1] neg_hi:[0,0,1]
	v_pk_fma_f32 v[2:3], v[2:3], v[18:19], v[20:21] op_sel_hi:[1,0,1]
	s_nop 0
	v_mov_b32_e32 v23, v3
	scratch_store_dwordx2 off, v[22:23], off offset:48
.LBB70_39:
	s_or_b64 exec, exec, s[0:1]
	s_mov_b64 s[4:5], -1
	; wave barrier
.LBB70_40:
	s_and_b64 vcc, exec, s[4:5]
	s_cbranch_vccz .LBB70_42
; %bb.41:
	s_lshl_b64 s[0:1], s[2:3], 2
	s_add_u32 s0, s6, s0
	s_addc_u32 s1, s7, s1
	v_mov_b32_e32 v1, 0
	global_load_dword v1, v1, s[0:1]
	s_waitcnt vmcnt(0)
	v_cmp_ne_u32_e32 vcc, 0, v1
	s_cbranch_vccz .LBB70_43
.LBB70_42:
	s_endpgm
.LBB70_43:
	v_lshl_add_u32 v1, v0, 3, 64
	v_cmp_eq_u32_e32 vcc, 6, v0
	s_and_saveexec_b64 s[0:1], vcc
	s_cbranch_execz .LBB70_45
; %bb.44:
	scratch_load_dwordx2 v[2:3], off, off offset:40
	v_mov_b32_e32 v18, 0
	v_mov_b32_e32 v19, v18
	scratch_store_dwordx2 off, v[18:19], off offset:40
	s_waitcnt vmcnt(1)
	ds_write_b64 v1, v[2:3]
.LBB70_45:
	s_or_b64 exec, exec, s[0:1]
	s_waitcnt lgkmcnt(0)
	; wave barrier
	scratch_load_dwordx2 v[18:19], off, off offset:48
	scratch_load_dwordx2 v[20:21], off, off offset:40
	v_mov_b32_e32 v2, 0
	ds_read_b64 v[22:23], v2 offset:112
	v_cmp_lt_u32_e32 vcc, 4, v0
	s_waitcnt vmcnt(1) lgkmcnt(0)
	v_pk_mul_f32 v[24:25], v[22:23], v[18:19] op_sel:[1,1] op_sel_hi:[0,1]
	v_pk_fma_f32 v[26:27], v[22:23], v[18:19], v[24:25] neg_lo:[0,0,1] neg_hi:[0,0,1]
	v_pk_fma_f32 v[18:19], v[22:23], v[18:19], v[24:25] op_sel_hi:[1,0,1]
	s_nop 0
	v_mov_b32_e32 v27, v19
	v_pk_add_f32 v[18:19], v[26:27], 0 op_sel_hi:[1,0]
	s_waitcnt vmcnt(0)
	v_pk_add_f32 v[18:19], v[20:21], v[18:19] neg_lo:[0,1] neg_hi:[0,1]
	scratch_store_dwordx2 off, v[18:19], off offset:40
	s_and_saveexec_b64 s[0:1], vcc
	s_cbranch_execz .LBB70_47
; %bb.46:
	scratch_load_dwordx2 v[18:19], off, off offset:32
	v_mov_b32_e32 v3, v2
	scratch_store_dwordx2 off, v[2:3], off offset:32
	s_waitcnt vmcnt(1)
	ds_write_b64 v1, v[18:19]
.LBB70_47:
	s_or_b64 exec, exec, s[0:1]
	s_waitcnt lgkmcnt(0)
	; wave barrier
	scratch_load_dwordx4 v[18:21], off, off offset:40
	scratch_load_dwordx2 v[26:27], off, off offset:32
	ds_read2_b64 v[22:25], v2 offset0:13 offset1:14
	v_cmp_lt_u32_e32 vcc, 3, v0
	s_waitcnt vmcnt(1) lgkmcnt(0)
	v_pk_mul_f32 v[2:3], v[22:23], v[18:19] op_sel:[1,1] op_sel_hi:[0,1]
	v_mov_b32_e32 v28, v21
	v_pk_fma_f32 v[30:31], v[22:23], v[18:19], v[2:3] neg_lo:[0,0,1] neg_hi:[0,0,1]
	v_pk_fma_f32 v[2:3], v[22:23], v[18:19], v[2:3] op_sel_hi:[1,0,1]
	v_pk_mul_f32 v[18:19], v[24:25], v[28:29] op_sel:[1,0] op_sel_hi:[0,0]
	v_mov_b32_e32 v31, v3
	v_pk_fma_f32 v[2:3], v[24:25], v[20:21], v[18:19] neg_lo:[0,0,1] neg_hi:[0,0,1]
	v_pk_fma_f32 v[18:19], v[24:25], v[20:21], v[18:19] op_sel_hi:[1,0,1]
	v_pk_add_f32 v[20:21], v[30:31], 0 op_sel_hi:[1,0]
	v_mov_b32_e32 v3, v19
	v_pk_add_f32 v[2:3], v[20:21], v[2:3]
	s_waitcnt vmcnt(0)
	v_pk_add_f32 v[2:3], v[26:27], v[2:3] neg_lo:[0,1] neg_hi:[0,1]
	scratch_store_dwordx2 off, v[2:3], off offset:32
	s_and_saveexec_b64 s[0:1], vcc
	s_cbranch_execz .LBB70_49
; %bb.48:
	scratch_load_dwordx2 v[2:3], off, off offset:24
	v_mov_b32_e32 v18, 0
	v_mov_b32_e32 v19, v18
	scratch_store_dwordx2 off, v[18:19], off offset:24
	s_waitcnt vmcnt(1)
	ds_write_b64 v1, v[2:3]
.LBB70_49:
	s_or_b64 exec, exec, s[0:1]
	s_waitcnt lgkmcnt(0)
	; wave barrier
	scratch_load_dwordx4 v[18:21], off, off offset:32
	scratch_load_dwordx2 v[26:27], off, off offset:48
	scratch_load_dwordx2 v[28:29], off, off offset:24
	v_mov_b32_e32 v2, 0
	ds_read_b128 v[22:25], v2 offset:96
	ds_read_b64 v[30:31], v2 offset:112
	v_cmp_lt_u32_e32 vcc, 2, v0
	s_waitcnt vmcnt(2) lgkmcnt(1)
	v_pk_mul_f32 v[32:33], v[22:23], v[18:19] op_sel:[1,1] op_sel_hi:[0,1]
	v_mov_b32_e32 v34, v21
	v_pk_fma_f32 v[38:39], v[22:23], v[18:19], v[32:33] neg_lo:[0,0,1] neg_hi:[0,0,1]
	v_pk_fma_f32 v[18:19], v[22:23], v[18:19], v[32:33] op_sel_hi:[1,0,1]
	v_pk_mul_f32 v[22:23], v[24:25], v[34:35] op_sel:[1,0] op_sel_hi:[0,0]
	s_waitcnt vmcnt(1) lgkmcnt(0)
	v_pk_mul_f32 v[36:37], v[30:31], v[26:27] op_sel:[1,1] op_sel_hi:[0,1]
	v_mov_b32_e32 v39, v19
	v_pk_fma_f32 v[18:19], v[24:25], v[20:21], v[22:23] neg_lo:[0,0,1] neg_hi:[0,0,1]
	v_pk_fma_f32 v[20:21], v[24:25], v[20:21], v[22:23] op_sel_hi:[1,0,1]
	v_pk_fma_f32 v[32:33], v[30:31], v[26:27], v[36:37] neg_lo:[0,0,1] neg_hi:[0,0,1]
	v_pk_fma_f32 v[26:27], v[30:31], v[26:27], v[36:37] op_sel_hi:[1,0,1]
	v_pk_add_f32 v[22:23], v[38:39], 0 op_sel_hi:[1,0]
	v_mov_b32_e32 v19, v21
	v_mov_b32_e32 v33, v27
	v_pk_add_f32 v[18:19], v[22:23], v[18:19]
	s_nop 0
	v_pk_add_f32 v[18:19], v[18:19], v[32:33]
	s_waitcnt vmcnt(0)
	v_pk_add_f32 v[18:19], v[28:29], v[18:19] neg_lo:[0,1] neg_hi:[0,1]
	scratch_store_dwordx2 off, v[18:19], off offset:24
	s_and_saveexec_b64 s[0:1], vcc
	s_cbranch_execz .LBB70_51
; %bb.50:
	scratch_load_dwordx2 v[18:19], off, off offset:16
	v_mov_b32_e32 v3, v2
	scratch_store_dwordx2 off, v[2:3], off offset:16
	s_waitcnt vmcnt(1)
	ds_write_b64 v1, v[18:19]
.LBB70_51:
	s_or_b64 exec, exec, s[0:1]
	s_waitcnt lgkmcnt(0)
	; wave barrier
	scratch_load_dwordx4 v[18:21], off, off offset:24
	scratch_load_dwordx4 v[22:25], off, off offset:40
	scratch_load_dwordx2 v[34:35], off, off offset:16
	ds_read2_b64 v[26:29], v2 offset0:11 offset1:12
	ds_read2_b64 v[30:33], v2 offset0:13 offset1:14
	v_cmp_lt_u32_e32 vcc, 1, v0
	s_waitcnt vmcnt(2) lgkmcnt(1)
	v_pk_mul_f32 v[2:3], v[26:27], v[18:19] op_sel:[1,1] op_sel_hi:[0,1]
	v_mov_b32_e32 v36, v21
	s_waitcnt vmcnt(1) lgkmcnt(0)
	v_pk_mul_f32 v[38:39], v[30:31], v[22:23] op_sel:[1,1] op_sel_hi:[0,1]
	v_mov_b32_e32 v40, v25
	v_pk_fma_f32 v[42:43], v[26:27], v[18:19], v[2:3] neg_lo:[0,0,1] neg_hi:[0,0,1]
	v_pk_fma_f32 v[2:3], v[26:27], v[18:19], v[2:3] op_sel_hi:[1,0,1]
	v_pk_mul_f32 v[18:19], v[28:29], v[36:37] op_sel:[1,0] op_sel_hi:[0,0]
	v_pk_fma_f32 v[26:27], v[30:31], v[22:23], v[38:39] neg_lo:[0,0,1] neg_hi:[0,0,1]
	v_pk_fma_f32 v[22:23], v[30:31], v[22:23], v[38:39] op_sel_hi:[1,0,1]
	v_pk_mul_f32 v[30:31], v[32:33], v[40:41] op_sel:[1,0] op_sel_hi:[0,0]
	v_mov_b32_e32 v43, v3
	v_pk_fma_f32 v[2:3], v[28:29], v[20:21], v[18:19] neg_lo:[0,0,1] neg_hi:[0,0,1]
	v_pk_fma_f32 v[18:19], v[28:29], v[20:21], v[18:19] op_sel_hi:[1,0,1]
	v_mov_b32_e32 v27, v23
	v_pk_fma_f32 v[20:21], v[32:33], v[24:25], v[30:31] neg_lo:[0,0,1] neg_hi:[0,0,1]
	v_pk_fma_f32 v[22:23], v[32:33], v[24:25], v[30:31] op_sel_hi:[1,0,1]
	v_pk_add_f32 v[24:25], v[42:43], 0 op_sel_hi:[1,0]
	v_mov_b32_e32 v3, v19
	v_pk_add_f32 v[2:3], v[24:25], v[2:3]
	v_mov_b32_e32 v21, v23
	v_pk_add_f32 v[2:3], v[2:3], v[26:27]
	s_nop 0
	v_pk_add_f32 v[2:3], v[2:3], v[20:21]
	s_waitcnt vmcnt(0)
	v_pk_add_f32 v[2:3], v[34:35], v[2:3] neg_lo:[0,1] neg_hi:[0,1]
	scratch_store_dwordx2 off, v[2:3], off offset:16
	s_and_saveexec_b64 s[0:1], vcc
	s_cbranch_execz .LBB70_53
; %bb.52:
	scratch_load_dwordx2 v[2:3], off, off offset:8
	v_mov_b32_e32 v18, 0
	v_mov_b32_e32 v19, v18
	scratch_store_dwordx2 off, v[18:19], off offset:8
	s_waitcnt vmcnt(1)
	ds_write_b64 v1, v[2:3]
.LBB70_53:
	s_or_b64 exec, exec, s[0:1]
	s_waitcnt lgkmcnt(0)
	; wave barrier
	scratch_load_dwordx4 v[20:23], off, off offset:16
	scratch_load_dwordx4 v[24:27], off, off offset:32
	scratch_load_dwordx2 v[2:3], off, off offset:48
	scratch_load_dwordx2 v[36:37], off, off offset:8
	v_mov_b32_e32 v18, 0
	ds_read_b128 v[28:31], v18 offset:80
	ds_read_b128 v[32:35], v18 offset:96
	ds_read_b64 v[38:39], v18 offset:112
	v_cmp_ne_u32_e32 vcc, 0, v0
	s_waitcnt vmcnt(3) lgkmcnt(2)
	v_pk_mul_f32 v[40:41], v[28:29], v[20:21] op_sel:[1,1] op_sel_hi:[0,1]
	v_mov_b32_e32 v42, v23
	s_waitcnt vmcnt(1) lgkmcnt(0)
	v_pk_mul_f32 v[48:49], v[38:39], v[2:3] op_sel:[1,1] op_sel_hi:[0,1]
	v_pk_fma_f32 v[50:51], v[28:29], v[20:21], v[40:41] neg_lo:[0,0,1] neg_hi:[0,0,1]
	v_pk_fma_f32 v[20:21], v[28:29], v[20:21], v[40:41] op_sel_hi:[1,0,1]
	v_pk_mul_f32 v[28:29], v[30:31], v[42:43] op_sel:[1,0] op_sel_hi:[0,0]
	v_pk_mul_f32 v[44:45], v[32:33], v[24:25] op_sel:[1,1] op_sel_hi:[0,1]
	v_mov_b32_e32 v46, v27
	v_pk_fma_f32 v[42:43], v[38:39], v[2:3], v[48:49] neg_lo:[0,0,1] neg_hi:[0,0,1]
	v_pk_fma_f32 v[2:3], v[38:39], v[2:3], v[48:49] op_sel_hi:[1,0,1]
	v_mov_b32_e32 v51, v21
	v_pk_fma_f32 v[20:21], v[30:31], v[22:23], v[28:29] neg_lo:[0,0,1] neg_hi:[0,0,1]
	v_pk_fma_f32 v[22:23], v[30:31], v[22:23], v[28:29] op_sel_hi:[1,0,1]
	v_pk_fma_f32 v[40:41], v[32:33], v[24:25], v[44:45] neg_lo:[0,0,1] neg_hi:[0,0,1]
	v_pk_fma_f32 v[24:25], v[32:33], v[24:25], v[44:45] op_sel_hi:[1,0,1]
	v_pk_mul_f32 v[32:33], v[34:35], v[46:47] op_sel:[1,0] op_sel_hi:[0,0]
	v_mov_b32_e32 v43, v3
	v_pk_add_f32 v[2:3], v[50:51], 0 op_sel_hi:[1,0]
	v_mov_b32_e32 v21, v23
	v_mov_b32_e32 v41, v25
	v_pk_fma_f32 v[24:25], v[34:35], v[26:27], v[32:33] neg_lo:[0,0,1] neg_hi:[0,0,1]
	v_pk_fma_f32 v[26:27], v[34:35], v[26:27], v[32:33] op_sel_hi:[1,0,1]
	v_pk_add_f32 v[2:3], v[2:3], v[20:21]
	v_mov_b32_e32 v25, v27
	v_pk_add_f32 v[2:3], v[2:3], v[40:41]
	s_nop 0
	v_pk_add_f32 v[2:3], v[2:3], v[24:25]
	s_nop 0
	v_pk_add_f32 v[2:3], v[2:3], v[42:43]
	s_waitcnt vmcnt(0)
	v_pk_add_f32 v[2:3], v[36:37], v[2:3] neg_lo:[0,1] neg_hi:[0,1]
	scratch_store_dwordx2 off, v[2:3], off offset:8
	s_and_saveexec_b64 s[0:1], vcc
	s_cbranch_execz .LBB70_55
; %bb.54:
	scratch_load_dwordx2 v[2:3], off, off
	v_mov_b32_e32 v19, v18
	scratch_store_dwordx2 off, v[18:19], off
	s_waitcnt vmcnt(1)
	ds_write_b64 v1, v[2:3]
.LBB70_55:
	s_or_b64 exec, exec, s[0:1]
	s_waitcnt lgkmcnt(0)
	; wave barrier
	scratch_load_dwordx4 v[20:23], off, off offset:8
	scratch_load_dwordx4 v[24:27], off, off offset:24
	;; [unrolled: 1-line block ×3, first 2 shown]
	scratch_load_dwordx2 v[40:41], off, off
	ds_read2_b64 v[28:31], v18 offset0:9 offset1:10
	ds_read2_b64 v[32:35], v18 offset0:11 offset1:12
	;; [unrolled: 1-line block ×3, first 2 shown]
	s_and_b64 vcc, exec, s[10:11]
	s_waitcnt vmcnt(3) lgkmcnt(2)
	v_pk_mul_f32 v[18:19], v[28:29], v[20:21] op_sel:[1,1] op_sel_hi:[0,1]
	v_mov_b32_e32 v42, v23
	s_waitcnt vmcnt(2) lgkmcnt(1)
	v_pk_mul_f32 v[44:45], v[32:33], v[24:25] op_sel:[1,1] op_sel_hi:[0,1]
	v_mov_b32_e32 v46, v27
	s_waitcnt vmcnt(1)
	v_mov_b32_e32 v50, v3
	v_pk_fma_f32 v[52:53], v[28:29], v[20:21], v[18:19] neg_lo:[0,0,1] neg_hi:[0,0,1]
	v_pk_fma_f32 v[18:19], v[28:29], v[20:21], v[18:19] op_sel_hi:[1,0,1]
	v_pk_mul_f32 v[20:21], v[30:31], v[42:43] op_sel:[1,0] op_sel_hi:[0,0]
	v_pk_fma_f32 v[28:29], v[32:33], v[24:25], v[44:45] neg_lo:[0,0,1] neg_hi:[0,0,1]
	v_pk_fma_f32 v[24:25], v[32:33], v[24:25], v[44:45] op_sel_hi:[1,0,1]
	v_pk_mul_f32 v[32:33], v[34:35], v[46:47] op_sel:[1,0] op_sel_hi:[0,0]
	s_waitcnt lgkmcnt(0)
	v_pk_mul_f32 v[44:45], v[38:39], v[50:51] op_sel:[1,0] op_sel_hi:[0,0]
	v_mov_b32_e32 v53, v19
	v_pk_fma_f32 v[18:19], v[30:31], v[22:23], v[20:21] neg_lo:[0,0,1] neg_hi:[0,0,1]
	v_pk_fma_f32 v[20:21], v[30:31], v[22:23], v[20:21] op_sel_hi:[1,0,1]
	v_mov_b32_e32 v29, v25
	v_pk_fma_f32 v[22:23], v[34:35], v[26:27], v[32:33] neg_lo:[0,0,1] neg_hi:[0,0,1]
	v_pk_fma_f32 v[24:25], v[34:35], v[26:27], v[32:33] op_sel_hi:[1,0,1]
	v_pk_fma_f32 v[26:27], v[38:39], v[2:3], v[44:45] neg_lo:[0,0,1] neg_hi:[0,0,1]
	v_pk_fma_f32 v[2:3], v[38:39], v[2:3], v[44:45] op_sel_hi:[1,0,1]
	v_pk_add_f32 v[30:31], v[52:53], 0 op_sel_hi:[1,0]
	v_mov_b32_e32 v19, v21
	v_pk_mul_f32 v[48:49], v[36:37], v[0:1] op_sel:[1,1] op_sel_hi:[0,1]
	v_mov_b32_e32 v27, v3
	v_pk_add_f32 v[2:3], v[30:31], v[18:19]
	v_pk_fma_f32 v[42:43], v[36:37], v[0:1], v[48:49] neg_lo:[0,0,1] neg_hi:[0,0,1]
	v_pk_fma_f32 v[36:37], v[36:37], v[0:1], v[48:49] op_sel_hi:[1,0,1]
	v_mov_b32_e32 v23, v25
	v_pk_add_f32 v[2:3], v[2:3], v[28:29]
	v_mov_b32_e32 v43, v37
	v_pk_add_f32 v[2:3], v[2:3], v[22:23]
	s_nop 0
	v_pk_add_f32 v[2:3], v[2:3], v[42:43]
	s_nop 0
	v_pk_add_f32 v[2:3], v[2:3], v[26:27]
	s_waitcnt vmcnt(0)
	v_pk_add_f32 v[2:3], v[40:41], v[2:3] neg_lo:[0,1] neg_hi:[0,1]
	scratch_store_dwordx2 off, v[2:3], off
	s_cbranch_vccz .LBB70_68
; %bb.56:
	v_mov_b32_e32 v2, 0
	global_load_dword v3, v2, s[8:9] offset:20
	s_waitcnt vmcnt(0)
	v_readfirstlane_b32 s0, v3
	s_add_i32 s0, s0, -1
	s_cmp_lg_u32 s0, 5
	s_cbranch_scc0 .LBB70_58
; %bb.57:
	s_lshl_b32 s0, s0, 3
	s_nop 0
	scratch_load_dwordx2 v[18:19], off, s0
	s_waitcnt vmcnt(0)
	scratch_store_dwordx2 off, v[18:19], off offset:40
	scratch_store_dwordx2 off, v[0:1], s0
.LBB70_58:
	global_load_dword v0, v2, s[8:9] offset:16
	s_waitcnt vmcnt(0)
	v_readfirstlane_b32 s0, v0
	s_add_i32 s0, s0, -1
	s_cmp_eq_u32 s0, 4
	s_cbranch_scc1 .LBB70_60
; %bb.59:
	s_lshl_b32 s0, s0, 3
	s_nop 0
	scratch_load_dwordx2 v[0:1], off, s0
	scratch_load_dwordx2 v[2:3], off, off offset:32
	s_waitcnt vmcnt(1)
	scratch_store_dwordx2 off, v[0:1], off offset:32
	s_waitcnt vmcnt(1)
	scratch_store_dwordx2 off, v[2:3], s0
.LBB70_60:
	v_mov_b32_e32 v0, 0
	global_load_dword v1, v0, s[8:9] offset:12
	s_waitcnt vmcnt(0)
	v_readfirstlane_b32 s0, v1
	s_add_i32 s0, s0, -1
	s_cmp_eq_u32 s0, 3
	s_cbranch_scc1 .LBB70_62
; %bb.61:
	s_lshl_b32 s0, s0, 3
	s_nop 0
	scratch_load_dwordx2 v[2:3], off, s0
	scratch_load_dwordx2 v[18:19], off, off offset:24
	s_waitcnt vmcnt(1)
	scratch_store_dwordx2 off, v[2:3], off offset:24
	s_waitcnt vmcnt(1)
	scratch_store_dwordx2 off, v[18:19], s0
.LBB70_62:
	global_load_dword v0, v0, s[8:9] offset:8
	s_waitcnt vmcnt(0)
	v_readfirstlane_b32 s0, v0
	s_add_i32 s0, s0, -1
	s_cmp_eq_u32 s0, 2
	s_cbranch_scc1 .LBB70_64
; %bb.63:
	s_lshl_b32 s0, s0, 3
	s_nop 0
	scratch_load_dwordx2 v[0:1], off, s0
	scratch_load_dwordx2 v[2:3], off, off offset:16
	s_waitcnt vmcnt(1)
	scratch_store_dwordx2 off, v[0:1], off offset:16
	s_waitcnt vmcnt(1)
	scratch_store_dwordx2 off, v[2:3], s0
.LBB70_64:
	v_mov_b32_e32 v0, 0
	global_load_dword v1, v0, s[8:9] offset:4
	s_waitcnt vmcnt(0)
	v_readfirstlane_b32 s0, v1
	s_add_i32 s0, s0, -1
	s_cmp_eq_u32 s0, 1
	s_cbranch_scc1 .LBB70_66
; %bb.65:
	s_lshl_b32 s0, s0, 3
	s_nop 0
	scratch_load_dwordx2 v[2:3], off, s0
	scratch_load_dwordx2 v[18:19], off, off offset:8
	s_waitcnt vmcnt(1)
	scratch_store_dwordx2 off, v[2:3], off offset:8
	s_waitcnt vmcnt(1)
	scratch_store_dwordx2 off, v[18:19], s0
.LBB70_66:
	global_load_dword v0, v0, s[8:9]
	s_nop 0
	scratch_load_dwordx2 v[2:3], off, off
	s_waitcnt vmcnt(1)
	v_readfirstlane_b32 s0, v0
	s_add_i32 s0, s0, -1
	s_cmp_eq_u32 s0, 0
	s_cbranch_scc1 .LBB70_68
; %bb.67:
	s_lshl_b32 s0, s0, 3
	s_nop 0
	scratch_load_dwordx2 v[0:1], off, s0
	s_waitcnt vmcnt(0)
	scratch_store_dwordx2 off, v[0:1], off
	scratch_store_dwordx2 off, v[2:3], s0
	scratch_load_dwordx2 v[2:3], off, off
.LBB70_68:
	s_waitcnt vmcnt(0)
	flat_store_dwordx2 v[4:5], v[2:3]
	scratch_load_dwordx2 v[0:1], off, off offset:8
	s_waitcnt vmcnt(0)
	flat_store_dwordx2 v[6:7], v[0:1]
	scratch_load_dwordx2 v[0:1], off, off offset:16
	s_waitcnt vmcnt(0)
	flat_store_dwordx2 v[8:9], v[0:1]
	scratch_load_dwordx2 v[0:1], off, off offset:24
	s_waitcnt vmcnt(0)
	flat_store_dwordx2 v[10:11], v[0:1]
	scratch_load_dwordx2 v[0:1], off, off offset:32
	s_waitcnt vmcnt(0)
	flat_store_dwordx2 v[12:13], v[0:1]
	scratch_load_dwordx2 v[0:1], off, off offset:40
	s_waitcnt vmcnt(0)
	flat_store_dwordx2 v[14:15], v[0:1]
	scratch_load_dwordx2 v[0:1], off, off offset:48
	s_waitcnt vmcnt(0)
	flat_store_dwordx2 v[16:17], v[0:1]
	s_endpgm
	.section	.rodata,"a",@progbits
	.p2align	6, 0x0
	.amdhsa_kernel _ZN9rocsolver6v33100L18getri_kernel_smallILi7E19rocblas_complex_numIfEPKPS3_EEvT1_iilPiilS8_bb
		.amdhsa_group_segment_fixed_size 120
		.amdhsa_private_segment_fixed_size 64
		.amdhsa_kernarg_size 60
		.amdhsa_user_sgpr_count 2
		.amdhsa_user_sgpr_dispatch_ptr 0
		.amdhsa_user_sgpr_queue_ptr 0
		.amdhsa_user_sgpr_kernarg_segment_ptr 1
		.amdhsa_user_sgpr_dispatch_id 0
		.amdhsa_user_sgpr_kernarg_preload_length 0
		.amdhsa_user_sgpr_kernarg_preload_offset 0
		.amdhsa_user_sgpr_private_segment_size 0
		.amdhsa_uses_dynamic_stack 0
		.amdhsa_enable_private_segment 1
		.amdhsa_system_sgpr_workgroup_id_x 1
		.amdhsa_system_sgpr_workgroup_id_y 0
		.amdhsa_system_sgpr_workgroup_id_z 0
		.amdhsa_system_sgpr_workgroup_info 0
		.amdhsa_system_vgpr_workitem_id 0
		.amdhsa_next_free_vgpr 54
		.amdhsa_next_free_sgpr 17
		.amdhsa_accum_offset 56
		.amdhsa_reserve_vcc 1
		.amdhsa_float_round_mode_32 0
		.amdhsa_float_round_mode_16_64 0
		.amdhsa_float_denorm_mode_32 3
		.amdhsa_float_denorm_mode_16_64 3
		.amdhsa_dx10_clamp 1
		.amdhsa_ieee_mode 1
		.amdhsa_fp16_overflow 0
		.amdhsa_tg_split 0
		.amdhsa_exception_fp_ieee_invalid_op 0
		.amdhsa_exception_fp_denorm_src 0
		.amdhsa_exception_fp_ieee_div_zero 0
		.amdhsa_exception_fp_ieee_overflow 0
		.amdhsa_exception_fp_ieee_underflow 0
		.amdhsa_exception_fp_ieee_inexact 0
		.amdhsa_exception_int_div_zero 0
	.end_amdhsa_kernel
	.section	.text._ZN9rocsolver6v33100L18getri_kernel_smallILi7E19rocblas_complex_numIfEPKPS3_EEvT1_iilPiilS8_bb,"axG",@progbits,_ZN9rocsolver6v33100L18getri_kernel_smallILi7E19rocblas_complex_numIfEPKPS3_EEvT1_iilPiilS8_bb,comdat
.Lfunc_end70:
	.size	_ZN9rocsolver6v33100L18getri_kernel_smallILi7E19rocblas_complex_numIfEPKPS3_EEvT1_iilPiilS8_bb, .Lfunc_end70-_ZN9rocsolver6v33100L18getri_kernel_smallILi7E19rocblas_complex_numIfEPKPS3_EEvT1_iilPiilS8_bb
                                        ; -- End function
	.set _ZN9rocsolver6v33100L18getri_kernel_smallILi7E19rocblas_complex_numIfEPKPS3_EEvT1_iilPiilS8_bb.num_vgpr, 54
	.set _ZN9rocsolver6v33100L18getri_kernel_smallILi7E19rocblas_complex_numIfEPKPS3_EEvT1_iilPiilS8_bb.num_agpr, 0
	.set _ZN9rocsolver6v33100L18getri_kernel_smallILi7E19rocblas_complex_numIfEPKPS3_EEvT1_iilPiilS8_bb.numbered_sgpr, 17
	.set _ZN9rocsolver6v33100L18getri_kernel_smallILi7E19rocblas_complex_numIfEPKPS3_EEvT1_iilPiilS8_bb.num_named_barrier, 0
	.set _ZN9rocsolver6v33100L18getri_kernel_smallILi7E19rocblas_complex_numIfEPKPS3_EEvT1_iilPiilS8_bb.private_seg_size, 64
	.set _ZN9rocsolver6v33100L18getri_kernel_smallILi7E19rocblas_complex_numIfEPKPS3_EEvT1_iilPiilS8_bb.uses_vcc, 1
	.set _ZN9rocsolver6v33100L18getri_kernel_smallILi7E19rocblas_complex_numIfEPKPS3_EEvT1_iilPiilS8_bb.uses_flat_scratch, 0
	.set _ZN9rocsolver6v33100L18getri_kernel_smallILi7E19rocblas_complex_numIfEPKPS3_EEvT1_iilPiilS8_bb.has_dyn_sized_stack, 0
	.set _ZN9rocsolver6v33100L18getri_kernel_smallILi7E19rocblas_complex_numIfEPKPS3_EEvT1_iilPiilS8_bb.has_recursion, 0
	.set _ZN9rocsolver6v33100L18getri_kernel_smallILi7E19rocblas_complex_numIfEPKPS3_EEvT1_iilPiilS8_bb.has_indirect_call, 0
	.section	.AMDGPU.csdata,"",@progbits
; Kernel info:
; codeLenInByte = 4564
; TotalNumSgprs: 23
; NumVgprs: 54
; NumAgprs: 0
; TotalNumVgprs: 54
; ScratchSize: 64
; MemoryBound: 0
; FloatMode: 240
; IeeeMode: 1
; LDSByteSize: 120 bytes/workgroup (compile time only)
; SGPRBlocks: 2
; VGPRBlocks: 6
; NumSGPRsForWavesPerEU: 23
; NumVGPRsForWavesPerEU: 54
; AccumOffset: 56
; Occupancy: 8
; WaveLimiterHint : 1
; COMPUTE_PGM_RSRC2:SCRATCH_EN: 1
; COMPUTE_PGM_RSRC2:USER_SGPR: 2
; COMPUTE_PGM_RSRC2:TRAP_HANDLER: 0
; COMPUTE_PGM_RSRC2:TGID_X_EN: 1
; COMPUTE_PGM_RSRC2:TGID_Y_EN: 0
; COMPUTE_PGM_RSRC2:TGID_Z_EN: 0
; COMPUTE_PGM_RSRC2:TIDIG_COMP_CNT: 0
; COMPUTE_PGM_RSRC3_GFX90A:ACCUM_OFFSET: 13
; COMPUTE_PGM_RSRC3_GFX90A:TG_SPLIT: 0
	.section	.text._ZN9rocsolver6v33100L18getri_kernel_smallILi8E19rocblas_complex_numIfEPKPS3_EEvT1_iilPiilS8_bb,"axG",@progbits,_ZN9rocsolver6v33100L18getri_kernel_smallILi8E19rocblas_complex_numIfEPKPS3_EEvT1_iilPiilS8_bb,comdat
	.globl	_ZN9rocsolver6v33100L18getri_kernel_smallILi8E19rocblas_complex_numIfEPKPS3_EEvT1_iilPiilS8_bb ; -- Begin function _ZN9rocsolver6v33100L18getri_kernel_smallILi8E19rocblas_complex_numIfEPKPS3_EEvT1_iilPiilS8_bb
	.p2align	8
	.type	_ZN9rocsolver6v33100L18getri_kernel_smallILi8E19rocblas_complex_numIfEPKPS3_EEvT1_iilPiilS8_bb,@function
_ZN9rocsolver6v33100L18getri_kernel_smallILi8E19rocblas_complex_numIfEPKPS3_EEvT1_iilPiilS8_bb: ; @_ZN9rocsolver6v33100L18getri_kernel_smallILi8E19rocblas_complex_numIfEPKPS3_EEvT1_iilPiilS8_bb
; %bb.0:
	v_cmp_gt_u32_e32 vcc, 8, v0
	s_and_saveexec_b64 s[4:5], vcc
	s_cbranch_execz .LBB71_46
; %bb.1:
	s_load_dword s14, s[0:1], 0x38
	s_load_dwordx2 s[8:9], s[0:1], 0x0
	s_load_dwordx4 s[4:7], s[0:1], 0x28
	s_waitcnt lgkmcnt(0)
	s_bitcmp1_b32 s14, 8
	s_cselect_b64 s[10:11], -1, 0
	s_ashr_i32 s3, s2, 31
	s_lshl_b64 s[12:13], s[2:3], 3
	s_add_u32 s8, s8, s12
	s_addc_u32 s9, s9, s13
	s_load_dwordx2 s[12:13], s[8:9], 0x0
	s_bfe_u32 s8, s14, 0x10008
	s_cmp_eq_u32 s8, 0
                                        ; implicit-def: $sgpr8_sgpr9
	s_cbranch_scc1 .LBB71_3
; %bb.2:
	s_load_dword s8, s[0:1], 0x20
	s_load_dwordx2 s[14:15], s[0:1], 0x18
	s_mul_i32 s9, s4, s3
	s_mul_hi_u32 s16, s4, s2
	s_add_i32 s16, s16, s9
	s_mul_i32 s5, s5, s2
	s_add_i32 s5, s16, s5
	s_mul_i32 s4, s4, s2
	s_waitcnt lgkmcnt(0)
	s_ashr_i32 s9, s8, 31
	s_lshl_b64 s[4:5], s[4:5], 2
	s_add_u32 s14, s14, s4
	s_addc_u32 s15, s15, s5
	s_lshl_b64 s[4:5], s[8:9], 2
	s_add_u32 s8, s14, s4
	s_addc_u32 s9, s15, s5
.LBB71_3:
	s_load_dwordx2 s[4:5], s[0:1], 0x8
	s_load_dword s14, s[0:1], 0x38
	v_lshlrev_b32_e32 v18, 3, v0
	v_mov_b32_e32 v19, 0
	s_waitcnt lgkmcnt(0)
	s_ashr_i32 s1, s4, 31
	s_mov_b32 s0, s4
	s_lshl_b64 s[0:1], s[0:1], 3
	s_add_u32 s0, s12, s0
	s_addc_u32 s1, s13, s1
	v_lshl_add_u64 v[2:3], s[0:1], 0, v[18:19]
	flat_load_dwordx2 v[6:7], v[2:3]
	s_mov_b32 s12, s5
	s_ashr_i32 s13, s5, 31
	v_lshl_add_u64 v[4:5], s[12:13], 3, v[2:3]
	s_add_i32 s4, s5, s5
	v_add_u32_e32 v10, s4, v0
	v_ashrrev_i32_e32 v11, 31, v10
	s_bitcmp0_b32 s14, 0
	s_waitcnt vmcnt(0) lgkmcnt(0)
	scratch_store_dwordx2 off, v[6:7], off
	flat_load_dwordx2 v[8:9], v[4:5]
	v_lshl_add_u64 v[6:7], v[10:11], 3, s[0:1]
	v_add_u32_e32 v10, s5, v10
	v_ashrrev_i32_e32 v11, 31, v10
	v_add_u32_e32 v14, s5, v10
	v_ashrrev_i32_e32 v15, 31, v14
	s_waitcnt vmcnt(0) lgkmcnt(0)
	scratch_store_dwordx2 off, v[8:9], off offset:8
	flat_load_dwordx2 v[12:13], v[6:7]
	v_lshl_add_u64 v[8:9], v[10:11], 3, s[0:1]
	v_lshl_add_u64 v[10:11], v[14:15], 3, s[0:1]
	v_add_u32_e32 v14, s5, v14
	v_ashrrev_i32_e32 v15, 31, v14
	v_add_u32_e32 v20, s5, v14
	v_ashrrev_i32_e32 v21, 31, v20
	s_waitcnt vmcnt(0) lgkmcnt(0)
	scratch_store_dwordx2 off, v[12:13], off offset:16
	flat_load_dwordx2 v[12:13], v[8:9]
	s_waitcnt vmcnt(0) lgkmcnt(0)
	scratch_store_dwordx2 off, v[12:13], off offset:24
	flat_load_dwordx2 v[16:17], v[10:11]
	v_lshl_add_u64 v[12:13], v[14:15], 3, s[0:1]
	v_lshl_add_u64 v[14:15], v[20:21], 3, s[0:1]
	s_waitcnt vmcnt(0) lgkmcnt(0)
	scratch_store_dwordx2 off, v[16:17], off offset:32
	flat_load_dwordx2 v[16:17], v[12:13]
	s_waitcnt vmcnt(0) lgkmcnt(0)
	scratch_store_dwordx2 off, v[16:17], off offset:40
	flat_load_dwordx2 v[22:23], v[14:15]
	v_add_u32_e32 v16, s5, v20
	v_ashrrev_i32_e32 v17, 31, v16
	v_lshl_add_u64 v[16:17], v[16:17], 3, s[0:1]
	s_mov_b64 s[4:5], -1
	s_waitcnt vmcnt(0) lgkmcnt(0)
	scratch_store_dwordx2 off, v[22:23], off offset:48
	flat_load_dwordx2 v[20:21], v[16:17]
	s_waitcnt vmcnt(0) lgkmcnt(0)
	scratch_store_dwordx2 off, v[20:21], off offset:56
	s_cbranch_scc1 .LBB71_44
; %bb.4:
	v_cmp_eq_u32_e64 s[0:1], 0, v0
	s_and_saveexec_b64 s[4:5], s[0:1]
; %bb.5:
	v_mov_b32_e32 v1, 0
	ds_write_b32 v1, v1 offset:128
; %bb.6:
	s_or_b64 exec, exec, s[4:5]
	s_waitcnt lgkmcnt(0)
	; wave barrier
	scratch_load_dwordx2 v[20:21], v18, off
	s_waitcnt vmcnt(0)
	v_cmp_eq_f32_e32 vcc, 0, v20
	v_cmp_eq_f32_e64 s[4:5], 0, v21
	s_and_b64 s[4:5], vcc, s[4:5]
	s_and_saveexec_b64 s[12:13], s[4:5]
	s_cbranch_execz .LBB71_10
; %bb.7:
	v_mov_b32_e32 v1, 0
	ds_read_b32 v20, v1 offset:128
	v_add_u32_e32 v19, 1, v0
	s_waitcnt lgkmcnt(0)
	v_readfirstlane_b32 s4, v20
	s_cmp_eq_u32 s4, 0
	s_cselect_b64 s[14:15], -1, 0
	v_cmp_gt_i32_e32 vcc, s4, v19
	s_or_b64 s[14:15], s[14:15], vcc
	s_and_b64 exec, exec, s[14:15]
	s_cbranch_execz .LBB71_10
; %bb.8:
	s_mov_b64 s[14:15], 0
	v_mov_b32_e32 v20, s4
.LBB71_9:                               ; =>This Inner Loop Header: Depth=1
	ds_cmpst_rtn_b32 v20, v1, v20, v19 offset:128
	s_waitcnt lgkmcnt(0)
	v_cmp_ne_u32_e32 vcc, 0, v20
	v_cmp_le_i32_e64 s[4:5], v20, v19
	s_and_b64 s[4:5], vcc, s[4:5]
	s_and_b64 s[4:5], exec, s[4:5]
	s_or_b64 s[14:15], s[4:5], s[14:15]
	s_andn2_b64 exec, exec, s[14:15]
	s_cbranch_execnz .LBB71_9
.LBB71_10:
	s_or_b64 exec, exec, s[12:13]
	v_mov_b32_e32 v19, 0
	; wave barrier
	ds_read_b32 v1, v19 offset:128
	s_and_saveexec_b64 s[4:5], s[0:1]
	s_cbranch_execz .LBB71_12
; %bb.11:
	s_lshl_b64 s[12:13], s[2:3], 2
	s_add_u32 s12, s6, s12
	s_addc_u32 s13, s7, s13
	s_waitcnt lgkmcnt(0)
	global_store_dword v19, v1, s[12:13]
.LBB71_12:
	s_or_b64 exec, exec, s[4:5]
	s_waitcnt lgkmcnt(0)
	v_cmp_ne_u32_e32 vcc, 0, v1
	s_mov_b64 s[4:5], 0
	s_cbranch_vccnz .LBB71_44
; %bb.13:
	v_mov_b32_e32 v19, v18
	scratch_load_dwordx2 v[20:21], v19, off
                                        ; implicit-def: $vgpr23
                                        ; implicit-def: $vgpr24
	s_waitcnt vmcnt(0)
	v_cmp_ngt_f32_e64 s[4:5], |v20|, |v21|
	s_and_saveexec_b64 s[12:13], s[4:5]
	s_xor_b64 s[4:5], exec, s[12:13]
	s_cbranch_execz .LBB71_15
; %bb.14:
	v_div_scale_f32 v1, s[12:13], v21, v21, v20
	v_rcp_f32_e32 v22, v1
	v_div_scale_f32 v23, vcc, v20, v21, v20
	v_fma_f32 v24, -v1, v22, 1.0
	v_fmac_f32_e32 v22, v24, v22
	v_mul_f32_e32 v24, v23, v22
	v_fma_f32 v25, -v1, v24, v23
	v_fmac_f32_e32 v24, v25, v22
	v_fma_f32 v1, -v1, v24, v23
	v_div_fmas_f32 v1, v1, v22, v24
	v_div_fixup_f32 v1, v1, v21, v20
	v_fmac_f32_e32 v21, v20, v1
	v_div_scale_f32 v20, s[12:13], v21, v21, -1.0
	v_rcp_f32_e32 v22, v20
	s_nop 0
	v_fma_f32 v23, -v20, v22, 1.0
	v_fmac_f32_e32 v22, v23, v22
	v_div_scale_f32 v23, vcc, -1.0, v21, -1.0
	v_mul_f32_e32 v24, v23, v22
	v_fma_f32 v25, -v20, v24, v23
	v_fmac_f32_e32 v24, v25, v22
	v_fma_f32 v20, -v20, v24, v23
	v_div_fmas_f32 v20, v20, v22, v24
	v_div_fixup_f32 v23, v20, v21, -1.0
	v_mul_f32_e32 v24, v1, v23
	v_xor_b32_e32 v22, 0x80000000, v24
                                        ; implicit-def: $vgpr20_vgpr21
.LBB71_15:
	s_andn2_saveexec_b64 s[4:5], s[4:5]
	s_cbranch_execz .LBB71_17
; %bb.16:
	v_div_scale_f32 v1, s[12:13], v20, v20, v21
	v_rcp_f32_e32 v22, v1
	v_div_scale_f32 v23, vcc, v21, v20, v21
	v_fma_f32 v24, -v1, v22, 1.0
	v_fmac_f32_e32 v22, v24, v22
	v_mul_f32_e32 v24, v23, v22
	v_fma_f32 v25, -v1, v24, v23
	v_fmac_f32_e32 v24, v25, v22
	v_fma_f32 v1, -v1, v24, v23
	v_div_fmas_f32 v1, v1, v22, v24
	v_div_fixup_f32 v1, v1, v20, v21
	v_fmac_f32_e32 v20, v21, v1
	v_div_scale_f32 v21, s[12:13], v20, v20, 1.0
	v_rcp_f32_e32 v22, v21
	s_nop 0
	v_fma_f32 v23, -v21, v22, 1.0
	v_fmac_f32_e32 v22, v23, v22
	v_div_scale_f32 v23, vcc, 1.0, v20, 1.0
	v_mul_f32_e32 v24, v23, v22
	v_fma_f32 v25, -v21, v24, v23
	v_fmac_f32_e32 v24, v25, v22
	v_fma_f32 v21, -v21, v24, v23
	v_div_fmas_f32 v21, v21, v22, v24
	v_div_fixup_f32 v22, v21, v20, 1.0
	v_xor_b32_e32 v24, 0x80000000, v22
	v_mul_f32_e64 v23, v1, -v22
.LBB71_17:
	s_or_b64 exec, exec, s[4:5]
	scratch_store_dwordx2 v19, v[22:23], off
	scratch_load_dwordx2 v[20:21], off, off offset:8
	v_xor_b32_e32 v25, 0x80000000, v23
	v_add_u32_e32 v1, 64, v18
	s_waitcnt vmcnt(0)
	ds_write2_b64 v18, v[24:25], v[20:21] offset1:8
	s_waitcnt lgkmcnt(0)
	; wave barrier
	s_and_saveexec_b64 s[4:5], s[0:1]
	s_cbranch_execz .LBB71_19
; %bb.18:
	scratch_load_dwordx2 v[20:21], v19, off
	ds_read_b64 v[22:23], v1
	v_mov_b32_e32 v24, 0
	ds_read_b64 v[24:25], v24 offset:8
	s_waitcnt vmcnt(0) lgkmcnt(1)
	v_pk_mul_f32 v[26:27], v[22:23], v[20:21] op_sel:[1,1] op_sel_hi:[0,1]
	v_pk_fma_f32 v[28:29], v[22:23], v[20:21], v[26:27] neg_lo:[0,0,1] neg_hi:[0,0,1]
	v_pk_fma_f32 v[20:21], v[22:23], v[20:21], v[26:27] op_sel_hi:[1,0,1]
	s_nop 0
	v_mov_b32_e32 v29, v21
	v_pk_add_f32 v[20:21], v[28:29], 0 op_sel_hi:[1,0]
	s_waitcnt lgkmcnt(0)
	v_pk_mul_f32 v[22:23], v[20:21], v[24:25] op_sel:[1,1] op_sel_hi:[0,1]
	v_pk_fma_f32 v[26:27], v[20:21], v[24:25], v[22:23] neg_lo:[0,0,1] neg_hi:[0,0,1]
	v_pk_fma_f32 v[20:21], v[20:21], v[24:25], v[22:23] op_sel_hi:[1,0,1]
	s_nop 0
	v_mov_b32_e32 v27, v21
	scratch_store_dwordx2 off, v[26:27], off offset:8
.LBB71_19:
	s_or_b64 exec, exec, s[4:5]
	; wave barrier
	scratch_load_dwordx2 v[20:21], off, off offset:16
	v_cmp_gt_u32_e32 vcc, 2, v0
	s_waitcnt vmcnt(0)
	ds_write_b64 v1, v[20:21]
	s_waitcnt lgkmcnt(0)
	; wave barrier
	s_and_saveexec_b64 s[4:5], vcc
	s_cbranch_execz .LBB71_23
; %bb.20:
	scratch_load_dwordx2 v[20:21], v19, off
	ds_read_b64 v[22:23], v1
	s_waitcnt vmcnt(0) lgkmcnt(0)
	v_pk_mul_f32 v[24:25], v[22:23], v[20:21] op_sel:[1,1] op_sel_hi:[0,1]
	v_pk_fma_f32 v[26:27], v[22:23], v[20:21], v[24:25] neg_lo:[0,0,1] neg_hi:[0,0,1]
	v_pk_fma_f32 v[20:21], v[22:23], v[20:21], v[24:25] op_sel_hi:[1,0,1]
	s_nop 0
	v_mov_b32_e32 v27, v21
	v_pk_add_f32 v[20:21], v[26:27], 0 op_sel_hi:[1,0]
	s_and_saveexec_b64 s[12:13], s[0:1]
	s_cbranch_execz .LBB71_22
; %bb.21:
	scratch_load_dwordx2 v[22:23], off, off offset:8
	v_mov_b32_e32 v19, 0
	ds_read_b64 v[24:25], v19 offset:72
	s_waitcnt vmcnt(0) lgkmcnt(0)
	v_pk_mul_f32 v[26:27], v[24:25], v[22:23] op_sel:[1,1] op_sel_hi:[0,1]
	v_pk_fma_f32 v[28:29], v[24:25], v[22:23], v[26:27] neg_lo:[0,0,1] neg_hi:[0,0,1]
	v_pk_fma_f32 v[22:23], v[24:25], v[22:23], v[26:27] op_sel_hi:[1,0,1]
	s_nop 0
	v_mov_b32_e32 v29, v23
	v_pk_add_f32 v[20:21], v[20:21], v[28:29]
.LBB71_22:
	s_or_b64 exec, exec, s[12:13]
	v_mov_b32_e32 v19, 0
	ds_read_b64 v[22:23], v19 offset:16
	s_waitcnt lgkmcnt(0)
	v_pk_mul_f32 v[24:25], v[20:21], v[22:23] op_sel:[1,1] op_sel_hi:[0,1]
	v_pk_fma_f32 v[26:27], v[20:21], v[22:23], v[24:25] neg_lo:[0,0,1] neg_hi:[0,0,1]
	v_pk_fma_f32 v[20:21], v[20:21], v[22:23], v[24:25] op_sel_hi:[1,0,1]
	s_nop 0
	v_mov_b32_e32 v27, v21
	scratch_store_dwordx2 off, v[26:27], off offset:16
.LBB71_23:
	s_or_b64 exec, exec, s[4:5]
	; wave barrier
	scratch_load_dwordx2 v[20:21], off, off offset:24
	v_cmp_gt_u32_e32 vcc, 3, v0
	v_add_u32_e32 v22, -1, v0
	s_waitcnt vmcnt(0)
	ds_write_b64 v1, v[20:21]
	s_waitcnt lgkmcnt(0)
	; wave barrier
	s_and_saveexec_b64 s[0:1], vcc
	s_cbranch_execz .LBB71_27
; %bb.24:
	v_mov_b32_e32 v20, 0
	v_add_u32_e32 v19, -1, v0
	v_add_u32_e32 v23, 64, v18
	v_mov_b32_e32 v24, v18
	s_mov_b64 s[4:5], 0
	v_mov_b32_e32 v21, v20
.LBB71_25:                              ; =>This Inner Loop Header: Depth=1
	scratch_load_dwordx2 v[26:27], v24, off
	ds_read_b64 v[28:29], v23
	v_add_u32_e32 v19, 1, v19
	v_cmp_lt_u32_e32 vcc, 1, v19
	v_add_u32_e32 v23, 8, v23
	v_add_u32_e32 v24, 8, v24
	s_or_b64 s[4:5], vcc, s[4:5]
	s_waitcnt vmcnt(0) lgkmcnt(0)
	v_pk_mul_f32 v[30:31], v[28:29], v[26:27] op_sel:[1,1] op_sel_hi:[0,1]
	v_pk_fma_f32 v[32:33], v[28:29], v[26:27], v[30:31] neg_lo:[0,0,1] neg_hi:[0,0,1]
	v_pk_fma_f32 v[26:27], v[28:29], v[26:27], v[30:31] op_sel_hi:[1,0,1]
	s_nop 0
	v_mov_b32_e32 v33, v27
	v_pk_add_f32 v[20:21], v[20:21], v[32:33]
	s_andn2_b64 exec, exec, s[4:5]
	s_cbranch_execnz .LBB71_25
; %bb.26:
	s_or_b64 exec, exec, s[4:5]
	v_mov_b32_e32 v19, 0
	ds_read_b64 v[24:25], v19 offset:24
	s_waitcnt lgkmcnt(0)
	v_pk_mul_f32 v[26:27], v[20:21], v[24:25] op_sel:[1,1] op_sel_hi:[0,1]
	v_pk_fma_f32 v[28:29], v[20:21], v[24:25], v[26:27] neg_lo:[0,0,1] neg_hi:[0,0,1]
	v_pk_fma_f32 v[20:21], v[20:21], v[24:25], v[26:27] op_sel_hi:[1,0,1]
	s_nop 0
	v_mov_b32_e32 v29, v21
	scratch_store_dwordx2 off, v[28:29], off offset:24
.LBB71_27:
	s_or_b64 exec, exec, s[0:1]
	; wave barrier
	scratch_load_dwordx2 v[20:21], off, off offset:32
	v_cmp_gt_u32_e32 vcc, 4, v0
	s_waitcnt vmcnt(0)
	ds_write_b64 v1, v[20:21]
	s_waitcnt lgkmcnt(0)
	; wave barrier
	s_and_saveexec_b64 s[0:1], vcc
	s_cbranch_execz .LBB71_31
; %bb.28:
	v_mov_b32_e32 v20, 0
	v_add_u32_e32 v19, -1, v0
	v_add_u32_e32 v23, 64, v18
	v_mov_b32_e32 v24, v18
	s_mov_b64 s[4:5], 0
	v_mov_b32_e32 v21, v20
.LBB71_29:                              ; =>This Inner Loop Header: Depth=1
	scratch_load_dwordx2 v[26:27], v24, off
	ds_read_b64 v[28:29], v23
	v_add_u32_e32 v19, 1, v19
	v_cmp_lt_u32_e32 vcc, 2, v19
	v_add_u32_e32 v23, 8, v23
	v_add_u32_e32 v24, 8, v24
	s_or_b64 s[4:5], vcc, s[4:5]
	s_waitcnt vmcnt(0) lgkmcnt(0)
	v_pk_mul_f32 v[30:31], v[28:29], v[26:27] op_sel:[1,1] op_sel_hi:[0,1]
	v_pk_fma_f32 v[32:33], v[28:29], v[26:27], v[30:31] neg_lo:[0,0,1] neg_hi:[0,0,1]
	v_pk_fma_f32 v[26:27], v[28:29], v[26:27], v[30:31] op_sel_hi:[1,0,1]
	s_nop 0
	v_mov_b32_e32 v33, v27
	v_pk_add_f32 v[20:21], v[20:21], v[32:33]
	s_andn2_b64 exec, exec, s[4:5]
	s_cbranch_execnz .LBB71_29
; %bb.30:
	s_or_b64 exec, exec, s[4:5]
	v_mov_b32_e32 v19, 0
	ds_read_b64 v[24:25], v19 offset:32
	s_waitcnt lgkmcnt(0)
	v_pk_mul_f32 v[26:27], v[20:21], v[24:25] op_sel:[1,1] op_sel_hi:[0,1]
	v_pk_fma_f32 v[28:29], v[20:21], v[24:25], v[26:27] neg_lo:[0,0,1] neg_hi:[0,0,1]
	v_pk_fma_f32 v[20:21], v[20:21], v[24:25], v[26:27] op_sel_hi:[1,0,1]
	s_nop 0
	v_mov_b32_e32 v29, v21
	scratch_store_dwordx2 off, v[28:29], off offset:32
.LBB71_31:
	s_or_b64 exec, exec, s[0:1]
	; wave barrier
	scratch_load_dwordx2 v[20:21], off, off offset:40
	v_cmp_gt_u32_e32 vcc, 5, v0
	s_waitcnt vmcnt(0)
	ds_write_b64 v1, v[20:21]
	s_waitcnt lgkmcnt(0)
	; wave barrier
	s_and_saveexec_b64 s[0:1], vcc
	s_cbranch_execz .LBB71_35
; %bb.32:
	v_mov_b32_e32 v20, 0
	v_add_u32_e32 v19, -1, v0
	v_add_u32_e32 v23, 64, v18
	v_mov_b32_e32 v24, v18
	s_mov_b64 s[4:5], 0
	v_mov_b32_e32 v21, v20
.LBB71_33:                              ; =>This Inner Loop Header: Depth=1
	scratch_load_dwordx2 v[26:27], v24, off
	ds_read_b64 v[28:29], v23
	v_add_u32_e32 v19, 1, v19
	v_cmp_lt_u32_e32 vcc, 3, v19
	v_add_u32_e32 v23, 8, v23
	v_add_u32_e32 v24, 8, v24
	s_or_b64 s[4:5], vcc, s[4:5]
	s_waitcnt vmcnt(0) lgkmcnt(0)
	v_pk_mul_f32 v[30:31], v[28:29], v[26:27] op_sel:[1,1] op_sel_hi:[0,1]
	v_pk_fma_f32 v[32:33], v[28:29], v[26:27], v[30:31] neg_lo:[0,0,1] neg_hi:[0,0,1]
	v_pk_fma_f32 v[26:27], v[28:29], v[26:27], v[30:31] op_sel_hi:[1,0,1]
	s_nop 0
	v_mov_b32_e32 v33, v27
	v_pk_add_f32 v[20:21], v[20:21], v[32:33]
	s_andn2_b64 exec, exec, s[4:5]
	s_cbranch_execnz .LBB71_33
; %bb.34:
	s_or_b64 exec, exec, s[4:5]
	v_mov_b32_e32 v19, 0
	ds_read_b64 v[24:25], v19 offset:40
	s_waitcnt lgkmcnt(0)
	v_pk_mul_f32 v[26:27], v[20:21], v[24:25] op_sel:[1,1] op_sel_hi:[0,1]
	v_pk_fma_f32 v[28:29], v[20:21], v[24:25], v[26:27] neg_lo:[0,0,1] neg_hi:[0,0,1]
	v_pk_fma_f32 v[20:21], v[20:21], v[24:25], v[26:27] op_sel_hi:[1,0,1]
	s_nop 0
	v_mov_b32_e32 v29, v21
	scratch_store_dwordx2 off, v[28:29], off offset:40
.LBB71_35:
	s_or_b64 exec, exec, s[0:1]
	; wave barrier
	scratch_load_dwordx2 v[20:21], off, off offset:48
	v_cmp_gt_u32_e32 vcc, 6, v0
	s_waitcnt vmcnt(0)
	ds_write_b64 v1, v[20:21]
	s_waitcnt lgkmcnt(0)
	; wave barrier
	s_and_saveexec_b64 s[0:1], vcc
	s_cbranch_execz .LBB71_39
; %bb.36:
	v_mov_b32_e32 v20, 0
	v_add_u32_e32 v19, -1, v0
	v_add_u32_e32 v23, 64, v18
	v_mov_b32_e32 v24, v18
	s_mov_b64 s[4:5], 0
	v_mov_b32_e32 v21, v20
.LBB71_37:                              ; =>This Inner Loop Header: Depth=1
	scratch_load_dwordx2 v[26:27], v24, off
	ds_read_b64 v[28:29], v23
	v_add_u32_e32 v19, 1, v19
	v_cmp_lt_u32_e32 vcc, 4, v19
	v_add_u32_e32 v23, 8, v23
	v_add_u32_e32 v24, 8, v24
	s_or_b64 s[4:5], vcc, s[4:5]
	s_waitcnt vmcnt(0) lgkmcnt(0)
	v_pk_mul_f32 v[30:31], v[28:29], v[26:27] op_sel:[1,1] op_sel_hi:[0,1]
	v_pk_fma_f32 v[32:33], v[28:29], v[26:27], v[30:31] neg_lo:[0,0,1] neg_hi:[0,0,1]
	v_pk_fma_f32 v[26:27], v[28:29], v[26:27], v[30:31] op_sel_hi:[1,0,1]
	s_nop 0
	v_mov_b32_e32 v33, v27
	v_pk_add_f32 v[20:21], v[20:21], v[32:33]
	s_andn2_b64 exec, exec, s[4:5]
	s_cbranch_execnz .LBB71_37
; %bb.38:
	s_or_b64 exec, exec, s[4:5]
	v_mov_b32_e32 v19, 0
	ds_read_b64 v[24:25], v19 offset:48
	s_waitcnt lgkmcnt(0)
	v_pk_mul_f32 v[26:27], v[20:21], v[24:25] op_sel:[1,1] op_sel_hi:[0,1]
	v_pk_fma_f32 v[28:29], v[20:21], v[24:25], v[26:27] neg_lo:[0,0,1] neg_hi:[0,0,1]
	v_pk_fma_f32 v[20:21], v[20:21], v[24:25], v[26:27] op_sel_hi:[1,0,1]
	s_nop 0
	v_mov_b32_e32 v29, v21
	scratch_store_dwordx2 off, v[28:29], off offset:48
.LBB71_39:
	s_or_b64 exec, exec, s[0:1]
	; wave barrier
	scratch_load_dwordx2 v[20:21], off, off offset:56
	v_cmp_ne_u32_e32 vcc, 7, v0
	s_waitcnt vmcnt(0)
	ds_write_b64 v1, v[20:21]
	s_waitcnt lgkmcnt(0)
	; wave barrier
	s_and_saveexec_b64 s[0:1], vcc
	s_cbranch_execz .LBB71_43
; %bb.40:
	v_mov_b32_e32 v20, v18
	v_mov_b32_e32 v18, 0
	s_mov_b64 s[4:5], 0
	v_mov_b32_e32 v19, v18
.LBB71_41:                              ; =>This Inner Loop Header: Depth=1
	scratch_load_dwordx2 v[24:25], v20, off
	ds_read_b64 v[26:27], v1
	v_add_u32_e32 v22, 1, v22
	v_cmp_lt_u32_e32 vcc, 5, v22
	v_add_u32_e32 v1, 8, v1
	v_add_u32_e32 v20, 8, v20
	s_or_b64 s[4:5], vcc, s[4:5]
	s_waitcnt vmcnt(0) lgkmcnt(0)
	v_pk_mul_f32 v[28:29], v[26:27], v[24:25] op_sel:[1,1] op_sel_hi:[0,1]
	v_pk_fma_f32 v[30:31], v[26:27], v[24:25], v[28:29] neg_lo:[0,0,1] neg_hi:[0,0,1]
	v_pk_fma_f32 v[24:25], v[26:27], v[24:25], v[28:29] op_sel_hi:[1,0,1]
	s_nop 0
	v_mov_b32_e32 v31, v25
	v_pk_add_f32 v[18:19], v[18:19], v[30:31]
	s_andn2_b64 exec, exec, s[4:5]
	s_cbranch_execnz .LBB71_41
; %bb.42:
	s_or_b64 exec, exec, s[4:5]
	v_mov_b32_e32 v1, 0
	ds_read_b64 v[20:21], v1 offset:56
	s_waitcnt lgkmcnt(0)
	v_pk_mul_f32 v[22:23], v[18:19], v[20:21] op_sel:[1,1] op_sel_hi:[0,1]
	v_pk_fma_f32 v[24:25], v[18:19], v[20:21], v[22:23] neg_lo:[0,0,1] neg_hi:[0,0,1]
	v_pk_fma_f32 v[18:19], v[18:19], v[20:21], v[22:23] op_sel_hi:[1,0,1]
	s_nop 0
	v_mov_b32_e32 v25, v19
	scratch_store_dwordx2 off, v[24:25], off offset:56
.LBB71_43:
	s_or_b64 exec, exec, s[0:1]
	s_mov_b64 s[4:5], -1
	; wave barrier
.LBB71_44:
	s_and_b64 vcc, exec, s[4:5]
	s_cbranch_vccz .LBB71_46
; %bb.45:
	s_lshl_b64 s[0:1], s[2:3], 2
	s_add_u32 s0, s6, s0
	s_addc_u32 s1, s7, s1
	v_mov_b32_e32 v1, 0
	global_load_dword v1, v1, s[0:1]
	s_waitcnt vmcnt(0)
	v_cmp_ne_u32_e32 vcc, 0, v1
	s_cbranch_vccz .LBB71_47
.LBB71_46:
	s_endpgm
.LBB71_47:
	v_lshl_add_u32 v1, v0, 3, 64
	v_cmp_eq_u32_e32 vcc, 7, v0
	s_and_saveexec_b64 s[0:1], vcc
	s_cbranch_execz .LBB71_49
; %bb.48:
	scratch_load_dwordx2 v[18:19], off, off offset:48
	v_mov_b32_e32 v20, 0
	v_mov_b32_e32 v21, v20
	scratch_store_dwordx2 off, v[20:21], off offset:48
	s_waitcnt vmcnt(1)
	ds_write_b64 v1, v[18:19]
.LBB71_49:
	s_or_b64 exec, exec, s[0:1]
	s_waitcnt lgkmcnt(0)
	; wave barrier
	scratch_load_dwordx2 v[20:21], off, off offset:56
	scratch_load_dwordx2 v[22:23], off, off offset:48
	v_mov_b32_e32 v18, 0
	ds_read_b64 v[24:25], v18 offset:120
	v_cmp_lt_u32_e32 vcc, 5, v0
	s_waitcnt vmcnt(1) lgkmcnt(0)
	v_pk_mul_f32 v[26:27], v[24:25], v[20:21] op_sel:[1,1] op_sel_hi:[0,1]
	v_pk_fma_f32 v[28:29], v[24:25], v[20:21], v[26:27] neg_lo:[0,0,1] neg_hi:[0,0,1]
	v_pk_fma_f32 v[20:21], v[24:25], v[20:21], v[26:27] op_sel_hi:[1,0,1]
	s_nop 0
	v_mov_b32_e32 v29, v21
	v_pk_add_f32 v[20:21], v[28:29], 0 op_sel_hi:[1,0]
	s_waitcnt vmcnt(0)
	v_pk_add_f32 v[20:21], v[22:23], v[20:21] neg_lo:[0,1] neg_hi:[0,1]
	scratch_store_dwordx2 off, v[20:21], off offset:48
	s_and_saveexec_b64 s[0:1], vcc
	s_cbranch_execz .LBB71_51
; %bb.50:
	scratch_load_dwordx2 v[20:21], off, off offset:40
	v_mov_b32_e32 v19, v18
	scratch_store_dwordx2 off, v[18:19], off offset:40
	s_waitcnt vmcnt(1)
	ds_write_b64 v1, v[20:21]
.LBB71_51:
	s_or_b64 exec, exec, s[0:1]
	s_waitcnt lgkmcnt(0)
	; wave barrier
	scratch_load_dwordx4 v[20:23], off, off offset:48
	scratch_load_dwordx2 v[28:29], off, off offset:40
	ds_read_b128 v[24:27], v18 offset:112
	v_cmp_lt_u32_e32 vcc, 4, v0
	s_waitcnt vmcnt(1) lgkmcnt(0)
	v_pk_mul_f32 v[18:19], v[24:25], v[20:21] op_sel:[1,1] op_sel_hi:[0,1]
	v_mov_b32_e32 v30, v23
	v_pk_fma_f32 v[32:33], v[24:25], v[20:21], v[18:19] neg_lo:[0,0,1] neg_hi:[0,0,1]
	v_pk_fma_f32 v[18:19], v[24:25], v[20:21], v[18:19] op_sel_hi:[1,0,1]
	v_pk_mul_f32 v[20:21], v[26:27], v[30:31] op_sel:[1,0] op_sel_hi:[0,0]
	v_mov_b32_e32 v33, v19
	v_pk_fma_f32 v[18:19], v[26:27], v[22:23], v[20:21] neg_lo:[0,0,1] neg_hi:[0,0,1]
	v_pk_fma_f32 v[20:21], v[26:27], v[22:23], v[20:21] op_sel_hi:[1,0,1]
	v_pk_add_f32 v[22:23], v[32:33], 0 op_sel_hi:[1,0]
	v_mov_b32_e32 v19, v21
	v_pk_add_f32 v[18:19], v[22:23], v[18:19]
	s_waitcnt vmcnt(0)
	v_pk_add_f32 v[18:19], v[28:29], v[18:19] neg_lo:[0,1] neg_hi:[0,1]
	scratch_store_dwordx2 off, v[18:19], off offset:40
	s_and_saveexec_b64 s[0:1], vcc
	s_cbranch_execz .LBB71_53
; %bb.52:
	scratch_load_dwordx2 v[18:19], off, off offset:32
	v_mov_b32_e32 v20, 0
	v_mov_b32_e32 v21, v20
	scratch_store_dwordx2 off, v[20:21], off offset:32
	s_waitcnt vmcnt(1)
	ds_write_b64 v1, v[18:19]
.LBB71_53:
	s_or_b64 exec, exec, s[0:1]
	s_waitcnt lgkmcnt(0)
	; wave barrier
	scratch_load_dwordx4 v[20:23], off, off offset:40
	scratch_load_dwordx2 v[28:29], off, off offset:56
	scratch_load_dwordx2 v[30:31], off, off offset:32
	v_mov_b32_e32 v18, 0
	ds_read2_b64 v[24:27], v18 offset0:13 offset1:14
	ds_read_b64 v[32:33], v18 offset:120
	v_cmp_lt_u32_e32 vcc, 3, v0
	s_waitcnt vmcnt(2) lgkmcnt(1)
	v_pk_mul_f32 v[34:35], v[24:25], v[20:21] op_sel:[1,1] op_sel_hi:[0,1]
	v_mov_b32_e32 v36, v23
	v_pk_fma_f32 v[40:41], v[24:25], v[20:21], v[34:35] neg_lo:[0,0,1] neg_hi:[0,0,1]
	v_pk_fma_f32 v[20:21], v[24:25], v[20:21], v[34:35] op_sel_hi:[1,0,1]
	v_pk_mul_f32 v[24:25], v[26:27], v[36:37] op_sel:[1,0] op_sel_hi:[0,0]
	s_waitcnt vmcnt(1) lgkmcnt(0)
	v_pk_mul_f32 v[38:39], v[32:33], v[28:29] op_sel:[1,1] op_sel_hi:[0,1]
	v_mov_b32_e32 v41, v21
	v_pk_fma_f32 v[20:21], v[26:27], v[22:23], v[24:25] neg_lo:[0,0,1] neg_hi:[0,0,1]
	v_pk_fma_f32 v[22:23], v[26:27], v[22:23], v[24:25] op_sel_hi:[1,0,1]
	v_pk_fma_f32 v[34:35], v[32:33], v[28:29], v[38:39] neg_lo:[0,0,1] neg_hi:[0,0,1]
	v_pk_fma_f32 v[28:29], v[32:33], v[28:29], v[38:39] op_sel_hi:[1,0,1]
	v_pk_add_f32 v[24:25], v[40:41], 0 op_sel_hi:[1,0]
	v_mov_b32_e32 v21, v23
	v_mov_b32_e32 v35, v29
	v_pk_add_f32 v[20:21], v[24:25], v[20:21]
	s_nop 0
	v_pk_add_f32 v[20:21], v[20:21], v[34:35]
	s_waitcnt vmcnt(0)
	v_pk_add_f32 v[20:21], v[30:31], v[20:21] neg_lo:[0,1] neg_hi:[0,1]
	scratch_store_dwordx2 off, v[20:21], off offset:32
	s_and_saveexec_b64 s[0:1], vcc
	s_cbranch_execz .LBB71_55
; %bb.54:
	scratch_load_dwordx2 v[20:21], off, off offset:24
	v_mov_b32_e32 v19, v18
	scratch_store_dwordx2 off, v[18:19], off offset:24
	s_waitcnt vmcnt(1)
	ds_write_b64 v1, v[20:21]
.LBB71_55:
	s_or_b64 exec, exec, s[0:1]
	s_waitcnt lgkmcnt(0)
	; wave barrier
	scratch_load_dwordx4 v[20:23], off, off offset:32
	scratch_load_dwordx4 v[24:27], off, off offset:48
	scratch_load_dwordx2 v[36:37], off, off offset:24
	ds_read_b128 v[28:31], v18 offset:96
	ds_read_b128 v[32:35], v18 offset:112
	v_cmp_lt_u32_e32 vcc, 2, v0
	s_waitcnt vmcnt(2) lgkmcnt(1)
	v_pk_mul_f32 v[18:19], v[28:29], v[20:21] op_sel:[1,1] op_sel_hi:[0,1]
	v_mov_b32_e32 v38, v23
	s_waitcnt vmcnt(1) lgkmcnt(0)
	v_pk_mul_f32 v[40:41], v[32:33], v[24:25] op_sel:[1,1] op_sel_hi:[0,1]
	v_mov_b32_e32 v42, v27
	v_pk_fma_f32 v[44:45], v[28:29], v[20:21], v[18:19] neg_lo:[0,0,1] neg_hi:[0,0,1]
	v_pk_fma_f32 v[18:19], v[28:29], v[20:21], v[18:19] op_sel_hi:[1,0,1]
	v_pk_mul_f32 v[20:21], v[30:31], v[38:39] op_sel:[1,0] op_sel_hi:[0,0]
	v_pk_fma_f32 v[28:29], v[32:33], v[24:25], v[40:41] neg_lo:[0,0,1] neg_hi:[0,0,1]
	v_pk_fma_f32 v[24:25], v[32:33], v[24:25], v[40:41] op_sel_hi:[1,0,1]
	v_pk_mul_f32 v[32:33], v[34:35], v[42:43] op_sel:[1,0] op_sel_hi:[0,0]
	v_mov_b32_e32 v45, v19
	v_pk_fma_f32 v[18:19], v[30:31], v[22:23], v[20:21] neg_lo:[0,0,1] neg_hi:[0,0,1]
	v_pk_fma_f32 v[20:21], v[30:31], v[22:23], v[20:21] op_sel_hi:[1,0,1]
	v_mov_b32_e32 v29, v25
	v_pk_fma_f32 v[22:23], v[34:35], v[26:27], v[32:33] neg_lo:[0,0,1] neg_hi:[0,0,1]
	v_pk_fma_f32 v[24:25], v[34:35], v[26:27], v[32:33] op_sel_hi:[1,0,1]
	v_pk_add_f32 v[26:27], v[44:45], 0 op_sel_hi:[1,0]
	v_mov_b32_e32 v19, v21
	v_pk_add_f32 v[18:19], v[26:27], v[18:19]
	v_mov_b32_e32 v23, v25
	v_pk_add_f32 v[18:19], v[18:19], v[28:29]
	s_nop 0
	v_pk_add_f32 v[18:19], v[18:19], v[22:23]
	s_waitcnt vmcnt(0)
	v_pk_add_f32 v[18:19], v[36:37], v[18:19] neg_lo:[0,1] neg_hi:[0,1]
	scratch_store_dwordx2 off, v[18:19], off offset:24
	s_and_saveexec_b64 s[0:1], vcc
	s_cbranch_execz .LBB71_57
; %bb.56:
	scratch_load_dwordx2 v[18:19], off, off offset:16
	v_mov_b32_e32 v20, 0
	v_mov_b32_e32 v21, v20
	scratch_store_dwordx2 off, v[20:21], off offset:16
	s_waitcnt vmcnt(1)
	ds_write_b64 v1, v[18:19]
.LBB71_57:
	s_or_b64 exec, exec, s[0:1]
	s_waitcnt lgkmcnt(0)
	; wave barrier
	scratch_load_dwordx4 v[20:23], off, off offset:24
	scratch_load_dwordx4 v[24:27], off, off offset:40
	scratch_load_dwordx2 v[36:37], off, off offset:56
	scratch_load_dwordx2 v[38:39], off, off offset:16
	v_mov_b32_e32 v18, 0
	ds_read2_b64 v[28:31], v18 offset0:11 offset1:12
	ds_read2_b64 v[32:35], v18 offset0:13 offset1:14
	ds_read_b64 v[40:41], v18 offset:120
	v_cmp_lt_u32_e32 vcc, 1, v0
	s_waitcnt vmcnt(3) lgkmcnt(2)
	v_pk_mul_f32 v[42:43], v[28:29], v[20:21] op_sel:[1,1] op_sel_hi:[0,1]
	v_mov_b32_e32 v44, v23
	v_pk_fma_f32 v[52:53], v[28:29], v[20:21], v[42:43] neg_lo:[0,0,1] neg_hi:[0,0,1]
	v_pk_fma_f32 v[20:21], v[28:29], v[20:21], v[42:43] op_sel_hi:[1,0,1]
	v_pk_mul_f32 v[28:29], v[30:31], v[44:45] op_sel:[1,0] op_sel_hi:[0,0]
	s_waitcnt vmcnt(2) lgkmcnt(1)
	v_pk_mul_f32 v[46:47], v[32:33], v[24:25] op_sel:[1,1] op_sel_hi:[0,1]
	v_mov_b32_e32 v48, v27
	v_mov_b32_e32 v53, v21
	v_pk_fma_f32 v[20:21], v[30:31], v[22:23], v[28:29] neg_lo:[0,0,1] neg_hi:[0,0,1]
	v_pk_fma_f32 v[22:23], v[30:31], v[22:23], v[28:29] op_sel_hi:[1,0,1]
	v_pk_fma_f32 v[42:43], v[32:33], v[24:25], v[46:47] neg_lo:[0,0,1] neg_hi:[0,0,1]
	v_pk_fma_f32 v[24:25], v[32:33], v[24:25], v[46:47] op_sel_hi:[1,0,1]
	v_pk_mul_f32 v[32:33], v[34:35], v[48:49] op_sel:[1,0] op_sel_hi:[0,0]
	v_pk_add_f32 v[28:29], v[52:53], 0 op_sel_hi:[1,0]
	v_mov_b32_e32 v21, v23
	s_waitcnt vmcnt(1) lgkmcnt(0)
	v_pk_mul_f32 v[50:51], v[40:41], v[36:37] op_sel:[1,1] op_sel_hi:[0,1]
	v_mov_b32_e32 v43, v25
	v_pk_fma_f32 v[24:25], v[34:35], v[26:27], v[32:33] neg_lo:[0,0,1] neg_hi:[0,0,1]
	v_pk_fma_f32 v[26:27], v[34:35], v[26:27], v[32:33] op_sel_hi:[1,0,1]
	v_pk_add_f32 v[20:21], v[28:29], v[20:21]
	v_pk_fma_f32 v[44:45], v[40:41], v[36:37], v[50:51] neg_lo:[0,0,1] neg_hi:[0,0,1]
	v_pk_fma_f32 v[36:37], v[40:41], v[36:37], v[50:51] op_sel_hi:[1,0,1]
	v_mov_b32_e32 v25, v27
	v_pk_add_f32 v[20:21], v[20:21], v[42:43]
	v_mov_b32_e32 v45, v37
	v_pk_add_f32 v[20:21], v[20:21], v[24:25]
	s_nop 0
	v_pk_add_f32 v[20:21], v[20:21], v[44:45]
	s_waitcnt vmcnt(0)
	v_pk_add_f32 v[20:21], v[38:39], v[20:21] neg_lo:[0,1] neg_hi:[0,1]
	scratch_store_dwordx2 off, v[20:21], off offset:16
	s_and_saveexec_b64 s[0:1], vcc
	s_cbranch_execz .LBB71_59
; %bb.58:
	scratch_load_dwordx2 v[20:21], off, off offset:8
	v_mov_b32_e32 v19, v18
	scratch_store_dwordx2 off, v[18:19], off offset:8
	s_waitcnt vmcnt(1)
	ds_write_b64 v1, v[20:21]
.LBB71_59:
	s_or_b64 exec, exec, s[0:1]
	s_waitcnt lgkmcnt(0)
	; wave barrier
	scratch_load_dwordx4 v[20:23], off, off offset:16
	scratch_load_dwordx4 v[24:27], off, off offset:32
	scratch_load_dwordx4 v[28:31], off, off offset:48
	scratch_load_dwordx2 v[44:45], off, off offset:8
	ds_read_b128 v[32:35], v18 offset:80
	ds_read_b128 v[36:39], v18 offset:96
	;; [unrolled: 1-line block ×3, first 2 shown]
	v_cmp_ne_u32_e32 vcc, 0, v0
	s_waitcnt vmcnt(3) lgkmcnt(2)
	v_pk_mul_f32 v[18:19], v[32:33], v[20:21] op_sel:[1,1] op_sel_hi:[0,1]
	v_mov_b32_e32 v46, v23
	s_waitcnt vmcnt(2) lgkmcnt(1)
	v_pk_mul_f32 v[48:49], v[36:37], v[24:25] op_sel:[1,1] op_sel_hi:[0,1]
	v_mov_b32_e32 v50, v27
	;; [unrolled: 3-line block ×3, first 2 shown]
	v_pk_fma_f32 v[56:57], v[32:33], v[20:21], v[18:19] neg_lo:[0,0,1] neg_hi:[0,0,1]
	v_pk_fma_f32 v[18:19], v[32:33], v[20:21], v[18:19] op_sel_hi:[1,0,1]
	v_pk_mul_f32 v[20:21], v[34:35], v[46:47] op_sel:[1,0] op_sel_hi:[0,0]
	v_pk_fma_f32 v[32:33], v[36:37], v[24:25], v[48:49] neg_lo:[0,0,1] neg_hi:[0,0,1]
	v_pk_fma_f32 v[24:25], v[36:37], v[24:25], v[48:49] op_sel_hi:[1,0,1]
	v_pk_mul_f32 v[36:37], v[38:39], v[50:51] op_sel:[1,0] op_sel_hi:[0,0]
	;; [unrolled: 3-line block ×3, first 2 shown]
	v_mov_b32_e32 v57, v19
	v_pk_fma_f32 v[18:19], v[34:35], v[22:23], v[20:21] neg_lo:[0,0,1] neg_hi:[0,0,1]
	v_pk_fma_f32 v[20:21], v[34:35], v[22:23], v[20:21] op_sel_hi:[1,0,1]
	v_mov_b32_e32 v33, v25
	v_pk_fma_f32 v[22:23], v[38:39], v[26:27], v[36:37] neg_lo:[0,0,1] neg_hi:[0,0,1]
	v_pk_fma_f32 v[24:25], v[38:39], v[26:27], v[36:37] op_sel_hi:[1,0,1]
	;; [unrolled: 3-line block ×3, first 2 shown]
	v_pk_add_f32 v[30:31], v[56:57], 0 op_sel_hi:[1,0]
	v_mov_b32_e32 v19, v21
	v_pk_add_f32 v[18:19], v[30:31], v[18:19]
	v_mov_b32_e32 v23, v25
	v_pk_add_f32 v[18:19], v[18:19], v[32:33]
	;; [unrolled: 2-line block ×3, first 2 shown]
	s_nop 0
	v_pk_add_f32 v[18:19], v[18:19], v[46:47]
	s_nop 0
	v_pk_add_f32 v[18:19], v[18:19], v[26:27]
	s_waitcnt vmcnt(0)
	v_pk_add_f32 v[18:19], v[44:45], v[18:19] neg_lo:[0,1] neg_hi:[0,1]
	scratch_store_dwordx2 off, v[18:19], off offset:8
	s_and_saveexec_b64 s[0:1], vcc
	s_cbranch_execz .LBB71_61
; %bb.60:
	scratch_load_dwordx2 v[18:19], off, off
	v_mov_b32_e32 v20, 0
	v_mov_b32_e32 v21, v20
	scratch_store_dwordx2 off, v[20:21], off
	s_waitcnt vmcnt(1)
	ds_write_b64 v1, v[18:19]
.LBB71_61:
	s_or_b64 exec, exec, s[0:1]
	s_waitcnt lgkmcnt(0)
	; wave barrier
	scratch_load_dwordx4 v[20:23], off, off offset:8
	scratch_load_dwordx4 v[24:27], off, off offset:24
	;; [unrolled: 1-line block ×3, first 2 shown]
	scratch_load_dwordx2 v[0:1], off, off offset:56
	scratch_load_dwordx2 v[44:45], off, off
	v_mov_b32_e32 v18, 0
	ds_read2_b64 v[32:35], v18 offset0:9 offset1:10
	ds_read2_b64 v[36:39], v18 offset0:11 offset1:12
	;; [unrolled: 1-line block ×3, first 2 shown]
	ds_read_b64 v[46:47], v18 offset:120
	s_and_b64 vcc, exec, s[10:11]
	s_waitcnt vmcnt(4) lgkmcnt(3)
	v_pk_mul_f32 v[48:49], v[32:33], v[20:21] op_sel:[1,1] op_sel_hi:[0,1]
	v_mov_b32_e32 v50, v23
	s_waitcnt vmcnt(3) lgkmcnt(2)
	v_pk_mul_f32 v[52:53], v[36:37], v[24:25] op_sel:[1,1] op_sel_hi:[0,1]
	s_waitcnt vmcnt(1) lgkmcnt(0)
	v_pk_mul_f32 v[60:61], v[46:47], v[0:1] op_sel:[1,1] op_sel_hi:[0,1]
	v_pk_fma_f32 v[62:63], v[32:33], v[20:21], v[48:49] neg_lo:[0,0,1] neg_hi:[0,0,1]
	v_pk_fma_f32 v[20:21], v[32:33], v[20:21], v[48:49] op_sel_hi:[1,0,1]
	v_pk_mul_f32 v[32:33], v[34:35], v[50:51] op_sel:[1,0] op_sel_hi:[0,0]
	v_mov_b32_e32 v54, v27
	v_pk_fma_f32 v[48:49], v[36:37], v[24:25], v[52:53] neg_lo:[0,0,1] neg_hi:[0,0,1]
	v_pk_fma_f32 v[24:25], v[36:37], v[24:25], v[52:53] op_sel_hi:[1,0,1]
	v_pk_fma_f32 v[52:53], v[46:47], v[0:1], v[60:61] neg_lo:[0,0,1] neg_hi:[0,0,1]
	v_pk_fma_f32 v[0:1], v[46:47], v[0:1], v[60:61] op_sel_hi:[1,0,1]
	v_mov_b32_e32 v63, v21
	v_pk_fma_f32 v[20:21], v[34:35], v[22:23], v[32:33] neg_lo:[0,0,1] neg_hi:[0,0,1]
	v_pk_fma_f32 v[22:23], v[34:35], v[22:23], v[32:33] op_sel_hi:[1,0,1]
	v_pk_mul_f32 v[36:37], v[38:39], v[54:55] op_sel:[1,0] op_sel_hi:[0,0]
	v_mov_b32_e32 v53, v1
	v_pk_add_f32 v[0:1], v[62:63], 0 op_sel_hi:[1,0]
	v_mov_b32_e32 v21, v23
	v_pk_mul_f32 v[56:57], v[40:41], v[28:29] op_sel:[1,1] op_sel_hi:[0,1]
	v_mov_b32_e32 v58, v31
	v_mov_b32_e32 v49, v25
	v_pk_fma_f32 v[24:25], v[38:39], v[26:27], v[36:37] neg_lo:[0,0,1] neg_hi:[0,0,1]
	v_pk_fma_f32 v[26:27], v[38:39], v[26:27], v[36:37] op_sel_hi:[1,0,1]
	v_pk_add_f32 v[0:1], v[0:1], v[20:21]
	v_pk_fma_f32 v[50:51], v[40:41], v[28:29], v[56:57] neg_lo:[0,0,1] neg_hi:[0,0,1]
	v_pk_fma_f32 v[28:29], v[40:41], v[28:29], v[56:57] op_sel_hi:[1,0,1]
	v_pk_mul_f32 v[40:41], v[42:43], v[58:59] op_sel:[1,0] op_sel_hi:[0,0]
	v_mov_b32_e32 v25, v27
	v_pk_add_f32 v[0:1], v[0:1], v[48:49]
	v_mov_b32_e32 v51, v29
	v_pk_fma_f32 v[28:29], v[42:43], v[30:31], v[40:41] neg_lo:[0,0,1] neg_hi:[0,0,1]
	v_pk_fma_f32 v[30:31], v[42:43], v[30:31], v[40:41] op_sel_hi:[1,0,1]
	v_pk_add_f32 v[0:1], v[0:1], v[24:25]
	v_mov_b32_e32 v29, v31
	v_pk_add_f32 v[0:1], v[0:1], v[50:51]
	s_nop 0
	v_pk_add_f32 v[0:1], v[0:1], v[28:29]
	s_nop 0
	v_pk_add_f32 v[0:1], v[0:1], v[52:53]
	s_waitcnt vmcnt(0)
	v_pk_add_f32 v[0:1], v[44:45], v[0:1] neg_lo:[0,1] neg_hi:[0,1]
	scratch_store_dwordx2 off, v[0:1], off
	s_cbranch_vccz .LBB71_76
; %bb.62:
	global_load_dword v0, v18, s[8:9] offset:24
	s_waitcnt vmcnt(0)
	v_readfirstlane_b32 s0, v0
	s_add_i32 s0, s0, -1
	s_cmp_lg_u32 s0, 6
	s_cbranch_scc0 .LBB71_64
; %bb.63:
	s_lshl_b32 s0, s0, 3
	s_nop 0
	scratch_load_dwordx2 v[0:1], off, s0
	scratch_load_dwordx2 v[18:19], off, off offset:48
	s_waitcnt vmcnt(1)
	scratch_store_dwordx2 off, v[0:1], off offset:48
	s_waitcnt vmcnt(1)
	scratch_store_dwordx2 off, v[18:19], s0
.LBB71_64:
	v_mov_b32_e32 v0, 0
	global_load_dword v1, v0, s[8:9] offset:20
	s_waitcnt vmcnt(0)
	v_readfirstlane_b32 s0, v1
	s_add_i32 s0, s0, -1
	s_cmp_eq_u32 s0, 5
	s_cbranch_scc1 .LBB71_66
; %bb.65:
	s_lshl_b32 s0, s0, 3
	s_nop 0
	scratch_load_dwordx2 v[18:19], off, s0
	scratch_load_dwordx2 v[20:21], off, off offset:40
	s_waitcnt vmcnt(1)
	scratch_store_dwordx2 off, v[18:19], off offset:40
	s_waitcnt vmcnt(1)
	scratch_store_dwordx2 off, v[20:21], s0
.LBB71_66:
	global_load_dword v0, v0, s[8:9] offset:16
	s_waitcnt vmcnt(0)
	v_readfirstlane_b32 s0, v0
	s_add_i32 s0, s0, -1
	s_cmp_eq_u32 s0, 4
	s_cbranch_scc1 .LBB71_68
; %bb.67:
	s_lshl_b32 s0, s0, 3
	s_nop 0
	scratch_load_dwordx2 v[0:1], off, s0
	scratch_load_dwordx2 v[18:19], off, off offset:32
	s_waitcnt vmcnt(1)
	scratch_store_dwordx2 off, v[0:1], off offset:32
	s_waitcnt vmcnt(1)
	scratch_store_dwordx2 off, v[18:19], s0
.LBB71_68:
	v_mov_b32_e32 v0, 0
	global_load_dword v1, v0, s[8:9] offset:12
	s_waitcnt vmcnt(0)
	v_readfirstlane_b32 s0, v1
	s_add_i32 s0, s0, -1
	s_cmp_eq_u32 s0, 3
	s_cbranch_scc1 .LBB71_70
; %bb.69:
	s_lshl_b32 s0, s0, 3
	s_nop 0
	scratch_load_dwordx2 v[18:19], off, s0
	scratch_load_dwordx2 v[20:21], off, off offset:24
	s_waitcnt vmcnt(1)
	scratch_store_dwordx2 off, v[18:19], off offset:24
	s_waitcnt vmcnt(1)
	scratch_store_dwordx2 off, v[20:21], s0
.LBB71_70:
	global_load_dword v0, v0, s[8:9] offset:8
	s_waitcnt vmcnt(0)
	v_readfirstlane_b32 s0, v0
	s_add_i32 s0, s0, -1
	s_cmp_eq_u32 s0, 2
	s_cbranch_scc1 .LBB71_72
; %bb.71:
	s_lshl_b32 s0, s0, 3
	s_nop 0
	scratch_load_dwordx2 v[0:1], off, s0
	scratch_load_dwordx2 v[18:19], off, off offset:16
	s_waitcnt vmcnt(1)
	scratch_store_dwordx2 off, v[0:1], off offset:16
	s_waitcnt vmcnt(1)
	scratch_store_dwordx2 off, v[18:19], s0
.LBB71_72:
	v_mov_b32_e32 v0, 0
	global_load_dword v1, v0, s[8:9] offset:4
	s_waitcnt vmcnt(0)
	v_readfirstlane_b32 s0, v1
	s_add_i32 s0, s0, -1
	s_cmp_eq_u32 s0, 1
	s_cbranch_scc1 .LBB71_74
; %bb.73:
	s_lshl_b32 s0, s0, 3
	s_nop 0
	scratch_load_dwordx2 v[18:19], off, s0
	scratch_load_dwordx2 v[20:21], off, off offset:8
	s_waitcnt vmcnt(1)
	scratch_store_dwordx2 off, v[18:19], off offset:8
	s_waitcnt vmcnt(1)
	scratch_store_dwordx2 off, v[20:21], s0
.LBB71_74:
	global_load_dword v18, v0, s[8:9]
	s_nop 0
	scratch_load_dwordx2 v[0:1], off, off
	s_waitcnt vmcnt(1)
	v_readfirstlane_b32 s0, v18
	s_add_i32 s0, s0, -1
	s_cmp_eq_u32 s0, 0
	s_cbranch_scc1 .LBB71_76
; %bb.75:
	s_lshl_b32 s0, s0, 3
	s_nop 0
	scratch_load_dwordx2 v[18:19], off, s0
	s_waitcnt vmcnt(0)
	scratch_store_dwordx2 off, v[18:19], off
	scratch_store_dwordx2 off, v[0:1], s0
	scratch_load_dwordx2 v[0:1], off, off
.LBB71_76:
	s_waitcnt vmcnt(0)
	flat_store_dwordx2 v[2:3], v[0:1]
	scratch_load_dwordx2 v[0:1], off, off offset:8
	s_waitcnt vmcnt(0)
	flat_store_dwordx2 v[4:5], v[0:1]
	scratch_load_dwordx2 v[0:1], off, off offset:16
	;; [unrolled: 3-line block ×7, first 2 shown]
	s_waitcnt vmcnt(0)
	flat_store_dwordx2 v[16:17], v[0:1]
	s_endpgm
	.section	.rodata,"a",@progbits
	.p2align	6, 0x0
	.amdhsa_kernel _ZN9rocsolver6v33100L18getri_kernel_smallILi8E19rocblas_complex_numIfEPKPS3_EEvT1_iilPiilS8_bb
		.amdhsa_group_segment_fixed_size 132
		.amdhsa_private_segment_fixed_size 80
		.amdhsa_kernarg_size 60
		.amdhsa_user_sgpr_count 2
		.amdhsa_user_sgpr_dispatch_ptr 0
		.amdhsa_user_sgpr_queue_ptr 0
		.amdhsa_user_sgpr_kernarg_segment_ptr 1
		.amdhsa_user_sgpr_dispatch_id 0
		.amdhsa_user_sgpr_kernarg_preload_length 0
		.amdhsa_user_sgpr_kernarg_preload_offset 0
		.amdhsa_user_sgpr_private_segment_size 0
		.amdhsa_uses_dynamic_stack 0
		.amdhsa_enable_private_segment 1
		.amdhsa_system_sgpr_workgroup_id_x 1
		.amdhsa_system_sgpr_workgroup_id_y 0
		.amdhsa_system_sgpr_workgroup_id_z 0
		.amdhsa_system_sgpr_workgroup_info 0
		.amdhsa_system_vgpr_workitem_id 0
		.amdhsa_next_free_vgpr 64
		.amdhsa_next_free_sgpr 17
		.amdhsa_accum_offset 64
		.amdhsa_reserve_vcc 1
		.amdhsa_float_round_mode_32 0
		.amdhsa_float_round_mode_16_64 0
		.amdhsa_float_denorm_mode_32 3
		.amdhsa_float_denorm_mode_16_64 3
		.amdhsa_dx10_clamp 1
		.amdhsa_ieee_mode 1
		.amdhsa_fp16_overflow 0
		.amdhsa_tg_split 0
		.amdhsa_exception_fp_ieee_invalid_op 0
		.amdhsa_exception_fp_denorm_src 0
		.amdhsa_exception_fp_ieee_div_zero 0
		.amdhsa_exception_fp_ieee_overflow 0
		.amdhsa_exception_fp_ieee_underflow 0
		.amdhsa_exception_fp_ieee_inexact 0
		.amdhsa_exception_int_div_zero 0
	.end_amdhsa_kernel
	.section	.text._ZN9rocsolver6v33100L18getri_kernel_smallILi8E19rocblas_complex_numIfEPKPS3_EEvT1_iilPiilS8_bb,"axG",@progbits,_ZN9rocsolver6v33100L18getri_kernel_smallILi8E19rocblas_complex_numIfEPKPS3_EEvT1_iilPiilS8_bb,comdat
.Lfunc_end71:
	.size	_ZN9rocsolver6v33100L18getri_kernel_smallILi8E19rocblas_complex_numIfEPKPS3_EEvT1_iilPiilS8_bb, .Lfunc_end71-_ZN9rocsolver6v33100L18getri_kernel_smallILi8E19rocblas_complex_numIfEPKPS3_EEvT1_iilPiilS8_bb
                                        ; -- End function
	.set _ZN9rocsolver6v33100L18getri_kernel_smallILi8E19rocblas_complex_numIfEPKPS3_EEvT1_iilPiilS8_bb.num_vgpr, 64
	.set _ZN9rocsolver6v33100L18getri_kernel_smallILi8E19rocblas_complex_numIfEPKPS3_EEvT1_iilPiilS8_bb.num_agpr, 0
	.set _ZN9rocsolver6v33100L18getri_kernel_smallILi8E19rocblas_complex_numIfEPKPS3_EEvT1_iilPiilS8_bb.numbered_sgpr, 17
	.set _ZN9rocsolver6v33100L18getri_kernel_smallILi8E19rocblas_complex_numIfEPKPS3_EEvT1_iilPiilS8_bb.num_named_barrier, 0
	.set _ZN9rocsolver6v33100L18getri_kernel_smallILi8E19rocblas_complex_numIfEPKPS3_EEvT1_iilPiilS8_bb.private_seg_size, 80
	.set _ZN9rocsolver6v33100L18getri_kernel_smallILi8E19rocblas_complex_numIfEPKPS3_EEvT1_iilPiilS8_bb.uses_vcc, 1
	.set _ZN9rocsolver6v33100L18getri_kernel_smallILi8E19rocblas_complex_numIfEPKPS3_EEvT1_iilPiilS8_bb.uses_flat_scratch, 0
	.set _ZN9rocsolver6v33100L18getri_kernel_smallILi8E19rocblas_complex_numIfEPKPS3_EEvT1_iilPiilS8_bb.has_dyn_sized_stack, 0
	.set _ZN9rocsolver6v33100L18getri_kernel_smallILi8E19rocblas_complex_numIfEPKPS3_EEvT1_iilPiilS8_bb.has_recursion, 0
	.set _ZN9rocsolver6v33100L18getri_kernel_smallILi8E19rocblas_complex_numIfEPKPS3_EEvT1_iilPiilS8_bb.has_indirect_call, 0
	.section	.AMDGPU.csdata,"",@progbits
; Kernel info:
; codeLenInByte = 5352
; TotalNumSgprs: 23
; NumVgprs: 64
; NumAgprs: 0
; TotalNumVgprs: 64
; ScratchSize: 80
; MemoryBound: 0
; FloatMode: 240
; IeeeMode: 1
; LDSByteSize: 132 bytes/workgroup (compile time only)
; SGPRBlocks: 2
; VGPRBlocks: 7
; NumSGPRsForWavesPerEU: 23
; NumVGPRsForWavesPerEU: 64
; AccumOffset: 64
; Occupancy: 8
; WaveLimiterHint : 1
; COMPUTE_PGM_RSRC2:SCRATCH_EN: 1
; COMPUTE_PGM_RSRC2:USER_SGPR: 2
; COMPUTE_PGM_RSRC2:TRAP_HANDLER: 0
; COMPUTE_PGM_RSRC2:TGID_X_EN: 1
; COMPUTE_PGM_RSRC2:TGID_Y_EN: 0
; COMPUTE_PGM_RSRC2:TGID_Z_EN: 0
; COMPUTE_PGM_RSRC2:TIDIG_COMP_CNT: 0
; COMPUTE_PGM_RSRC3_GFX90A:ACCUM_OFFSET: 15
; COMPUTE_PGM_RSRC3_GFX90A:TG_SPLIT: 0
	.section	.text._ZN9rocsolver6v33100L18getri_kernel_smallILi9E19rocblas_complex_numIfEPKPS3_EEvT1_iilPiilS8_bb,"axG",@progbits,_ZN9rocsolver6v33100L18getri_kernel_smallILi9E19rocblas_complex_numIfEPKPS3_EEvT1_iilPiilS8_bb,comdat
	.globl	_ZN9rocsolver6v33100L18getri_kernel_smallILi9E19rocblas_complex_numIfEPKPS3_EEvT1_iilPiilS8_bb ; -- Begin function _ZN9rocsolver6v33100L18getri_kernel_smallILi9E19rocblas_complex_numIfEPKPS3_EEvT1_iilPiilS8_bb
	.p2align	8
	.type	_ZN9rocsolver6v33100L18getri_kernel_smallILi9E19rocblas_complex_numIfEPKPS3_EEvT1_iilPiilS8_bb,@function
_ZN9rocsolver6v33100L18getri_kernel_smallILi9E19rocblas_complex_numIfEPKPS3_EEvT1_iilPiilS8_bb: ; @_ZN9rocsolver6v33100L18getri_kernel_smallILi9E19rocblas_complex_numIfEPKPS3_EEvT1_iilPiilS8_bb
; %bb.0:
	v_cmp_gt_u32_e32 vcc, 9, v0
	s_and_saveexec_b64 s[4:5], vcc
	s_cbranch_execz .LBB72_50
; %bb.1:
	s_load_dword s14, s[0:1], 0x38
	s_load_dwordx2 s[8:9], s[0:1], 0x0
	s_load_dwordx4 s[4:7], s[0:1], 0x28
	s_waitcnt lgkmcnt(0)
	s_bitcmp1_b32 s14, 8
	s_cselect_b64 s[10:11], -1, 0
	s_ashr_i32 s3, s2, 31
	s_lshl_b64 s[12:13], s[2:3], 3
	s_add_u32 s8, s8, s12
	s_addc_u32 s9, s9, s13
	s_load_dwordx2 s[12:13], s[8:9], 0x0
	s_bfe_u32 s8, s14, 0x10008
	s_cmp_eq_u32 s8, 0
                                        ; implicit-def: $sgpr8_sgpr9
	s_cbranch_scc1 .LBB72_3
; %bb.2:
	s_load_dword s8, s[0:1], 0x20
	s_load_dwordx2 s[14:15], s[0:1], 0x18
	s_mul_i32 s9, s4, s3
	s_mul_hi_u32 s16, s4, s2
	s_add_i32 s16, s16, s9
	s_mul_i32 s5, s5, s2
	s_add_i32 s5, s16, s5
	s_mul_i32 s4, s4, s2
	s_waitcnt lgkmcnt(0)
	s_ashr_i32 s9, s8, 31
	s_lshl_b64 s[4:5], s[4:5], 2
	s_add_u32 s14, s14, s4
	s_addc_u32 s15, s15, s5
	s_lshl_b64 s[4:5], s[8:9], 2
	s_add_u32 s8, s14, s4
	s_addc_u32 s9, s15, s5
.LBB72_3:
	s_load_dwordx2 s[4:5], s[0:1], 0x8
	s_load_dword s14, s[0:1], 0x38
	v_lshlrev_b32_e32 v20, 3, v0
	v_mov_b32_e32 v21, 0
	s_waitcnt lgkmcnt(0)
	s_ashr_i32 s1, s4, 31
	s_mov_b32 s0, s4
	s_lshl_b64 s[0:1], s[0:1], 3
	s_add_u32 s0, s12, s0
	s_addc_u32 s1, s13, s1
	v_lshl_add_u64 v[2:3], s[0:1], 0, v[20:21]
	flat_load_dwordx2 v[6:7], v[2:3]
	s_mov_b32 s12, s5
	s_ashr_i32 s13, s5, 31
	v_lshl_add_u64 v[4:5], s[12:13], 3, v[2:3]
	s_add_i32 s4, s5, s5
	v_add_u32_e32 v10, s4, v0
	v_ashrrev_i32_e32 v11, 31, v10
	s_bitcmp0_b32 s14, 0
	s_waitcnt vmcnt(0) lgkmcnt(0)
	scratch_store_dwordx2 off, v[6:7], off
	flat_load_dwordx2 v[8:9], v[4:5]
	v_lshl_add_u64 v[6:7], v[10:11], 3, s[0:1]
	v_add_u32_e32 v10, s5, v10
	v_ashrrev_i32_e32 v11, 31, v10
	v_add_u32_e32 v14, s5, v10
	v_ashrrev_i32_e32 v15, 31, v14
	s_waitcnt vmcnt(0) lgkmcnt(0)
	scratch_store_dwordx2 off, v[8:9], off offset:8
	flat_load_dwordx2 v[12:13], v[6:7]
	v_lshl_add_u64 v[8:9], v[10:11], 3, s[0:1]
	v_lshl_add_u64 v[10:11], v[14:15], 3, s[0:1]
	v_add_u32_e32 v14, s5, v14
	v_ashrrev_i32_e32 v15, 31, v14
	v_add_u32_e32 v18, s5, v14
	v_ashrrev_i32_e32 v19, 31, v18
	s_waitcnt vmcnt(0) lgkmcnt(0)
	scratch_store_dwordx2 off, v[12:13], off offset:16
	flat_load_dwordx2 v[12:13], v[8:9]
	s_waitcnt vmcnt(0) lgkmcnt(0)
	scratch_store_dwordx2 off, v[12:13], off offset:24
	flat_load_dwordx2 v[16:17], v[10:11]
	v_lshl_add_u64 v[12:13], v[14:15], 3, s[0:1]
	v_lshl_add_u64 v[14:15], v[18:19], 3, s[0:1]
	v_add_u32_e32 v18, s5, v18
	v_ashrrev_i32_e32 v19, 31, v18
	s_waitcnt vmcnt(0) lgkmcnt(0)
	scratch_store_dwordx2 off, v[16:17], off offset:32
	flat_load_dwordx2 v[16:17], v[12:13]
	s_waitcnt vmcnt(0) lgkmcnt(0)
	scratch_store_dwordx2 off, v[16:17], off offset:40
	flat_load_dwordx2 v[22:23], v[14:15]
	v_lshl_add_u64 v[16:17], v[18:19], 3, s[0:1]
	v_add_u32_e32 v18, s5, v18
	v_ashrrev_i32_e32 v19, 31, v18
	v_lshl_add_u64 v[18:19], v[18:19], 3, s[0:1]
	s_mov_b64 s[4:5], -1
	s_waitcnt vmcnt(0) lgkmcnt(0)
	scratch_store_dwordx2 off, v[22:23], off offset:48
	flat_load_dwordx2 v[22:23], v[16:17]
	s_waitcnt vmcnt(0) lgkmcnt(0)
	scratch_store_dwordx2 off, v[22:23], off offset:56
	flat_load_dwordx2 v[22:23], v[18:19]
	s_waitcnt vmcnt(0) lgkmcnt(0)
	scratch_store_dwordx2 off, v[22:23], off offset:64
	s_cbranch_scc1 .LBB72_48
; %bb.4:
	v_cmp_eq_u32_e64 s[0:1], 0, v0
	s_and_saveexec_b64 s[4:5], s[0:1]
; %bb.5:
	v_mov_b32_e32 v1, 0
	ds_write_b32 v1, v1 offset:72
; %bb.6:
	s_or_b64 exec, exec, s[4:5]
	s_waitcnt lgkmcnt(0)
	; wave barrier
	scratch_load_dwordx2 v[22:23], v20, off
	s_waitcnt vmcnt(0)
	v_cmp_eq_f32_e32 vcc, 0, v22
	v_cmp_eq_f32_e64 s[4:5], 0, v23
	s_and_b64 s[4:5], vcc, s[4:5]
	s_and_saveexec_b64 s[12:13], s[4:5]
	s_cbranch_execz .LBB72_10
; %bb.7:
	v_mov_b32_e32 v1, 0
	ds_read_b32 v22, v1 offset:72
	v_add_u32_e32 v21, 1, v0
	s_waitcnt lgkmcnt(0)
	v_readfirstlane_b32 s4, v22
	s_cmp_eq_u32 s4, 0
	s_cselect_b64 s[14:15], -1, 0
	v_cmp_gt_i32_e32 vcc, s4, v21
	s_or_b64 s[14:15], s[14:15], vcc
	s_and_b64 exec, exec, s[14:15]
	s_cbranch_execz .LBB72_10
; %bb.8:
	s_mov_b64 s[14:15], 0
	v_mov_b32_e32 v22, s4
.LBB72_9:                               ; =>This Inner Loop Header: Depth=1
	ds_cmpst_rtn_b32 v22, v1, v22, v21 offset:72
	s_waitcnt lgkmcnt(0)
	v_cmp_ne_u32_e32 vcc, 0, v22
	v_cmp_le_i32_e64 s[4:5], v22, v21
	s_and_b64 s[4:5], vcc, s[4:5]
	s_and_b64 s[4:5], exec, s[4:5]
	s_or_b64 s[14:15], s[4:5], s[14:15]
	s_andn2_b64 exec, exec, s[14:15]
	s_cbranch_execnz .LBB72_9
.LBB72_10:
	s_or_b64 exec, exec, s[12:13]
	v_mov_b32_e32 v21, 0
	; wave barrier
	ds_read_b32 v1, v21 offset:72
	s_and_saveexec_b64 s[4:5], s[0:1]
	s_cbranch_execz .LBB72_12
; %bb.11:
	s_lshl_b64 s[12:13], s[2:3], 2
	s_add_u32 s12, s6, s12
	s_addc_u32 s13, s7, s13
	s_waitcnt lgkmcnt(0)
	global_store_dword v21, v1, s[12:13]
.LBB72_12:
	s_or_b64 exec, exec, s[4:5]
	s_waitcnt lgkmcnt(0)
	v_cmp_ne_u32_e32 vcc, 0, v1
	s_mov_b64 s[4:5], 0
	s_cbranch_vccnz .LBB72_48
; %bb.13:
	v_mov_b32_e32 v21, v20
	scratch_load_dwordx2 v[22:23], v21, off
                                        ; implicit-def: $vgpr25
                                        ; implicit-def: $vgpr26
	s_waitcnt vmcnt(0)
	v_cmp_ngt_f32_e64 s[4:5], |v22|, |v23|
	s_and_saveexec_b64 s[12:13], s[4:5]
	s_xor_b64 s[4:5], exec, s[12:13]
	s_cbranch_execz .LBB72_15
; %bb.14:
	v_div_scale_f32 v1, s[12:13], v23, v23, v22
	v_rcp_f32_e32 v24, v1
	v_div_scale_f32 v25, vcc, v22, v23, v22
	v_fma_f32 v26, -v1, v24, 1.0
	v_fmac_f32_e32 v24, v26, v24
	v_mul_f32_e32 v26, v25, v24
	v_fma_f32 v27, -v1, v26, v25
	v_fmac_f32_e32 v26, v27, v24
	v_fma_f32 v1, -v1, v26, v25
	v_div_fmas_f32 v1, v1, v24, v26
	v_div_fixup_f32 v1, v1, v23, v22
	v_fmac_f32_e32 v23, v22, v1
	v_div_scale_f32 v22, s[12:13], v23, v23, -1.0
	v_rcp_f32_e32 v24, v22
	s_nop 0
	v_fma_f32 v25, -v22, v24, 1.0
	v_fmac_f32_e32 v24, v25, v24
	v_div_scale_f32 v25, vcc, -1.0, v23, -1.0
	v_mul_f32_e32 v26, v25, v24
	v_fma_f32 v27, -v22, v26, v25
	v_fmac_f32_e32 v26, v27, v24
	v_fma_f32 v22, -v22, v26, v25
	v_div_fmas_f32 v22, v22, v24, v26
	v_div_fixup_f32 v25, v22, v23, -1.0
	v_mul_f32_e32 v26, v1, v25
	v_xor_b32_e32 v24, 0x80000000, v26
                                        ; implicit-def: $vgpr22_vgpr23
.LBB72_15:
	s_andn2_saveexec_b64 s[4:5], s[4:5]
	s_cbranch_execz .LBB72_17
; %bb.16:
	v_div_scale_f32 v1, s[12:13], v22, v22, v23
	v_rcp_f32_e32 v24, v1
	v_div_scale_f32 v25, vcc, v23, v22, v23
	v_fma_f32 v26, -v1, v24, 1.0
	v_fmac_f32_e32 v24, v26, v24
	v_mul_f32_e32 v26, v25, v24
	v_fma_f32 v27, -v1, v26, v25
	v_fmac_f32_e32 v26, v27, v24
	v_fma_f32 v1, -v1, v26, v25
	v_div_fmas_f32 v1, v1, v24, v26
	v_div_fixup_f32 v1, v1, v22, v23
	v_fmac_f32_e32 v22, v23, v1
	v_div_scale_f32 v23, s[12:13], v22, v22, 1.0
	v_rcp_f32_e32 v24, v23
	s_nop 0
	v_fma_f32 v25, -v23, v24, 1.0
	v_fmac_f32_e32 v24, v25, v24
	v_div_scale_f32 v25, vcc, 1.0, v22, 1.0
	v_mul_f32_e32 v26, v25, v24
	v_fma_f32 v27, -v23, v26, v25
	v_fmac_f32_e32 v26, v27, v24
	v_fma_f32 v23, -v23, v26, v25
	v_div_fmas_f32 v23, v23, v24, v26
	v_div_fixup_f32 v24, v23, v22, 1.0
	v_xor_b32_e32 v26, 0x80000000, v24
	v_mul_f32_e64 v25, v1, -v24
.LBB72_17:
	s_or_b64 exec, exec, s[4:5]
	scratch_store_dwordx2 v21, v[24:25], off
	scratch_load_dwordx2 v[22:23], off, off offset:8
	v_xor_b32_e32 v27, 0x80000000, v25
	v_add_u32_e32 v1, 0x50, v20
	s_waitcnt vmcnt(0)
	ds_write2_b64 v20, v[26:27], v[22:23] offset1:10
	s_waitcnt lgkmcnt(0)
	; wave barrier
	s_and_saveexec_b64 s[4:5], s[0:1]
	s_cbranch_execz .LBB72_19
; %bb.18:
	scratch_load_dwordx2 v[22:23], v21, off
	ds_read_b64 v[24:25], v1
	v_mov_b32_e32 v26, 0
	ds_read_b64 v[26:27], v26 offset:8
	s_waitcnt vmcnt(0) lgkmcnt(1)
	v_pk_mul_f32 v[28:29], v[24:25], v[22:23] op_sel:[1,1] op_sel_hi:[0,1]
	v_pk_fma_f32 v[30:31], v[24:25], v[22:23], v[28:29] neg_lo:[0,0,1] neg_hi:[0,0,1]
	v_pk_fma_f32 v[22:23], v[24:25], v[22:23], v[28:29] op_sel_hi:[1,0,1]
	s_nop 0
	v_mov_b32_e32 v31, v23
	v_pk_add_f32 v[22:23], v[30:31], 0 op_sel_hi:[1,0]
	s_waitcnt lgkmcnt(0)
	v_pk_mul_f32 v[24:25], v[22:23], v[26:27] op_sel:[1,1] op_sel_hi:[0,1]
	v_pk_fma_f32 v[28:29], v[22:23], v[26:27], v[24:25] neg_lo:[0,0,1] neg_hi:[0,0,1]
	v_pk_fma_f32 v[22:23], v[22:23], v[26:27], v[24:25] op_sel_hi:[1,0,1]
	s_nop 0
	v_mov_b32_e32 v29, v23
	scratch_store_dwordx2 off, v[28:29], off offset:8
.LBB72_19:
	s_or_b64 exec, exec, s[4:5]
	; wave barrier
	scratch_load_dwordx2 v[22:23], off, off offset:16
	v_cmp_gt_u32_e32 vcc, 2, v0
	s_waitcnt vmcnt(0)
	ds_write_b64 v1, v[22:23]
	s_waitcnt lgkmcnt(0)
	; wave barrier
	s_and_saveexec_b64 s[4:5], vcc
	s_cbranch_execz .LBB72_23
; %bb.20:
	scratch_load_dwordx2 v[22:23], v21, off
	ds_read_b64 v[24:25], v1
	s_waitcnt vmcnt(0) lgkmcnt(0)
	v_pk_mul_f32 v[26:27], v[24:25], v[22:23] op_sel:[1,1] op_sel_hi:[0,1]
	v_pk_fma_f32 v[28:29], v[24:25], v[22:23], v[26:27] neg_lo:[0,0,1] neg_hi:[0,0,1]
	v_pk_fma_f32 v[22:23], v[24:25], v[22:23], v[26:27] op_sel_hi:[1,0,1]
	s_nop 0
	v_mov_b32_e32 v29, v23
	v_pk_add_f32 v[22:23], v[28:29], 0 op_sel_hi:[1,0]
	s_and_saveexec_b64 s[12:13], s[0:1]
	s_cbranch_execz .LBB72_22
; %bb.21:
	scratch_load_dwordx2 v[24:25], off, off offset:8
	v_mov_b32_e32 v21, 0
	ds_read_b64 v[26:27], v21 offset:88
	s_waitcnt vmcnt(0) lgkmcnt(0)
	v_pk_mul_f32 v[28:29], v[26:27], v[24:25] op_sel:[1,1] op_sel_hi:[0,1]
	v_pk_fma_f32 v[30:31], v[26:27], v[24:25], v[28:29] neg_lo:[0,0,1] neg_hi:[0,0,1]
	v_pk_fma_f32 v[24:25], v[26:27], v[24:25], v[28:29] op_sel_hi:[1,0,1]
	s_nop 0
	v_mov_b32_e32 v31, v25
	v_pk_add_f32 v[22:23], v[22:23], v[30:31]
.LBB72_22:
	s_or_b64 exec, exec, s[12:13]
	v_mov_b32_e32 v21, 0
	ds_read_b64 v[24:25], v21 offset:16
	s_waitcnt lgkmcnt(0)
	v_pk_mul_f32 v[26:27], v[22:23], v[24:25] op_sel:[1,1] op_sel_hi:[0,1]
	v_pk_fma_f32 v[28:29], v[22:23], v[24:25], v[26:27] neg_lo:[0,0,1] neg_hi:[0,0,1]
	v_pk_fma_f32 v[22:23], v[22:23], v[24:25], v[26:27] op_sel_hi:[1,0,1]
	s_nop 0
	v_mov_b32_e32 v29, v23
	scratch_store_dwordx2 off, v[28:29], off offset:16
.LBB72_23:
	s_or_b64 exec, exec, s[4:5]
	; wave barrier
	scratch_load_dwordx2 v[22:23], off, off offset:24
	v_cmp_gt_u32_e32 vcc, 3, v0
	v_add_u32_e32 v24, -1, v0
	s_waitcnt vmcnt(0)
	ds_write_b64 v1, v[22:23]
	s_waitcnt lgkmcnt(0)
	; wave barrier
	s_and_saveexec_b64 s[0:1], vcc
	s_cbranch_execz .LBB72_27
; %bb.24:
	v_mov_b32_e32 v22, 0
	v_add_u32_e32 v21, -1, v0
	v_add_u32_e32 v25, 0x50, v20
	v_mov_b32_e32 v26, v20
	s_mov_b64 s[4:5], 0
	v_mov_b32_e32 v23, v22
.LBB72_25:                              ; =>This Inner Loop Header: Depth=1
	scratch_load_dwordx2 v[28:29], v26, off
	ds_read_b64 v[30:31], v25
	v_add_u32_e32 v21, 1, v21
	v_cmp_lt_u32_e32 vcc, 1, v21
	v_add_u32_e32 v25, 8, v25
	v_add_u32_e32 v26, 8, v26
	s_or_b64 s[4:5], vcc, s[4:5]
	s_waitcnt vmcnt(0) lgkmcnt(0)
	v_pk_mul_f32 v[32:33], v[30:31], v[28:29] op_sel:[1,1] op_sel_hi:[0,1]
	v_pk_fma_f32 v[34:35], v[30:31], v[28:29], v[32:33] neg_lo:[0,0,1] neg_hi:[0,0,1]
	v_pk_fma_f32 v[28:29], v[30:31], v[28:29], v[32:33] op_sel_hi:[1,0,1]
	s_nop 0
	v_mov_b32_e32 v35, v29
	v_pk_add_f32 v[22:23], v[22:23], v[34:35]
	s_andn2_b64 exec, exec, s[4:5]
	s_cbranch_execnz .LBB72_25
; %bb.26:
	s_or_b64 exec, exec, s[4:5]
	v_mov_b32_e32 v21, 0
	ds_read_b64 v[26:27], v21 offset:24
	s_waitcnt lgkmcnt(0)
	v_pk_mul_f32 v[28:29], v[22:23], v[26:27] op_sel:[1,1] op_sel_hi:[0,1]
	v_pk_fma_f32 v[30:31], v[22:23], v[26:27], v[28:29] neg_lo:[0,0,1] neg_hi:[0,0,1]
	v_pk_fma_f32 v[22:23], v[22:23], v[26:27], v[28:29] op_sel_hi:[1,0,1]
	s_nop 0
	v_mov_b32_e32 v31, v23
	scratch_store_dwordx2 off, v[30:31], off offset:24
.LBB72_27:
	s_or_b64 exec, exec, s[0:1]
	; wave barrier
	scratch_load_dwordx2 v[22:23], off, off offset:32
	v_cmp_gt_u32_e32 vcc, 4, v0
	s_waitcnt vmcnt(0)
	ds_write_b64 v1, v[22:23]
	s_waitcnt lgkmcnt(0)
	; wave barrier
	s_and_saveexec_b64 s[0:1], vcc
	s_cbranch_execz .LBB72_31
; %bb.28:
	v_mov_b32_e32 v22, 0
	v_add_u32_e32 v21, -1, v0
	v_add_u32_e32 v25, 0x50, v20
	v_mov_b32_e32 v26, v20
	s_mov_b64 s[4:5], 0
	v_mov_b32_e32 v23, v22
.LBB72_29:                              ; =>This Inner Loop Header: Depth=1
	scratch_load_dwordx2 v[28:29], v26, off
	ds_read_b64 v[30:31], v25
	v_add_u32_e32 v21, 1, v21
	v_cmp_lt_u32_e32 vcc, 2, v21
	v_add_u32_e32 v25, 8, v25
	v_add_u32_e32 v26, 8, v26
	s_or_b64 s[4:5], vcc, s[4:5]
	s_waitcnt vmcnt(0) lgkmcnt(0)
	v_pk_mul_f32 v[32:33], v[30:31], v[28:29] op_sel:[1,1] op_sel_hi:[0,1]
	v_pk_fma_f32 v[34:35], v[30:31], v[28:29], v[32:33] neg_lo:[0,0,1] neg_hi:[0,0,1]
	v_pk_fma_f32 v[28:29], v[30:31], v[28:29], v[32:33] op_sel_hi:[1,0,1]
	s_nop 0
	v_mov_b32_e32 v35, v29
	v_pk_add_f32 v[22:23], v[22:23], v[34:35]
	s_andn2_b64 exec, exec, s[4:5]
	s_cbranch_execnz .LBB72_29
; %bb.30:
	s_or_b64 exec, exec, s[4:5]
	v_mov_b32_e32 v21, 0
	ds_read_b64 v[26:27], v21 offset:32
	s_waitcnt lgkmcnt(0)
	v_pk_mul_f32 v[28:29], v[22:23], v[26:27] op_sel:[1,1] op_sel_hi:[0,1]
	v_pk_fma_f32 v[30:31], v[22:23], v[26:27], v[28:29] neg_lo:[0,0,1] neg_hi:[0,0,1]
	v_pk_fma_f32 v[22:23], v[22:23], v[26:27], v[28:29] op_sel_hi:[1,0,1]
	s_nop 0
	v_mov_b32_e32 v31, v23
	scratch_store_dwordx2 off, v[30:31], off offset:32
.LBB72_31:
	s_or_b64 exec, exec, s[0:1]
	; wave barrier
	scratch_load_dwordx2 v[22:23], off, off offset:40
	v_cmp_gt_u32_e32 vcc, 5, v0
	;; [unrolled: 46-line block ×4, first 2 shown]
	s_waitcnt vmcnt(0)
	ds_write_b64 v1, v[22:23]
	s_waitcnt lgkmcnt(0)
	; wave barrier
	s_and_saveexec_b64 s[0:1], vcc
	s_cbranch_execz .LBB72_43
; %bb.40:
	v_mov_b32_e32 v22, 0
	v_add_u32_e32 v21, -1, v0
	v_add_u32_e32 v25, 0x50, v20
	v_mov_b32_e32 v26, v20
	s_mov_b64 s[4:5], 0
	v_mov_b32_e32 v23, v22
.LBB72_41:                              ; =>This Inner Loop Header: Depth=1
	scratch_load_dwordx2 v[28:29], v26, off
	ds_read_b64 v[30:31], v25
	v_add_u32_e32 v21, 1, v21
	v_cmp_lt_u32_e32 vcc, 5, v21
	v_add_u32_e32 v25, 8, v25
	v_add_u32_e32 v26, 8, v26
	s_or_b64 s[4:5], vcc, s[4:5]
	s_waitcnt vmcnt(0) lgkmcnt(0)
	v_pk_mul_f32 v[32:33], v[30:31], v[28:29] op_sel:[1,1] op_sel_hi:[0,1]
	v_pk_fma_f32 v[34:35], v[30:31], v[28:29], v[32:33] neg_lo:[0,0,1] neg_hi:[0,0,1]
	v_pk_fma_f32 v[28:29], v[30:31], v[28:29], v[32:33] op_sel_hi:[1,0,1]
	s_nop 0
	v_mov_b32_e32 v35, v29
	v_pk_add_f32 v[22:23], v[22:23], v[34:35]
	s_andn2_b64 exec, exec, s[4:5]
	s_cbranch_execnz .LBB72_41
; %bb.42:
	s_or_b64 exec, exec, s[4:5]
	v_mov_b32_e32 v21, 0
	ds_read_b64 v[26:27], v21 offset:56
	s_waitcnt lgkmcnt(0)
	v_pk_mul_f32 v[28:29], v[22:23], v[26:27] op_sel:[1,1] op_sel_hi:[0,1]
	v_pk_fma_f32 v[30:31], v[22:23], v[26:27], v[28:29] neg_lo:[0,0,1] neg_hi:[0,0,1]
	v_pk_fma_f32 v[22:23], v[22:23], v[26:27], v[28:29] op_sel_hi:[1,0,1]
	s_nop 0
	v_mov_b32_e32 v31, v23
	scratch_store_dwordx2 off, v[30:31], off offset:56
.LBB72_43:
	s_or_b64 exec, exec, s[0:1]
	; wave barrier
	scratch_load_dwordx2 v[22:23], off, off offset:64
	v_cmp_ne_u32_e32 vcc, 8, v0
	s_waitcnt vmcnt(0)
	ds_write_b64 v1, v[22:23]
	s_waitcnt lgkmcnt(0)
	; wave barrier
	s_and_saveexec_b64 s[0:1], vcc
	s_cbranch_execz .LBB72_47
; %bb.44:
	v_add_u32_e32 v1, 0x50, v20
	v_mov_b32_e32 v22, v20
	v_mov_b32_e32 v20, 0
	s_mov_b64 s[4:5], 0
	v_mov_b32_e32 v21, v20
.LBB72_45:                              ; =>This Inner Loop Header: Depth=1
	scratch_load_dwordx2 v[26:27], v22, off
	ds_read_b64 v[28:29], v1
	v_add_u32_e32 v24, 1, v24
	v_cmp_lt_u32_e32 vcc, 6, v24
	v_add_u32_e32 v1, 8, v1
	v_add_u32_e32 v22, 8, v22
	s_or_b64 s[4:5], vcc, s[4:5]
	s_waitcnt vmcnt(0) lgkmcnt(0)
	v_pk_mul_f32 v[30:31], v[28:29], v[26:27] op_sel:[1,1] op_sel_hi:[0,1]
	v_pk_fma_f32 v[32:33], v[28:29], v[26:27], v[30:31] neg_lo:[0,0,1] neg_hi:[0,0,1]
	v_pk_fma_f32 v[26:27], v[28:29], v[26:27], v[30:31] op_sel_hi:[1,0,1]
	s_nop 0
	v_mov_b32_e32 v33, v27
	v_pk_add_f32 v[20:21], v[20:21], v[32:33]
	s_andn2_b64 exec, exec, s[4:5]
	s_cbranch_execnz .LBB72_45
; %bb.46:
	s_or_b64 exec, exec, s[4:5]
	v_mov_b32_e32 v1, 0
	ds_read_b64 v[22:23], v1 offset:64
	s_waitcnt lgkmcnt(0)
	v_pk_mul_f32 v[24:25], v[20:21], v[22:23] op_sel:[1,1] op_sel_hi:[0,1]
	v_pk_fma_f32 v[26:27], v[20:21], v[22:23], v[24:25] neg_lo:[0,0,1] neg_hi:[0,0,1]
	v_pk_fma_f32 v[20:21], v[20:21], v[22:23], v[24:25] op_sel_hi:[1,0,1]
	s_nop 0
	v_mov_b32_e32 v27, v21
	scratch_store_dwordx2 off, v[26:27], off offset:64
.LBB72_47:
	s_or_b64 exec, exec, s[0:1]
	s_mov_b64 s[4:5], -1
	; wave barrier
.LBB72_48:
	s_and_b64 vcc, exec, s[4:5]
	s_cbranch_vccz .LBB72_50
; %bb.49:
	s_lshl_b64 s[0:1], s[2:3], 2
	s_add_u32 s0, s6, s0
	s_addc_u32 s1, s7, s1
	v_mov_b32_e32 v1, 0
	global_load_dword v1, v1, s[0:1]
	s_waitcnt vmcnt(0)
	v_cmp_ne_u32_e32 vcc, 0, v1
	s_cbranch_vccz .LBB72_51
.LBB72_50:
	s_endpgm
.LBB72_51:
	v_mov_b32_e32 v1, 0x50
	v_lshl_add_u32 v1, v0, 3, v1
	v_cmp_eq_u32_e32 vcc, 8, v0
	s_and_saveexec_b64 s[0:1], vcc
	s_cbranch_execz .LBB72_53
; %bb.52:
	scratch_load_dwordx2 v[20:21], off, off offset:56
	v_mov_b32_e32 v22, 0
	v_mov_b32_e32 v23, v22
	scratch_store_dwordx2 off, v[22:23], off offset:56
	s_waitcnt vmcnt(1)
	ds_write_b64 v1, v[20:21]
.LBB72_53:
	s_or_b64 exec, exec, s[0:1]
	s_waitcnt lgkmcnt(0)
	; wave barrier
	scratch_load_dwordx2 v[22:23], off, off offset:64
	scratch_load_dwordx2 v[24:25], off, off offset:56
	v_mov_b32_e32 v20, 0
	ds_read_b64 v[26:27], v20 offset:144
	v_cmp_lt_u32_e32 vcc, 6, v0
	s_waitcnt vmcnt(1) lgkmcnt(0)
	v_pk_mul_f32 v[28:29], v[26:27], v[22:23] op_sel:[1,1] op_sel_hi:[0,1]
	v_pk_fma_f32 v[30:31], v[26:27], v[22:23], v[28:29] neg_lo:[0,0,1] neg_hi:[0,0,1]
	v_pk_fma_f32 v[22:23], v[26:27], v[22:23], v[28:29] op_sel_hi:[1,0,1]
	s_nop 0
	v_mov_b32_e32 v31, v23
	v_pk_add_f32 v[22:23], v[30:31], 0 op_sel_hi:[1,0]
	s_waitcnt vmcnt(0)
	v_pk_add_f32 v[22:23], v[24:25], v[22:23] neg_lo:[0,1] neg_hi:[0,1]
	scratch_store_dwordx2 off, v[22:23], off offset:56
	s_and_saveexec_b64 s[0:1], vcc
	s_cbranch_execz .LBB72_55
; %bb.54:
	scratch_load_dwordx2 v[22:23], off, off offset:48
	v_mov_b32_e32 v21, v20
	scratch_store_dwordx2 off, v[20:21], off offset:48
	s_waitcnt vmcnt(1)
	ds_write_b64 v1, v[22:23]
.LBB72_55:
	s_or_b64 exec, exec, s[0:1]
	s_waitcnt lgkmcnt(0)
	; wave barrier
	scratch_load_dwordx4 v[22:25], off, off offset:56
	scratch_load_dwordx2 v[30:31], off, off offset:48
	ds_read2_b64 v[26:29], v20 offset0:17 offset1:18
	v_cmp_lt_u32_e32 vcc, 5, v0
	s_waitcnt vmcnt(1) lgkmcnt(0)
	v_pk_mul_f32 v[20:21], v[26:27], v[22:23] op_sel:[1,1] op_sel_hi:[0,1]
	v_mov_b32_e32 v32, v25
	v_pk_fma_f32 v[34:35], v[26:27], v[22:23], v[20:21] neg_lo:[0,0,1] neg_hi:[0,0,1]
	v_pk_fma_f32 v[20:21], v[26:27], v[22:23], v[20:21] op_sel_hi:[1,0,1]
	v_pk_mul_f32 v[22:23], v[28:29], v[32:33] op_sel:[1,0] op_sel_hi:[0,0]
	v_mov_b32_e32 v35, v21
	v_pk_fma_f32 v[20:21], v[28:29], v[24:25], v[22:23] neg_lo:[0,0,1] neg_hi:[0,0,1]
	v_pk_fma_f32 v[22:23], v[28:29], v[24:25], v[22:23] op_sel_hi:[1,0,1]
	v_pk_add_f32 v[24:25], v[34:35], 0 op_sel_hi:[1,0]
	v_mov_b32_e32 v21, v23
	v_pk_add_f32 v[20:21], v[24:25], v[20:21]
	s_waitcnt vmcnt(0)
	v_pk_add_f32 v[20:21], v[30:31], v[20:21] neg_lo:[0,1] neg_hi:[0,1]
	scratch_store_dwordx2 off, v[20:21], off offset:48
	s_and_saveexec_b64 s[0:1], vcc
	s_cbranch_execz .LBB72_57
; %bb.56:
	scratch_load_dwordx2 v[20:21], off, off offset:40
	v_mov_b32_e32 v22, 0
	v_mov_b32_e32 v23, v22
	scratch_store_dwordx2 off, v[22:23], off offset:40
	s_waitcnt vmcnt(1)
	ds_write_b64 v1, v[20:21]
.LBB72_57:
	s_or_b64 exec, exec, s[0:1]
	s_waitcnt lgkmcnt(0)
	; wave barrier
	scratch_load_dwordx4 v[22:25], off, off offset:48
	scratch_load_dwordx2 v[30:31], off, off offset:64
	scratch_load_dwordx2 v[32:33], off, off offset:40
	v_mov_b32_e32 v20, 0
	ds_read_b128 v[26:29], v20 offset:128
	ds_read_b64 v[34:35], v20 offset:144
	v_cmp_lt_u32_e32 vcc, 4, v0
	s_waitcnt vmcnt(2) lgkmcnt(1)
	v_pk_mul_f32 v[36:37], v[26:27], v[22:23] op_sel:[1,1] op_sel_hi:[0,1]
	v_mov_b32_e32 v38, v25
	v_pk_fma_f32 v[42:43], v[26:27], v[22:23], v[36:37] neg_lo:[0,0,1] neg_hi:[0,0,1]
	v_pk_fma_f32 v[22:23], v[26:27], v[22:23], v[36:37] op_sel_hi:[1,0,1]
	v_pk_mul_f32 v[26:27], v[28:29], v[38:39] op_sel:[1,0] op_sel_hi:[0,0]
	s_waitcnt vmcnt(1) lgkmcnt(0)
	v_pk_mul_f32 v[40:41], v[34:35], v[30:31] op_sel:[1,1] op_sel_hi:[0,1]
	v_mov_b32_e32 v43, v23
	v_pk_fma_f32 v[22:23], v[28:29], v[24:25], v[26:27] neg_lo:[0,0,1] neg_hi:[0,0,1]
	v_pk_fma_f32 v[24:25], v[28:29], v[24:25], v[26:27] op_sel_hi:[1,0,1]
	v_pk_fma_f32 v[36:37], v[34:35], v[30:31], v[40:41] neg_lo:[0,0,1] neg_hi:[0,0,1]
	v_pk_fma_f32 v[30:31], v[34:35], v[30:31], v[40:41] op_sel_hi:[1,0,1]
	v_pk_add_f32 v[26:27], v[42:43], 0 op_sel_hi:[1,0]
	v_mov_b32_e32 v23, v25
	v_mov_b32_e32 v37, v31
	v_pk_add_f32 v[22:23], v[26:27], v[22:23]
	s_nop 0
	v_pk_add_f32 v[22:23], v[22:23], v[36:37]
	s_waitcnt vmcnt(0)
	v_pk_add_f32 v[22:23], v[32:33], v[22:23] neg_lo:[0,1] neg_hi:[0,1]
	scratch_store_dwordx2 off, v[22:23], off offset:40
	s_and_saveexec_b64 s[0:1], vcc
	s_cbranch_execz .LBB72_59
; %bb.58:
	scratch_load_dwordx2 v[22:23], off, off offset:32
	v_mov_b32_e32 v21, v20
	scratch_store_dwordx2 off, v[20:21], off offset:32
	s_waitcnt vmcnt(1)
	ds_write_b64 v1, v[22:23]
.LBB72_59:
	s_or_b64 exec, exec, s[0:1]
	s_waitcnt lgkmcnt(0)
	; wave barrier
	scratch_load_dwordx4 v[22:25], off, off offset:40
	scratch_load_dwordx4 v[26:29], off, off offset:56
	scratch_load_dwordx2 v[38:39], off, off offset:32
	ds_read2_b64 v[30:33], v20 offset0:15 offset1:16
	ds_read2_b64 v[34:37], v20 offset0:17 offset1:18
	v_cmp_lt_u32_e32 vcc, 3, v0
	s_waitcnt vmcnt(2) lgkmcnt(1)
	v_pk_mul_f32 v[20:21], v[30:31], v[22:23] op_sel:[1,1] op_sel_hi:[0,1]
	v_mov_b32_e32 v40, v25
	s_waitcnt vmcnt(1) lgkmcnt(0)
	v_pk_mul_f32 v[42:43], v[34:35], v[26:27] op_sel:[1,1] op_sel_hi:[0,1]
	v_mov_b32_e32 v44, v29
	v_pk_fma_f32 v[46:47], v[30:31], v[22:23], v[20:21] neg_lo:[0,0,1] neg_hi:[0,0,1]
	v_pk_fma_f32 v[20:21], v[30:31], v[22:23], v[20:21] op_sel_hi:[1,0,1]
	v_pk_mul_f32 v[22:23], v[32:33], v[40:41] op_sel:[1,0] op_sel_hi:[0,0]
	v_pk_fma_f32 v[30:31], v[34:35], v[26:27], v[42:43] neg_lo:[0,0,1] neg_hi:[0,0,1]
	v_pk_fma_f32 v[26:27], v[34:35], v[26:27], v[42:43] op_sel_hi:[1,0,1]
	v_pk_mul_f32 v[34:35], v[36:37], v[44:45] op_sel:[1,0] op_sel_hi:[0,0]
	v_mov_b32_e32 v47, v21
	v_pk_fma_f32 v[20:21], v[32:33], v[24:25], v[22:23] neg_lo:[0,0,1] neg_hi:[0,0,1]
	v_pk_fma_f32 v[22:23], v[32:33], v[24:25], v[22:23] op_sel_hi:[1,0,1]
	v_mov_b32_e32 v31, v27
	v_pk_fma_f32 v[24:25], v[36:37], v[28:29], v[34:35] neg_lo:[0,0,1] neg_hi:[0,0,1]
	v_pk_fma_f32 v[26:27], v[36:37], v[28:29], v[34:35] op_sel_hi:[1,0,1]
	v_pk_add_f32 v[28:29], v[46:47], 0 op_sel_hi:[1,0]
	v_mov_b32_e32 v21, v23
	v_pk_add_f32 v[20:21], v[28:29], v[20:21]
	v_mov_b32_e32 v25, v27
	v_pk_add_f32 v[20:21], v[20:21], v[30:31]
	s_nop 0
	v_pk_add_f32 v[20:21], v[20:21], v[24:25]
	s_waitcnt vmcnt(0)
	v_pk_add_f32 v[20:21], v[38:39], v[20:21] neg_lo:[0,1] neg_hi:[0,1]
	scratch_store_dwordx2 off, v[20:21], off offset:32
	s_and_saveexec_b64 s[0:1], vcc
	s_cbranch_execz .LBB72_61
; %bb.60:
	scratch_load_dwordx2 v[20:21], off, off offset:24
	v_mov_b32_e32 v22, 0
	v_mov_b32_e32 v23, v22
	scratch_store_dwordx2 off, v[22:23], off offset:24
	s_waitcnt vmcnt(1)
	ds_write_b64 v1, v[20:21]
.LBB72_61:
	s_or_b64 exec, exec, s[0:1]
	s_waitcnt lgkmcnt(0)
	; wave barrier
	scratch_load_dwordx4 v[22:25], off, off offset:32
	scratch_load_dwordx4 v[26:29], off, off offset:48
	scratch_load_dwordx2 v[38:39], off, off offset:64
	scratch_load_dwordx2 v[40:41], off, off offset:24
	v_mov_b32_e32 v20, 0
	ds_read_b128 v[30:33], v20 offset:112
	ds_read_b128 v[34:37], v20 offset:128
	ds_read_b64 v[42:43], v20 offset:144
	v_cmp_lt_u32_e32 vcc, 2, v0
	s_waitcnt vmcnt(3) lgkmcnt(2)
	v_pk_mul_f32 v[44:45], v[30:31], v[22:23] op_sel:[1,1] op_sel_hi:[0,1]
	v_mov_b32_e32 v46, v25
	v_pk_fma_f32 v[54:55], v[30:31], v[22:23], v[44:45] neg_lo:[0,0,1] neg_hi:[0,0,1]
	v_pk_fma_f32 v[22:23], v[30:31], v[22:23], v[44:45] op_sel_hi:[1,0,1]
	v_pk_mul_f32 v[30:31], v[32:33], v[46:47] op_sel:[1,0] op_sel_hi:[0,0]
	s_waitcnt vmcnt(2) lgkmcnt(1)
	v_pk_mul_f32 v[48:49], v[34:35], v[26:27] op_sel:[1,1] op_sel_hi:[0,1]
	v_mov_b32_e32 v50, v29
	v_mov_b32_e32 v55, v23
	v_pk_fma_f32 v[22:23], v[32:33], v[24:25], v[30:31] neg_lo:[0,0,1] neg_hi:[0,0,1]
	v_pk_fma_f32 v[24:25], v[32:33], v[24:25], v[30:31] op_sel_hi:[1,0,1]
	v_pk_fma_f32 v[44:45], v[34:35], v[26:27], v[48:49] neg_lo:[0,0,1] neg_hi:[0,0,1]
	v_pk_fma_f32 v[26:27], v[34:35], v[26:27], v[48:49] op_sel_hi:[1,0,1]
	v_pk_mul_f32 v[34:35], v[36:37], v[50:51] op_sel:[1,0] op_sel_hi:[0,0]
	v_pk_add_f32 v[30:31], v[54:55], 0 op_sel_hi:[1,0]
	v_mov_b32_e32 v23, v25
	s_waitcnt vmcnt(1) lgkmcnt(0)
	v_pk_mul_f32 v[52:53], v[42:43], v[38:39] op_sel:[1,1] op_sel_hi:[0,1]
	v_mov_b32_e32 v45, v27
	v_pk_fma_f32 v[26:27], v[36:37], v[28:29], v[34:35] neg_lo:[0,0,1] neg_hi:[0,0,1]
	v_pk_fma_f32 v[28:29], v[36:37], v[28:29], v[34:35] op_sel_hi:[1,0,1]
	v_pk_add_f32 v[22:23], v[30:31], v[22:23]
	v_pk_fma_f32 v[46:47], v[42:43], v[38:39], v[52:53] neg_lo:[0,0,1] neg_hi:[0,0,1]
	v_pk_fma_f32 v[38:39], v[42:43], v[38:39], v[52:53] op_sel_hi:[1,0,1]
	v_mov_b32_e32 v27, v29
	v_pk_add_f32 v[22:23], v[22:23], v[44:45]
	v_mov_b32_e32 v47, v39
	v_pk_add_f32 v[22:23], v[22:23], v[26:27]
	s_nop 0
	v_pk_add_f32 v[22:23], v[22:23], v[46:47]
	s_waitcnt vmcnt(0)
	v_pk_add_f32 v[22:23], v[40:41], v[22:23] neg_lo:[0,1] neg_hi:[0,1]
	scratch_store_dwordx2 off, v[22:23], off offset:24
	s_and_saveexec_b64 s[0:1], vcc
	s_cbranch_execz .LBB72_63
; %bb.62:
	scratch_load_dwordx2 v[22:23], off, off offset:16
	v_mov_b32_e32 v21, v20
	scratch_store_dwordx2 off, v[20:21], off offset:16
	s_waitcnt vmcnt(1)
	ds_write_b64 v1, v[22:23]
.LBB72_63:
	s_or_b64 exec, exec, s[0:1]
	s_waitcnt lgkmcnt(0)
	; wave barrier
	scratch_load_dwordx4 v[22:25], off, off offset:24
	scratch_load_dwordx4 v[26:29], off, off offset:40
	;; [unrolled: 1-line block ×3, first 2 shown]
	scratch_load_dwordx2 v[46:47], off, off offset:16
	ds_read2_b64 v[34:37], v20 offset0:13 offset1:14
	ds_read2_b64 v[38:41], v20 offset0:15 offset1:16
	;; [unrolled: 1-line block ×3, first 2 shown]
	v_cmp_lt_u32_e32 vcc, 1, v0
	s_waitcnt vmcnt(3) lgkmcnt(2)
	v_pk_mul_f32 v[20:21], v[34:35], v[22:23] op_sel:[1,1] op_sel_hi:[0,1]
	v_mov_b32_e32 v48, v25
	s_waitcnt vmcnt(2) lgkmcnt(1)
	v_pk_mul_f32 v[50:51], v[38:39], v[26:27] op_sel:[1,1] op_sel_hi:[0,1]
	v_mov_b32_e32 v52, v29
	;; [unrolled: 3-line block ×3, first 2 shown]
	v_pk_fma_f32 v[58:59], v[34:35], v[22:23], v[20:21] neg_lo:[0,0,1] neg_hi:[0,0,1]
	v_pk_fma_f32 v[20:21], v[34:35], v[22:23], v[20:21] op_sel_hi:[1,0,1]
	v_pk_mul_f32 v[22:23], v[36:37], v[48:49] op_sel:[1,0] op_sel_hi:[0,0]
	v_pk_fma_f32 v[34:35], v[38:39], v[26:27], v[50:51] neg_lo:[0,0,1] neg_hi:[0,0,1]
	v_pk_fma_f32 v[26:27], v[38:39], v[26:27], v[50:51] op_sel_hi:[1,0,1]
	v_pk_mul_f32 v[38:39], v[40:41], v[52:53] op_sel:[1,0] op_sel_hi:[0,0]
	v_pk_fma_f32 v[48:49], v[42:43], v[30:31], v[54:55] neg_lo:[0,0,1] neg_hi:[0,0,1]
	v_pk_fma_f32 v[30:31], v[42:43], v[30:31], v[54:55] op_sel_hi:[1,0,1]
	v_pk_mul_f32 v[42:43], v[44:45], v[56:57] op_sel:[1,0] op_sel_hi:[0,0]
	v_mov_b32_e32 v59, v21
	v_pk_fma_f32 v[20:21], v[36:37], v[24:25], v[22:23] neg_lo:[0,0,1] neg_hi:[0,0,1]
	v_pk_fma_f32 v[22:23], v[36:37], v[24:25], v[22:23] op_sel_hi:[1,0,1]
	v_mov_b32_e32 v35, v27
	v_pk_fma_f32 v[24:25], v[40:41], v[28:29], v[38:39] neg_lo:[0,0,1] neg_hi:[0,0,1]
	v_pk_fma_f32 v[26:27], v[40:41], v[28:29], v[38:39] op_sel_hi:[1,0,1]
	;; [unrolled: 3-line block ×3, first 2 shown]
	v_pk_add_f32 v[32:33], v[58:59], 0 op_sel_hi:[1,0]
	v_mov_b32_e32 v21, v23
	v_pk_add_f32 v[20:21], v[32:33], v[20:21]
	v_mov_b32_e32 v25, v27
	v_pk_add_f32 v[20:21], v[20:21], v[34:35]
	;; [unrolled: 2-line block ×3, first 2 shown]
	s_nop 0
	v_pk_add_f32 v[20:21], v[20:21], v[48:49]
	s_nop 0
	v_pk_add_f32 v[20:21], v[20:21], v[28:29]
	s_waitcnt vmcnt(0)
	v_pk_add_f32 v[20:21], v[46:47], v[20:21] neg_lo:[0,1] neg_hi:[0,1]
	scratch_store_dwordx2 off, v[20:21], off offset:16
	s_and_saveexec_b64 s[0:1], vcc
	s_cbranch_execz .LBB72_65
; %bb.64:
	scratch_load_dwordx2 v[20:21], off, off offset:8
	v_mov_b32_e32 v22, 0
	v_mov_b32_e32 v23, v22
	scratch_store_dwordx2 off, v[22:23], off offset:8
	s_waitcnt vmcnt(1)
	ds_write_b64 v1, v[20:21]
.LBB72_65:
	s_or_b64 exec, exec, s[0:1]
	s_waitcnt lgkmcnt(0)
	; wave barrier
	scratch_load_dwordx4 v[22:25], off, off offset:16
	scratch_load_dwordx4 v[26:29], off, off offset:32
	;; [unrolled: 1-line block ×3, first 2 shown]
	scratch_load_dwordx2 v[46:47], off, off offset:64
	scratch_load_dwordx2 v[48:49], off, off offset:8
	v_mov_b32_e32 v20, 0
	ds_read_b128 v[34:37], v20 offset:96
	ds_read_b128 v[38:41], v20 offset:112
	;; [unrolled: 1-line block ×3, first 2 shown]
	ds_read_b64 v[50:51], v20 offset:144
	v_cmp_ne_u32_e32 vcc, 0, v0
	s_waitcnt vmcnt(4) lgkmcnt(3)
	v_pk_mul_f32 v[52:53], v[34:35], v[22:23] op_sel:[1,1] op_sel_hi:[0,1]
	v_mov_b32_e32 v54, v25
	v_pk_fma_f32 v[66:67], v[34:35], v[22:23], v[52:53] neg_lo:[0,0,1] neg_hi:[0,0,1]
	v_pk_fma_f32 v[22:23], v[34:35], v[22:23], v[52:53] op_sel_hi:[1,0,1]
	v_pk_mul_f32 v[34:35], v[36:37], v[54:55] op_sel:[1,0] op_sel_hi:[0,0]
	s_waitcnt vmcnt(3) lgkmcnt(2)
	v_pk_mul_f32 v[56:57], v[38:39], v[26:27] op_sel:[1,1] op_sel_hi:[0,1]
	v_mov_b32_e32 v58, v29
	v_mov_b32_e32 v67, v23
	v_pk_fma_f32 v[22:23], v[36:37], v[24:25], v[34:35] neg_lo:[0,0,1] neg_hi:[0,0,1]
	v_pk_fma_f32 v[24:25], v[36:37], v[24:25], v[34:35] op_sel_hi:[1,0,1]
	v_pk_fma_f32 v[52:53], v[38:39], v[26:27], v[56:57] neg_lo:[0,0,1] neg_hi:[0,0,1]
	v_pk_fma_f32 v[26:27], v[38:39], v[26:27], v[56:57] op_sel_hi:[1,0,1]
	v_pk_mul_f32 v[38:39], v[40:41], v[58:59] op_sel:[1,0] op_sel_hi:[0,0]
	v_pk_add_f32 v[34:35], v[66:67], 0 op_sel_hi:[1,0]
	v_mov_b32_e32 v23, v25
	s_waitcnt vmcnt(2) lgkmcnt(1)
	v_pk_mul_f32 v[60:61], v[42:43], v[30:31] op_sel:[1,1] op_sel_hi:[0,1]
	v_mov_b32_e32 v62, v33
	v_mov_b32_e32 v53, v27
	v_pk_fma_f32 v[26:27], v[40:41], v[28:29], v[38:39] neg_lo:[0,0,1] neg_hi:[0,0,1]
	v_pk_fma_f32 v[28:29], v[40:41], v[28:29], v[38:39] op_sel_hi:[1,0,1]
	v_pk_add_f32 v[22:23], v[34:35], v[22:23]
	v_pk_fma_f32 v[54:55], v[42:43], v[30:31], v[60:61] neg_lo:[0,0,1] neg_hi:[0,0,1]
	v_pk_fma_f32 v[30:31], v[42:43], v[30:31], v[60:61] op_sel_hi:[1,0,1]
	v_pk_mul_f32 v[42:43], v[44:45], v[62:63] op_sel:[1,0] op_sel_hi:[0,0]
	v_mov_b32_e32 v27, v29
	v_pk_add_f32 v[22:23], v[22:23], v[52:53]
	s_waitcnt vmcnt(1) lgkmcnt(0)
	v_pk_mul_f32 v[64:65], v[50:51], v[46:47] op_sel:[1,1] op_sel_hi:[0,1]
	v_mov_b32_e32 v55, v31
	v_pk_fma_f32 v[30:31], v[44:45], v[32:33], v[42:43] neg_lo:[0,0,1] neg_hi:[0,0,1]
	v_pk_fma_f32 v[32:33], v[44:45], v[32:33], v[42:43] op_sel_hi:[1,0,1]
	v_pk_add_f32 v[22:23], v[22:23], v[26:27]
	v_pk_fma_f32 v[56:57], v[50:51], v[46:47], v[64:65] neg_lo:[0,0,1] neg_hi:[0,0,1]
	v_pk_fma_f32 v[46:47], v[50:51], v[46:47], v[64:65] op_sel_hi:[1,0,1]
	v_mov_b32_e32 v31, v33
	v_pk_add_f32 v[22:23], v[22:23], v[54:55]
	v_mov_b32_e32 v57, v47
	v_pk_add_f32 v[22:23], v[22:23], v[30:31]
	s_nop 0
	v_pk_add_f32 v[22:23], v[22:23], v[56:57]
	s_waitcnt vmcnt(0)
	v_pk_add_f32 v[22:23], v[48:49], v[22:23] neg_lo:[0,1] neg_hi:[0,1]
	scratch_store_dwordx2 off, v[22:23], off offset:8
	s_and_saveexec_b64 s[0:1], vcc
	s_cbranch_execz .LBB72_67
; %bb.66:
	scratch_load_dwordx2 v[22:23], off, off
	v_mov_b32_e32 v21, v20
	scratch_store_dwordx2 off, v[20:21], off
	s_waitcnt vmcnt(1)
	ds_write_b64 v1, v[22:23]
.LBB72_67:
	s_or_b64 exec, exec, s[0:1]
	s_waitcnt lgkmcnt(0)
	; wave barrier
	scratch_load_dwordx4 v[22:25], off, off offset:8
	scratch_load_dwordx4 v[26:29], off, off offset:24
	;; [unrolled: 1-line block ×4, first 2 shown]
	scratch_load_dwordx2 v[0:1], off, off
	ds_read2_b64 v[38:41], v20 offset0:11 offset1:12
	ds_read2_b64 v[42:45], v20 offset0:13 offset1:14
	;; [unrolled: 1-line block ×4, first 2 shown]
	s_and_b64 vcc, exec, s[10:11]
	s_waitcnt vmcnt(4) lgkmcnt(3)
	v_pk_mul_f32 v[20:21], v[38:39], v[22:23] op_sel:[1,1] op_sel_hi:[0,1]
	v_mov_b32_e32 v54, v25
	s_waitcnt vmcnt(3) lgkmcnt(2)
	v_pk_mul_f32 v[56:57], v[42:43], v[26:27] op_sel:[1,1] op_sel_hi:[0,1]
	v_mov_b32_e32 v58, v29
	;; [unrolled: 3-line block ×4, first 2 shown]
	v_pk_fma_f32 v[68:69], v[38:39], v[22:23], v[20:21] neg_lo:[0,0,1] neg_hi:[0,0,1]
	v_pk_fma_f32 v[20:21], v[38:39], v[22:23], v[20:21] op_sel_hi:[1,0,1]
	v_pk_mul_f32 v[22:23], v[40:41], v[54:55] op_sel:[1,0] op_sel_hi:[0,0]
	v_pk_fma_f32 v[38:39], v[42:43], v[26:27], v[56:57] neg_lo:[0,0,1] neg_hi:[0,0,1]
	v_pk_fma_f32 v[26:27], v[42:43], v[26:27], v[56:57] op_sel_hi:[1,0,1]
	v_pk_mul_f32 v[42:43], v[44:45], v[58:59] op_sel:[1,0] op_sel_hi:[0,0]
	;; [unrolled: 3-line block ×4, first 2 shown]
	v_mov_b32_e32 v69, v21
	v_pk_fma_f32 v[20:21], v[40:41], v[24:25], v[22:23] neg_lo:[0,0,1] neg_hi:[0,0,1]
	v_pk_fma_f32 v[22:23], v[40:41], v[24:25], v[22:23] op_sel_hi:[1,0,1]
	v_mov_b32_e32 v39, v27
	v_pk_fma_f32 v[24:25], v[44:45], v[28:29], v[42:43] neg_lo:[0,0,1] neg_hi:[0,0,1]
	v_pk_fma_f32 v[26:27], v[44:45], v[28:29], v[42:43] op_sel_hi:[1,0,1]
	;; [unrolled: 3-line block ×4, first 2 shown]
	v_pk_add_f32 v[36:37], v[68:69], 0 op_sel_hi:[1,0]
	v_mov_b32_e32 v21, v23
	v_pk_add_f32 v[20:21], v[36:37], v[20:21]
	v_mov_b32_e32 v25, v27
	v_pk_add_f32 v[20:21], v[20:21], v[38:39]
	;; [unrolled: 2-line block ×4, first 2 shown]
	s_nop 0
	v_pk_add_f32 v[20:21], v[20:21], v[28:29]
	s_nop 0
	v_pk_add_f32 v[20:21], v[20:21], v[56:57]
	;; [unrolled: 2-line block ×3, first 2 shown]
	s_waitcnt vmcnt(0)
	v_pk_add_f32 v[0:1], v[0:1], v[20:21] neg_lo:[0,1] neg_hi:[0,1]
	scratch_store_dwordx2 off, v[0:1], off
	s_cbranch_vccz .LBB72_84
; %bb.68:
	v_mov_b32_e32 v0, 0
	global_load_dword v1, v0, s[8:9] offset:28
	s_waitcnt vmcnt(0)
	v_readfirstlane_b32 s0, v1
	s_add_i32 s0, s0, -1
	s_cmp_lg_u32 s0, 7
	s_cbranch_scc0 .LBB72_70
; %bb.69:
	s_lshl_b32 s0, s0, 3
	s_nop 0
	scratch_load_dwordx2 v[20:21], off, s0
	scratch_load_dwordx2 v[22:23], off, off offset:56
	s_waitcnt vmcnt(1)
	scratch_store_dwordx2 off, v[20:21], off offset:56
	s_waitcnt vmcnt(1)
	scratch_store_dwordx2 off, v[22:23], s0
.LBB72_70:
	global_load_dword v0, v0, s[8:9] offset:24
	s_waitcnt vmcnt(0)
	v_readfirstlane_b32 s0, v0
	s_add_i32 s0, s0, -1
	s_cmp_eq_u32 s0, 6
	s_cbranch_scc1 .LBB72_72
; %bb.71:
	s_lshl_b32 s0, s0, 3
	s_nop 0
	scratch_load_dwordx2 v[0:1], off, s0
	scratch_load_dwordx2 v[20:21], off, off offset:48
	s_waitcnt vmcnt(1)
	scratch_store_dwordx2 off, v[0:1], off offset:48
	s_waitcnt vmcnt(1)
	scratch_store_dwordx2 off, v[20:21], s0
.LBB72_72:
	v_mov_b32_e32 v0, 0
	global_load_dword v1, v0, s[8:9] offset:20
	s_waitcnt vmcnt(0)
	v_readfirstlane_b32 s0, v1
	s_add_i32 s0, s0, -1
	s_cmp_eq_u32 s0, 5
	s_cbranch_scc1 .LBB72_74
; %bb.73:
	s_lshl_b32 s0, s0, 3
	s_nop 0
	scratch_load_dwordx2 v[20:21], off, s0
	scratch_load_dwordx2 v[22:23], off, off offset:40
	s_waitcnt vmcnt(1)
	scratch_store_dwordx2 off, v[20:21], off offset:40
	s_waitcnt vmcnt(1)
	scratch_store_dwordx2 off, v[22:23], s0
.LBB72_74:
	global_load_dword v0, v0, s[8:9] offset:16
	s_waitcnt vmcnt(0)
	v_readfirstlane_b32 s0, v0
	s_add_i32 s0, s0, -1
	s_cmp_eq_u32 s0, 4
	s_cbranch_scc1 .LBB72_76
; %bb.75:
	s_lshl_b32 s0, s0, 3
	s_nop 0
	scratch_load_dwordx2 v[0:1], off, s0
	scratch_load_dwordx2 v[20:21], off, off offset:32
	s_waitcnt vmcnt(1)
	scratch_store_dwordx2 off, v[0:1], off offset:32
	s_waitcnt vmcnt(1)
	scratch_store_dwordx2 off, v[20:21], s0
.LBB72_76:
	v_mov_b32_e32 v0, 0
	global_load_dword v1, v0, s[8:9] offset:12
	s_waitcnt vmcnt(0)
	v_readfirstlane_b32 s0, v1
	s_add_i32 s0, s0, -1
	s_cmp_eq_u32 s0, 3
	s_cbranch_scc1 .LBB72_78
; %bb.77:
	s_lshl_b32 s0, s0, 3
	s_nop 0
	scratch_load_dwordx2 v[20:21], off, s0
	scratch_load_dwordx2 v[22:23], off, off offset:24
	s_waitcnt vmcnt(1)
	scratch_store_dwordx2 off, v[20:21], off offset:24
	s_waitcnt vmcnt(1)
	scratch_store_dwordx2 off, v[22:23], s0
.LBB72_78:
	;; [unrolled: 33-line block ×3, first 2 shown]
	global_load_dword v20, v0, s[8:9]
	s_nop 0
	scratch_load_dwordx2 v[0:1], off, off
	s_waitcnt vmcnt(1)
	v_readfirstlane_b32 s0, v20
	s_add_i32 s0, s0, -1
	s_cmp_eq_u32 s0, 0
	s_cbranch_scc1 .LBB72_84
; %bb.83:
	s_lshl_b32 s0, s0, 3
	s_nop 0
	scratch_load_dwordx2 v[20:21], off, s0
	s_waitcnt vmcnt(0)
	scratch_store_dwordx2 off, v[20:21], off
	scratch_store_dwordx2 off, v[0:1], s0
	scratch_load_dwordx2 v[0:1], off, off
.LBB72_84:
	s_waitcnt vmcnt(0)
	flat_store_dwordx2 v[2:3], v[0:1]
	scratch_load_dwordx2 v[0:1], off, off offset:8
	s_waitcnt vmcnt(0)
	flat_store_dwordx2 v[4:5], v[0:1]
	scratch_load_dwordx2 v[0:1], off, off offset:16
	;; [unrolled: 3-line block ×8, first 2 shown]
	s_waitcnt vmcnt(0)
	flat_store_dwordx2 v[18:19], v[0:1]
	s_endpgm
	.section	.rodata,"a",@progbits
	.p2align	6, 0x0
	.amdhsa_kernel _ZN9rocsolver6v33100L18getri_kernel_smallILi9E19rocblas_complex_numIfEPKPS3_EEvT1_iilPiilS8_bb
		.amdhsa_group_segment_fixed_size 152
		.amdhsa_private_segment_fixed_size 80
		.amdhsa_kernarg_size 60
		.amdhsa_user_sgpr_count 2
		.amdhsa_user_sgpr_dispatch_ptr 0
		.amdhsa_user_sgpr_queue_ptr 0
		.amdhsa_user_sgpr_kernarg_segment_ptr 1
		.amdhsa_user_sgpr_dispatch_id 0
		.amdhsa_user_sgpr_kernarg_preload_length 0
		.amdhsa_user_sgpr_kernarg_preload_offset 0
		.amdhsa_user_sgpr_private_segment_size 0
		.amdhsa_uses_dynamic_stack 0
		.amdhsa_enable_private_segment 1
		.amdhsa_system_sgpr_workgroup_id_x 1
		.amdhsa_system_sgpr_workgroup_id_y 0
		.amdhsa_system_sgpr_workgroup_id_z 0
		.amdhsa_system_sgpr_workgroup_info 0
		.amdhsa_system_vgpr_workitem_id 0
		.amdhsa_next_free_vgpr 70
		.amdhsa_next_free_sgpr 17
		.amdhsa_accum_offset 72
		.amdhsa_reserve_vcc 1
		.amdhsa_float_round_mode_32 0
		.amdhsa_float_round_mode_16_64 0
		.amdhsa_float_denorm_mode_32 3
		.amdhsa_float_denorm_mode_16_64 3
		.amdhsa_dx10_clamp 1
		.amdhsa_ieee_mode 1
		.amdhsa_fp16_overflow 0
		.amdhsa_tg_split 0
		.amdhsa_exception_fp_ieee_invalid_op 0
		.amdhsa_exception_fp_denorm_src 0
		.amdhsa_exception_fp_ieee_div_zero 0
		.amdhsa_exception_fp_ieee_overflow 0
		.amdhsa_exception_fp_ieee_underflow 0
		.amdhsa_exception_fp_ieee_inexact 0
		.amdhsa_exception_int_div_zero 0
	.end_amdhsa_kernel
	.section	.text._ZN9rocsolver6v33100L18getri_kernel_smallILi9E19rocblas_complex_numIfEPKPS3_EEvT1_iilPiilS8_bb,"axG",@progbits,_ZN9rocsolver6v33100L18getri_kernel_smallILi9E19rocblas_complex_numIfEPKPS3_EEvT1_iilPiilS8_bb,comdat
.Lfunc_end72:
	.size	_ZN9rocsolver6v33100L18getri_kernel_smallILi9E19rocblas_complex_numIfEPKPS3_EEvT1_iilPiilS8_bb, .Lfunc_end72-_ZN9rocsolver6v33100L18getri_kernel_smallILi9E19rocblas_complex_numIfEPKPS3_EEvT1_iilPiilS8_bb
                                        ; -- End function
	.set _ZN9rocsolver6v33100L18getri_kernel_smallILi9E19rocblas_complex_numIfEPKPS3_EEvT1_iilPiilS8_bb.num_vgpr, 70
	.set _ZN9rocsolver6v33100L18getri_kernel_smallILi9E19rocblas_complex_numIfEPKPS3_EEvT1_iilPiilS8_bb.num_agpr, 0
	.set _ZN9rocsolver6v33100L18getri_kernel_smallILi9E19rocblas_complex_numIfEPKPS3_EEvT1_iilPiilS8_bb.numbered_sgpr, 17
	.set _ZN9rocsolver6v33100L18getri_kernel_smallILi9E19rocblas_complex_numIfEPKPS3_EEvT1_iilPiilS8_bb.num_named_barrier, 0
	.set _ZN9rocsolver6v33100L18getri_kernel_smallILi9E19rocblas_complex_numIfEPKPS3_EEvT1_iilPiilS8_bb.private_seg_size, 80
	.set _ZN9rocsolver6v33100L18getri_kernel_smallILi9E19rocblas_complex_numIfEPKPS3_EEvT1_iilPiilS8_bb.uses_vcc, 1
	.set _ZN9rocsolver6v33100L18getri_kernel_smallILi9E19rocblas_complex_numIfEPKPS3_EEvT1_iilPiilS8_bb.uses_flat_scratch, 0
	.set _ZN9rocsolver6v33100L18getri_kernel_smallILi9E19rocblas_complex_numIfEPKPS3_EEvT1_iilPiilS8_bb.has_dyn_sized_stack, 0
	.set _ZN9rocsolver6v33100L18getri_kernel_smallILi9E19rocblas_complex_numIfEPKPS3_EEvT1_iilPiilS8_bb.has_recursion, 0
	.set _ZN9rocsolver6v33100L18getri_kernel_smallILi9E19rocblas_complex_numIfEPKPS3_EEvT1_iilPiilS8_bb.has_indirect_call, 0
	.section	.AMDGPU.csdata,"",@progbits
; Kernel info:
; codeLenInByte = 6216
; TotalNumSgprs: 23
; NumVgprs: 70
; NumAgprs: 0
; TotalNumVgprs: 70
; ScratchSize: 80
; MemoryBound: 0
; FloatMode: 240
; IeeeMode: 1
; LDSByteSize: 152 bytes/workgroup (compile time only)
; SGPRBlocks: 2
; VGPRBlocks: 8
; NumSGPRsForWavesPerEU: 23
; NumVGPRsForWavesPerEU: 70
; AccumOffset: 72
; Occupancy: 7
; WaveLimiterHint : 1
; COMPUTE_PGM_RSRC2:SCRATCH_EN: 1
; COMPUTE_PGM_RSRC2:USER_SGPR: 2
; COMPUTE_PGM_RSRC2:TRAP_HANDLER: 0
; COMPUTE_PGM_RSRC2:TGID_X_EN: 1
; COMPUTE_PGM_RSRC2:TGID_Y_EN: 0
; COMPUTE_PGM_RSRC2:TGID_Z_EN: 0
; COMPUTE_PGM_RSRC2:TIDIG_COMP_CNT: 0
; COMPUTE_PGM_RSRC3_GFX90A:ACCUM_OFFSET: 17
; COMPUTE_PGM_RSRC3_GFX90A:TG_SPLIT: 0
	.section	.text._ZN9rocsolver6v33100L18getri_kernel_smallILi10E19rocblas_complex_numIfEPKPS3_EEvT1_iilPiilS8_bb,"axG",@progbits,_ZN9rocsolver6v33100L18getri_kernel_smallILi10E19rocblas_complex_numIfEPKPS3_EEvT1_iilPiilS8_bb,comdat
	.globl	_ZN9rocsolver6v33100L18getri_kernel_smallILi10E19rocblas_complex_numIfEPKPS3_EEvT1_iilPiilS8_bb ; -- Begin function _ZN9rocsolver6v33100L18getri_kernel_smallILi10E19rocblas_complex_numIfEPKPS3_EEvT1_iilPiilS8_bb
	.p2align	8
	.type	_ZN9rocsolver6v33100L18getri_kernel_smallILi10E19rocblas_complex_numIfEPKPS3_EEvT1_iilPiilS8_bb,@function
_ZN9rocsolver6v33100L18getri_kernel_smallILi10E19rocblas_complex_numIfEPKPS3_EEvT1_iilPiilS8_bb: ; @_ZN9rocsolver6v33100L18getri_kernel_smallILi10E19rocblas_complex_numIfEPKPS3_EEvT1_iilPiilS8_bb
; %bb.0:
	v_cmp_gt_u32_e32 vcc, 10, v0
	s_and_saveexec_b64 s[4:5], vcc
	s_cbranch_execz .LBB73_54
; %bb.1:
	s_load_dword s14, s[0:1], 0x38
	s_load_dwordx2 s[8:9], s[0:1], 0x0
	s_load_dwordx4 s[4:7], s[0:1], 0x28
	s_waitcnt lgkmcnt(0)
	s_bitcmp1_b32 s14, 8
	s_cselect_b64 s[10:11], -1, 0
	s_ashr_i32 s3, s2, 31
	s_lshl_b64 s[12:13], s[2:3], 3
	s_add_u32 s8, s8, s12
	s_addc_u32 s9, s9, s13
	s_load_dwordx2 s[12:13], s[8:9], 0x0
	s_bfe_u32 s8, s14, 0x10008
	s_cmp_eq_u32 s8, 0
                                        ; implicit-def: $sgpr8_sgpr9
	s_cbranch_scc1 .LBB73_3
; %bb.2:
	s_load_dword s8, s[0:1], 0x20
	s_load_dwordx2 s[14:15], s[0:1], 0x18
	s_mul_i32 s9, s4, s3
	s_mul_hi_u32 s16, s4, s2
	s_add_i32 s16, s16, s9
	s_mul_i32 s5, s5, s2
	s_add_i32 s5, s16, s5
	s_mul_i32 s4, s4, s2
	s_waitcnt lgkmcnt(0)
	s_ashr_i32 s9, s8, 31
	s_lshl_b64 s[4:5], s[4:5], 2
	s_add_u32 s14, s14, s4
	s_addc_u32 s15, s15, s5
	s_lshl_b64 s[4:5], s[8:9], 2
	s_add_u32 s8, s14, s4
	s_addc_u32 s9, s15, s5
.LBB73_3:
	s_load_dwordx2 s[4:5], s[0:1], 0x8
	s_load_dword s14, s[0:1], 0x38
	v_lshlrev_b32_e32 v22, 3, v0
	v_mov_b32_e32 v23, 0
	s_waitcnt lgkmcnt(0)
	s_ashr_i32 s1, s4, 31
	s_mov_b32 s0, s4
	s_lshl_b64 s[0:1], s[0:1], 3
	s_add_u32 s0, s12, s0
	s_addc_u32 s1, s13, s1
	v_lshl_add_u64 v[2:3], s[0:1], 0, v[22:23]
	flat_load_dwordx2 v[6:7], v[2:3]
	s_mov_b32 s12, s5
	s_ashr_i32 s13, s5, 31
	v_lshl_add_u64 v[4:5], s[12:13], 3, v[2:3]
	s_add_i32 s4, s5, s5
	v_add_u32_e32 v10, s4, v0
	v_ashrrev_i32_e32 v11, 31, v10
	s_bitcmp0_b32 s14, 0
	s_waitcnt vmcnt(0) lgkmcnt(0)
	scratch_store_dwordx2 off, v[6:7], off
	flat_load_dwordx2 v[8:9], v[4:5]
	v_lshl_add_u64 v[6:7], v[10:11], 3, s[0:1]
	v_add_u32_e32 v10, s5, v10
	v_ashrrev_i32_e32 v11, 31, v10
	v_add_u32_e32 v14, s5, v10
	v_ashrrev_i32_e32 v15, 31, v14
	s_waitcnt vmcnt(0) lgkmcnt(0)
	scratch_store_dwordx2 off, v[8:9], off offset:8
	flat_load_dwordx2 v[12:13], v[6:7]
	v_lshl_add_u64 v[8:9], v[10:11], 3, s[0:1]
	v_lshl_add_u64 v[10:11], v[14:15], 3, s[0:1]
	v_add_u32_e32 v14, s5, v14
	v_ashrrev_i32_e32 v15, 31, v14
	v_add_u32_e32 v18, s5, v14
	v_ashrrev_i32_e32 v19, 31, v18
	s_waitcnt vmcnt(0) lgkmcnt(0)
	scratch_store_dwordx2 off, v[12:13], off offset:16
	flat_load_dwordx2 v[12:13], v[8:9]
	s_waitcnt vmcnt(0) lgkmcnt(0)
	scratch_store_dwordx2 off, v[12:13], off offset:24
	flat_load_dwordx2 v[16:17], v[10:11]
	v_lshl_add_u64 v[12:13], v[14:15], 3, s[0:1]
	v_lshl_add_u64 v[14:15], v[18:19], 3, s[0:1]
	v_add_u32_e32 v18, s5, v18
	v_ashrrev_i32_e32 v19, 31, v18
	v_add_u32_e32 v24, s5, v18
	v_ashrrev_i32_e32 v25, 31, v24
	s_waitcnt vmcnt(0) lgkmcnt(0)
	scratch_store_dwordx2 off, v[16:17], off offset:32
	flat_load_dwordx2 v[16:17], v[12:13]
	s_waitcnt vmcnt(0) lgkmcnt(0)
	scratch_store_dwordx2 off, v[16:17], off offset:40
	flat_load_dwordx2 v[20:21], v[14:15]
	v_lshl_add_u64 v[16:17], v[18:19], 3, s[0:1]
	v_lshl_add_u64 v[18:19], v[24:25], 3, s[0:1]
	s_waitcnt vmcnt(0) lgkmcnt(0)
	scratch_store_dwordx2 off, v[20:21], off offset:48
	flat_load_dwordx2 v[20:21], v[16:17]
	s_waitcnt vmcnt(0) lgkmcnt(0)
	scratch_store_dwordx2 off, v[20:21], off offset:56
	flat_load_dwordx2 v[26:27], v[18:19]
	v_add_u32_e32 v20, s5, v24
	v_ashrrev_i32_e32 v21, 31, v20
	v_lshl_add_u64 v[20:21], v[20:21], 3, s[0:1]
	s_mov_b64 s[4:5], -1
	s_waitcnt vmcnt(0) lgkmcnt(0)
	scratch_store_dwordx2 off, v[26:27], off offset:64
	flat_load_dwordx2 v[24:25], v[20:21]
	s_waitcnt vmcnt(0) lgkmcnt(0)
	scratch_store_dwordx2 off, v[24:25], off offset:72
	s_cbranch_scc1 .LBB73_52
; %bb.4:
	v_cmp_eq_u32_e64 s[0:1], 0, v0
	s_and_saveexec_b64 s[4:5], s[0:1]
; %bb.5:
	v_mov_b32_e32 v1, 0
	ds_write_b32 v1, v1 offset:160
; %bb.6:
	s_or_b64 exec, exec, s[4:5]
	s_waitcnt lgkmcnt(0)
	; wave barrier
	scratch_load_dwordx2 v[24:25], v22, off
	s_waitcnt vmcnt(0)
	v_cmp_eq_f32_e32 vcc, 0, v24
	v_cmp_eq_f32_e64 s[4:5], 0, v25
	s_and_b64 s[4:5], vcc, s[4:5]
	s_and_saveexec_b64 s[12:13], s[4:5]
	s_cbranch_execz .LBB73_10
; %bb.7:
	v_mov_b32_e32 v1, 0
	ds_read_b32 v24, v1 offset:160
	v_add_u32_e32 v23, 1, v0
	s_waitcnt lgkmcnt(0)
	v_readfirstlane_b32 s4, v24
	s_cmp_eq_u32 s4, 0
	s_cselect_b64 s[14:15], -1, 0
	v_cmp_gt_i32_e32 vcc, s4, v23
	s_or_b64 s[14:15], s[14:15], vcc
	s_and_b64 exec, exec, s[14:15]
	s_cbranch_execz .LBB73_10
; %bb.8:
	s_mov_b64 s[14:15], 0
	v_mov_b32_e32 v24, s4
.LBB73_9:                               ; =>This Inner Loop Header: Depth=1
	ds_cmpst_rtn_b32 v24, v1, v24, v23 offset:160
	s_waitcnt lgkmcnt(0)
	v_cmp_ne_u32_e32 vcc, 0, v24
	v_cmp_le_i32_e64 s[4:5], v24, v23
	s_and_b64 s[4:5], vcc, s[4:5]
	s_and_b64 s[4:5], exec, s[4:5]
	s_or_b64 s[14:15], s[4:5], s[14:15]
	s_andn2_b64 exec, exec, s[14:15]
	s_cbranch_execnz .LBB73_9
.LBB73_10:
	s_or_b64 exec, exec, s[12:13]
	v_mov_b32_e32 v23, 0
	; wave barrier
	ds_read_b32 v1, v23 offset:160
	s_and_saveexec_b64 s[4:5], s[0:1]
	s_cbranch_execz .LBB73_12
; %bb.11:
	s_lshl_b64 s[12:13], s[2:3], 2
	s_add_u32 s12, s6, s12
	s_addc_u32 s13, s7, s13
	s_waitcnt lgkmcnt(0)
	global_store_dword v23, v1, s[12:13]
.LBB73_12:
	s_or_b64 exec, exec, s[4:5]
	s_waitcnt lgkmcnt(0)
	v_cmp_ne_u32_e32 vcc, 0, v1
	s_mov_b64 s[4:5], 0
	s_cbranch_vccnz .LBB73_52
; %bb.13:
	v_mov_b32_e32 v23, v22
	scratch_load_dwordx2 v[24:25], v23, off
                                        ; implicit-def: $vgpr27
                                        ; implicit-def: $vgpr28
	s_waitcnt vmcnt(0)
	v_cmp_ngt_f32_e64 s[4:5], |v24|, |v25|
	s_and_saveexec_b64 s[12:13], s[4:5]
	s_xor_b64 s[4:5], exec, s[12:13]
	s_cbranch_execz .LBB73_15
; %bb.14:
	v_div_scale_f32 v1, s[12:13], v25, v25, v24
	v_rcp_f32_e32 v26, v1
	v_div_scale_f32 v27, vcc, v24, v25, v24
	v_fma_f32 v28, -v1, v26, 1.0
	v_fmac_f32_e32 v26, v28, v26
	v_mul_f32_e32 v28, v27, v26
	v_fma_f32 v29, -v1, v28, v27
	v_fmac_f32_e32 v28, v29, v26
	v_fma_f32 v1, -v1, v28, v27
	v_div_fmas_f32 v1, v1, v26, v28
	v_div_fixup_f32 v1, v1, v25, v24
	v_fmac_f32_e32 v25, v24, v1
	v_div_scale_f32 v24, s[12:13], v25, v25, -1.0
	v_rcp_f32_e32 v26, v24
	s_nop 0
	v_fma_f32 v27, -v24, v26, 1.0
	v_fmac_f32_e32 v26, v27, v26
	v_div_scale_f32 v27, vcc, -1.0, v25, -1.0
	v_mul_f32_e32 v28, v27, v26
	v_fma_f32 v29, -v24, v28, v27
	v_fmac_f32_e32 v28, v29, v26
	v_fma_f32 v24, -v24, v28, v27
	v_div_fmas_f32 v24, v24, v26, v28
	v_div_fixup_f32 v27, v24, v25, -1.0
	v_mul_f32_e32 v28, v1, v27
	v_xor_b32_e32 v26, 0x80000000, v28
                                        ; implicit-def: $vgpr24_vgpr25
.LBB73_15:
	s_andn2_saveexec_b64 s[4:5], s[4:5]
	s_cbranch_execz .LBB73_17
; %bb.16:
	v_div_scale_f32 v1, s[12:13], v24, v24, v25
	v_rcp_f32_e32 v26, v1
	v_div_scale_f32 v27, vcc, v25, v24, v25
	v_fma_f32 v28, -v1, v26, 1.0
	v_fmac_f32_e32 v26, v28, v26
	v_mul_f32_e32 v28, v27, v26
	v_fma_f32 v29, -v1, v28, v27
	v_fmac_f32_e32 v28, v29, v26
	v_fma_f32 v1, -v1, v28, v27
	v_div_fmas_f32 v1, v1, v26, v28
	v_div_fixup_f32 v1, v1, v24, v25
	v_fmac_f32_e32 v24, v25, v1
	v_div_scale_f32 v25, s[12:13], v24, v24, 1.0
	v_rcp_f32_e32 v26, v25
	s_nop 0
	v_fma_f32 v27, -v25, v26, 1.0
	v_fmac_f32_e32 v26, v27, v26
	v_div_scale_f32 v27, vcc, 1.0, v24, 1.0
	v_mul_f32_e32 v28, v27, v26
	v_fma_f32 v29, -v25, v28, v27
	v_fmac_f32_e32 v28, v29, v26
	v_fma_f32 v25, -v25, v28, v27
	v_div_fmas_f32 v25, v25, v26, v28
	v_div_fixup_f32 v26, v25, v24, 1.0
	v_xor_b32_e32 v28, 0x80000000, v26
	v_mul_f32_e64 v27, v1, -v26
.LBB73_17:
	s_or_b64 exec, exec, s[4:5]
	scratch_store_dwordx2 v23, v[26:27], off
	scratch_load_dwordx2 v[24:25], off, off offset:8
	v_xor_b32_e32 v29, 0x80000000, v27
	v_add_u32_e32 v1, 0x50, v22
	s_waitcnt vmcnt(0)
	ds_write2_b64 v22, v[28:29], v[24:25] offset1:10
	s_waitcnt lgkmcnt(0)
	; wave barrier
	s_and_saveexec_b64 s[4:5], s[0:1]
	s_cbranch_execz .LBB73_19
; %bb.18:
	scratch_load_dwordx2 v[24:25], v23, off
	ds_read_b64 v[26:27], v1
	v_mov_b32_e32 v28, 0
	ds_read_b64 v[28:29], v28 offset:8
	s_waitcnt vmcnt(0) lgkmcnt(1)
	v_pk_mul_f32 v[30:31], v[26:27], v[24:25] op_sel:[1,1] op_sel_hi:[0,1]
	v_pk_fma_f32 v[32:33], v[26:27], v[24:25], v[30:31] neg_lo:[0,0,1] neg_hi:[0,0,1]
	v_pk_fma_f32 v[24:25], v[26:27], v[24:25], v[30:31] op_sel_hi:[1,0,1]
	s_nop 0
	v_mov_b32_e32 v33, v25
	v_pk_add_f32 v[24:25], v[32:33], 0 op_sel_hi:[1,0]
	s_waitcnt lgkmcnt(0)
	v_pk_mul_f32 v[26:27], v[24:25], v[28:29] op_sel:[1,1] op_sel_hi:[0,1]
	v_pk_fma_f32 v[30:31], v[24:25], v[28:29], v[26:27] neg_lo:[0,0,1] neg_hi:[0,0,1]
	v_pk_fma_f32 v[24:25], v[24:25], v[28:29], v[26:27] op_sel_hi:[1,0,1]
	s_nop 0
	v_mov_b32_e32 v31, v25
	scratch_store_dwordx2 off, v[30:31], off offset:8
.LBB73_19:
	s_or_b64 exec, exec, s[4:5]
	; wave barrier
	scratch_load_dwordx2 v[24:25], off, off offset:16
	v_cmp_gt_u32_e32 vcc, 2, v0
	s_waitcnt vmcnt(0)
	ds_write_b64 v1, v[24:25]
	s_waitcnt lgkmcnt(0)
	; wave barrier
	s_and_saveexec_b64 s[4:5], vcc
	s_cbranch_execz .LBB73_23
; %bb.20:
	scratch_load_dwordx2 v[24:25], v23, off
	ds_read_b64 v[26:27], v1
	s_waitcnt vmcnt(0) lgkmcnt(0)
	v_pk_mul_f32 v[28:29], v[26:27], v[24:25] op_sel:[1,1] op_sel_hi:[0,1]
	v_pk_fma_f32 v[30:31], v[26:27], v[24:25], v[28:29] neg_lo:[0,0,1] neg_hi:[0,0,1]
	v_pk_fma_f32 v[24:25], v[26:27], v[24:25], v[28:29] op_sel_hi:[1,0,1]
	s_nop 0
	v_mov_b32_e32 v31, v25
	v_pk_add_f32 v[24:25], v[30:31], 0 op_sel_hi:[1,0]
	s_and_saveexec_b64 s[12:13], s[0:1]
	s_cbranch_execz .LBB73_22
; %bb.21:
	scratch_load_dwordx2 v[26:27], off, off offset:8
	v_mov_b32_e32 v23, 0
	ds_read_b64 v[28:29], v23 offset:88
	s_waitcnt vmcnt(0) lgkmcnt(0)
	v_pk_mul_f32 v[30:31], v[28:29], v[26:27] op_sel:[1,1] op_sel_hi:[0,1]
	v_pk_fma_f32 v[32:33], v[28:29], v[26:27], v[30:31] neg_lo:[0,0,1] neg_hi:[0,0,1]
	v_pk_fma_f32 v[26:27], v[28:29], v[26:27], v[30:31] op_sel_hi:[1,0,1]
	s_nop 0
	v_mov_b32_e32 v33, v27
	v_pk_add_f32 v[24:25], v[24:25], v[32:33]
.LBB73_22:
	s_or_b64 exec, exec, s[12:13]
	v_mov_b32_e32 v23, 0
	ds_read_b64 v[26:27], v23 offset:16
	s_waitcnt lgkmcnt(0)
	v_pk_mul_f32 v[28:29], v[24:25], v[26:27] op_sel:[1,1] op_sel_hi:[0,1]
	v_pk_fma_f32 v[30:31], v[24:25], v[26:27], v[28:29] neg_lo:[0,0,1] neg_hi:[0,0,1]
	v_pk_fma_f32 v[24:25], v[24:25], v[26:27], v[28:29] op_sel_hi:[1,0,1]
	s_nop 0
	v_mov_b32_e32 v31, v25
	scratch_store_dwordx2 off, v[30:31], off offset:16
.LBB73_23:
	s_or_b64 exec, exec, s[4:5]
	; wave barrier
	scratch_load_dwordx2 v[24:25], off, off offset:24
	v_cmp_gt_u32_e32 vcc, 3, v0
	v_add_u32_e32 v26, -1, v0
	s_waitcnt vmcnt(0)
	ds_write_b64 v1, v[24:25]
	s_waitcnt lgkmcnt(0)
	; wave barrier
	s_and_saveexec_b64 s[0:1], vcc
	s_cbranch_execz .LBB73_27
; %bb.24:
	v_mov_b32_e32 v24, 0
	v_add_u32_e32 v23, -1, v0
	v_add_u32_e32 v27, 0x50, v22
	v_mov_b32_e32 v28, v22
	s_mov_b64 s[4:5], 0
	v_mov_b32_e32 v25, v24
.LBB73_25:                              ; =>This Inner Loop Header: Depth=1
	scratch_load_dwordx2 v[30:31], v28, off
	ds_read_b64 v[32:33], v27
	v_add_u32_e32 v23, 1, v23
	v_cmp_lt_u32_e32 vcc, 1, v23
	v_add_u32_e32 v27, 8, v27
	v_add_u32_e32 v28, 8, v28
	s_or_b64 s[4:5], vcc, s[4:5]
	s_waitcnt vmcnt(0) lgkmcnt(0)
	v_pk_mul_f32 v[34:35], v[32:33], v[30:31] op_sel:[1,1] op_sel_hi:[0,1]
	v_pk_fma_f32 v[36:37], v[32:33], v[30:31], v[34:35] neg_lo:[0,0,1] neg_hi:[0,0,1]
	v_pk_fma_f32 v[30:31], v[32:33], v[30:31], v[34:35] op_sel_hi:[1,0,1]
	s_nop 0
	v_mov_b32_e32 v37, v31
	v_pk_add_f32 v[24:25], v[24:25], v[36:37]
	s_andn2_b64 exec, exec, s[4:5]
	s_cbranch_execnz .LBB73_25
; %bb.26:
	s_or_b64 exec, exec, s[4:5]
	v_mov_b32_e32 v23, 0
	ds_read_b64 v[28:29], v23 offset:24
	s_waitcnt lgkmcnt(0)
	v_pk_mul_f32 v[30:31], v[24:25], v[28:29] op_sel:[1,1] op_sel_hi:[0,1]
	v_pk_fma_f32 v[32:33], v[24:25], v[28:29], v[30:31] neg_lo:[0,0,1] neg_hi:[0,0,1]
	v_pk_fma_f32 v[24:25], v[24:25], v[28:29], v[30:31] op_sel_hi:[1,0,1]
	s_nop 0
	v_mov_b32_e32 v33, v25
	scratch_store_dwordx2 off, v[32:33], off offset:24
.LBB73_27:
	s_or_b64 exec, exec, s[0:1]
	; wave barrier
	scratch_load_dwordx2 v[24:25], off, off offset:32
	v_cmp_gt_u32_e32 vcc, 4, v0
	s_waitcnt vmcnt(0)
	ds_write_b64 v1, v[24:25]
	s_waitcnt lgkmcnt(0)
	; wave barrier
	s_and_saveexec_b64 s[0:1], vcc
	s_cbranch_execz .LBB73_31
; %bb.28:
	v_mov_b32_e32 v24, 0
	v_add_u32_e32 v23, -1, v0
	v_add_u32_e32 v27, 0x50, v22
	v_mov_b32_e32 v28, v22
	s_mov_b64 s[4:5], 0
	v_mov_b32_e32 v25, v24
.LBB73_29:                              ; =>This Inner Loop Header: Depth=1
	scratch_load_dwordx2 v[30:31], v28, off
	ds_read_b64 v[32:33], v27
	v_add_u32_e32 v23, 1, v23
	v_cmp_lt_u32_e32 vcc, 2, v23
	v_add_u32_e32 v27, 8, v27
	v_add_u32_e32 v28, 8, v28
	s_or_b64 s[4:5], vcc, s[4:5]
	s_waitcnt vmcnt(0) lgkmcnt(0)
	v_pk_mul_f32 v[34:35], v[32:33], v[30:31] op_sel:[1,1] op_sel_hi:[0,1]
	v_pk_fma_f32 v[36:37], v[32:33], v[30:31], v[34:35] neg_lo:[0,0,1] neg_hi:[0,0,1]
	v_pk_fma_f32 v[30:31], v[32:33], v[30:31], v[34:35] op_sel_hi:[1,0,1]
	s_nop 0
	v_mov_b32_e32 v37, v31
	v_pk_add_f32 v[24:25], v[24:25], v[36:37]
	s_andn2_b64 exec, exec, s[4:5]
	s_cbranch_execnz .LBB73_29
; %bb.30:
	s_or_b64 exec, exec, s[4:5]
	v_mov_b32_e32 v23, 0
	ds_read_b64 v[28:29], v23 offset:32
	s_waitcnt lgkmcnt(0)
	v_pk_mul_f32 v[30:31], v[24:25], v[28:29] op_sel:[1,1] op_sel_hi:[0,1]
	v_pk_fma_f32 v[32:33], v[24:25], v[28:29], v[30:31] neg_lo:[0,0,1] neg_hi:[0,0,1]
	v_pk_fma_f32 v[24:25], v[24:25], v[28:29], v[30:31] op_sel_hi:[1,0,1]
	s_nop 0
	v_mov_b32_e32 v33, v25
	scratch_store_dwordx2 off, v[32:33], off offset:32
.LBB73_31:
	s_or_b64 exec, exec, s[0:1]
	; wave barrier
	scratch_load_dwordx2 v[24:25], off, off offset:40
	v_cmp_gt_u32_e32 vcc, 5, v0
	s_waitcnt vmcnt(0)
	ds_write_b64 v1, v[24:25]
	s_waitcnt lgkmcnt(0)
	; wave barrier
	s_and_saveexec_b64 s[0:1], vcc
	s_cbranch_execz .LBB73_35
; %bb.32:
	v_mov_b32_e32 v24, 0
	v_add_u32_e32 v23, -1, v0
	v_add_u32_e32 v27, 0x50, v22
	v_mov_b32_e32 v28, v22
	s_mov_b64 s[4:5], 0
	v_mov_b32_e32 v25, v24
.LBB73_33:                              ; =>This Inner Loop Header: Depth=1
	scratch_load_dwordx2 v[30:31], v28, off
	ds_read_b64 v[32:33], v27
	v_add_u32_e32 v23, 1, v23
	v_cmp_lt_u32_e32 vcc, 3, v23
	v_add_u32_e32 v27, 8, v27
	v_add_u32_e32 v28, 8, v28
	s_or_b64 s[4:5], vcc, s[4:5]
	s_waitcnt vmcnt(0) lgkmcnt(0)
	v_pk_mul_f32 v[34:35], v[32:33], v[30:31] op_sel:[1,1] op_sel_hi:[0,1]
	v_pk_fma_f32 v[36:37], v[32:33], v[30:31], v[34:35] neg_lo:[0,0,1] neg_hi:[0,0,1]
	v_pk_fma_f32 v[30:31], v[32:33], v[30:31], v[34:35] op_sel_hi:[1,0,1]
	s_nop 0
	v_mov_b32_e32 v37, v31
	v_pk_add_f32 v[24:25], v[24:25], v[36:37]
	s_andn2_b64 exec, exec, s[4:5]
	s_cbranch_execnz .LBB73_33
; %bb.34:
	s_or_b64 exec, exec, s[4:5]
	v_mov_b32_e32 v23, 0
	ds_read_b64 v[28:29], v23 offset:40
	s_waitcnt lgkmcnt(0)
	v_pk_mul_f32 v[30:31], v[24:25], v[28:29] op_sel:[1,1] op_sel_hi:[0,1]
	v_pk_fma_f32 v[32:33], v[24:25], v[28:29], v[30:31] neg_lo:[0,0,1] neg_hi:[0,0,1]
	v_pk_fma_f32 v[24:25], v[24:25], v[28:29], v[30:31] op_sel_hi:[1,0,1]
	s_nop 0
	v_mov_b32_e32 v33, v25
	scratch_store_dwordx2 off, v[32:33], off offset:40
.LBB73_35:
	s_or_b64 exec, exec, s[0:1]
	; wave barrier
	scratch_load_dwordx2 v[24:25], off, off offset:48
	v_cmp_gt_u32_e32 vcc, 6, v0
	s_waitcnt vmcnt(0)
	ds_write_b64 v1, v[24:25]
	s_waitcnt lgkmcnt(0)
	; wave barrier
	s_and_saveexec_b64 s[0:1], vcc
	s_cbranch_execz .LBB73_39
; %bb.36:
	v_mov_b32_e32 v24, 0
	v_add_u32_e32 v23, -1, v0
	v_add_u32_e32 v27, 0x50, v22
	v_mov_b32_e32 v28, v22
	s_mov_b64 s[4:5], 0
	v_mov_b32_e32 v25, v24
.LBB73_37:                              ; =>This Inner Loop Header: Depth=1
	scratch_load_dwordx2 v[30:31], v28, off
	ds_read_b64 v[32:33], v27
	v_add_u32_e32 v23, 1, v23
	v_cmp_lt_u32_e32 vcc, 4, v23
	v_add_u32_e32 v27, 8, v27
	v_add_u32_e32 v28, 8, v28
	s_or_b64 s[4:5], vcc, s[4:5]
	s_waitcnt vmcnt(0) lgkmcnt(0)
	v_pk_mul_f32 v[34:35], v[32:33], v[30:31] op_sel:[1,1] op_sel_hi:[0,1]
	v_pk_fma_f32 v[36:37], v[32:33], v[30:31], v[34:35] neg_lo:[0,0,1] neg_hi:[0,0,1]
	v_pk_fma_f32 v[30:31], v[32:33], v[30:31], v[34:35] op_sel_hi:[1,0,1]
	s_nop 0
	v_mov_b32_e32 v37, v31
	v_pk_add_f32 v[24:25], v[24:25], v[36:37]
	s_andn2_b64 exec, exec, s[4:5]
	s_cbranch_execnz .LBB73_37
; %bb.38:
	s_or_b64 exec, exec, s[4:5]
	v_mov_b32_e32 v23, 0
	ds_read_b64 v[28:29], v23 offset:48
	s_waitcnt lgkmcnt(0)
	v_pk_mul_f32 v[30:31], v[24:25], v[28:29] op_sel:[1,1] op_sel_hi:[0,1]
	v_pk_fma_f32 v[32:33], v[24:25], v[28:29], v[30:31] neg_lo:[0,0,1] neg_hi:[0,0,1]
	v_pk_fma_f32 v[24:25], v[24:25], v[28:29], v[30:31] op_sel_hi:[1,0,1]
	s_nop 0
	v_mov_b32_e32 v33, v25
	scratch_store_dwordx2 off, v[32:33], off offset:48
.LBB73_39:
	s_or_b64 exec, exec, s[0:1]
	; wave barrier
	scratch_load_dwordx2 v[24:25], off, off offset:56
	v_cmp_gt_u32_e32 vcc, 7, v0
	s_waitcnt vmcnt(0)
	ds_write_b64 v1, v[24:25]
	s_waitcnt lgkmcnt(0)
	; wave barrier
	s_and_saveexec_b64 s[0:1], vcc
	s_cbranch_execz .LBB73_43
; %bb.40:
	v_mov_b32_e32 v24, 0
	v_add_u32_e32 v23, -1, v0
	v_add_u32_e32 v27, 0x50, v22
	v_mov_b32_e32 v28, v22
	s_mov_b64 s[4:5], 0
	v_mov_b32_e32 v25, v24
.LBB73_41:                              ; =>This Inner Loop Header: Depth=1
	scratch_load_dwordx2 v[30:31], v28, off
	ds_read_b64 v[32:33], v27
	v_add_u32_e32 v23, 1, v23
	v_cmp_lt_u32_e32 vcc, 5, v23
	v_add_u32_e32 v27, 8, v27
	v_add_u32_e32 v28, 8, v28
	s_or_b64 s[4:5], vcc, s[4:5]
	s_waitcnt vmcnt(0) lgkmcnt(0)
	v_pk_mul_f32 v[34:35], v[32:33], v[30:31] op_sel:[1,1] op_sel_hi:[0,1]
	v_pk_fma_f32 v[36:37], v[32:33], v[30:31], v[34:35] neg_lo:[0,0,1] neg_hi:[0,0,1]
	v_pk_fma_f32 v[30:31], v[32:33], v[30:31], v[34:35] op_sel_hi:[1,0,1]
	s_nop 0
	v_mov_b32_e32 v37, v31
	v_pk_add_f32 v[24:25], v[24:25], v[36:37]
	s_andn2_b64 exec, exec, s[4:5]
	s_cbranch_execnz .LBB73_41
; %bb.42:
	s_or_b64 exec, exec, s[4:5]
	v_mov_b32_e32 v23, 0
	ds_read_b64 v[28:29], v23 offset:56
	s_waitcnt lgkmcnt(0)
	v_pk_mul_f32 v[30:31], v[24:25], v[28:29] op_sel:[1,1] op_sel_hi:[0,1]
	v_pk_fma_f32 v[32:33], v[24:25], v[28:29], v[30:31] neg_lo:[0,0,1] neg_hi:[0,0,1]
	v_pk_fma_f32 v[24:25], v[24:25], v[28:29], v[30:31] op_sel_hi:[1,0,1]
	s_nop 0
	v_mov_b32_e32 v33, v25
	scratch_store_dwordx2 off, v[32:33], off offset:56
.LBB73_43:
	s_or_b64 exec, exec, s[0:1]
	; wave barrier
	scratch_load_dwordx2 v[24:25], off, off offset:64
	v_cmp_gt_u32_e32 vcc, 8, v0
	s_waitcnt vmcnt(0)
	ds_write_b64 v1, v[24:25]
	s_waitcnt lgkmcnt(0)
	; wave barrier
	s_and_saveexec_b64 s[0:1], vcc
	s_cbranch_execz .LBB73_47
; %bb.44:
	v_mov_b32_e32 v24, 0
	v_add_u32_e32 v23, -1, v0
	v_add_u32_e32 v27, 0x50, v22
	v_mov_b32_e32 v28, v22
	s_mov_b64 s[4:5], 0
	v_mov_b32_e32 v25, v24
.LBB73_45:                              ; =>This Inner Loop Header: Depth=1
	scratch_load_dwordx2 v[30:31], v28, off
	ds_read_b64 v[32:33], v27
	v_add_u32_e32 v23, 1, v23
	v_cmp_lt_u32_e32 vcc, 6, v23
	v_add_u32_e32 v27, 8, v27
	v_add_u32_e32 v28, 8, v28
	s_or_b64 s[4:5], vcc, s[4:5]
	s_waitcnt vmcnt(0) lgkmcnt(0)
	v_pk_mul_f32 v[34:35], v[32:33], v[30:31] op_sel:[1,1] op_sel_hi:[0,1]
	v_pk_fma_f32 v[36:37], v[32:33], v[30:31], v[34:35] neg_lo:[0,0,1] neg_hi:[0,0,1]
	v_pk_fma_f32 v[30:31], v[32:33], v[30:31], v[34:35] op_sel_hi:[1,0,1]
	s_nop 0
	v_mov_b32_e32 v37, v31
	v_pk_add_f32 v[24:25], v[24:25], v[36:37]
	s_andn2_b64 exec, exec, s[4:5]
	s_cbranch_execnz .LBB73_45
; %bb.46:
	s_or_b64 exec, exec, s[4:5]
	v_mov_b32_e32 v23, 0
	ds_read_b64 v[28:29], v23 offset:64
	s_waitcnt lgkmcnt(0)
	v_pk_mul_f32 v[30:31], v[24:25], v[28:29] op_sel:[1,1] op_sel_hi:[0,1]
	v_pk_fma_f32 v[32:33], v[24:25], v[28:29], v[30:31] neg_lo:[0,0,1] neg_hi:[0,0,1]
	v_pk_fma_f32 v[24:25], v[24:25], v[28:29], v[30:31] op_sel_hi:[1,0,1]
	s_nop 0
	v_mov_b32_e32 v33, v25
	scratch_store_dwordx2 off, v[32:33], off offset:64
.LBB73_47:
	s_or_b64 exec, exec, s[0:1]
	; wave barrier
	scratch_load_dwordx2 v[24:25], off, off offset:72
	v_cmp_ne_u32_e32 vcc, 9, v0
	s_waitcnt vmcnt(0)
	ds_write_b64 v1, v[24:25]
	s_waitcnt lgkmcnt(0)
	; wave barrier
	s_and_saveexec_b64 s[0:1], vcc
	s_cbranch_execz .LBB73_51
; %bb.48:
	v_add_u32_e32 v1, 0x50, v22
	v_mov_b32_e32 v24, v22
	v_mov_b32_e32 v22, 0
	s_mov_b64 s[4:5], 0
	v_mov_b32_e32 v23, v22
.LBB73_49:                              ; =>This Inner Loop Header: Depth=1
	scratch_load_dwordx2 v[28:29], v24, off
	ds_read_b64 v[30:31], v1
	v_add_u32_e32 v26, 1, v26
	v_cmp_lt_u32_e32 vcc, 7, v26
	v_add_u32_e32 v1, 8, v1
	v_add_u32_e32 v24, 8, v24
	s_or_b64 s[4:5], vcc, s[4:5]
	s_waitcnt vmcnt(0) lgkmcnt(0)
	v_pk_mul_f32 v[32:33], v[30:31], v[28:29] op_sel:[1,1] op_sel_hi:[0,1]
	v_pk_fma_f32 v[34:35], v[30:31], v[28:29], v[32:33] neg_lo:[0,0,1] neg_hi:[0,0,1]
	v_pk_fma_f32 v[28:29], v[30:31], v[28:29], v[32:33] op_sel_hi:[1,0,1]
	s_nop 0
	v_mov_b32_e32 v35, v29
	v_pk_add_f32 v[22:23], v[22:23], v[34:35]
	s_andn2_b64 exec, exec, s[4:5]
	s_cbranch_execnz .LBB73_49
; %bb.50:
	s_or_b64 exec, exec, s[4:5]
	v_mov_b32_e32 v1, 0
	ds_read_b64 v[24:25], v1 offset:72
	s_waitcnt lgkmcnt(0)
	v_pk_mul_f32 v[26:27], v[22:23], v[24:25] op_sel:[1,1] op_sel_hi:[0,1]
	v_pk_fma_f32 v[28:29], v[22:23], v[24:25], v[26:27] neg_lo:[0,0,1] neg_hi:[0,0,1]
	v_pk_fma_f32 v[22:23], v[22:23], v[24:25], v[26:27] op_sel_hi:[1,0,1]
	s_nop 0
	v_mov_b32_e32 v29, v23
	scratch_store_dwordx2 off, v[28:29], off offset:72
.LBB73_51:
	s_or_b64 exec, exec, s[0:1]
	s_mov_b64 s[4:5], -1
	; wave barrier
.LBB73_52:
	s_and_b64 vcc, exec, s[4:5]
	s_cbranch_vccz .LBB73_54
; %bb.53:
	s_lshl_b64 s[0:1], s[2:3], 2
	s_add_u32 s0, s6, s0
	s_addc_u32 s1, s7, s1
	v_mov_b32_e32 v1, 0
	global_load_dword v1, v1, s[0:1]
	s_waitcnt vmcnt(0)
	v_cmp_ne_u32_e32 vcc, 0, v1
	s_cbranch_vccz .LBB73_55
.LBB73_54:
	s_endpgm
.LBB73_55:
	v_mov_b32_e32 v1, 0x50
	v_lshl_add_u32 v1, v0, 3, v1
	v_cmp_eq_u32_e32 vcc, 9, v0
	s_and_saveexec_b64 s[0:1], vcc
	s_cbranch_execz .LBB73_57
; %bb.56:
	scratch_load_dwordx2 v[22:23], off, off offset:64
	v_mov_b32_e32 v24, 0
	v_mov_b32_e32 v25, v24
	scratch_store_dwordx2 off, v[24:25], off offset:64
	s_waitcnt vmcnt(1)
	ds_write_b64 v1, v[22:23]
.LBB73_57:
	s_or_b64 exec, exec, s[0:1]
	s_waitcnt lgkmcnt(0)
	; wave barrier
	scratch_load_dwordx2 v[24:25], off, off offset:72
	scratch_load_dwordx2 v[26:27], off, off offset:64
	v_mov_b32_e32 v22, 0
	ds_read_b64 v[28:29], v22 offset:152
	v_cmp_lt_u32_e32 vcc, 7, v0
	s_waitcnt vmcnt(1) lgkmcnt(0)
	v_pk_mul_f32 v[30:31], v[28:29], v[24:25] op_sel:[1,1] op_sel_hi:[0,1]
	v_pk_fma_f32 v[32:33], v[28:29], v[24:25], v[30:31] neg_lo:[0,0,1] neg_hi:[0,0,1]
	v_pk_fma_f32 v[24:25], v[28:29], v[24:25], v[30:31] op_sel_hi:[1,0,1]
	s_nop 0
	v_mov_b32_e32 v33, v25
	v_pk_add_f32 v[24:25], v[32:33], 0 op_sel_hi:[1,0]
	s_waitcnt vmcnt(0)
	v_pk_add_f32 v[24:25], v[26:27], v[24:25] neg_lo:[0,1] neg_hi:[0,1]
	scratch_store_dwordx2 off, v[24:25], off offset:64
	s_and_saveexec_b64 s[0:1], vcc
	s_cbranch_execz .LBB73_59
; %bb.58:
	scratch_load_dwordx2 v[24:25], off, off offset:56
	v_mov_b32_e32 v23, v22
	scratch_store_dwordx2 off, v[22:23], off offset:56
	s_waitcnt vmcnt(1)
	ds_write_b64 v1, v[24:25]
.LBB73_59:
	s_or_b64 exec, exec, s[0:1]
	s_waitcnt lgkmcnt(0)
	; wave barrier
	scratch_load_dwordx4 v[24:27], off, off offset:64
	scratch_load_dwordx2 v[32:33], off, off offset:56
	ds_read_b128 v[28:31], v22 offset:144
	v_cmp_lt_u32_e32 vcc, 6, v0
	s_waitcnt vmcnt(1) lgkmcnt(0)
	v_pk_mul_f32 v[22:23], v[28:29], v[24:25] op_sel:[1,1] op_sel_hi:[0,1]
	v_mov_b32_e32 v34, v27
	v_pk_fma_f32 v[36:37], v[28:29], v[24:25], v[22:23] neg_lo:[0,0,1] neg_hi:[0,0,1]
	v_pk_fma_f32 v[22:23], v[28:29], v[24:25], v[22:23] op_sel_hi:[1,0,1]
	v_pk_mul_f32 v[24:25], v[30:31], v[34:35] op_sel:[1,0] op_sel_hi:[0,0]
	v_mov_b32_e32 v37, v23
	v_pk_fma_f32 v[22:23], v[30:31], v[26:27], v[24:25] neg_lo:[0,0,1] neg_hi:[0,0,1]
	v_pk_fma_f32 v[24:25], v[30:31], v[26:27], v[24:25] op_sel_hi:[1,0,1]
	v_pk_add_f32 v[26:27], v[36:37], 0 op_sel_hi:[1,0]
	v_mov_b32_e32 v23, v25
	v_pk_add_f32 v[22:23], v[26:27], v[22:23]
	s_waitcnt vmcnt(0)
	v_pk_add_f32 v[22:23], v[32:33], v[22:23] neg_lo:[0,1] neg_hi:[0,1]
	scratch_store_dwordx2 off, v[22:23], off offset:56
	s_and_saveexec_b64 s[0:1], vcc
	s_cbranch_execz .LBB73_61
; %bb.60:
	scratch_load_dwordx2 v[22:23], off, off offset:48
	v_mov_b32_e32 v24, 0
	v_mov_b32_e32 v25, v24
	scratch_store_dwordx2 off, v[24:25], off offset:48
	s_waitcnt vmcnt(1)
	ds_write_b64 v1, v[22:23]
.LBB73_61:
	s_or_b64 exec, exec, s[0:1]
	s_waitcnt lgkmcnt(0)
	; wave barrier
	scratch_load_dwordx4 v[24:27], off, off offset:56
	scratch_load_dwordx2 v[32:33], off, off offset:72
	scratch_load_dwordx2 v[34:35], off, off offset:48
	v_mov_b32_e32 v22, 0
	ds_read2_b64 v[28:31], v22 offset0:17 offset1:18
	ds_read_b64 v[36:37], v22 offset:152
	v_cmp_lt_u32_e32 vcc, 5, v0
	s_waitcnt vmcnt(2) lgkmcnt(1)
	v_pk_mul_f32 v[38:39], v[28:29], v[24:25] op_sel:[1,1] op_sel_hi:[0,1]
	v_mov_b32_e32 v40, v27
	v_pk_fma_f32 v[44:45], v[28:29], v[24:25], v[38:39] neg_lo:[0,0,1] neg_hi:[0,0,1]
	v_pk_fma_f32 v[24:25], v[28:29], v[24:25], v[38:39] op_sel_hi:[1,0,1]
	v_pk_mul_f32 v[28:29], v[30:31], v[40:41] op_sel:[1,0] op_sel_hi:[0,0]
	s_waitcnt vmcnt(1) lgkmcnt(0)
	v_pk_mul_f32 v[42:43], v[36:37], v[32:33] op_sel:[1,1] op_sel_hi:[0,1]
	v_mov_b32_e32 v45, v25
	v_pk_fma_f32 v[24:25], v[30:31], v[26:27], v[28:29] neg_lo:[0,0,1] neg_hi:[0,0,1]
	v_pk_fma_f32 v[26:27], v[30:31], v[26:27], v[28:29] op_sel_hi:[1,0,1]
	v_pk_fma_f32 v[38:39], v[36:37], v[32:33], v[42:43] neg_lo:[0,0,1] neg_hi:[0,0,1]
	v_pk_fma_f32 v[32:33], v[36:37], v[32:33], v[42:43] op_sel_hi:[1,0,1]
	v_pk_add_f32 v[28:29], v[44:45], 0 op_sel_hi:[1,0]
	v_mov_b32_e32 v25, v27
	v_mov_b32_e32 v39, v33
	v_pk_add_f32 v[24:25], v[28:29], v[24:25]
	s_nop 0
	v_pk_add_f32 v[24:25], v[24:25], v[38:39]
	s_waitcnt vmcnt(0)
	v_pk_add_f32 v[24:25], v[34:35], v[24:25] neg_lo:[0,1] neg_hi:[0,1]
	scratch_store_dwordx2 off, v[24:25], off offset:48
	s_and_saveexec_b64 s[0:1], vcc
	s_cbranch_execz .LBB73_63
; %bb.62:
	scratch_load_dwordx2 v[24:25], off, off offset:40
	v_mov_b32_e32 v23, v22
	scratch_store_dwordx2 off, v[22:23], off offset:40
	s_waitcnt vmcnt(1)
	ds_write_b64 v1, v[24:25]
.LBB73_63:
	s_or_b64 exec, exec, s[0:1]
	s_waitcnt lgkmcnt(0)
	; wave barrier
	scratch_load_dwordx4 v[24:27], off, off offset:48
	scratch_load_dwordx4 v[28:31], off, off offset:64
	scratch_load_dwordx2 v[40:41], off, off offset:40
	ds_read_b128 v[32:35], v22 offset:128
	ds_read_b128 v[36:39], v22 offset:144
	v_cmp_lt_u32_e32 vcc, 4, v0
	s_waitcnt vmcnt(2) lgkmcnt(1)
	v_pk_mul_f32 v[22:23], v[32:33], v[24:25] op_sel:[1,1] op_sel_hi:[0,1]
	v_mov_b32_e32 v42, v27
	s_waitcnt vmcnt(1) lgkmcnt(0)
	v_pk_mul_f32 v[44:45], v[36:37], v[28:29] op_sel:[1,1] op_sel_hi:[0,1]
	v_mov_b32_e32 v46, v31
	v_pk_fma_f32 v[48:49], v[32:33], v[24:25], v[22:23] neg_lo:[0,0,1] neg_hi:[0,0,1]
	v_pk_fma_f32 v[22:23], v[32:33], v[24:25], v[22:23] op_sel_hi:[1,0,1]
	v_pk_mul_f32 v[24:25], v[34:35], v[42:43] op_sel:[1,0] op_sel_hi:[0,0]
	v_pk_fma_f32 v[32:33], v[36:37], v[28:29], v[44:45] neg_lo:[0,0,1] neg_hi:[0,0,1]
	v_pk_fma_f32 v[28:29], v[36:37], v[28:29], v[44:45] op_sel_hi:[1,0,1]
	v_pk_mul_f32 v[36:37], v[38:39], v[46:47] op_sel:[1,0] op_sel_hi:[0,0]
	v_mov_b32_e32 v49, v23
	v_pk_fma_f32 v[22:23], v[34:35], v[26:27], v[24:25] neg_lo:[0,0,1] neg_hi:[0,0,1]
	v_pk_fma_f32 v[24:25], v[34:35], v[26:27], v[24:25] op_sel_hi:[1,0,1]
	v_mov_b32_e32 v33, v29
	v_pk_fma_f32 v[26:27], v[38:39], v[30:31], v[36:37] neg_lo:[0,0,1] neg_hi:[0,0,1]
	v_pk_fma_f32 v[28:29], v[38:39], v[30:31], v[36:37] op_sel_hi:[1,0,1]
	v_pk_add_f32 v[30:31], v[48:49], 0 op_sel_hi:[1,0]
	v_mov_b32_e32 v23, v25
	v_pk_add_f32 v[22:23], v[30:31], v[22:23]
	v_mov_b32_e32 v27, v29
	v_pk_add_f32 v[22:23], v[22:23], v[32:33]
	s_nop 0
	v_pk_add_f32 v[22:23], v[22:23], v[26:27]
	s_waitcnt vmcnt(0)
	v_pk_add_f32 v[22:23], v[40:41], v[22:23] neg_lo:[0,1] neg_hi:[0,1]
	scratch_store_dwordx2 off, v[22:23], off offset:40
	s_and_saveexec_b64 s[0:1], vcc
	s_cbranch_execz .LBB73_65
; %bb.64:
	scratch_load_dwordx2 v[22:23], off, off offset:32
	v_mov_b32_e32 v24, 0
	v_mov_b32_e32 v25, v24
	scratch_store_dwordx2 off, v[24:25], off offset:32
	s_waitcnt vmcnt(1)
	ds_write_b64 v1, v[22:23]
.LBB73_65:
	s_or_b64 exec, exec, s[0:1]
	s_waitcnt lgkmcnt(0)
	; wave barrier
	scratch_load_dwordx4 v[24:27], off, off offset:40
	scratch_load_dwordx4 v[28:31], off, off offset:56
	scratch_load_dwordx2 v[40:41], off, off offset:72
	scratch_load_dwordx2 v[42:43], off, off offset:32
	v_mov_b32_e32 v22, 0
	ds_read2_b64 v[32:35], v22 offset0:15 offset1:16
	ds_read2_b64 v[36:39], v22 offset0:17 offset1:18
	ds_read_b64 v[44:45], v22 offset:152
	v_cmp_lt_u32_e32 vcc, 3, v0
	s_waitcnt vmcnt(3) lgkmcnt(2)
	v_pk_mul_f32 v[46:47], v[32:33], v[24:25] op_sel:[1,1] op_sel_hi:[0,1]
	v_mov_b32_e32 v48, v27
	v_pk_fma_f32 v[56:57], v[32:33], v[24:25], v[46:47] neg_lo:[0,0,1] neg_hi:[0,0,1]
	v_pk_fma_f32 v[24:25], v[32:33], v[24:25], v[46:47] op_sel_hi:[1,0,1]
	v_pk_mul_f32 v[32:33], v[34:35], v[48:49] op_sel:[1,0] op_sel_hi:[0,0]
	s_waitcnt vmcnt(2) lgkmcnt(1)
	v_pk_mul_f32 v[50:51], v[36:37], v[28:29] op_sel:[1,1] op_sel_hi:[0,1]
	v_mov_b32_e32 v52, v31
	v_mov_b32_e32 v57, v25
	v_pk_fma_f32 v[24:25], v[34:35], v[26:27], v[32:33] neg_lo:[0,0,1] neg_hi:[0,0,1]
	v_pk_fma_f32 v[26:27], v[34:35], v[26:27], v[32:33] op_sel_hi:[1,0,1]
	v_pk_fma_f32 v[46:47], v[36:37], v[28:29], v[50:51] neg_lo:[0,0,1] neg_hi:[0,0,1]
	v_pk_fma_f32 v[28:29], v[36:37], v[28:29], v[50:51] op_sel_hi:[1,0,1]
	v_pk_mul_f32 v[36:37], v[38:39], v[52:53] op_sel:[1,0] op_sel_hi:[0,0]
	v_pk_add_f32 v[32:33], v[56:57], 0 op_sel_hi:[1,0]
	v_mov_b32_e32 v25, v27
	s_waitcnt vmcnt(1) lgkmcnt(0)
	v_pk_mul_f32 v[54:55], v[44:45], v[40:41] op_sel:[1,1] op_sel_hi:[0,1]
	v_mov_b32_e32 v47, v29
	v_pk_fma_f32 v[28:29], v[38:39], v[30:31], v[36:37] neg_lo:[0,0,1] neg_hi:[0,0,1]
	v_pk_fma_f32 v[30:31], v[38:39], v[30:31], v[36:37] op_sel_hi:[1,0,1]
	v_pk_add_f32 v[24:25], v[32:33], v[24:25]
	v_pk_fma_f32 v[48:49], v[44:45], v[40:41], v[54:55] neg_lo:[0,0,1] neg_hi:[0,0,1]
	v_pk_fma_f32 v[40:41], v[44:45], v[40:41], v[54:55] op_sel_hi:[1,0,1]
	v_mov_b32_e32 v29, v31
	v_pk_add_f32 v[24:25], v[24:25], v[46:47]
	v_mov_b32_e32 v49, v41
	v_pk_add_f32 v[24:25], v[24:25], v[28:29]
	s_nop 0
	v_pk_add_f32 v[24:25], v[24:25], v[48:49]
	s_waitcnt vmcnt(0)
	v_pk_add_f32 v[24:25], v[42:43], v[24:25] neg_lo:[0,1] neg_hi:[0,1]
	scratch_store_dwordx2 off, v[24:25], off offset:32
	s_and_saveexec_b64 s[0:1], vcc
	s_cbranch_execz .LBB73_67
; %bb.66:
	scratch_load_dwordx2 v[24:25], off, off offset:24
	v_mov_b32_e32 v23, v22
	scratch_store_dwordx2 off, v[22:23], off offset:24
	s_waitcnt vmcnt(1)
	ds_write_b64 v1, v[24:25]
.LBB73_67:
	s_or_b64 exec, exec, s[0:1]
	s_waitcnt lgkmcnt(0)
	; wave barrier
	scratch_load_dwordx4 v[24:27], off, off offset:32
	scratch_load_dwordx4 v[28:31], off, off offset:48
	;; [unrolled: 1-line block ×3, first 2 shown]
	scratch_load_dwordx2 v[48:49], off, off offset:24
	ds_read_b128 v[36:39], v22 offset:112
	ds_read_b128 v[40:43], v22 offset:128
	;; [unrolled: 1-line block ×3, first 2 shown]
	v_cmp_lt_u32_e32 vcc, 2, v0
	s_waitcnt vmcnt(3) lgkmcnt(2)
	v_pk_mul_f32 v[22:23], v[36:37], v[24:25] op_sel:[1,1] op_sel_hi:[0,1]
	v_mov_b32_e32 v50, v27
	s_waitcnt vmcnt(2) lgkmcnt(1)
	v_pk_mul_f32 v[52:53], v[40:41], v[28:29] op_sel:[1,1] op_sel_hi:[0,1]
	v_mov_b32_e32 v54, v31
	s_waitcnt vmcnt(1) lgkmcnt(0)
	v_pk_mul_f32 v[56:57], v[44:45], v[32:33] op_sel:[1,1] op_sel_hi:[0,1]
	v_mov_b32_e32 v58, v35
	v_pk_fma_f32 v[60:61], v[36:37], v[24:25], v[22:23] neg_lo:[0,0,1] neg_hi:[0,0,1]
	v_pk_fma_f32 v[22:23], v[36:37], v[24:25], v[22:23] op_sel_hi:[1,0,1]
	v_pk_mul_f32 v[24:25], v[38:39], v[50:51] op_sel:[1,0] op_sel_hi:[0,0]
	v_pk_fma_f32 v[36:37], v[40:41], v[28:29], v[52:53] neg_lo:[0,0,1] neg_hi:[0,0,1]
	v_pk_fma_f32 v[28:29], v[40:41], v[28:29], v[52:53] op_sel_hi:[1,0,1]
	v_pk_mul_f32 v[40:41], v[42:43], v[54:55] op_sel:[1,0] op_sel_hi:[0,0]
	;; [unrolled: 3-line block ×3, first 2 shown]
	v_mov_b32_e32 v61, v23
	v_pk_fma_f32 v[22:23], v[38:39], v[26:27], v[24:25] neg_lo:[0,0,1] neg_hi:[0,0,1]
	v_pk_fma_f32 v[24:25], v[38:39], v[26:27], v[24:25] op_sel_hi:[1,0,1]
	v_mov_b32_e32 v37, v29
	v_pk_fma_f32 v[26:27], v[42:43], v[30:31], v[40:41] neg_lo:[0,0,1] neg_hi:[0,0,1]
	v_pk_fma_f32 v[28:29], v[42:43], v[30:31], v[40:41] op_sel_hi:[1,0,1]
	;; [unrolled: 3-line block ×3, first 2 shown]
	v_pk_add_f32 v[34:35], v[60:61], 0 op_sel_hi:[1,0]
	v_mov_b32_e32 v23, v25
	v_pk_add_f32 v[22:23], v[34:35], v[22:23]
	v_mov_b32_e32 v27, v29
	v_pk_add_f32 v[22:23], v[22:23], v[36:37]
	;; [unrolled: 2-line block ×3, first 2 shown]
	s_nop 0
	v_pk_add_f32 v[22:23], v[22:23], v[50:51]
	s_nop 0
	v_pk_add_f32 v[22:23], v[22:23], v[30:31]
	s_waitcnt vmcnt(0)
	v_pk_add_f32 v[22:23], v[48:49], v[22:23] neg_lo:[0,1] neg_hi:[0,1]
	scratch_store_dwordx2 off, v[22:23], off offset:24
	s_and_saveexec_b64 s[0:1], vcc
	s_cbranch_execz .LBB73_69
; %bb.68:
	scratch_load_dwordx2 v[22:23], off, off offset:16
	v_mov_b32_e32 v24, 0
	v_mov_b32_e32 v25, v24
	scratch_store_dwordx2 off, v[24:25], off offset:16
	s_waitcnt vmcnt(1)
	ds_write_b64 v1, v[22:23]
.LBB73_69:
	s_or_b64 exec, exec, s[0:1]
	s_waitcnt lgkmcnt(0)
	; wave barrier
	scratch_load_dwordx4 v[24:27], off, off offset:24
	scratch_load_dwordx4 v[28:31], off, off offset:40
	;; [unrolled: 1-line block ×3, first 2 shown]
	scratch_load_dwordx2 v[48:49], off, off offset:72
	scratch_load_dwordx2 v[50:51], off, off offset:16
	v_mov_b32_e32 v22, 0
	ds_read2_b64 v[36:39], v22 offset0:13 offset1:14
	ds_read2_b64 v[40:43], v22 offset0:15 offset1:16
	;; [unrolled: 1-line block ×3, first 2 shown]
	ds_read_b64 v[52:53], v22 offset:152
	v_cmp_lt_u32_e32 vcc, 1, v0
	s_waitcnt vmcnt(4) lgkmcnt(3)
	v_pk_mul_f32 v[54:55], v[36:37], v[24:25] op_sel:[1,1] op_sel_hi:[0,1]
	v_mov_b32_e32 v56, v27
	v_pk_fma_f32 v[68:69], v[36:37], v[24:25], v[54:55] neg_lo:[0,0,1] neg_hi:[0,0,1]
	v_pk_fma_f32 v[24:25], v[36:37], v[24:25], v[54:55] op_sel_hi:[1,0,1]
	v_pk_mul_f32 v[36:37], v[38:39], v[56:57] op_sel:[1,0] op_sel_hi:[0,0]
	s_waitcnt vmcnt(3) lgkmcnt(2)
	v_pk_mul_f32 v[58:59], v[40:41], v[28:29] op_sel:[1,1] op_sel_hi:[0,1]
	v_mov_b32_e32 v60, v31
	v_mov_b32_e32 v69, v25
	v_pk_fma_f32 v[24:25], v[38:39], v[26:27], v[36:37] neg_lo:[0,0,1] neg_hi:[0,0,1]
	v_pk_fma_f32 v[26:27], v[38:39], v[26:27], v[36:37] op_sel_hi:[1,0,1]
	v_pk_fma_f32 v[54:55], v[40:41], v[28:29], v[58:59] neg_lo:[0,0,1] neg_hi:[0,0,1]
	v_pk_fma_f32 v[28:29], v[40:41], v[28:29], v[58:59] op_sel_hi:[1,0,1]
	v_pk_mul_f32 v[40:41], v[42:43], v[60:61] op_sel:[1,0] op_sel_hi:[0,0]
	v_pk_add_f32 v[36:37], v[68:69], 0 op_sel_hi:[1,0]
	v_mov_b32_e32 v25, v27
	s_waitcnt vmcnt(2) lgkmcnt(1)
	v_pk_mul_f32 v[62:63], v[44:45], v[32:33] op_sel:[1,1] op_sel_hi:[0,1]
	v_mov_b32_e32 v64, v35
	v_mov_b32_e32 v55, v29
	v_pk_fma_f32 v[28:29], v[42:43], v[30:31], v[40:41] neg_lo:[0,0,1] neg_hi:[0,0,1]
	v_pk_fma_f32 v[30:31], v[42:43], v[30:31], v[40:41] op_sel_hi:[1,0,1]
	v_pk_add_f32 v[24:25], v[36:37], v[24:25]
	v_pk_fma_f32 v[56:57], v[44:45], v[32:33], v[62:63] neg_lo:[0,0,1] neg_hi:[0,0,1]
	v_pk_fma_f32 v[32:33], v[44:45], v[32:33], v[62:63] op_sel_hi:[1,0,1]
	v_pk_mul_f32 v[44:45], v[46:47], v[64:65] op_sel:[1,0] op_sel_hi:[0,0]
	v_mov_b32_e32 v29, v31
	v_pk_add_f32 v[24:25], v[24:25], v[54:55]
	s_waitcnt vmcnt(1) lgkmcnt(0)
	v_pk_mul_f32 v[66:67], v[52:53], v[48:49] op_sel:[1,1] op_sel_hi:[0,1]
	v_mov_b32_e32 v57, v33
	v_pk_fma_f32 v[32:33], v[46:47], v[34:35], v[44:45] neg_lo:[0,0,1] neg_hi:[0,0,1]
	v_pk_fma_f32 v[34:35], v[46:47], v[34:35], v[44:45] op_sel_hi:[1,0,1]
	v_pk_add_f32 v[24:25], v[24:25], v[28:29]
	v_pk_fma_f32 v[58:59], v[52:53], v[48:49], v[66:67] neg_lo:[0,0,1] neg_hi:[0,0,1]
	v_pk_fma_f32 v[48:49], v[52:53], v[48:49], v[66:67] op_sel_hi:[1,0,1]
	v_mov_b32_e32 v33, v35
	v_pk_add_f32 v[24:25], v[24:25], v[56:57]
	v_mov_b32_e32 v59, v49
	v_pk_add_f32 v[24:25], v[24:25], v[32:33]
	s_nop 0
	v_pk_add_f32 v[24:25], v[24:25], v[58:59]
	s_waitcnt vmcnt(0)
	v_pk_add_f32 v[24:25], v[50:51], v[24:25] neg_lo:[0,1] neg_hi:[0,1]
	scratch_store_dwordx2 off, v[24:25], off offset:16
	s_and_saveexec_b64 s[0:1], vcc
	s_cbranch_execz .LBB73_71
; %bb.70:
	scratch_load_dwordx2 v[24:25], off, off offset:8
	v_mov_b32_e32 v23, v22
	scratch_store_dwordx2 off, v[22:23], off offset:8
	s_waitcnt vmcnt(1)
	ds_write_b64 v1, v[24:25]
.LBB73_71:
	s_or_b64 exec, exec, s[0:1]
	s_waitcnt lgkmcnt(0)
	; wave barrier
	scratch_load_dwordx4 v[24:27], off, off offset:16
	scratch_load_dwordx4 v[28:31], off, off offset:32
	;; [unrolled: 1-line block ×4, first 2 shown]
	scratch_load_dwordx2 v[56:57], off, off offset:8
	ds_read_b128 v[40:43], v22 offset:96
	ds_read_b128 v[44:47], v22 offset:112
	;; [unrolled: 1-line block ×4, first 2 shown]
	v_cmp_ne_u32_e32 vcc, 0, v0
	s_waitcnt vmcnt(4) lgkmcnt(3)
	v_pk_mul_f32 v[22:23], v[40:41], v[24:25] op_sel:[1,1] op_sel_hi:[0,1]
	v_mov_b32_e32 v58, v27
	s_waitcnt vmcnt(3) lgkmcnt(2)
	v_pk_mul_f32 v[60:61], v[44:45], v[28:29] op_sel:[1,1] op_sel_hi:[0,1]
	v_mov_b32_e32 v62, v31
	s_waitcnt vmcnt(2) lgkmcnt(1)
	v_pk_mul_f32 v[64:65], v[48:49], v[32:33] op_sel:[1,1] op_sel_hi:[0,1]
	v_mov_b32_e32 v66, v35
	s_waitcnt vmcnt(1) lgkmcnt(0)
	v_pk_mul_f32 v[68:69], v[52:53], v[36:37] op_sel:[1,1] op_sel_hi:[0,1]
	v_mov_b32_e32 v70, v39
	v_pk_fma_f32 v[72:73], v[40:41], v[24:25], v[22:23] neg_lo:[0,0,1] neg_hi:[0,0,1]
	v_pk_fma_f32 v[22:23], v[40:41], v[24:25], v[22:23] op_sel_hi:[1,0,1]
	v_pk_mul_f32 v[24:25], v[42:43], v[58:59] op_sel:[1,0] op_sel_hi:[0,0]
	v_pk_fma_f32 v[40:41], v[44:45], v[28:29], v[60:61] neg_lo:[0,0,1] neg_hi:[0,0,1]
	v_pk_fma_f32 v[28:29], v[44:45], v[28:29], v[60:61] op_sel_hi:[1,0,1]
	v_pk_mul_f32 v[44:45], v[46:47], v[62:63] op_sel:[1,0] op_sel_hi:[0,0]
	;; [unrolled: 3-line block ×4, first 2 shown]
	v_mov_b32_e32 v73, v23
	v_pk_fma_f32 v[22:23], v[42:43], v[26:27], v[24:25] neg_lo:[0,0,1] neg_hi:[0,0,1]
	v_pk_fma_f32 v[24:25], v[42:43], v[26:27], v[24:25] op_sel_hi:[1,0,1]
	v_mov_b32_e32 v41, v29
	v_pk_fma_f32 v[26:27], v[46:47], v[30:31], v[44:45] neg_lo:[0,0,1] neg_hi:[0,0,1]
	v_pk_fma_f32 v[28:29], v[46:47], v[30:31], v[44:45] op_sel_hi:[1,0,1]
	;; [unrolled: 3-line block ×4, first 2 shown]
	v_pk_add_f32 v[38:39], v[72:73], 0 op_sel_hi:[1,0]
	v_mov_b32_e32 v23, v25
	v_pk_add_f32 v[22:23], v[38:39], v[22:23]
	v_mov_b32_e32 v27, v29
	v_pk_add_f32 v[22:23], v[22:23], v[40:41]
	;; [unrolled: 2-line block ×4, first 2 shown]
	s_nop 0
	v_pk_add_f32 v[22:23], v[22:23], v[30:31]
	s_nop 0
	v_pk_add_f32 v[22:23], v[22:23], v[60:61]
	;; [unrolled: 2-line block ×3, first 2 shown]
	s_waitcnt vmcnt(0)
	v_pk_add_f32 v[22:23], v[56:57], v[22:23] neg_lo:[0,1] neg_hi:[0,1]
	scratch_store_dwordx2 off, v[22:23], off offset:8
	s_and_saveexec_b64 s[0:1], vcc
	s_cbranch_execz .LBB73_73
; %bb.72:
	scratch_load_dwordx2 v[22:23], off, off
	v_mov_b32_e32 v24, 0
	v_mov_b32_e32 v25, v24
	scratch_store_dwordx2 off, v[24:25], off
	s_waitcnt vmcnt(1)
	ds_write_b64 v1, v[22:23]
.LBB73_73:
	s_or_b64 exec, exec, s[0:1]
	s_waitcnt lgkmcnt(0)
	; wave barrier
	scratch_load_dwordx4 v[24:27], off, off offset:8
	scratch_load_dwordx4 v[28:31], off, off offset:24
	;; [unrolled: 1-line block ×4, first 2 shown]
	scratch_load_dwordx2 v[0:1], off, off offset:72
	scratch_load_dwordx2 v[56:57], off, off
	v_mov_b32_e32 v22, 0
	ds_read2_b64 v[40:43], v22 offset0:11 offset1:12
	ds_read2_b64 v[44:47], v22 offset0:13 offset1:14
	ds_read2_b64 v[48:51], v22 offset0:15 offset1:16
	ds_read2_b64 v[52:55], v22 offset0:17 offset1:18
	ds_read_b64 v[58:59], v22 offset:152
	s_and_b64 vcc, exec, s[10:11]
	s_waitcnt vmcnt(5) lgkmcnt(4)
	v_mul_f32_e32 v61, v40, v25
	v_mul_f32_e32 v23, v41, v25
	v_mov_b32_e32 v62, v27
	s_waitcnt vmcnt(4) lgkmcnt(3)
	v_pk_mul_f32 v[64:65], v[44:45], v[28:29] op_sel:[1,1] op_sel_hi:[0,1]
	v_mov_b32_e32 v66, v31
	s_waitcnt vmcnt(1) lgkmcnt(0)
	v_pk_mul_f32 v[76:77], v[58:59], v[0:1] op_sel:[1,1] op_sel_hi:[0,1]
	v_fmac_f32_e32 v61, v41, v24
	v_fma_f32 v60, v40, v24, -v23
	v_pk_mul_f32 v[24:25], v[42:43], v[62:63] op_sel:[1,0] op_sel_hi:[0,0]
	v_pk_fma_f32 v[40:41], v[44:45], v[28:29], v[64:65] neg_lo:[0,0,1] neg_hi:[0,0,1]
	v_pk_fma_f32 v[28:29], v[44:45], v[28:29], v[64:65] op_sel_hi:[1,0,1]
	v_pk_mul_f32 v[44:45], v[46:47], v[66:67] op_sel:[1,0] op_sel_hi:[0,0]
	v_pk_fma_f32 v[66:67], v[58:59], v[0:1], v[76:77] neg_lo:[0,0,1] neg_hi:[0,0,1]
	v_pk_fma_f32 v[0:1], v[58:59], v[0:1], v[76:77] op_sel_hi:[1,0,1]
	v_pk_add_f32 v[58:59], v[60:61], 0 op_sel_hi:[1,0]
	v_pk_fma_f32 v[60:61], v[42:43], v[26:27], v[24:25] neg_lo:[0,0,1] neg_hi:[0,0,1]
	v_pk_fma_f32 v[24:25], v[42:43], v[26:27], v[24:25] op_sel_hi:[1,0,1]
	v_pk_mul_f32 v[68:69], v[48:49], v[32:33] op_sel:[1,1] op_sel_hi:[0,1]
	v_mov_b32_e32 v61, v25
	v_mov_b32_e32 v70, v35
	;; [unrolled: 1-line block ×3, first 2 shown]
	v_pk_fma_f32 v[26:27], v[46:47], v[30:31], v[44:45] neg_lo:[0,0,1] neg_hi:[0,0,1]
	v_pk_fma_f32 v[28:29], v[46:47], v[30:31], v[44:45] op_sel_hi:[1,0,1]
	v_mov_b32_e32 v67, v1
	v_pk_add_f32 v[0:1], v[58:59], v[60:61]
	v_pk_fma_f32 v[62:63], v[48:49], v[32:33], v[68:69] neg_lo:[0,0,1] neg_hi:[0,0,1]
	v_pk_fma_f32 v[32:33], v[48:49], v[32:33], v[68:69] op_sel_hi:[1,0,1]
	v_pk_mul_f32 v[48:49], v[50:51], v[70:71] op_sel:[1,0] op_sel_hi:[0,0]
	v_mov_b32_e32 v27, v29
	v_pk_add_f32 v[0:1], v[0:1], v[40:41]
	v_pk_mul_f32 v[72:73], v[52:53], v[36:37] op_sel:[1,1] op_sel_hi:[0,1]
	v_mov_b32_e32 v74, v39
	v_mov_b32_e32 v63, v33
	v_pk_fma_f32 v[30:31], v[50:51], v[34:35], v[48:49] neg_lo:[0,0,1] neg_hi:[0,0,1]
	v_pk_fma_f32 v[32:33], v[50:51], v[34:35], v[48:49] op_sel_hi:[1,0,1]
	v_pk_add_f32 v[0:1], v[0:1], v[26:27]
	v_pk_fma_f32 v[64:65], v[52:53], v[36:37], v[72:73] neg_lo:[0,0,1] neg_hi:[0,0,1]
	v_pk_fma_f32 v[36:37], v[52:53], v[36:37], v[72:73] op_sel_hi:[1,0,1]
	v_pk_mul_f32 v[52:53], v[54:55], v[74:75] op_sel:[1,0] op_sel_hi:[0,0]
	v_mov_b32_e32 v31, v33
	v_pk_add_f32 v[0:1], v[0:1], v[62:63]
	v_mov_b32_e32 v65, v37
	v_pk_fma_f32 v[34:35], v[54:55], v[38:39], v[52:53] neg_lo:[0,0,1] neg_hi:[0,0,1]
	v_pk_fma_f32 v[36:37], v[54:55], v[38:39], v[52:53] op_sel_hi:[1,0,1]
	v_pk_add_f32 v[0:1], v[0:1], v[30:31]
	v_mov_b32_e32 v35, v37
	v_pk_add_f32 v[0:1], v[0:1], v[64:65]
	s_nop 0
	v_pk_add_f32 v[0:1], v[0:1], v[34:35]
	s_nop 0
	v_pk_add_f32 v[0:1], v[0:1], v[66:67]
	s_waitcnt vmcnt(0)
	v_pk_add_f32 v[0:1], v[56:57], v[0:1] neg_lo:[0,1] neg_hi:[0,1]
	scratch_store_dwordx2 off, v[0:1], off
	s_cbranch_vccz .LBB73_92
; %bb.74:
	global_load_dword v0, v22, s[8:9] offset:32
	s_waitcnt vmcnt(0)
	v_readfirstlane_b32 s0, v0
	s_add_i32 s0, s0, -1
	s_cmp_lg_u32 s0, 8
	s_cbranch_scc0 .LBB73_76
; %bb.75:
	s_lshl_b32 s0, s0, 3
	s_nop 0
	scratch_load_dwordx2 v[0:1], off, s0
	scratch_load_dwordx2 v[22:23], off, off offset:64
	s_waitcnt vmcnt(1)
	scratch_store_dwordx2 off, v[0:1], off offset:64
	s_waitcnt vmcnt(1)
	scratch_store_dwordx2 off, v[22:23], s0
.LBB73_76:
	v_mov_b32_e32 v0, 0
	global_load_dword v1, v0, s[8:9] offset:28
	s_waitcnt vmcnt(0)
	v_readfirstlane_b32 s0, v1
	s_add_i32 s0, s0, -1
	s_cmp_eq_u32 s0, 7
	s_cbranch_scc1 .LBB73_78
; %bb.77:
	s_lshl_b32 s0, s0, 3
	s_nop 0
	scratch_load_dwordx2 v[22:23], off, s0
	scratch_load_dwordx2 v[24:25], off, off offset:56
	s_waitcnt vmcnt(1)
	scratch_store_dwordx2 off, v[22:23], off offset:56
	s_waitcnt vmcnt(1)
	scratch_store_dwordx2 off, v[24:25], s0
.LBB73_78:
	global_load_dword v0, v0, s[8:9] offset:24
	s_waitcnt vmcnt(0)
	v_readfirstlane_b32 s0, v0
	s_add_i32 s0, s0, -1
	s_cmp_eq_u32 s0, 6
	s_cbranch_scc1 .LBB73_80
; %bb.79:
	s_lshl_b32 s0, s0, 3
	s_nop 0
	scratch_load_dwordx2 v[0:1], off, s0
	scratch_load_dwordx2 v[22:23], off, off offset:48
	s_waitcnt vmcnt(1)
	scratch_store_dwordx2 off, v[0:1], off offset:48
	s_waitcnt vmcnt(1)
	scratch_store_dwordx2 off, v[22:23], s0
.LBB73_80:
	v_mov_b32_e32 v0, 0
	global_load_dword v1, v0, s[8:9] offset:20
	s_waitcnt vmcnt(0)
	v_readfirstlane_b32 s0, v1
	s_add_i32 s0, s0, -1
	s_cmp_eq_u32 s0, 5
	s_cbranch_scc1 .LBB73_82
; %bb.81:
	s_lshl_b32 s0, s0, 3
	s_nop 0
	scratch_load_dwordx2 v[22:23], off, s0
	scratch_load_dwordx2 v[24:25], off, off offset:40
	s_waitcnt vmcnt(1)
	scratch_store_dwordx2 off, v[22:23], off offset:40
	s_waitcnt vmcnt(1)
	scratch_store_dwordx2 off, v[24:25], s0
.LBB73_82:
	global_load_dword v0, v0, s[8:9] offset:16
	s_waitcnt vmcnt(0)
	v_readfirstlane_b32 s0, v0
	s_add_i32 s0, s0, -1
	s_cmp_eq_u32 s0, 4
	s_cbranch_scc1 .LBB73_84
; %bb.83:
	s_lshl_b32 s0, s0, 3
	s_nop 0
	scratch_load_dwordx2 v[0:1], off, s0
	scratch_load_dwordx2 v[22:23], off, off offset:32
	s_waitcnt vmcnt(1)
	scratch_store_dwordx2 off, v[0:1], off offset:32
	s_waitcnt vmcnt(1)
	scratch_store_dwordx2 off, v[22:23], s0
.LBB73_84:
	;; [unrolled: 33-line block ×3, first 2 shown]
	v_mov_b32_e32 v0, 0
	global_load_dword v1, v0, s[8:9] offset:4
	s_waitcnt vmcnt(0)
	v_readfirstlane_b32 s0, v1
	s_add_i32 s0, s0, -1
	s_cmp_eq_u32 s0, 1
	s_cbranch_scc1 .LBB73_90
; %bb.89:
	s_lshl_b32 s0, s0, 3
	s_nop 0
	scratch_load_dwordx2 v[22:23], off, s0
	scratch_load_dwordx2 v[24:25], off, off offset:8
	s_waitcnt vmcnt(1)
	scratch_store_dwordx2 off, v[22:23], off offset:8
	s_waitcnt vmcnt(1)
	scratch_store_dwordx2 off, v[24:25], s0
.LBB73_90:
	global_load_dword v22, v0, s[8:9]
	s_nop 0
	scratch_load_dwordx2 v[0:1], off, off
	s_waitcnt vmcnt(1)
	v_readfirstlane_b32 s0, v22
	s_add_i32 s0, s0, -1
	s_cmp_eq_u32 s0, 0
	s_cbranch_scc1 .LBB73_92
; %bb.91:
	s_lshl_b32 s0, s0, 3
	s_nop 0
	scratch_load_dwordx2 v[22:23], off, s0
	s_waitcnt vmcnt(0)
	scratch_store_dwordx2 off, v[22:23], off
	scratch_store_dwordx2 off, v[0:1], s0
	scratch_load_dwordx2 v[0:1], off, off
.LBB73_92:
	s_waitcnt vmcnt(0)
	flat_store_dwordx2 v[2:3], v[0:1]
	scratch_load_dwordx2 v[0:1], off, off offset:8
	s_waitcnt vmcnt(0)
	flat_store_dwordx2 v[4:5], v[0:1]
	scratch_load_dwordx2 v[0:1], off, off offset:16
	;; [unrolled: 3-line block ×9, first 2 shown]
	s_waitcnt vmcnt(0)
	flat_store_dwordx2 v[20:21], v[0:1]
	s_endpgm
	.section	.rodata,"a",@progbits
	.p2align	6, 0x0
	.amdhsa_kernel _ZN9rocsolver6v33100L18getri_kernel_smallILi10E19rocblas_complex_numIfEPKPS3_EEvT1_iilPiilS8_bb
		.amdhsa_group_segment_fixed_size 164
		.amdhsa_private_segment_fixed_size 96
		.amdhsa_kernarg_size 60
		.amdhsa_user_sgpr_count 2
		.amdhsa_user_sgpr_dispatch_ptr 0
		.amdhsa_user_sgpr_queue_ptr 0
		.amdhsa_user_sgpr_kernarg_segment_ptr 1
		.amdhsa_user_sgpr_dispatch_id 0
		.amdhsa_user_sgpr_kernarg_preload_length 0
		.amdhsa_user_sgpr_kernarg_preload_offset 0
		.amdhsa_user_sgpr_private_segment_size 0
		.amdhsa_uses_dynamic_stack 0
		.amdhsa_enable_private_segment 1
		.amdhsa_system_sgpr_workgroup_id_x 1
		.amdhsa_system_sgpr_workgroup_id_y 0
		.amdhsa_system_sgpr_workgroup_id_z 0
		.amdhsa_system_sgpr_workgroup_info 0
		.amdhsa_system_vgpr_workitem_id 0
		.amdhsa_next_free_vgpr 78
		.amdhsa_next_free_sgpr 17
		.amdhsa_accum_offset 80
		.amdhsa_reserve_vcc 1
		.amdhsa_float_round_mode_32 0
		.amdhsa_float_round_mode_16_64 0
		.amdhsa_float_denorm_mode_32 3
		.amdhsa_float_denorm_mode_16_64 3
		.amdhsa_dx10_clamp 1
		.amdhsa_ieee_mode 1
		.amdhsa_fp16_overflow 0
		.amdhsa_tg_split 0
		.amdhsa_exception_fp_ieee_invalid_op 0
		.amdhsa_exception_fp_denorm_src 0
		.amdhsa_exception_fp_ieee_div_zero 0
		.amdhsa_exception_fp_ieee_overflow 0
		.amdhsa_exception_fp_ieee_underflow 0
		.amdhsa_exception_fp_ieee_inexact 0
		.amdhsa_exception_int_div_zero 0
	.end_amdhsa_kernel
	.section	.text._ZN9rocsolver6v33100L18getri_kernel_smallILi10E19rocblas_complex_numIfEPKPS3_EEvT1_iilPiilS8_bb,"axG",@progbits,_ZN9rocsolver6v33100L18getri_kernel_smallILi10E19rocblas_complex_numIfEPKPS3_EEvT1_iilPiilS8_bb,comdat
.Lfunc_end73:
	.size	_ZN9rocsolver6v33100L18getri_kernel_smallILi10E19rocblas_complex_numIfEPKPS3_EEvT1_iilPiilS8_bb, .Lfunc_end73-_ZN9rocsolver6v33100L18getri_kernel_smallILi10E19rocblas_complex_numIfEPKPS3_EEvT1_iilPiilS8_bb
                                        ; -- End function
	.set _ZN9rocsolver6v33100L18getri_kernel_smallILi10E19rocblas_complex_numIfEPKPS3_EEvT1_iilPiilS8_bb.num_vgpr, 78
	.set _ZN9rocsolver6v33100L18getri_kernel_smallILi10E19rocblas_complex_numIfEPKPS3_EEvT1_iilPiilS8_bb.num_agpr, 0
	.set _ZN9rocsolver6v33100L18getri_kernel_smallILi10E19rocblas_complex_numIfEPKPS3_EEvT1_iilPiilS8_bb.numbered_sgpr, 17
	.set _ZN9rocsolver6v33100L18getri_kernel_smallILi10E19rocblas_complex_numIfEPKPS3_EEvT1_iilPiilS8_bb.num_named_barrier, 0
	.set _ZN9rocsolver6v33100L18getri_kernel_smallILi10E19rocblas_complex_numIfEPKPS3_EEvT1_iilPiilS8_bb.private_seg_size, 96
	.set _ZN9rocsolver6v33100L18getri_kernel_smallILi10E19rocblas_complex_numIfEPKPS3_EEvT1_iilPiilS8_bb.uses_vcc, 1
	.set _ZN9rocsolver6v33100L18getri_kernel_smallILi10E19rocblas_complex_numIfEPKPS3_EEvT1_iilPiilS8_bb.uses_flat_scratch, 0
	.set _ZN9rocsolver6v33100L18getri_kernel_smallILi10E19rocblas_complex_numIfEPKPS3_EEvT1_iilPiilS8_bb.has_dyn_sized_stack, 0
	.set _ZN9rocsolver6v33100L18getri_kernel_smallILi10E19rocblas_complex_numIfEPKPS3_EEvT1_iilPiilS8_bb.has_recursion, 0
	.set _ZN9rocsolver6v33100L18getri_kernel_smallILi10E19rocblas_complex_numIfEPKPS3_EEvT1_iilPiilS8_bb.has_indirect_call, 0
	.section	.AMDGPU.csdata,"",@progbits
; Kernel info:
; codeLenInByte = 7084
; TotalNumSgprs: 23
; NumVgprs: 78
; NumAgprs: 0
; TotalNumVgprs: 78
; ScratchSize: 96
; MemoryBound: 0
; FloatMode: 240
; IeeeMode: 1
; LDSByteSize: 164 bytes/workgroup (compile time only)
; SGPRBlocks: 2
; VGPRBlocks: 9
; NumSGPRsForWavesPerEU: 23
; NumVGPRsForWavesPerEU: 78
; AccumOffset: 80
; Occupancy: 6
; WaveLimiterHint : 1
; COMPUTE_PGM_RSRC2:SCRATCH_EN: 1
; COMPUTE_PGM_RSRC2:USER_SGPR: 2
; COMPUTE_PGM_RSRC2:TRAP_HANDLER: 0
; COMPUTE_PGM_RSRC2:TGID_X_EN: 1
; COMPUTE_PGM_RSRC2:TGID_Y_EN: 0
; COMPUTE_PGM_RSRC2:TGID_Z_EN: 0
; COMPUTE_PGM_RSRC2:TIDIG_COMP_CNT: 0
; COMPUTE_PGM_RSRC3_GFX90A:ACCUM_OFFSET: 19
; COMPUTE_PGM_RSRC3_GFX90A:TG_SPLIT: 0
	.section	.text._ZN9rocsolver6v33100L18getri_kernel_smallILi11E19rocblas_complex_numIfEPKPS3_EEvT1_iilPiilS8_bb,"axG",@progbits,_ZN9rocsolver6v33100L18getri_kernel_smallILi11E19rocblas_complex_numIfEPKPS3_EEvT1_iilPiilS8_bb,comdat
	.globl	_ZN9rocsolver6v33100L18getri_kernel_smallILi11E19rocblas_complex_numIfEPKPS3_EEvT1_iilPiilS8_bb ; -- Begin function _ZN9rocsolver6v33100L18getri_kernel_smallILi11E19rocblas_complex_numIfEPKPS3_EEvT1_iilPiilS8_bb
	.p2align	8
	.type	_ZN9rocsolver6v33100L18getri_kernel_smallILi11E19rocblas_complex_numIfEPKPS3_EEvT1_iilPiilS8_bb,@function
_ZN9rocsolver6v33100L18getri_kernel_smallILi11E19rocblas_complex_numIfEPKPS3_EEvT1_iilPiilS8_bb: ; @_ZN9rocsolver6v33100L18getri_kernel_smallILi11E19rocblas_complex_numIfEPKPS3_EEvT1_iilPiilS8_bb
; %bb.0:
	v_cmp_gt_u32_e32 vcc, 11, v0
	s_and_saveexec_b64 s[4:5], vcc
	s_cbranch_execz .LBB74_58
; %bb.1:
	s_load_dword s14, s[0:1], 0x38
	s_load_dwordx2 s[8:9], s[0:1], 0x0
	s_load_dwordx4 s[4:7], s[0:1], 0x28
	s_waitcnt lgkmcnt(0)
	s_bitcmp1_b32 s14, 8
	s_cselect_b64 s[10:11], -1, 0
	s_ashr_i32 s3, s2, 31
	s_lshl_b64 s[12:13], s[2:3], 3
	s_add_u32 s8, s8, s12
	s_addc_u32 s9, s9, s13
	s_load_dwordx2 s[12:13], s[8:9], 0x0
	s_bfe_u32 s8, s14, 0x10008
	s_cmp_eq_u32 s8, 0
                                        ; implicit-def: $sgpr8_sgpr9
	s_cbranch_scc1 .LBB74_3
; %bb.2:
	s_load_dword s8, s[0:1], 0x20
	s_load_dwordx2 s[14:15], s[0:1], 0x18
	s_mul_i32 s9, s4, s3
	s_mul_hi_u32 s16, s4, s2
	s_add_i32 s16, s16, s9
	s_mul_i32 s5, s5, s2
	s_add_i32 s5, s16, s5
	s_mul_i32 s4, s4, s2
	s_waitcnt lgkmcnt(0)
	s_ashr_i32 s9, s8, 31
	s_lshl_b64 s[4:5], s[4:5], 2
	s_add_u32 s14, s14, s4
	s_addc_u32 s15, s15, s5
	s_lshl_b64 s[4:5], s[8:9], 2
	s_add_u32 s8, s14, s4
	s_addc_u32 s9, s15, s5
.LBB74_3:
	s_load_dwordx2 s[4:5], s[0:1], 0x8
	s_load_dword s14, s[0:1], 0x38
	v_lshlrev_b32_e32 v24, 3, v0
	v_mov_b32_e32 v25, 0
	s_waitcnt lgkmcnt(0)
	s_ashr_i32 s1, s4, 31
	s_mov_b32 s0, s4
	s_lshl_b64 s[0:1], s[0:1], 3
	s_add_u32 s0, s12, s0
	s_addc_u32 s1, s13, s1
	v_lshl_add_u64 v[2:3], s[0:1], 0, v[24:25]
	flat_load_dwordx2 v[6:7], v[2:3]
	s_mov_b32 s12, s5
	s_ashr_i32 s13, s5, 31
	v_lshl_add_u64 v[4:5], s[12:13], 3, v[2:3]
	s_add_i32 s4, s5, s5
	v_add_u32_e32 v10, s4, v0
	v_ashrrev_i32_e32 v11, 31, v10
	s_bitcmp0_b32 s14, 0
	s_waitcnt vmcnt(0) lgkmcnt(0)
	scratch_store_dwordx2 off, v[6:7], off
	flat_load_dwordx2 v[8:9], v[4:5]
	v_lshl_add_u64 v[6:7], v[10:11], 3, s[0:1]
	v_add_u32_e32 v10, s5, v10
	v_ashrrev_i32_e32 v11, 31, v10
	v_add_u32_e32 v14, s5, v10
	v_ashrrev_i32_e32 v15, 31, v14
	s_waitcnt vmcnt(0) lgkmcnt(0)
	scratch_store_dwordx2 off, v[8:9], off offset:8
	flat_load_dwordx2 v[12:13], v[6:7]
	v_lshl_add_u64 v[8:9], v[10:11], 3, s[0:1]
	v_lshl_add_u64 v[10:11], v[14:15], 3, s[0:1]
	v_add_u32_e32 v14, s5, v14
	v_ashrrev_i32_e32 v15, 31, v14
	v_add_u32_e32 v18, s5, v14
	v_ashrrev_i32_e32 v19, 31, v18
	s_waitcnt vmcnt(0) lgkmcnt(0)
	scratch_store_dwordx2 off, v[12:13], off offset:16
	flat_load_dwordx2 v[12:13], v[8:9]
	s_waitcnt vmcnt(0) lgkmcnt(0)
	scratch_store_dwordx2 off, v[12:13], off offset:24
	flat_load_dwordx2 v[16:17], v[10:11]
	v_lshl_add_u64 v[12:13], v[14:15], 3, s[0:1]
	v_lshl_add_u64 v[14:15], v[18:19], 3, s[0:1]
	v_add_u32_e32 v18, s5, v18
	v_ashrrev_i32_e32 v19, 31, v18
	v_add_u32_e32 v22, s5, v18
	v_ashrrev_i32_e32 v23, 31, v22
	s_waitcnt vmcnt(0) lgkmcnt(0)
	scratch_store_dwordx2 off, v[16:17], off offset:32
	flat_load_dwordx2 v[16:17], v[12:13]
	s_waitcnt vmcnt(0) lgkmcnt(0)
	scratch_store_dwordx2 off, v[16:17], off offset:40
	flat_load_dwordx2 v[20:21], v[14:15]
	v_lshl_add_u64 v[16:17], v[18:19], 3, s[0:1]
	v_lshl_add_u64 v[18:19], v[22:23], 3, s[0:1]
	v_add_u32_e32 v22, s5, v22
	v_ashrrev_i32_e32 v23, 31, v22
	s_waitcnt vmcnt(0) lgkmcnt(0)
	scratch_store_dwordx2 off, v[20:21], off offset:48
	flat_load_dwordx2 v[20:21], v[16:17]
	s_waitcnt vmcnt(0) lgkmcnt(0)
	scratch_store_dwordx2 off, v[20:21], off offset:56
	flat_load_dwordx2 v[26:27], v[18:19]
	v_lshl_add_u64 v[20:21], v[22:23], 3, s[0:1]
	v_add_u32_e32 v22, s5, v22
	v_ashrrev_i32_e32 v23, 31, v22
	v_lshl_add_u64 v[22:23], v[22:23], 3, s[0:1]
	s_mov_b64 s[4:5], -1
	s_waitcnt vmcnt(0) lgkmcnt(0)
	scratch_store_dwordx2 off, v[26:27], off offset:64
	flat_load_dwordx2 v[26:27], v[20:21]
	s_waitcnt vmcnt(0) lgkmcnt(0)
	scratch_store_dwordx2 off, v[26:27], off offset:72
	flat_load_dwordx2 v[26:27], v[22:23]
	s_waitcnt vmcnt(0) lgkmcnt(0)
	scratch_store_dwordx2 off, v[26:27], off offset:80
	s_cbranch_scc1 .LBB74_56
; %bb.4:
	v_cmp_eq_u32_e64 s[0:1], 0, v0
	s_and_saveexec_b64 s[4:5], s[0:1]
; %bb.5:
	v_mov_b32_e32 v1, 0
	ds_write_b32 v1, v1 offset:88
; %bb.6:
	s_or_b64 exec, exec, s[4:5]
	s_waitcnt lgkmcnt(0)
	; wave barrier
	scratch_load_dwordx2 v[26:27], v24, off
	s_waitcnt vmcnt(0)
	v_cmp_eq_f32_e32 vcc, 0, v26
	v_cmp_eq_f32_e64 s[4:5], 0, v27
	s_and_b64 s[4:5], vcc, s[4:5]
	s_and_saveexec_b64 s[12:13], s[4:5]
	s_cbranch_execz .LBB74_10
; %bb.7:
	v_mov_b32_e32 v1, 0
	ds_read_b32 v26, v1 offset:88
	v_add_u32_e32 v25, 1, v0
	s_waitcnt lgkmcnt(0)
	v_readfirstlane_b32 s4, v26
	s_cmp_eq_u32 s4, 0
	s_cselect_b64 s[14:15], -1, 0
	v_cmp_gt_i32_e32 vcc, s4, v25
	s_or_b64 s[14:15], s[14:15], vcc
	s_and_b64 exec, exec, s[14:15]
	s_cbranch_execz .LBB74_10
; %bb.8:
	s_mov_b64 s[14:15], 0
	v_mov_b32_e32 v26, s4
.LBB74_9:                               ; =>This Inner Loop Header: Depth=1
	ds_cmpst_rtn_b32 v26, v1, v26, v25 offset:88
	s_waitcnt lgkmcnt(0)
	v_cmp_ne_u32_e32 vcc, 0, v26
	v_cmp_le_i32_e64 s[4:5], v26, v25
	s_and_b64 s[4:5], vcc, s[4:5]
	s_and_b64 s[4:5], exec, s[4:5]
	s_or_b64 s[14:15], s[4:5], s[14:15]
	s_andn2_b64 exec, exec, s[14:15]
	s_cbranch_execnz .LBB74_9
.LBB74_10:
	s_or_b64 exec, exec, s[12:13]
	v_mov_b32_e32 v25, 0
	; wave barrier
	ds_read_b32 v1, v25 offset:88
	s_and_saveexec_b64 s[4:5], s[0:1]
	s_cbranch_execz .LBB74_12
; %bb.11:
	s_lshl_b64 s[12:13], s[2:3], 2
	s_add_u32 s12, s6, s12
	s_addc_u32 s13, s7, s13
	s_waitcnt lgkmcnt(0)
	global_store_dword v25, v1, s[12:13]
.LBB74_12:
	s_or_b64 exec, exec, s[4:5]
	s_waitcnt lgkmcnt(0)
	v_cmp_ne_u32_e32 vcc, 0, v1
	s_mov_b64 s[4:5], 0
	s_cbranch_vccnz .LBB74_56
; %bb.13:
	v_mov_b32_e32 v25, v24
	scratch_load_dwordx2 v[26:27], v25, off
                                        ; implicit-def: $vgpr29
                                        ; implicit-def: $vgpr30
	s_waitcnt vmcnt(0)
	v_cmp_ngt_f32_e64 s[4:5], |v26|, |v27|
	s_and_saveexec_b64 s[12:13], s[4:5]
	s_xor_b64 s[4:5], exec, s[12:13]
	s_cbranch_execz .LBB74_15
; %bb.14:
	v_div_scale_f32 v1, s[12:13], v27, v27, v26
	v_rcp_f32_e32 v28, v1
	v_div_scale_f32 v29, vcc, v26, v27, v26
	v_fma_f32 v30, -v1, v28, 1.0
	v_fmac_f32_e32 v28, v30, v28
	v_mul_f32_e32 v30, v29, v28
	v_fma_f32 v31, -v1, v30, v29
	v_fmac_f32_e32 v30, v31, v28
	v_fma_f32 v1, -v1, v30, v29
	v_div_fmas_f32 v1, v1, v28, v30
	v_div_fixup_f32 v1, v1, v27, v26
	v_fmac_f32_e32 v27, v26, v1
	v_div_scale_f32 v26, s[12:13], v27, v27, -1.0
	v_rcp_f32_e32 v28, v26
	s_nop 0
	v_fma_f32 v29, -v26, v28, 1.0
	v_fmac_f32_e32 v28, v29, v28
	v_div_scale_f32 v29, vcc, -1.0, v27, -1.0
	v_mul_f32_e32 v30, v29, v28
	v_fma_f32 v31, -v26, v30, v29
	v_fmac_f32_e32 v30, v31, v28
	v_fma_f32 v26, -v26, v30, v29
	v_div_fmas_f32 v26, v26, v28, v30
	v_div_fixup_f32 v29, v26, v27, -1.0
	v_mul_f32_e32 v30, v1, v29
	v_xor_b32_e32 v28, 0x80000000, v30
                                        ; implicit-def: $vgpr26_vgpr27
.LBB74_15:
	s_andn2_saveexec_b64 s[4:5], s[4:5]
	s_cbranch_execz .LBB74_17
; %bb.16:
	v_div_scale_f32 v1, s[12:13], v26, v26, v27
	v_rcp_f32_e32 v28, v1
	v_div_scale_f32 v29, vcc, v27, v26, v27
	v_fma_f32 v30, -v1, v28, 1.0
	v_fmac_f32_e32 v28, v30, v28
	v_mul_f32_e32 v30, v29, v28
	v_fma_f32 v31, -v1, v30, v29
	v_fmac_f32_e32 v30, v31, v28
	v_fma_f32 v1, -v1, v30, v29
	v_div_fmas_f32 v1, v1, v28, v30
	v_div_fixup_f32 v1, v1, v26, v27
	v_fmac_f32_e32 v26, v27, v1
	v_div_scale_f32 v27, s[12:13], v26, v26, 1.0
	v_rcp_f32_e32 v28, v27
	s_nop 0
	v_fma_f32 v29, -v27, v28, 1.0
	v_fmac_f32_e32 v28, v29, v28
	v_div_scale_f32 v29, vcc, 1.0, v26, 1.0
	v_mul_f32_e32 v30, v29, v28
	v_fma_f32 v31, -v27, v30, v29
	v_fmac_f32_e32 v30, v31, v28
	v_fma_f32 v27, -v27, v30, v29
	v_div_fmas_f32 v27, v27, v28, v30
	v_div_fixup_f32 v28, v27, v26, 1.0
	v_xor_b32_e32 v30, 0x80000000, v28
	v_mul_f32_e64 v29, v1, -v28
.LBB74_17:
	s_or_b64 exec, exec, s[4:5]
	scratch_store_dwordx2 v25, v[28:29], off
	scratch_load_dwordx2 v[26:27], off, off offset:8
	v_xor_b32_e32 v31, 0x80000000, v29
	v_add_u32_e32 v1, 0x60, v24
	s_waitcnt vmcnt(0)
	ds_write2_b64 v24, v[30:31], v[26:27] offset1:12
	s_waitcnt lgkmcnt(0)
	; wave barrier
	s_and_saveexec_b64 s[4:5], s[0:1]
	s_cbranch_execz .LBB74_19
; %bb.18:
	scratch_load_dwordx2 v[26:27], v25, off
	ds_read_b64 v[28:29], v1
	v_mov_b32_e32 v30, 0
	ds_read_b64 v[30:31], v30 offset:8
	s_waitcnt vmcnt(0) lgkmcnt(1)
	v_pk_mul_f32 v[32:33], v[28:29], v[26:27] op_sel:[1,1] op_sel_hi:[0,1]
	v_pk_fma_f32 v[34:35], v[28:29], v[26:27], v[32:33] neg_lo:[0,0,1] neg_hi:[0,0,1]
	v_pk_fma_f32 v[26:27], v[28:29], v[26:27], v[32:33] op_sel_hi:[1,0,1]
	s_nop 0
	v_mov_b32_e32 v35, v27
	v_pk_add_f32 v[26:27], v[34:35], 0 op_sel_hi:[1,0]
	s_waitcnt lgkmcnt(0)
	v_pk_mul_f32 v[28:29], v[26:27], v[30:31] op_sel:[1,1] op_sel_hi:[0,1]
	v_pk_fma_f32 v[32:33], v[26:27], v[30:31], v[28:29] neg_lo:[0,0,1] neg_hi:[0,0,1]
	v_pk_fma_f32 v[26:27], v[26:27], v[30:31], v[28:29] op_sel_hi:[1,0,1]
	s_nop 0
	v_mov_b32_e32 v33, v27
	scratch_store_dwordx2 off, v[32:33], off offset:8
.LBB74_19:
	s_or_b64 exec, exec, s[4:5]
	; wave barrier
	scratch_load_dwordx2 v[26:27], off, off offset:16
	v_cmp_gt_u32_e32 vcc, 2, v0
	s_waitcnt vmcnt(0)
	ds_write_b64 v1, v[26:27]
	s_waitcnt lgkmcnt(0)
	; wave barrier
	s_and_saveexec_b64 s[4:5], vcc
	s_cbranch_execz .LBB74_23
; %bb.20:
	scratch_load_dwordx2 v[26:27], v25, off
	ds_read_b64 v[28:29], v1
	s_waitcnt vmcnt(0) lgkmcnt(0)
	v_pk_mul_f32 v[30:31], v[28:29], v[26:27] op_sel:[1,1] op_sel_hi:[0,1]
	v_pk_fma_f32 v[32:33], v[28:29], v[26:27], v[30:31] neg_lo:[0,0,1] neg_hi:[0,0,1]
	v_pk_fma_f32 v[26:27], v[28:29], v[26:27], v[30:31] op_sel_hi:[1,0,1]
	s_nop 0
	v_mov_b32_e32 v33, v27
	v_pk_add_f32 v[26:27], v[32:33], 0 op_sel_hi:[1,0]
	s_and_saveexec_b64 s[12:13], s[0:1]
	s_cbranch_execz .LBB74_22
; %bb.21:
	scratch_load_dwordx2 v[28:29], off, off offset:8
	v_mov_b32_e32 v25, 0
	ds_read_b64 v[30:31], v25 offset:104
	s_waitcnt vmcnt(0) lgkmcnt(0)
	v_pk_mul_f32 v[32:33], v[30:31], v[28:29] op_sel:[1,1] op_sel_hi:[0,1]
	v_pk_fma_f32 v[34:35], v[30:31], v[28:29], v[32:33] neg_lo:[0,0,1] neg_hi:[0,0,1]
	v_pk_fma_f32 v[28:29], v[30:31], v[28:29], v[32:33] op_sel_hi:[1,0,1]
	s_nop 0
	v_mov_b32_e32 v35, v29
	v_pk_add_f32 v[26:27], v[26:27], v[34:35]
.LBB74_22:
	s_or_b64 exec, exec, s[12:13]
	v_mov_b32_e32 v25, 0
	ds_read_b64 v[28:29], v25 offset:16
	s_waitcnt lgkmcnt(0)
	v_pk_mul_f32 v[30:31], v[26:27], v[28:29] op_sel:[1,1] op_sel_hi:[0,1]
	v_pk_fma_f32 v[32:33], v[26:27], v[28:29], v[30:31] neg_lo:[0,0,1] neg_hi:[0,0,1]
	v_pk_fma_f32 v[26:27], v[26:27], v[28:29], v[30:31] op_sel_hi:[1,0,1]
	s_nop 0
	v_mov_b32_e32 v33, v27
	scratch_store_dwordx2 off, v[32:33], off offset:16
.LBB74_23:
	s_or_b64 exec, exec, s[4:5]
	; wave barrier
	scratch_load_dwordx2 v[26:27], off, off offset:24
	v_cmp_gt_u32_e32 vcc, 3, v0
	v_add_u32_e32 v28, -1, v0
	s_waitcnt vmcnt(0)
	ds_write_b64 v1, v[26:27]
	s_waitcnt lgkmcnt(0)
	; wave barrier
	s_and_saveexec_b64 s[0:1], vcc
	s_cbranch_execz .LBB74_27
; %bb.24:
	v_mov_b32_e32 v26, 0
	v_add_u32_e32 v25, -1, v0
	v_add_u32_e32 v29, 0x60, v24
	v_mov_b32_e32 v30, v24
	s_mov_b64 s[4:5], 0
	v_mov_b32_e32 v27, v26
.LBB74_25:                              ; =>This Inner Loop Header: Depth=1
	scratch_load_dwordx2 v[32:33], v30, off
	ds_read_b64 v[34:35], v29
	v_add_u32_e32 v25, 1, v25
	v_cmp_lt_u32_e32 vcc, 1, v25
	v_add_u32_e32 v29, 8, v29
	v_add_u32_e32 v30, 8, v30
	s_or_b64 s[4:5], vcc, s[4:5]
	s_waitcnt vmcnt(0) lgkmcnt(0)
	v_pk_mul_f32 v[36:37], v[34:35], v[32:33] op_sel:[1,1] op_sel_hi:[0,1]
	v_pk_fma_f32 v[38:39], v[34:35], v[32:33], v[36:37] neg_lo:[0,0,1] neg_hi:[0,0,1]
	v_pk_fma_f32 v[32:33], v[34:35], v[32:33], v[36:37] op_sel_hi:[1,0,1]
	s_nop 0
	v_mov_b32_e32 v39, v33
	v_pk_add_f32 v[26:27], v[26:27], v[38:39]
	s_andn2_b64 exec, exec, s[4:5]
	s_cbranch_execnz .LBB74_25
; %bb.26:
	s_or_b64 exec, exec, s[4:5]
	v_mov_b32_e32 v25, 0
	ds_read_b64 v[30:31], v25 offset:24
	s_waitcnt lgkmcnt(0)
	v_pk_mul_f32 v[32:33], v[26:27], v[30:31] op_sel:[1,1] op_sel_hi:[0,1]
	v_pk_fma_f32 v[34:35], v[26:27], v[30:31], v[32:33] neg_lo:[0,0,1] neg_hi:[0,0,1]
	v_pk_fma_f32 v[26:27], v[26:27], v[30:31], v[32:33] op_sel_hi:[1,0,1]
	s_nop 0
	v_mov_b32_e32 v35, v27
	scratch_store_dwordx2 off, v[34:35], off offset:24
.LBB74_27:
	s_or_b64 exec, exec, s[0:1]
	; wave barrier
	scratch_load_dwordx2 v[26:27], off, off offset:32
	v_cmp_gt_u32_e32 vcc, 4, v0
	s_waitcnt vmcnt(0)
	ds_write_b64 v1, v[26:27]
	s_waitcnt lgkmcnt(0)
	; wave barrier
	s_and_saveexec_b64 s[0:1], vcc
	s_cbranch_execz .LBB74_31
; %bb.28:
	v_mov_b32_e32 v26, 0
	v_add_u32_e32 v25, -1, v0
	v_add_u32_e32 v29, 0x60, v24
	v_mov_b32_e32 v30, v24
	s_mov_b64 s[4:5], 0
	v_mov_b32_e32 v27, v26
.LBB74_29:                              ; =>This Inner Loop Header: Depth=1
	scratch_load_dwordx2 v[32:33], v30, off
	ds_read_b64 v[34:35], v29
	v_add_u32_e32 v25, 1, v25
	v_cmp_lt_u32_e32 vcc, 2, v25
	v_add_u32_e32 v29, 8, v29
	v_add_u32_e32 v30, 8, v30
	s_or_b64 s[4:5], vcc, s[4:5]
	s_waitcnt vmcnt(0) lgkmcnt(0)
	v_pk_mul_f32 v[36:37], v[34:35], v[32:33] op_sel:[1,1] op_sel_hi:[0,1]
	v_pk_fma_f32 v[38:39], v[34:35], v[32:33], v[36:37] neg_lo:[0,0,1] neg_hi:[0,0,1]
	v_pk_fma_f32 v[32:33], v[34:35], v[32:33], v[36:37] op_sel_hi:[1,0,1]
	s_nop 0
	v_mov_b32_e32 v39, v33
	v_pk_add_f32 v[26:27], v[26:27], v[38:39]
	s_andn2_b64 exec, exec, s[4:5]
	s_cbranch_execnz .LBB74_29
; %bb.30:
	s_or_b64 exec, exec, s[4:5]
	v_mov_b32_e32 v25, 0
	ds_read_b64 v[30:31], v25 offset:32
	s_waitcnt lgkmcnt(0)
	v_pk_mul_f32 v[32:33], v[26:27], v[30:31] op_sel:[1,1] op_sel_hi:[0,1]
	v_pk_fma_f32 v[34:35], v[26:27], v[30:31], v[32:33] neg_lo:[0,0,1] neg_hi:[0,0,1]
	v_pk_fma_f32 v[26:27], v[26:27], v[30:31], v[32:33] op_sel_hi:[1,0,1]
	s_nop 0
	v_mov_b32_e32 v35, v27
	scratch_store_dwordx2 off, v[34:35], off offset:32
.LBB74_31:
	s_or_b64 exec, exec, s[0:1]
	; wave barrier
	scratch_load_dwordx2 v[26:27], off, off offset:40
	v_cmp_gt_u32_e32 vcc, 5, v0
	;; [unrolled: 46-line block ×6, first 2 shown]
	s_waitcnt vmcnt(0)
	ds_write_b64 v1, v[26:27]
	s_waitcnt lgkmcnt(0)
	; wave barrier
	s_and_saveexec_b64 s[0:1], vcc
	s_cbranch_execz .LBB74_51
; %bb.48:
	v_mov_b32_e32 v26, 0
	v_add_u32_e32 v25, -1, v0
	v_add_u32_e32 v29, 0x60, v24
	v_mov_b32_e32 v30, v24
	s_mov_b64 s[4:5], 0
	v_mov_b32_e32 v27, v26
.LBB74_49:                              ; =>This Inner Loop Header: Depth=1
	scratch_load_dwordx2 v[32:33], v30, off
	ds_read_b64 v[34:35], v29
	v_add_u32_e32 v25, 1, v25
	v_cmp_lt_u32_e32 vcc, 7, v25
	v_add_u32_e32 v29, 8, v29
	v_add_u32_e32 v30, 8, v30
	s_or_b64 s[4:5], vcc, s[4:5]
	s_waitcnt vmcnt(0) lgkmcnt(0)
	v_pk_mul_f32 v[36:37], v[34:35], v[32:33] op_sel:[1,1] op_sel_hi:[0,1]
	v_pk_fma_f32 v[38:39], v[34:35], v[32:33], v[36:37] neg_lo:[0,0,1] neg_hi:[0,0,1]
	v_pk_fma_f32 v[32:33], v[34:35], v[32:33], v[36:37] op_sel_hi:[1,0,1]
	s_nop 0
	v_mov_b32_e32 v39, v33
	v_pk_add_f32 v[26:27], v[26:27], v[38:39]
	s_andn2_b64 exec, exec, s[4:5]
	s_cbranch_execnz .LBB74_49
; %bb.50:
	s_or_b64 exec, exec, s[4:5]
	v_mov_b32_e32 v25, 0
	ds_read_b64 v[30:31], v25 offset:72
	s_waitcnt lgkmcnt(0)
	v_pk_mul_f32 v[32:33], v[26:27], v[30:31] op_sel:[1,1] op_sel_hi:[0,1]
	v_pk_fma_f32 v[34:35], v[26:27], v[30:31], v[32:33] neg_lo:[0,0,1] neg_hi:[0,0,1]
	v_pk_fma_f32 v[26:27], v[26:27], v[30:31], v[32:33] op_sel_hi:[1,0,1]
	s_nop 0
	v_mov_b32_e32 v35, v27
	scratch_store_dwordx2 off, v[34:35], off offset:72
.LBB74_51:
	s_or_b64 exec, exec, s[0:1]
	; wave barrier
	scratch_load_dwordx2 v[26:27], off, off offset:80
	v_cmp_ne_u32_e32 vcc, 10, v0
	s_waitcnt vmcnt(0)
	ds_write_b64 v1, v[26:27]
	s_waitcnt lgkmcnt(0)
	; wave barrier
	s_and_saveexec_b64 s[0:1], vcc
	s_cbranch_execz .LBB74_55
; %bb.52:
	v_add_u32_e32 v1, 0x60, v24
	v_mov_b32_e32 v26, v24
	v_mov_b32_e32 v24, 0
	s_mov_b64 s[4:5], 0
	v_mov_b32_e32 v25, v24
.LBB74_53:                              ; =>This Inner Loop Header: Depth=1
	scratch_load_dwordx2 v[30:31], v26, off
	ds_read_b64 v[32:33], v1
	v_add_u32_e32 v28, 1, v28
	v_cmp_lt_u32_e32 vcc, 8, v28
	v_add_u32_e32 v1, 8, v1
	v_add_u32_e32 v26, 8, v26
	s_or_b64 s[4:5], vcc, s[4:5]
	s_waitcnt vmcnt(0) lgkmcnt(0)
	v_pk_mul_f32 v[34:35], v[32:33], v[30:31] op_sel:[1,1] op_sel_hi:[0,1]
	v_pk_fma_f32 v[36:37], v[32:33], v[30:31], v[34:35] neg_lo:[0,0,1] neg_hi:[0,0,1]
	v_pk_fma_f32 v[30:31], v[32:33], v[30:31], v[34:35] op_sel_hi:[1,0,1]
	s_nop 0
	v_mov_b32_e32 v37, v31
	v_pk_add_f32 v[24:25], v[24:25], v[36:37]
	s_andn2_b64 exec, exec, s[4:5]
	s_cbranch_execnz .LBB74_53
; %bb.54:
	s_or_b64 exec, exec, s[4:5]
	v_mov_b32_e32 v1, 0
	ds_read_b64 v[26:27], v1 offset:80
	s_waitcnt lgkmcnt(0)
	v_pk_mul_f32 v[28:29], v[24:25], v[26:27] op_sel:[1,1] op_sel_hi:[0,1]
	v_pk_fma_f32 v[30:31], v[24:25], v[26:27], v[28:29] neg_lo:[0,0,1] neg_hi:[0,0,1]
	v_pk_fma_f32 v[24:25], v[24:25], v[26:27], v[28:29] op_sel_hi:[1,0,1]
	s_nop 0
	v_mov_b32_e32 v31, v25
	scratch_store_dwordx2 off, v[30:31], off offset:80
.LBB74_55:
	s_or_b64 exec, exec, s[0:1]
	s_mov_b64 s[4:5], -1
	; wave barrier
.LBB74_56:
	s_and_b64 vcc, exec, s[4:5]
	s_cbranch_vccz .LBB74_58
; %bb.57:
	s_lshl_b64 s[0:1], s[2:3], 2
	s_add_u32 s0, s6, s0
	s_addc_u32 s1, s7, s1
	v_mov_b32_e32 v1, 0
	global_load_dword v1, v1, s[0:1]
	s_waitcnt vmcnt(0)
	v_cmp_ne_u32_e32 vcc, 0, v1
	s_cbranch_vccz .LBB74_59
.LBB74_58:
	s_endpgm
.LBB74_59:
	v_mov_b32_e32 v1, 0x60
	v_lshl_add_u32 v1, v0, 3, v1
	v_cmp_eq_u32_e32 vcc, 10, v0
	s_and_saveexec_b64 s[0:1], vcc
	s_cbranch_execz .LBB74_61
; %bb.60:
	scratch_load_dwordx2 v[24:25], off, off offset:72
	v_mov_b32_e32 v26, 0
	v_mov_b32_e32 v27, v26
	scratch_store_dwordx2 off, v[26:27], off offset:72
	s_waitcnt vmcnt(1)
	ds_write_b64 v1, v[24:25]
.LBB74_61:
	s_or_b64 exec, exec, s[0:1]
	s_waitcnt lgkmcnt(0)
	; wave barrier
	scratch_load_dwordx2 v[26:27], off, off offset:80
	scratch_load_dwordx2 v[28:29], off, off offset:72
	v_mov_b32_e32 v24, 0
	ds_read_b64 v[30:31], v24 offset:176
	v_cmp_lt_u32_e32 vcc, 8, v0
	s_waitcnt vmcnt(1) lgkmcnt(0)
	v_pk_mul_f32 v[32:33], v[30:31], v[26:27] op_sel:[1,1] op_sel_hi:[0,1]
	v_pk_fma_f32 v[34:35], v[30:31], v[26:27], v[32:33] neg_lo:[0,0,1] neg_hi:[0,0,1]
	v_pk_fma_f32 v[26:27], v[30:31], v[26:27], v[32:33] op_sel_hi:[1,0,1]
	s_nop 0
	v_mov_b32_e32 v35, v27
	v_pk_add_f32 v[26:27], v[34:35], 0 op_sel_hi:[1,0]
	s_waitcnt vmcnt(0)
	v_pk_add_f32 v[26:27], v[28:29], v[26:27] neg_lo:[0,1] neg_hi:[0,1]
	scratch_store_dwordx2 off, v[26:27], off offset:72
	s_and_saveexec_b64 s[0:1], vcc
	s_cbranch_execz .LBB74_63
; %bb.62:
	scratch_load_dwordx2 v[26:27], off, off offset:64
	v_mov_b32_e32 v25, v24
	scratch_store_dwordx2 off, v[24:25], off offset:64
	s_waitcnt vmcnt(1)
	ds_write_b64 v1, v[26:27]
.LBB74_63:
	s_or_b64 exec, exec, s[0:1]
	s_waitcnt lgkmcnt(0)
	; wave barrier
	scratch_load_dwordx4 v[26:29], off, off offset:72
	scratch_load_dwordx2 v[34:35], off, off offset:64
	ds_read2_b64 v[30:33], v24 offset0:21 offset1:22
	v_cmp_lt_u32_e32 vcc, 7, v0
	s_waitcnt vmcnt(1) lgkmcnt(0)
	v_pk_mul_f32 v[24:25], v[30:31], v[26:27] op_sel:[1,1] op_sel_hi:[0,1]
	v_mov_b32_e32 v36, v29
	v_pk_fma_f32 v[38:39], v[30:31], v[26:27], v[24:25] neg_lo:[0,0,1] neg_hi:[0,0,1]
	v_pk_fma_f32 v[24:25], v[30:31], v[26:27], v[24:25] op_sel_hi:[1,0,1]
	v_pk_mul_f32 v[26:27], v[32:33], v[36:37] op_sel:[1,0] op_sel_hi:[0,0]
	v_mov_b32_e32 v39, v25
	v_pk_fma_f32 v[24:25], v[32:33], v[28:29], v[26:27] neg_lo:[0,0,1] neg_hi:[0,0,1]
	v_pk_fma_f32 v[26:27], v[32:33], v[28:29], v[26:27] op_sel_hi:[1,0,1]
	v_pk_add_f32 v[28:29], v[38:39], 0 op_sel_hi:[1,0]
	v_mov_b32_e32 v25, v27
	v_pk_add_f32 v[24:25], v[28:29], v[24:25]
	s_waitcnt vmcnt(0)
	v_pk_add_f32 v[24:25], v[34:35], v[24:25] neg_lo:[0,1] neg_hi:[0,1]
	scratch_store_dwordx2 off, v[24:25], off offset:64
	s_and_saveexec_b64 s[0:1], vcc
	s_cbranch_execz .LBB74_65
; %bb.64:
	scratch_load_dwordx2 v[24:25], off, off offset:56
	v_mov_b32_e32 v26, 0
	v_mov_b32_e32 v27, v26
	scratch_store_dwordx2 off, v[26:27], off offset:56
	s_waitcnt vmcnt(1)
	ds_write_b64 v1, v[24:25]
.LBB74_65:
	s_or_b64 exec, exec, s[0:1]
	s_waitcnt lgkmcnt(0)
	; wave barrier
	scratch_load_dwordx4 v[26:29], off, off offset:64
	scratch_load_dwordx2 v[34:35], off, off offset:80
	scratch_load_dwordx2 v[36:37], off, off offset:56
	v_mov_b32_e32 v24, 0
	ds_read_b128 v[30:33], v24 offset:160
	ds_read_b64 v[38:39], v24 offset:176
	v_cmp_lt_u32_e32 vcc, 6, v0
	s_waitcnt vmcnt(2) lgkmcnt(1)
	v_pk_mul_f32 v[40:41], v[30:31], v[26:27] op_sel:[1,1] op_sel_hi:[0,1]
	v_mov_b32_e32 v42, v29
	v_pk_fma_f32 v[46:47], v[30:31], v[26:27], v[40:41] neg_lo:[0,0,1] neg_hi:[0,0,1]
	v_pk_fma_f32 v[26:27], v[30:31], v[26:27], v[40:41] op_sel_hi:[1,0,1]
	v_pk_mul_f32 v[30:31], v[32:33], v[42:43] op_sel:[1,0] op_sel_hi:[0,0]
	s_waitcnt vmcnt(1) lgkmcnt(0)
	v_pk_mul_f32 v[44:45], v[38:39], v[34:35] op_sel:[1,1] op_sel_hi:[0,1]
	v_mov_b32_e32 v47, v27
	v_pk_fma_f32 v[26:27], v[32:33], v[28:29], v[30:31] neg_lo:[0,0,1] neg_hi:[0,0,1]
	v_pk_fma_f32 v[28:29], v[32:33], v[28:29], v[30:31] op_sel_hi:[1,0,1]
	v_pk_fma_f32 v[40:41], v[38:39], v[34:35], v[44:45] neg_lo:[0,0,1] neg_hi:[0,0,1]
	v_pk_fma_f32 v[34:35], v[38:39], v[34:35], v[44:45] op_sel_hi:[1,0,1]
	v_pk_add_f32 v[30:31], v[46:47], 0 op_sel_hi:[1,0]
	v_mov_b32_e32 v27, v29
	v_mov_b32_e32 v41, v35
	v_pk_add_f32 v[26:27], v[30:31], v[26:27]
	s_nop 0
	v_pk_add_f32 v[26:27], v[26:27], v[40:41]
	s_waitcnt vmcnt(0)
	v_pk_add_f32 v[26:27], v[36:37], v[26:27] neg_lo:[0,1] neg_hi:[0,1]
	scratch_store_dwordx2 off, v[26:27], off offset:56
	s_and_saveexec_b64 s[0:1], vcc
	s_cbranch_execz .LBB74_67
; %bb.66:
	scratch_load_dwordx2 v[26:27], off, off offset:48
	v_mov_b32_e32 v25, v24
	scratch_store_dwordx2 off, v[24:25], off offset:48
	s_waitcnt vmcnt(1)
	ds_write_b64 v1, v[26:27]
.LBB74_67:
	s_or_b64 exec, exec, s[0:1]
	s_waitcnt lgkmcnt(0)
	; wave barrier
	scratch_load_dwordx4 v[26:29], off, off offset:56
	scratch_load_dwordx4 v[30:33], off, off offset:72
	scratch_load_dwordx2 v[42:43], off, off offset:48
	ds_read2_b64 v[34:37], v24 offset0:19 offset1:20
	ds_read2_b64 v[38:41], v24 offset0:21 offset1:22
	v_cmp_lt_u32_e32 vcc, 5, v0
	s_waitcnt vmcnt(2) lgkmcnt(1)
	v_pk_mul_f32 v[24:25], v[34:35], v[26:27] op_sel:[1,1] op_sel_hi:[0,1]
	v_mov_b32_e32 v44, v29
	s_waitcnt vmcnt(1) lgkmcnt(0)
	v_pk_mul_f32 v[46:47], v[38:39], v[30:31] op_sel:[1,1] op_sel_hi:[0,1]
	v_mov_b32_e32 v48, v33
	v_pk_fma_f32 v[50:51], v[34:35], v[26:27], v[24:25] neg_lo:[0,0,1] neg_hi:[0,0,1]
	v_pk_fma_f32 v[24:25], v[34:35], v[26:27], v[24:25] op_sel_hi:[1,0,1]
	v_pk_mul_f32 v[26:27], v[36:37], v[44:45] op_sel:[1,0] op_sel_hi:[0,0]
	v_pk_fma_f32 v[34:35], v[38:39], v[30:31], v[46:47] neg_lo:[0,0,1] neg_hi:[0,0,1]
	v_pk_fma_f32 v[30:31], v[38:39], v[30:31], v[46:47] op_sel_hi:[1,0,1]
	v_pk_mul_f32 v[38:39], v[40:41], v[48:49] op_sel:[1,0] op_sel_hi:[0,0]
	v_mov_b32_e32 v51, v25
	v_pk_fma_f32 v[24:25], v[36:37], v[28:29], v[26:27] neg_lo:[0,0,1] neg_hi:[0,0,1]
	v_pk_fma_f32 v[26:27], v[36:37], v[28:29], v[26:27] op_sel_hi:[1,0,1]
	v_mov_b32_e32 v35, v31
	v_pk_fma_f32 v[28:29], v[40:41], v[32:33], v[38:39] neg_lo:[0,0,1] neg_hi:[0,0,1]
	v_pk_fma_f32 v[30:31], v[40:41], v[32:33], v[38:39] op_sel_hi:[1,0,1]
	v_pk_add_f32 v[32:33], v[50:51], 0 op_sel_hi:[1,0]
	v_mov_b32_e32 v25, v27
	v_pk_add_f32 v[24:25], v[32:33], v[24:25]
	v_mov_b32_e32 v29, v31
	v_pk_add_f32 v[24:25], v[24:25], v[34:35]
	s_nop 0
	v_pk_add_f32 v[24:25], v[24:25], v[28:29]
	s_waitcnt vmcnt(0)
	v_pk_add_f32 v[24:25], v[42:43], v[24:25] neg_lo:[0,1] neg_hi:[0,1]
	scratch_store_dwordx2 off, v[24:25], off offset:48
	s_and_saveexec_b64 s[0:1], vcc
	s_cbranch_execz .LBB74_69
; %bb.68:
	scratch_load_dwordx2 v[24:25], off, off offset:40
	v_mov_b32_e32 v26, 0
	v_mov_b32_e32 v27, v26
	scratch_store_dwordx2 off, v[26:27], off offset:40
	s_waitcnt vmcnt(1)
	ds_write_b64 v1, v[24:25]
.LBB74_69:
	s_or_b64 exec, exec, s[0:1]
	s_waitcnt lgkmcnt(0)
	; wave barrier
	scratch_load_dwordx4 v[26:29], off, off offset:48
	scratch_load_dwordx4 v[30:33], off, off offset:64
	scratch_load_dwordx2 v[42:43], off, off offset:80
	scratch_load_dwordx2 v[44:45], off, off offset:40
	v_mov_b32_e32 v24, 0
	ds_read_b128 v[34:37], v24 offset:144
	ds_read_b128 v[38:41], v24 offset:160
	ds_read_b64 v[46:47], v24 offset:176
	v_cmp_lt_u32_e32 vcc, 4, v0
	s_waitcnt vmcnt(3) lgkmcnt(2)
	v_pk_mul_f32 v[48:49], v[34:35], v[26:27] op_sel:[1,1] op_sel_hi:[0,1]
	v_mov_b32_e32 v50, v29
	v_pk_fma_f32 v[58:59], v[34:35], v[26:27], v[48:49] neg_lo:[0,0,1] neg_hi:[0,0,1]
	v_pk_fma_f32 v[26:27], v[34:35], v[26:27], v[48:49] op_sel_hi:[1,0,1]
	v_pk_mul_f32 v[34:35], v[36:37], v[50:51] op_sel:[1,0] op_sel_hi:[0,0]
	s_waitcnt vmcnt(2) lgkmcnt(1)
	v_pk_mul_f32 v[52:53], v[38:39], v[30:31] op_sel:[1,1] op_sel_hi:[0,1]
	v_mov_b32_e32 v54, v33
	v_mov_b32_e32 v59, v27
	v_pk_fma_f32 v[26:27], v[36:37], v[28:29], v[34:35] neg_lo:[0,0,1] neg_hi:[0,0,1]
	v_pk_fma_f32 v[28:29], v[36:37], v[28:29], v[34:35] op_sel_hi:[1,0,1]
	v_pk_fma_f32 v[48:49], v[38:39], v[30:31], v[52:53] neg_lo:[0,0,1] neg_hi:[0,0,1]
	v_pk_fma_f32 v[30:31], v[38:39], v[30:31], v[52:53] op_sel_hi:[1,0,1]
	v_pk_mul_f32 v[38:39], v[40:41], v[54:55] op_sel:[1,0] op_sel_hi:[0,0]
	v_pk_add_f32 v[34:35], v[58:59], 0 op_sel_hi:[1,0]
	v_mov_b32_e32 v27, v29
	s_waitcnt vmcnt(1) lgkmcnt(0)
	v_pk_mul_f32 v[56:57], v[46:47], v[42:43] op_sel:[1,1] op_sel_hi:[0,1]
	v_mov_b32_e32 v49, v31
	v_pk_fma_f32 v[30:31], v[40:41], v[32:33], v[38:39] neg_lo:[0,0,1] neg_hi:[0,0,1]
	v_pk_fma_f32 v[32:33], v[40:41], v[32:33], v[38:39] op_sel_hi:[1,0,1]
	v_pk_add_f32 v[26:27], v[34:35], v[26:27]
	v_pk_fma_f32 v[50:51], v[46:47], v[42:43], v[56:57] neg_lo:[0,0,1] neg_hi:[0,0,1]
	v_pk_fma_f32 v[42:43], v[46:47], v[42:43], v[56:57] op_sel_hi:[1,0,1]
	v_mov_b32_e32 v31, v33
	v_pk_add_f32 v[26:27], v[26:27], v[48:49]
	v_mov_b32_e32 v51, v43
	v_pk_add_f32 v[26:27], v[26:27], v[30:31]
	s_nop 0
	v_pk_add_f32 v[26:27], v[26:27], v[50:51]
	s_waitcnt vmcnt(0)
	v_pk_add_f32 v[26:27], v[44:45], v[26:27] neg_lo:[0,1] neg_hi:[0,1]
	scratch_store_dwordx2 off, v[26:27], off offset:40
	s_and_saveexec_b64 s[0:1], vcc
	s_cbranch_execz .LBB74_71
; %bb.70:
	scratch_load_dwordx2 v[26:27], off, off offset:32
	v_mov_b32_e32 v25, v24
	scratch_store_dwordx2 off, v[24:25], off offset:32
	s_waitcnt vmcnt(1)
	ds_write_b64 v1, v[26:27]
.LBB74_71:
	s_or_b64 exec, exec, s[0:1]
	s_waitcnt lgkmcnt(0)
	; wave barrier
	scratch_load_dwordx4 v[26:29], off, off offset:40
	scratch_load_dwordx4 v[30:33], off, off offset:56
	;; [unrolled: 1-line block ×3, first 2 shown]
	scratch_load_dwordx2 v[50:51], off, off offset:32
	ds_read2_b64 v[38:41], v24 offset0:17 offset1:18
	ds_read2_b64 v[42:45], v24 offset0:19 offset1:20
	;; [unrolled: 1-line block ×3, first 2 shown]
	v_cmp_lt_u32_e32 vcc, 3, v0
	s_waitcnt vmcnt(3) lgkmcnt(2)
	v_pk_mul_f32 v[24:25], v[38:39], v[26:27] op_sel:[1,1] op_sel_hi:[0,1]
	v_mov_b32_e32 v52, v29
	s_waitcnt vmcnt(2) lgkmcnt(1)
	v_pk_mul_f32 v[54:55], v[42:43], v[30:31] op_sel:[1,1] op_sel_hi:[0,1]
	v_mov_b32_e32 v56, v33
	s_waitcnt vmcnt(1) lgkmcnt(0)
	v_pk_mul_f32 v[58:59], v[46:47], v[34:35] op_sel:[1,1] op_sel_hi:[0,1]
	v_mov_b32_e32 v60, v37
	v_pk_fma_f32 v[62:63], v[38:39], v[26:27], v[24:25] neg_lo:[0,0,1] neg_hi:[0,0,1]
	v_pk_fma_f32 v[24:25], v[38:39], v[26:27], v[24:25] op_sel_hi:[1,0,1]
	v_pk_mul_f32 v[26:27], v[40:41], v[52:53] op_sel:[1,0] op_sel_hi:[0,0]
	v_pk_fma_f32 v[38:39], v[42:43], v[30:31], v[54:55] neg_lo:[0,0,1] neg_hi:[0,0,1]
	v_pk_fma_f32 v[30:31], v[42:43], v[30:31], v[54:55] op_sel_hi:[1,0,1]
	v_pk_mul_f32 v[42:43], v[44:45], v[56:57] op_sel:[1,0] op_sel_hi:[0,0]
	;; [unrolled: 3-line block ×3, first 2 shown]
	v_mov_b32_e32 v63, v25
	v_pk_fma_f32 v[24:25], v[40:41], v[28:29], v[26:27] neg_lo:[0,0,1] neg_hi:[0,0,1]
	v_pk_fma_f32 v[26:27], v[40:41], v[28:29], v[26:27] op_sel_hi:[1,0,1]
	v_mov_b32_e32 v39, v31
	v_pk_fma_f32 v[28:29], v[44:45], v[32:33], v[42:43] neg_lo:[0,0,1] neg_hi:[0,0,1]
	v_pk_fma_f32 v[30:31], v[44:45], v[32:33], v[42:43] op_sel_hi:[1,0,1]
	;; [unrolled: 3-line block ×3, first 2 shown]
	v_pk_add_f32 v[36:37], v[62:63], 0 op_sel_hi:[1,0]
	v_mov_b32_e32 v25, v27
	v_pk_add_f32 v[24:25], v[36:37], v[24:25]
	v_mov_b32_e32 v29, v31
	v_pk_add_f32 v[24:25], v[24:25], v[38:39]
	;; [unrolled: 2-line block ×3, first 2 shown]
	s_nop 0
	v_pk_add_f32 v[24:25], v[24:25], v[52:53]
	s_nop 0
	v_pk_add_f32 v[24:25], v[24:25], v[32:33]
	s_waitcnt vmcnt(0)
	v_pk_add_f32 v[24:25], v[50:51], v[24:25] neg_lo:[0,1] neg_hi:[0,1]
	scratch_store_dwordx2 off, v[24:25], off offset:32
	s_and_saveexec_b64 s[0:1], vcc
	s_cbranch_execz .LBB74_73
; %bb.72:
	scratch_load_dwordx2 v[24:25], off, off offset:24
	v_mov_b32_e32 v26, 0
	v_mov_b32_e32 v27, v26
	scratch_store_dwordx2 off, v[26:27], off offset:24
	s_waitcnt vmcnt(1)
	ds_write_b64 v1, v[24:25]
.LBB74_73:
	s_or_b64 exec, exec, s[0:1]
	s_waitcnt lgkmcnt(0)
	; wave barrier
	scratch_load_dwordx4 v[26:29], off, off offset:32
	scratch_load_dwordx4 v[30:33], off, off offset:48
	;; [unrolled: 1-line block ×3, first 2 shown]
	scratch_load_dwordx2 v[50:51], off, off offset:80
	scratch_load_dwordx2 v[52:53], off, off offset:24
	v_mov_b32_e32 v24, 0
	ds_read_b128 v[38:41], v24 offset:128
	ds_read_b128 v[42:45], v24 offset:144
	;; [unrolled: 1-line block ×3, first 2 shown]
	ds_read_b64 v[54:55], v24 offset:176
	v_cmp_lt_u32_e32 vcc, 2, v0
	s_waitcnt vmcnt(4) lgkmcnt(3)
	v_pk_mul_f32 v[56:57], v[38:39], v[26:27] op_sel:[1,1] op_sel_hi:[0,1]
	v_mov_b32_e32 v58, v29
	v_pk_fma_f32 v[70:71], v[38:39], v[26:27], v[56:57] neg_lo:[0,0,1] neg_hi:[0,0,1]
	v_pk_fma_f32 v[26:27], v[38:39], v[26:27], v[56:57] op_sel_hi:[1,0,1]
	v_pk_mul_f32 v[38:39], v[40:41], v[58:59] op_sel:[1,0] op_sel_hi:[0,0]
	s_waitcnt vmcnt(3) lgkmcnt(2)
	v_pk_mul_f32 v[60:61], v[42:43], v[30:31] op_sel:[1,1] op_sel_hi:[0,1]
	v_mov_b32_e32 v62, v33
	v_mov_b32_e32 v71, v27
	v_pk_fma_f32 v[26:27], v[40:41], v[28:29], v[38:39] neg_lo:[0,0,1] neg_hi:[0,0,1]
	v_pk_fma_f32 v[28:29], v[40:41], v[28:29], v[38:39] op_sel_hi:[1,0,1]
	v_pk_fma_f32 v[56:57], v[42:43], v[30:31], v[60:61] neg_lo:[0,0,1] neg_hi:[0,0,1]
	v_pk_fma_f32 v[30:31], v[42:43], v[30:31], v[60:61] op_sel_hi:[1,0,1]
	v_pk_mul_f32 v[42:43], v[44:45], v[62:63] op_sel:[1,0] op_sel_hi:[0,0]
	v_pk_add_f32 v[38:39], v[70:71], 0 op_sel_hi:[1,0]
	v_mov_b32_e32 v27, v29
	s_waitcnt vmcnt(2) lgkmcnt(1)
	v_pk_mul_f32 v[64:65], v[46:47], v[34:35] op_sel:[1,1] op_sel_hi:[0,1]
	v_mov_b32_e32 v66, v37
	v_mov_b32_e32 v57, v31
	v_pk_fma_f32 v[30:31], v[44:45], v[32:33], v[42:43] neg_lo:[0,0,1] neg_hi:[0,0,1]
	v_pk_fma_f32 v[32:33], v[44:45], v[32:33], v[42:43] op_sel_hi:[1,0,1]
	v_pk_add_f32 v[26:27], v[38:39], v[26:27]
	v_pk_fma_f32 v[58:59], v[46:47], v[34:35], v[64:65] neg_lo:[0,0,1] neg_hi:[0,0,1]
	v_pk_fma_f32 v[34:35], v[46:47], v[34:35], v[64:65] op_sel_hi:[1,0,1]
	v_pk_mul_f32 v[46:47], v[48:49], v[66:67] op_sel:[1,0] op_sel_hi:[0,0]
	v_mov_b32_e32 v31, v33
	v_pk_add_f32 v[26:27], v[26:27], v[56:57]
	s_waitcnt vmcnt(1) lgkmcnt(0)
	v_pk_mul_f32 v[68:69], v[54:55], v[50:51] op_sel:[1,1] op_sel_hi:[0,1]
	v_mov_b32_e32 v59, v35
	v_pk_fma_f32 v[34:35], v[48:49], v[36:37], v[46:47] neg_lo:[0,0,1] neg_hi:[0,0,1]
	v_pk_fma_f32 v[36:37], v[48:49], v[36:37], v[46:47] op_sel_hi:[1,0,1]
	v_pk_add_f32 v[26:27], v[26:27], v[30:31]
	v_pk_fma_f32 v[60:61], v[54:55], v[50:51], v[68:69] neg_lo:[0,0,1] neg_hi:[0,0,1]
	v_pk_fma_f32 v[50:51], v[54:55], v[50:51], v[68:69] op_sel_hi:[1,0,1]
	v_mov_b32_e32 v35, v37
	v_pk_add_f32 v[26:27], v[26:27], v[58:59]
	v_mov_b32_e32 v61, v51
	v_pk_add_f32 v[26:27], v[26:27], v[34:35]
	s_nop 0
	v_pk_add_f32 v[26:27], v[26:27], v[60:61]
	s_waitcnt vmcnt(0)
	v_pk_add_f32 v[26:27], v[52:53], v[26:27] neg_lo:[0,1] neg_hi:[0,1]
	scratch_store_dwordx2 off, v[26:27], off offset:24
	s_and_saveexec_b64 s[0:1], vcc
	s_cbranch_execz .LBB74_75
; %bb.74:
	scratch_load_dwordx2 v[26:27], off, off offset:16
	v_mov_b32_e32 v25, v24
	scratch_store_dwordx2 off, v[24:25], off offset:16
	s_waitcnt vmcnt(1)
	ds_write_b64 v1, v[26:27]
.LBB74_75:
	s_or_b64 exec, exec, s[0:1]
	s_waitcnt lgkmcnt(0)
	; wave barrier
	scratch_load_dwordx4 v[26:29], off, off offset:24
	scratch_load_dwordx4 v[30:33], off, off offset:40
	;; [unrolled: 1-line block ×4, first 2 shown]
	scratch_load_dwordx2 v[58:59], off, off offset:16
	ds_read2_b64 v[42:45], v24 offset0:15 offset1:16
	ds_read2_b64 v[46:49], v24 offset0:17 offset1:18
	;; [unrolled: 1-line block ×4, first 2 shown]
	v_cmp_lt_u32_e32 vcc, 1, v0
	s_waitcnt vmcnt(4) lgkmcnt(3)
	v_pk_mul_f32 v[24:25], v[42:43], v[26:27] op_sel:[1,1] op_sel_hi:[0,1]
	v_mov_b32_e32 v60, v29
	s_waitcnt vmcnt(3) lgkmcnt(2)
	v_pk_mul_f32 v[62:63], v[46:47], v[30:31] op_sel:[1,1] op_sel_hi:[0,1]
	v_mov_b32_e32 v64, v33
	;; [unrolled: 3-line block ×4, first 2 shown]
	v_pk_fma_f32 v[74:75], v[42:43], v[26:27], v[24:25] neg_lo:[0,0,1] neg_hi:[0,0,1]
	v_pk_fma_f32 v[24:25], v[42:43], v[26:27], v[24:25] op_sel_hi:[1,0,1]
	v_pk_mul_f32 v[26:27], v[44:45], v[60:61] op_sel:[1,0] op_sel_hi:[0,0]
	v_pk_fma_f32 v[42:43], v[46:47], v[30:31], v[62:63] neg_lo:[0,0,1] neg_hi:[0,0,1]
	v_pk_fma_f32 v[30:31], v[46:47], v[30:31], v[62:63] op_sel_hi:[1,0,1]
	v_pk_mul_f32 v[46:47], v[48:49], v[64:65] op_sel:[1,0] op_sel_hi:[0,0]
	;; [unrolled: 3-line block ×4, first 2 shown]
	v_mov_b32_e32 v75, v25
	v_pk_fma_f32 v[24:25], v[44:45], v[28:29], v[26:27] neg_lo:[0,0,1] neg_hi:[0,0,1]
	v_pk_fma_f32 v[26:27], v[44:45], v[28:29], v[26:27] op_sel_hi:[1,0,1]
	v_mov_b32_e32 v43, v31
	v_pk_fma_f32 v[28:29], v[48:49], v[32:33], v[46:47] neg_lo:[0,0,1] neg_hi:[0,0,1]
	v_pk_fma_f32 v[30:31], v[48:49], v[32:33], v[46:47] op_sel_hi:[1,0,1]
	;; [unrolled: 3-line block ×4, first 2 shown]
	v_pk_add_f32 v[40:41], v[74:75], 0 op_sel_hi:[1,0]
	v_mov_b32_e32 v25, v27
	v_pk_add_f32 v[24:25], v[40:41], v[24:25]
	v_mov_b32_e32 v29, v31
	v_pk_add_f32 v[24:25], v[24:25], v[42:43]
	;; [unrolled: 2-line block ×4, first 2 shown]
	s_nop 0
	v_pk_add_f32 v[24:25], v[24:25], v[32:33]
	s_nop 0
	v_pk_add_f32 v[24:25], v[24:25], v[62:63]
	s_nop 0
	v_pk_add_f32 v[24:25], v[24:25], v[36:37]
	s_waitcnt vmcnt(0)
	v_pk_add_f32 v[24:25], v[58:59], v[24:25] neg_lo:[0,1] neg_hi:[0,1]
	scratch_store_dwordx2 off, v[24:25], off offset:16
	s_and_saveexec_b64 s[0:1], vcc
	s_cbranch_execz .LBB74_77
; %bb.76:
	scratch_load_dwordx2 v[24:25], off, off offset:8
	v_mov_b32_e32 v26, 0
	v_mov_b32_e32 v27, v26
	scratch_store_dwordx2 off, v[26:27], off offset:8
	s_waitcnt vmcnt(1)
	ds_write_b64 v1, v[24:25]
.LBB74_77:
	s_or_b64 exec, exec, s[0:1]
	s_waitcnt lgkmcnt(0)
	; wave barrier
	scratch_load_dwordx4 v[26:29], off, off offset:16
	scratch_load_dwordx4 v[30:33], off, off offset:32
	;; [unrolled: 1-line block ×4, first 2 shown]
	scratch_load_dwordx2 v[58:59], off, off offset:80
	scratch_load_dwordx2 v[60:61], off, off offset:8
	v_mov_b32_e32 v24, 0
	ds_read_b128 v[42:45], v24 offset:112
	ds_read_b128 v[46:49], v24 offset:128
	;; [unrolled: 1-line block ×4, first 2 shown]
	ds_read_b64 v[62:63], v24 offset:176
	v_cmp_ne_u32_e32 vcc, 0, v0
	s_waitcnt vmcnt(5) lgkmcnt(4)
	v_mul_f32_e32 v65, v42, v27
	v_mul_f32_e32 v25, v43, v27
	v_mov_b32_e32 v66, v29
	s_waitcnt vmcnt(4) lgkmcnt(3)
	v_pk_mul_f32 v[68:69], v[46:47], v[30:31] op_sel:[1,1] op_sel_hi:[0,1]
	v_mov_b32_e32 v70, v33
	s_waitcnt vmcnt(1) lgkmcnt(0)
	v_pk_mul_f32 v[80:81], v[62:63], v[58:59] op_sel:[1,1] op_sel_hi:[0,1]
	v_fmac_f32_e32 v65, v43, v26
	v_fma_f32 v64, v42, v26, -v25
	v_pk_mul_f32 v[26:27], v[44:45], v[66:67] op_sel:[1,0] op_sel_hi:[0,0]
	v_pk_fma_f32 v[42:43], v[46:47], v[30:31], v[68:69] neg_lo:[0,0,1] neg_hi:[0,0,1]
	v_pk_fma_f32 v[30:31], v[46:47], v[30:31], v[68:69] op_sel_hi:[1,0,1]
	v_pk_mul_f32 v[46:47], v[48:49], v[70:71] op_sel:[1,0] op_sel_hi:[0,0]
	v_pk_fma_f32 v[70:71], v[62:63], v[58:59], v[80:81] neg_lo:[0,0,1] neg_hi:[0,0,1]
	v_pk_fma_f32 v[58:59], v[62:63], v[58:59], v[80:81] op_sel_hi:[1,0,1]
	v_pk_add_f32 v[62:63], v[64:65], 0 op_sel_hi:[1,0]
	v_pk_fma_f32 v[64:65], v[44:45], v[28:29], v[26:27] neg_lo:[0,0,1] neg_hi:[0,0,1]
	v_pk_fma_f32 v[26:27], v[44:45], v[28:29], v[26:27] op_sel_hi:[1,0,1]
	v_pk_mul_f32 v[72:73], v[50:51], v[34:35] op_sel:[1,1] op_sel_hi:[0,1]
	v_mov_b32_e32 v65, v27
	v_mov_b32_e32 v74, v37
	;; [unrolled: 1-line block ×3, first 2 shown]
	v_pk_fma_f32 v[28:29], v[48:49], v[32:33], v[46:47] neg_lo:[0,0,1] neg_hi:[0,0,1]
	v_pk_fma_f32 v[30:31], v[48:49], v[32:33], v[46:47] op_sel_hi:[1,0,1]
	v_pk_add_f32 v[26:27], v[62:63], v[64:65]
	v_pk_fma_f32 v[66:67], v[50:51], v[34:35], v[72:73] neg_lo:[0,0,1] neg_hi:[0,0,1]
	v_pk_fma_f32 v[34:35], v[50:51], v[34:35], v[72:73] op_sel_hi:[1,0,1]
	v_pk_mul_f32 v[50:51], v[52:53], v[74:75] op_sel:[1,0] op_sel_hi:[0,0]
	v_mov_b32_e32 v29, v31
	v_pk_add_f32 v[26:27], v[26:27], v[42:43]
	v_pk_mul_f32 v[76:77], v[54:55], v[38:39] op_sel:[1,1] op_sel_hi:[0,1]
	v_mov_b32_e32 v78, v41
	v_mov_b32_e32 v67, v35
	v_pk_fma_f32 v[32:33], v[52:53], v[36:37], v[50:51] neg_lo:[0,0,1] neg_hi:[0,0,1]
	v_pk_fma_f32 v[34:35], v[52:53], v[36:37], v[50:51] op_sel_hi:[1,0,1]
	v_pk_add_f32 v[26:27], v[26:27], v[28:29]
	v_pk_fma_f32 v[68:69], v[54:55], v[38:39], v[76:77] neg_lo:[0,0,1] neg_hi:[0,0,1]
	v_pk_fma_f32 v[38:39], v[54:55], v[38:39], v[76:77] op_sel_hi:[1,0,1]
	v_pk_mul_f32 v[54:55], v[56:57], v[78:79] op_sel:[1,0] op_sel_hi:[0,0]
	v_mov_b32_e32 v33, v35
	v_pk_add_f32 v[26:27], v[26:27], v[66:67]
	v_mov_b32_e32 v69, v39
	v_pk_fma_f32 v[36:37], v[56:57], v[40:41], v[54:55] neg_lo:[0,0,1] neg_hi:[0,0,1]
	v_pk_fma_f32 v[38:39], v[56:57], v[40:41], v[54:55] op_sel_hi:[1,0,1]
	v_pk_add_f32 v[26:27], v[26:27], v[32:33]
	v_mov_b32_e32 v37, v39
	v_pk_add_f32 v[26:27], v[26:27], v[68:69]
	v_mov_b32_e32 v71, v59
	v_pk_add_f32 v[26:27], v[26:27], v[36:37]
	s_nop 0
	v_pk_add_f32 v[26:27], v[26:27], v[70:71]
	s_waitcnt vmcnt(0)
	v_pk_add_f32 v[26:27], v[60:61], v[26:27] neg_lo:[0,1] neg_hi:[0,1]
	scratch_store_dwordx2 off, v[26:27], off offset:8
	s_and_saveexec_b64 s[0:1], vcc
	s_cbranch_execz .LBB74_79
; %bb.78:
	scratch_load_dwordx2 v[26:27], off, off
	v_mov_b32_e32 v25, v24
	scratch_store_dwordx2 off, v[24:25], off
	s_waitcnt vmcnt(1)
	ds_write_b64 v1, v[26:27]
.LBB74_79:
	s_or_b64 exec, exec, s[0:1]
	s_waitcnt lgkmcnt(0)
	; wave barrier
	scratch_load_dwordx4 v[26:29], off, off offset:8
	scratch_load_dwordx4 v[30:33], off, off offset:24
	;; [unrolled: 1-line block ×5, first 2 shown]
	scratch_load_dwordx2 v[0:1], off, off
	ds_read2_b64 v[46:49], v24 offset0:13 offset1:14
	ds_read2_b64 v[50:53], v24 offset0:15 offset1:16
	;; [unrolled: 1-line block ×5, first 2 shown]
	s_and_b64 vcc, exec, s[10:11]
	s_waitcnt vmcnt(5) lgkmcnt(4)
	v_mul_f32_e32 v25, v46, v27
	v_mul_f32_e32 v24, v47, v27
	;; [unrolled: 1-line block ×4, first 2 shown]
	s_waitcnt vmcnt(4) lgkmcnt(3)
	v_pk_mul_f32 v[68:69], v[50:51], v[30:31] op_sel:[1,1] op_sel_hi:[0,1]
	v_mov_b32_e32 v70, v33
	v_fmac_f32_e32 v25, v47, v26
	v_fma_f32 v24, v46, v26, -v24
	v_fmac_f32_e32 v67, v49, v28
	v_fma_f32 v66, v48, v28, -v27
	v_pk_fma_f32 v[26:27], v[50:51], v[30:31], v[68:69] neg_lo:[0,0,1] neg_hi:[0,0,1]
	v_pk_fma_f32 v[28:29], v[50:51], v[30:31], v[68:69] op_sel_hi:[1,0,1]
	v_pk_mul_f32 v[30:31], v[52:53], v[70:71] op_sel:[1,0] op_sel_hi:[0,0]
	v_pk_add_f32 v[24:25], v[24:25], 0 op_sel_hi:[1,0]
	s_waitcnt vmcnt(3) lgkmcnt(2)
	v_pk_mul_f32 v[72:73], v[54:55], v[34:35] op_sel:[1,1] op_sel_hi:[0,1]
	v_mov_b32_e32 v74, v37
	v_mov_b32_e32 v27, v29
	v_pk_fma_f32 v[28:29], v[52:53], v[32:33], v[30:31] neg_lo:[0,0,1] neg_hi:[0,0,1]
	v_pk_fma_f32 v[30:31], v[52:53], v[32:33], v[30:31] op_sel_hi:[1,0,1]
	v_pk_add_f32 v[24:25], v[24:25], v[66:67]
	v_pk_fma_f32 v[46:47], v[54:55], v[34:35], v[72:73] neg_lo:[0,0,1] neg_hi:[0,0,1]
	v_pk_fma_f32 v[34:35], v[54:55], v[34:35], v[72:73] op_sel_hi:[1,0,1]
	v_pk_mul_f32 v[48:49], v[56:57], v[74:75] op_sel:[1,0] op_sel_hi:[0,0]
	v_mov_b32_e32 v29, v31
	v_pk_add_f32 v[24:25], v[24:25], v[26:27]
	s_waitcnt vmcnt(2) lgkmcnt(1)
	v_pk_mul_f32 v[76:77], v[58:59], v[38:39] op_sel:[1,1] op_sel_hi:[0,1]
	v_mov_b32_e32 v78, v41
	v_mov_b32_e32 v47, v35
	v_pk_fma_f32 v[32:33], v[56:57], v[36:37], v[48:49] neg_lo:[0,0,1] neg_hi:[0,0,1]
	v_pk_fma_f32 v[34:35], v[56:57], v[36:37], v[48:49] op_sel_hi:[1,0,1]
	v_pk_add_f32 v[24:25], v[24:25], v[28:29]
	v_pk_fma_f32 v[50:51], v[58:59], v[38:39], v[76:77] neg_lo:[0,0,1] neg_hi:[0,0,1]
	v_pk_fma_f32 v[38:39], v[58:59], v[38:39], v[76:77] op_sel_hi:[1,0,1]
	v_pk_mul_f32 v[54:55], v[60:61], v[78:79] op_sel:[1,0] op_sel_hi:[0,0]
	v_mov_b32_e32 v33, v35
	v_pk_add_f32 v[24:25], v[24:25], v[46:47]
	;; [unrolled: 12-line block ×3, first 2 shown]
	v_mov_b32_e32 v59, v43
	v_pk_fma_f32 v[40:41], v[64:65], v[44:45], v[62:63] neg_lo:[0,0,1] neg_hi:[0,0,1]
	v_pk_fma_f32 v[42:43], v[64:65], v[44:45], v[62:63] op_sel_hi:[1,0,1]
	v_pk_add_f32 v[24:25], v[24:25], v[36:37]
	v_mov_b32_e32 v41, v43
	v_pk_add_f32 v[24:25], v[24:25], v[58:59]
	s_nop 0
	v_pk_add_f32 v[24:25], v[24:25], v[40:41]
	s_waitcnt vmcnt(0)
	v_pk_add_f32 v[0:1], v[0:1], v[24:25] neg_lo:[0,1] neg_hi:[0,1]
	scratch_store_dwordx2 off, v[0:1], off
	s_cbranch_vccz .LBB74_100
; %bb.80:
	v_mov_b32_e32 v0, 0
	global_load_dword v1, v0, s[8:9] offset:36
	s_waitcnt vmcnt(0)
	v_readfirstlane_b32 s0, v1
	s_add_i32 s0, s0, -1
	s_cmp_lg_u32 s0, 9
	s_cbranch_scc0 .LBB74_82
; %bb.81:
	s_lshl_b32 s0, s0, 3
	s_nop 0
	scratch_load_dwordx2 v[24:25], off, s0
	scratch_load_dwordx2 v[26:27], off, off offset:72
	s_waitcnt vmcnt(1)
	scratch_store_dwordx2 off, v[24:25], off offset:72
	s_waitcnt vmcnt(1)
	scratch_store_dwordx2 off, v[26:27], s0
.LBB74_82:
	global_load_dword v0, v0, s[8:9] offset:32
	s_waitcnt vmcnt(0)
	v_readfirstlane_b32 s0, v0
	s_add_i32 s0, s0, -1
	s_cmp_eq_u32 s0, 8
	s_cbranch_scc1 .LBB74_84
; %bb.83:
	s_lshl_b32 s0, s0, 3
	s_nop 0
	scratch_load_dwordx2 v[0:1], off, s0
	scratch_load_dwordx2 v[24:25], off, off offset:64
	s_waitcnt vmcnt(1)
	scratch_store_dwordx2 off, v[0:1], off offset:64
	s_waitcnt vmcnt(1)
	scratch_store_dwordx2 off, v[24:25], s0
.LBB74_84:
	v_mov_b32_e32 v0, 0
	global_load_dword v1, v0, s[8:9] offset:28
	s_waitcnt vmcnt(0)
	v_readfirstlane_b32 s0, v1
	s_add_i32 s0, s0, -1
	s_cmp_eq_u32 s0, 7
	s_cbranch_scc1 .LBB74_86
; %bb.85:
	s_lshl_b32 s0, s0, 3
	s_nop 0
	scratch_load_dwordx2 v[24:25], off, s0
	scratch_load_dwordx2 v[26:27], off, off offset:56
	s_waitcnt vmcnt(1)
	scratch_store_dwordx2 off, v[24:25], off offset:56
	s_waitcnt vmcnt(1)
	scratch_store_dwordx2 off, v[26:27], s0
.LBB74_86:
	global_load_dword v0, v0, s[8:9] offset:24
	s_waitcnt vmcnt(0)
	v_readfirstlane_b32 s0, v0
	s_add_i32 s0, s0, -1
	s_cmp_eq_u32 s0, 6
	s_cbranch_scc1 .LBB74_88
; %bb.87:
	s_lshl_b32 s0, s0, 3
	s_nop 0
	scratch_load_dwordx2 v[0:1], off, s0
	scratch_load_dwordx2 v[24:25], off, off offset:48
	s_waitcnt vmcnt(1)
	scratch_store_dwordx2 off, v[0:1], off offset:48
	s_waitcnt vmcnt(1)
	scratch_store_dwordx2 off, v[24:25], s0
.LBB74_88:
	v_mov_b32_e32 v0, 0
	global_load_dword v1, v0, s[8:9] offset:20
	s_waitcnt vmcnt(0)
	v_readfirstlane_b32 s0, v1
	s_add_i32 s0, s0, -1
	s_cmp_eq_u32 s0, 5
	s_cbranch_scc1 .LBB74_90
; %bb.89:
	s_lshl_b32 s0, s0, 3
	s_nop 0
	scratch_load_dwordx2 v[24:25], off, s0
	scratch_load_dwordx2 v[26:27], off, off offset:40
	s_waitcnt vmcnt(1)
	scratch_store_dwordx2 off, v[24:25], off offset:40
	s_waitcnt vmcnt(1)
	scratch_store_dwordx2 off, v[26:27], s0
.LBB74_90:
	;; [unrolled: 33-line block ×4, first 2 shown]
	global_load_dword v24, v0, s[8:9]
	s_nop 0
	scratch_load_dwordx2 v[0:1], off, off
	s_waitcnt vmcnt(1)
	v_readfirstlane_b32 s0, v24
	s_add_i32 s0, s0, -1
	s_cmp_eq_u32 s0, 0
	s_cbranch_scc1 .LBB74_100
; %bb.99:
	s_lshl_b32 s0, s0, 3
	s_nop 0
	scratch_load_dwordx2 v[24:25], off, s0
	s_waitcnt vmcnt(0)
	scratch_store_dwordx2 off, v[24:25], off
	scratch_store_dwordx2 off, v[0:1], s0
	scratch_load_dwordx2 v[0:1], off, off
.LBB74_100:
	s_waitcnt vmcnt(0)
	flat_store_dwordx2 v[2:3], v[0:1]
	scratch_load_dwordx2 v[0:1], off, off offset:8
	s_waitcnt vmcnt(0)
	flat_store_dwordx2 v[4:5], v[0:1]
	scratch_load_dwordx2 v[0:1], off, off offset:16
	;; [unrolled: 3-line block ×10, first 2 shown]
	s_waitcnt vmcnt(0)
	flat_store_dwordx2 v[22:23], v[0:1]
	s_endpgm
	.section	.rodata,"a",@progbits
	.p2align	6, 0x0
	.amdhsa_kernel _ZN9rocsolver6v33100L18getri_kernel_smallILi11E19rocblas_complex_numIfEPKPS3_EEvT1_iilPiilS8_bb
		.amdhsa_group_segment_fixed_size 184
		.amdhsa_private_segment_fixed_size 96
		.amdhsa_kernarg_size 60
		.amdhsa_user_sgpr_count 2
		.amdhsa_user_sgpr_dispatch_ptr 0
		.amdhsa_user_sgpr_queue_ptr 0
		.amdhsa_user_sgpr_kernarg_segment_ptr 1
		.amdhsa_user_sgpr_dispatch_id 0
		.amdhsa_user_sgpr_kernarg_preload_length 0
		.amdhsa_user_sgpr_kernarg_preload_offset 0
		.amdhsa_user_sgpr_private_segment_size 0
		.amdhsa_uses_dynamic_stack 0
		.amdhsa_enable_private_segment 1
		.amdhsa_system_sgpr_workgroup_id_x 1
		.amdhsa_system_sgpr_workgroup_id_y 0
		.amdhsa_system_sgpr_workgroup_id_z 0
		.amdhsa_system_sgpr_workgroup_info 0
		.amdhsa_system_vgpr_workitem_id 0
		.amdhsa_next_free_vgpr 84
		.amdhsa_next_free_sgpr 17
		.amdhsa_accum_offset 84
		.amdhsa_reserve_vcc 1
		.amdhsa_float_round_mode_32 0
		.amdhsa_float_round_mode_16_64 0
		.amdhsa_float_denorm_mode_32 3
		.amdhsa_float_denorm_mode_16_64 3
		.amdhsa_dx10_clamp 1
		.amdhsa_ieee_mode 1
		.amdhsa_fp16_overflow 0
		.amdhsa_tg_split 0
		.amdhsa_exception_fp_ieee_invalid_op 0
		.amdhsa_exception_fp_denorm_src 0
		.amdhsa_exception_fp_ieee_div_zero 0
		.amdhsa_exception_fp_ieee_overflow 0
		.amdhsa_exception_fp_ieee_underflow 0
		.amdhsa_exception_fp_ieee_inexact 0
		.amdhsa_exception_int_div_zero 0
	.end_amdhsa_kernel
	.section	.text._ZN9rocsolver6v33100L18getri_kernel_smallILi11E19rocblas_complex_numIfEPKPS3_EEvT1_iilPiilS8_bb,"axG",@progbits,_ZN9rocsolver6v33100L18getri_kernel_smallILi11E19rocblas_complex_numIfEPKPS3_EEvT1_iilPiilS8_bb,comdat
.Lfunc_end74:
	.size	_ZN9rocsolver6v33100L18getri_kernel_smallILi11E19rocblas_complex_numIfEPKPS3_EEvT1_iilPiilS8_bb, .Lfunc_end74-_ZN9rocsolver6v33100L18getri_kernel_smallILi11E19rocblas_complex_numIfEPKPS3_EEvT1_iilPiilS8_bb
                                        ; -- End function
	.set _ZN9rocsolver6v33100L18getri_kernel_smallILi11E19rocblas_complex_numIfEPKPS3_EEvT1_iilPiilS8_bb.num_vgpr, 84
	.set _ZN9rocsolver6v33100L18getri_kernel_smallILi11E19rocblas_complex_numIfEPKPS3_EEvT1_iilPiilS8_bb.num_agpr, 0
	.set _ZN9rocsolver6v33100L18getri_kernel_smallILi11E19rocblas_complex_numIfEPKPS3_EEvT1_iilPiilS8_bb.numbered_sgpr, 17
	.set _ZN9rocsolver6v33100L18getri_kernel_smallILi11E19rocblas_complex_numIfEPKPS3_EEvT1_iilPiilS8_bb.num_named_barrier, 0
	.set _ZN9rocsolver6v33100L18getri_kernel_smallILi11E19rocblas_complex_numIfEPKPS3_EEvT1_iilPiilS8_bb.private_seg_size, 96
	.set _ZN9rocsolver6v33100L18getri_kernel_smallILi11E19rocblas_complex_numIfEPKPS3_EEvT1_iilPiilS8_bb.uses_vcc, 1
	.set _ZN9rocsolver6v33100L18getri_kernel_smallILi11E19rocblas_complex_numIfEPKPS3_EEvT1_iilPiilS8_bb.uses_flat_scratch, 0
	.set _ZN9rocsolver6v33100L18getri_kernel_smallILi11E19rocblas_complex_numIfEPKPS3_EEvT1_iilPiilS8_bb.has_dyn_sized_stack, 0
	.set _ZN9rocsolver6v33100L18getri_kernel_smallILi11E19rocblas_complex_numIfEPKPS3_EEvT1_iilPiilS8_bb.has_recursion, 0
	.set _ZN9rocsolver6v33100L18getri_kernel_smallILi11E19rocblas_complex_numIfEPKPS3_EEvT1_iilPiilS8_bb.has_indirect_call, 0
	.section	.AMDGPU.csdata,"",@progbits
; Kernel info:
; codeLenInByte = 7976
; TotalNumSgprs: 23
; NumVgprs: 84
; NumAgprs: 0
; TotalNumVgprs: 84
; ScratchSize: 96
; MemoryBound: 0
; FloatMode: 240
; IeeeMode: 1
; LDSByteSize: 184 bytes/workgroup (compile time only)
; SGPRBlocks: 2
; VGPRBlocks: 10
; NumSGPRsForWavesPerEU: 23
; NumVGPRsForWavesPerEU: 84
; AccumOffset: 84
; Occupancy: 5
; WaveLimiterHint : 1
; COMPUTE_PGM_RSRC2:SCRATCH_EN: 1
; COMPUTE_PGM_RSRC2:USER_SGPR: 2
; COMPUTE_PGM_RSRC2:TRAP_HANDLER: 0
; COMPUTE_PGM_RSRC2:TGID_X_EN: 1
; COMPUTE_PGM_RSRC2:TGID_Y_EN: 0
; COMPUTE_PGM_RSRC2:TGID_Z_EN: 0
; COMPUTE_PGM_RSRC2:TIDIG_COMP_CNT: 0
; COMPUTE_PGM_RSRC3_GFX90A:ACCUM_OFFSET: 20
; COMPUTE_PGM_RSRC3_GFX90A:TG_SPLIT: 0
	.section	.text._ZN9rocsolver6v33100L18getri_kernel_smallILi12E19rocblas_complex_numIfEPKPS3_EEvT1_iilPiilS8_bb,"axG",@progbits,_ZN9rocsolver6v33100L18getri_kernel_smallILi12E19rocblas_complex_numIfEPKPS3_EEvT1_iilPiilS8_bb,comdat
	.globl	_ZN9rocsolver6v33100L18getri_kernel_smallILi12E19rocblas_complex_numIfEPKPS3_EEvT1_iilPiilS8_bb ; -- Begin function _ZN9rocsolver6v33100L18getri_kernel_smallILi12E19rocblas_complex_numIfEPKPS3_EEvT1_iilPiilS8_bb
	.p2align	8
	.type	_ZN9rocsolver6v33100L18getri_kernel_smallILi12E19rocblas_complex_numIfEPKPS3_EEvT1_iilPiilS8_bb,@function
_ZN9rocsolver6v33100L18getri_kernel_smallILi12E19rocblas_complex_numIfEPKPS3_EEvT1_iilPiilS8_bb: ; @_ZN9rocsolver6v33100L18getri_kernel_smallILi12E19rocblas_complex_numIfEPKPS3_EEvT1_iilPiilS8_bb
; %bb.0:
	v_cmp_gt_u32_e32 vcc, 12, v0
	s_and_saveexec_b64 s[4:5], vcc
	s_cbranch_execz .LBB75_62
; %bb.1:
	s_load_dword s14, s[0:1], 0x38
	s_load_dwordx2 s[8:9], s[0:1], 0x0
	s_load_dwordx4 s[4:7], s[0:1], 0x28
	s_waitcnt lgkmcnt(0)
	s_bitcmp1_b32 s14, 8
	s_cselect_b64 s[10:11], -1, 0
	s_ashr_i32 s3, s2, 31
	s_lshl_b64 s[12:13], s[2:3], 3
	s_add_u32 s8, s8, s12
	s_addc_u32 s9, s9, s13
	s_load_dwordx2 s[12:13], s[8:9], 0x0
	s_bfe_u32 s8, s14, 0x10008
	s_cmp_eq_u32 s8, 0
                                        ; implicit-def: $sgpr8_sgpr9
	s_cbranch_scc1 .LBB75_3
; %bb.2:
	s_load_dword s8, s[0:1], 0x20
	s_load_dwordx2 s[14:15], s[0:1], 0x18
	s_mul_i32 s9, s4, s3
	s_mul_hi_u32 s16, s4, s2
	s_add_i32 s16, s16, s9
	s_mul_i32 s5, s5, s2
	s_add_i32 s5, s16, s5
	s_mul_i32 s4, s4, s2
	s_waitcnt lgkmcnt(0)
	s_ashr_i32 s9, s8, 31
	s_lshl_b64 s[4:5], s[4:5], 2
	s_add_u32 s14, s14, s4
	s_addc_u32 s15, s15, s5
	s_lshl_b64 s[4:5], s[8:9], 2
	s_add_u32 s8, s14, s4
	s_addc_u32 s9, s15, s5
.LBB75_3:
	s_load_dwordx2 s[4:5], s[0:1], 0x8
	s_load_dword s14, s[0:1], 0x38
	v_lshlrev_b32_e32 v26, 3, v0
	v_mov_b32_e32 v27, 0
	s_waitcnt lgkmcnt(0)
	s_ashr_i32 s1, s4, 31
	s_mov_b32 s0, s4
	s_lshl_b64 s[0:1], s[0:1], 3
	s_add_u32 s0, s12, s0
	s_addc_u32 s1, s13, s1
	v_lshl_add_u64 v[2:3], s[0:1], 0, v[26:27]
	flat_load_dwordx2 v[6:7], v[2:3]
	s_mov_b32 s12, s5
	s_ashr_i32 s13, s5, 31
	v_lshl_add_u64 v[4:5], s[12:13], 3, v[2:3]
	s_add_i32 s4, s5, s5
	v_add_u32_e32 v10, s4, v0
	v_ashrrev_i32_e32 v11, 31, v10
	s_bitcmp0_b32 s14, 0
	s_waitcnt vmcnt(0) lgkmcnt(0)
	scratch_store_dwordx2 off, v[6:7], off
	flat_load_dwordx2 v[8:9], v[4:5]
	v_lshl_add_u64 v[6:7], v[10:11], 3, s[0:1]
	v_add_u32_e32 v10, s5, v10
	v_ashrrev_i32_e32 v11, 31, v10
	v_add_u32_e32 v14, s5, v10
	v_ashrrev_i32_e32 v15, 31, v14
	s_waitcnt vmcnt(0) lgkmcnt(0)
	scratch_store_dwordx2 off, v[8:9], off offset:8
	flat_load_dwordx2 v[12:13], v[6:7]
	v_lshl_add_u64 v[8:9], v[10:11], 3, s[0:1]
	v_lshl_add_u64 v[10:11], v[14:15], 3, s[0:1]
	v_add_u32_e32 v14, s5, v14
	v_ashrrev_i32_e32 v15, 31, v14
	v_add_u32_e32 v18, s5, v14
	v_ashrrev_i32_e32 v19, 31, v18
	s_waitcnt vmcnt(0) lgkmcnt(0)
	scratch_store_dwordx2 off, v[12:13], off offset:16
	flat_load_dwordx2 v[12:13], v[8:9]
	s_waitcnt vmcnt(0) lgkmcnt(0)
	scratch_store_dwordx2 off, v[12:13], off offset:24
	flat_load_dwordx2 v[16:17], v[10:11]
	v_lshl_add_u64 v[12:13], v[14:15], 3, s[0:1]
	v_lshl_add_u64 v[14:15], v[18:19], 3, s[0:1]
	v_add_u32_e32 v18, s5, v18
	v_ashrrev_i32_e32 v19, 31, v18
	v_add_u32_e32 v22, s5, v18
	v_ashrrev_i32_e32 v23, 31, v22
	s_waitcnt vmcnt(0) lgkmcnt(0)
	scratch_store_dwordx2 off, v[16:17], off offset:32
	flat_load_dwordx2 v[16:17], v[12:13]
	;; [unrolled: 12-line block ×3, first 2 shown]
	s_waitcnt vmcnt(0) lgkmcnt(0)
	scratch_store_dwordx2 off, v[20:21], off offset:56
	flat_load_dwordx2 v[24:25], v[18:19]
	v_lshl_add_u64 v[20:21], v[22:23], 3, s[0:1]
	v_lshl_add_u64 v[22:23], v[28:29], 3, s[0:1]
	s_waitcnt vmcnt(0) lgkmcnt(0)
	scratch_store_dwordx2 off, v[24:25], off offset:64
	flat_load_dwordx2 v[24:25], v[20:21]
	s_waitcnt vmcnt(0) lgkmcnt(0)
	scratch_store_dwordx2 off, v[24:25], off offset:72
	flat_load_dwordx2 v[30:31], v[22:23]
	v_add_u32_e32 v24, s5, v28
	v_ashrrev_i32_e32 v25, 31, v24
	v_lshl_add_u64 v[24:25], v[24:25], 3, s[0:1]
	s_mov_b64 s[4:5], -1
	s_waitcnt vmcnt(0) lgkmcnt(0)
	scratch_store_dwordx2 off, v[30:31], off offset:80
	flat_load_dwordx2 v[28:29], v[24:25]
	s_waitcnt vmcnt(0) lgkmcnt(0)
	scratch_store_dwordx2 off, v[28:29], off offset:88
	s_cbranch_scc1 .LBB75_60
; %bb.4:
	v_cmp_eq_u32_e64 s[0:1], 0, v0
	s_and_saveexec_b64 s[4:5], s[0:1]
; %bb.5:
	v_mov_b32_e32 v1, 0
	ds_write_b32 v1, v1 offset:192
; %bb.6:
	s_or_b64 exec, exec, s[4:5]
	s_waitcnt lgkmcnt(0)
	; wave barrier
	scratch_load_dwordx2 v[28:29], v26, off
	s_waitcnt vmcnt(0)
	v_cmp_eq_f32_e32 vcc, 0, v28
	v_cmp_eq_f32_e64 s[4:5], 0, v29
	s_and_b64 s[4:5], vcc, s[4:5]
	s_and_saveexec_b64 s[12:13], s[4:5]
	s_cbranch_execz .LBB75_10
; %bb.7:
	v_mov_b32_e32 v1, 0
	ds_read_b32 v28, v1 offset:192
	v_add_u32_e32 v27, 1, v0
	s_waitcnt lgkmcnt(0)
	v_readfirstlane_b32 s4, v28
	s_cmp_eq_u32 s4, 0
	s_cselect_b64 s[14:15], -1, 0
	v_cmp_gt_i32_e32 vcc, s4, v27
	s_or_b64 s[14:15], s[14:15], vcc
	s_and_b64 exec, exec, s[14:15]
	s_cbranch_execz .LBB75_10
; %bb.8:
	s_mov_b64 s[14:15], 0
	v_mov_b32_e32 v28, s4
.LBB75_9:                               ; =>This Inner Loop Header: Depth=1
	ds_cmpst_rtn_b32 v28, v1, v28, v27 offset:192
	s_waitcnt lgkmcnt(0)
	v_cmp_ne_u32_e32 vcc, 0, v28
	v_cmp_le_i32_e64 s[4:5], v28, v27
	s_and_b64 s[4:5], vcc, s[4:5]
	s_and_b64 s[4:5], exec, s[4:5]
	s_or_b64 s[14:15], s[4:5], s[14:15]
	s_andn2_b64 exec, exec, s[14:15]
	s_cbranch_execnz .LBB75_9
.LBB75_10:
	s_or_b64 exec, exec, s[12:13]
	v_mov_b32_e32 v27, 0
	; wave barrier
	ds_read_b32 v1, v27 offset:192
	s_and_saveexec_b64 s[4:5], s[0:1]
	s_cbranch_execz .LBB75_12
; %bb.11:
	s_lshl_b64 s[12:13], s[2:3], 2
	s_add_u32 s12, s6, s12
	s_addc_u32 s13, s7, s13
	s_waitcnt lgkmcnt(0)
	global_store_dword v27, v1, s[12:13]
.LBB75_12:
	s_or_b64 exec, exec, s[4:5]
	s_waitcnt lgkmcnt(0)
	v_cmp_ne_u32_e32 vcc, 0, v1
	s_mov_b64 s[4:5], 0
	s_cbranch_vccnz .LBB75_60
; %bb.13:
	v_mov_b32_e32 v27, v26
	scratch_load_dwordx2 v[28:29], v27, off
                                        ; implicit-def: $vgpr31
                                        ; implicit-def: $vgpr32
	s_waitcnt vmcnt(0)
	v_cmp_ngt_f32_e64 s[4:5], |v28|, |v29|
	s_and_saveexec_b64 s[12:13], s[4:5]
	s_xor_b64 s[4:5], exec, s[12:13]
	s_cbranch_execz .LBB75_15
; %bb.14:
	v_div_scale_f32 v1, s[12:13], v29, v29, v28
	v_rcp_f32_e32 v30, v1
	v_div_scale_f32 v31, vcc, v28, v29, v28
	v_fma_f32 v32, -v1, v30, 1.0
	v_fmac_f32_e32 v30, v32, v30
	v_mul_f32_e32 v32, v31, v30
	v_fma_f32 v33, -v1, v32, v31
	v_fmac_f32_e32 v32, v33, v30
	v_fma_f32 v1, -v1, v32, v31
	v_div_fmas_f32 v1, v1, v30, v32
	v_div_fixup_f32 v1, v1, v29, v28
	v_fmac_f32_e32 v29, v28, v1
	v_div_scale_f32 v28, s[12:13], v29, v29, -1.0
	v_rcp_f32_e32 v30, v28
	s_nop 0
	v_fma_f32 v31, -v28, v30, 1.0
	v_fmac_f32_e32 v30, v31, v30
	v_div_scale_f32 v31, vcc, -1.0, v29, -1.0
	v_mul_f32_e32 v32, v31, v30
	v_fma_f32 v33, -v28, v32, v31
	v_fmac_f32_e32 v32, v33, v30
	v_fma_f32 v28, -v28, v32, v31
	v_div_fmas_f32 v28, v28, v30, v32
	v_div_fixup_f32 v31, v28, v29, -1.0
	v_mul_f32_e32 v32, v1, v31
	v_xor_b32_e32 v30, 0x80000000, v32
                                        ; implicit-def: $vgpr28_vgpr29
.LBB75_15:
	s_andn2_saveexec_b64 s[4:5], s[4:5]
	s_cbranch_execz .LBB75_17
; %bb.16:
	v_div_scale_f32 v1, s[12:13], v28, v28, v29
	v_rcp_f32_e32 v30, v1
	v_div_scale_f32 v31, vcc, v29, v28, v29
	v_fma_f32 v32, -v1, v30, 1.0
	v_fmac_f32_e32 v30, v32, v30
	v_mul_f32_e32 v32, v31, v30
	v_fma_f32 v33, -v1, v32, v31
	v_fmac_f32_e32 v32, v33, v30
	v_fma_f32 v1, -v1, v32, v31
	v_div_fmas_f32 v1, v1, v30, v32
	v_div_fixup_f32 v1, v1, v28, v29
	v_fmac_f32_e32 v28, v29, v1
	v_div_scale_f32 v29, s[12:13], v28, v28, 1.0
	v_rcp_f32_e32 v30, v29
	s_nop 0
	v_fma_f32 v31, -v29, v30, 1.0
	v_fmac_f32_e32 v30, v31, v30
	v_div_scale_f32 v31, vcc, 1.0, v28, 1.0
	v_mul_f32_e32 v32, v31, v30
	v_fma_f32 v33, -v29, v32, v31
	v_fmac_f32_e32 v32, v33, v30
	v_fma_f32 v29, -v29, v32, v31
	v_div_fmas_f32 v29, v29, v30, v32
	v_div_fixup_f32 v30, v29, v28, 1.0
	v_xor_b32_e32 v32, 0x80000000, v30
	v_mul_f32_e64 v31, v1, -v30
.LBB75_17:
	s_or_b64 exec, exec, s[4:5]
	scratch_store_dwordx2 v27, v[30:31], off
	scratch_load_dwordx2 v[28:29], off, off offset:8
	v_xor_b32_e32 v33, 0x80000000, v31
	v_add_u32_e32 v1, 0x60, v26
	s_waitcnt vmcnt(0)
	ds_write2_b64 v26, v[32:33], v[28:29] offset1:12
	s_waitcnt lgkmcnt(0)
	; wave barrier
	s_and_saveexec_b64 s[4:5], s[0:1]
	s_cbranch_execz .LBB75_19
; %bb.18:
	scratch_load_dwordx2 v[28:29], v27, off
	ds_read_b64 v[30:31], v1
	v_mov_b32_e32 v32, 0
	ds_read_b64 v[32:33], v32 offset:8
	s_waitcnt vmcnt(0) lgkmcnt(1)
	v_pk_mul_f32 v[34:35], v[30:31], v[28:29] op_sel:[1,1] op_sel_hi:[0,1]
	v_pk_fma_f32 v[36:37], v[30:31], v[28:29], v[34:35] neg_lo:[0,0,1] neg_hi:[0,0,1]
	v_pk_fma_f32 v[28:29], v[30:31], v[28:29], v[34:35] op_sel_hi:[1,0,1]
	s_nop 0
	v_mov_b32_e32 v37, v29
	v_pk_add_f32 v[28:29], v[36:37], 0 op_sel_hi:[1,0]
	s_waitcnt lgkmcnt(0)
	v_pk_mul_f32 v[30:31], v[28:29], v[32:33] op_sel:[1,1] op_sel_hi:[0,1]
	v_pk_fma_f32 v[34:35], v[28:29], v[32:33], v[30:31] neg_lo:[0,0,1] neg_hi:[0,0,1]
	v_pk_fma_f32 v[28:29], v[28:29], v[32:33], v[30:31] op_sel_hi:[1,0,1]
	s_nop 0
	v_mov_b32_e32 v35, v29
	scratch_store_dwordx2 off, v[34:35], off offset:8
.LBB75_19:
	s_or_b64 exec, exec, s[4:5]
	; wave barrier
	scratch_load_dwordx2 v[28:29], off, off offset:16
	v_cmp_gt_u32_e32 vcc, 2, v0
	s_waitcnt vmcnt(0)
	ds_write_b64 v1, v[28:29]
	s_waitcnt lgkmcnt(0)
	; wave barrier
	s_and_saveexec_b64 s[4:5], vcc
	s_cbranch_execz .LBB75_23
; %bb.20:
	scratch_load_dwordx2 v[28:29], v27, off
	ds_read_b64 v[30:31], v1
	s_waitcnt vmcnt(0) lgkmcnt(0)
	v_pk_mul_f32 v[32:33], v[30:31], v[28:29] op_sel:[1,1] op_sel_hi:[0,1]
	v_pk_fma_f32 v[34:35], v[30:31], v[28:29], v[32:33] neg_lo:[0,0,1] neg_hi:[0,0,1]
	v_pk_fma_f32 v[28:29], v[30:31], v[28:29], v[32:33] op_sel_hi:[1,0,1]
	s_nop 0
	v_mov_b32_e32 v35, v29
	v_pk_add_f32 v[28:29], v[34:35], 0 op_sel_hi:[1,0]
	s_and_saveexec_b64 s[12:13], s[0:1]
	s_cbranch_execz .LBB75_22
; %bb.21:
	scratch_load_dwordx2 v[30:31], off, off offset:8
	v_mov_b32_e32 v27, 0
	ds_read_b64 v[32:33], v27 offset:104
	s_waitcnt vmcnt(0) lgkmcnt(0)
	v_pk_mul_f32 v[34:35], v[32:33], v[30:31] op_sel:[1,1] op_sel_hi:[0,1]
	v_pk_fma_f32 v[36:37], v[32:33], v[30:31], v[34:35] neg_lo:[0,0,1] neg_hi:[0,0,1]
	v_pk_fma_f32 v[30:31], v[32:33], v[30:31], v[34:35] op_sel_hi:[1,0,1]
	s_nop 0
	v_mov_b32_e32 v37, v31
	v_pk_add_f32 v[28:29], v[28:29], v[36:37]
.LBB75_22:
	s_or_b64 exec, exec, s[12:13]
	v_mov_b32_e32 v27, 0
	ds_read_b64 v[30:31], v27 offset:16
	s_waitcnt lgkmcnt(0)
	v_pk_mul_f32 v[32:33], v[28:29], v[30:31] op_sel:[1,1] op_sel_hi:[0,1]
	v_pk_fma_f32 v[34:35], v[28:29], v[30:31], v[32:33] neg_lo:[0,0,1] neg_hi:[0,0,1]
	v_pk_fma_f32 v[28:29], v[28:29], v[30:31], v[32:33] op_sel_hi:[1,0,1]
	s_nop 0
	v_mov_b32_e32 v35, v29
	scratch_store_dwordx2 off, v[34:35], off offset:16
.LBB75_23:
	s_or_b64 exec, exec, s[4:5]
	; wave barrier
	scratch_load_dwordx2 v[28:29], off, off offset:24
	v_cmp_gt_u32_e32 vcc, 3, v0
	v_add_u32_e32 v30, -1, v0
	s_waitcnt vmcnt(0)
	ds_write_b64 v1, v[28:29]
	s_waitcnt lgkmcnt(0)
	; wave barrier
	s_and_saveexec_b64 s[0:1], vcc
	s_cbranch_execz .LBB75_27
; %bb.24:
	v_mov_b32_e32 v28, 0
	v_add_u32_e32 v27, -1, v0
	v_add_u32_e32 v31, 0x60, v26
	v_mov_b32_e32 v32, v26
	s_mov_b64 s[4:5], 0
	v_mov_b32_e32 v29, v28
.LBB75_25:                              ; =>This Inner Loop Header: Depth=1
	scratch_load_dwordx2 v[34:35], v32, off
	ds_read_b64 v[36:37], v31
	v_add_u32_e32 v27, 1, v27
	v_cmp_lt_u32_e32 vcc, 1, v27
	v_add_u32_e32 v31, 8, v31
	v_add_u32_e32 v32, 8, v32
	s_or_b64 s[4:5], vcc, s[4:5]
	s_waitcnt vmcnt(0) lgkmcnt(0)
	v_pk_mul_f32 v[38:39], v[36:37], v[34:35] op_sel:[1,1] op_sel_hi:[0,1]
	v_pk_fma_f32 v[40:41], v[36:37], v[34:35], v[38:39] neg_lo:[0,0,1] neg_hi:[0,0,1]
	v_pk_fma_f32 v[34:35], v[36:37], v[34:35], v[38:39] op_sel_hi:[1,0,1]
	s_nop 0
	v_mov_b32_e32 v41, v35
	v_pk_add_f32 v[28:29], v[28:29], v[40:41]
	s_andn2_b64 exec, exec, s[4:5]
	s_cbranch_execnz .LBB75_25
; %bb.26:
	s_or_b64 exec, exec, s[4:5]
	v_mov_b32_e32 v27, 0
	ds_read_b64 v[32:33], v27 offset:24
	s_waitcnt lgkmcnt(0)
	v_pk_mul_f32 v[34:35], v[28:29], v[32:33] op_sel:[1,1] op_sel_hi:[0,1]
	v_pk_fma_f32 v[36:37], v[28:29], v[32:33], v[34:35] neg_lo:[0,0,1] neg_hi:[0,0,1]
	v_pk_fma_f32 v[28:29], v[28:29], v[32:33], v[34:35] op_sel_hi:[1,0,1]
	s_nop 0
	v_mov_b32_e32 v37, v29
	scratch_store_dwordx2 off, v[36:37], off offset:24
.LBB75_27:
	s_or_b64 exec, exec, s[0:1]
	; wave barrier
	scratch_load_dwordx2 v[28:29], off, off offset:32
	v_cmp_gt_u32_e32 vcc, 4, v0
	s_waitcnt vmcnt(0)
	ds_write_b64 v1, v[28:29]
	s_waitcnt lgkmcnt(0)
	; wave barrier
	s_and_saveexec_b64 s[0:1], vcc
	s_cbranch_execz .LBB75_31
; %bb.28:
	v_mov_b32_e32 v28, 0
	v_add_u32_e32 v27, -1, v0
	v_add_u32_e32 v31, 0x60, v26
	v_mov_b32_e32 v32, v26
	s_mov_b64 s[4:5], 0
	v_mov_b32_e32 v29, v28
.LBB75_29:                              ; =>This Inner Loop Header: Depth=1
	scratch_load_dwordx2 v[34:35], v32, off
	ds_read_b64 v[36:37], v31
	v_add_u32_e32 v27, 1, v27
	v_cmp_lt_u32_e32 vcc, 2, v27
	v_add_u32_e32 v31, 8, v31
	v_add_u32_e32 v32, 8, v32
	s_or_b64 s[4:5], vcc, s[4:5]
	s_waitcnt vmcnt(0) lgkmcnt(0)
	v_pk_mul_f32 v[38:39], v[36:37], v[34:35] op_sel:[1,1] op_sel_hi:[0,1]
	v_pk_fma_f32 v[40:41], v[36:37], v[34:35], v[38:39] neg_lo:[0,0,1] neg_hi:[0,0,1]
	v_pk_fma_f32 v[34:35], v[36:37], v[34:35], v[38:39] op_sel_hi:[1,0,1]
	s_nop 0
	v_mov_b32_e32 v41, v35
	v_pk_add_f32 v[28:29], v[28:29], v[40:41]
	s_andn2_b64 exec, exec, s[4:5]
	s_cbranch_execnz .LBB75_29
; %bb.30:
	s_or_b64 exec, exec, s[4:5]
	v_mov_b32_e32 v27, 0
	ds_read_b64 v[32:33], v27 offset:32
	s_waitcnt lgkmcnt(0)
	v_pk_mul_f32 v[34:35], v[28:29], v[32:33] op_sel:[1,1] op_sel_hi:[0,1]
	v_pk_fma_f32 v[36:37], v[28:29], v[32:33], v[34:35] neg_lo:[0,0,1] neg_hi:[0,0,1]
	v_pk_fma_f32 v[28:29], v[28:29], v[32:33], v[34:35] op_sel_hi:[1,0,1]
	s_nop 0
	v_mov_b32_e32 v37, v29
	scratch_store_dwordx2 off, v[36:37], off offset:32
.LBB75_31:
	s_or_b64 exec, exec, s[0:1]
	; wave barrier
	scratch_load_dwordx2 v[28:29], off, off offset:40
	v_cmp_gt_u32_e32 vcc, 5, v0
	;; [unrolled: 46-line block ×7, first 2 shown]
	s_waitcnt vmcnt(0)
	ds_write_b64 v1, v[28:29]
	s_waitcnt lgkmcnt(0)
	; wave barrier
	s_and_saveexec_b64 s[0:1], vcc
	s_cbranch_execz .LBB75_55
; %bb.52:
	v_mov_b32_e32 v28, 0
	v_add_u32_e32 v27, -1, v0
	v_add_u32_e32 v31, 0x60, v26
	v_mov_b32_e32 v32, v26
	s_mov_b64 s[4:5], 0
	v_mov_b32_e32 v29, v28
.LBB75_53:                              ; =>This Inner Loop Header: Depth=1
	scratch_load_dwordx2 v[34:35], v32, off
	ds_read_b64 v[36:37], v31
	v_add_u32_e32 v27, 1, v27
	v_cmp_lt_u32_e32 vcc, 8, v27
	v_add_u32_e32 v31, 8, v31
	v_add_u32_e32 v32, 8, v32
	s_or_b64 s[4:5], vcc, s[4:5]
	s_waitcnt vmcnt(0) lgkmcnt(0)
	v_pk_mul_f32 v[38:39], v[36:37], v[34:35] op_sel:[1,1] op_sel_hi:[0,1]
	v_pk_fma_f32 v[40:41], v[36:37], v[34:35], v[38:39] neg_lo:[0,0,1] neg_hi:[0,0,1]
	v_pk_fma_f32 v[34:35], v[36:37], v[34:35], v[38:39] op_sel_hi:[1,0,1]
	s_nop 0
	v_mov_b32_e32 v41, v35
	v_pk_add_f32 v[28:29], v[28:29], v[40:41]
	s_andn2_b64 exec, exec, s[4:5]
	s_cbranch_execnz .LBB75_53
; %bb.54:
	s_or_b64 exec, exec, s[4:5]
	v_mov_b32_e32 v27, 0
	ds_read_b64 v[32:33], v27 offset:80
	s_waitcnt lgkmcnt(0)
	v_pk_mul_f32 v[34:35], v[28:29], v[32:33] op_sel:[1,1] op_sel_hi:[0,1]
	v_pk_fma_f32 v[36:37], v[28:29], v[32:33], v[34:35] neg_lo:[0,0,1] neg_hi:[0,0,1]
	v_pk_fma_f32 v[28:29], v[28:29], v[32:33], v[34:35] op_sel_hi:[1,0,1]
	s_nop 0
	v_mov_b32_e32 v37, v29
	scratch_store_dwordx2 off, v[36:37], off offset:80
.LBB75_55:
	s_or_b64 exec, exec, s[0:1]
	; wave barrier
	scratch_load_dwordx2 v[28:29], off, off offset:88
	v_cmp_ne_u32_e32 vcc, 11, v0
	s_waitcnt vmcnt(0)
	ds_write_b64 v1, v[28:29]
	s_waitcnt lgkmcnt(0)
	; wave barrier
	s_and_saveexec_b64 s[0:1], vcc
	s_cbranch_execz .LBB75_59
; %bb.56:
	v_add_u32_e32 v1, 0x60, v26
	v_mov_b32_e32 v28, v26
	v_mov_b32_e32 v26, 0
	s_mov_b64 s[4:5], 0
	v_mov_b32_e32 v27, v26
.LBB75_57:                              ; =>This Inner Loop Header: Depth=1
	scratch_load_dwordx2 v[32:33], v28, off
	ds_read_b64 v[34:35], v1
	v_add_u32_e32 v30, 1, v30
	v_cmp_lt_u32_e32 vcc, 9, v30
	v_add_u32_e32 v1, 8, v1
	v_add_u32_e32 v28, 8, v28
	s_or_b64 s[4:5], vcc, s[4:5]
	s_waitcnt vmcnt(0) lgkmcnt(0)
	v_pk_mul_f32 v[36:37], v[34:35], v[32:33] op_sel:[1,1] op_sel_hi:[0,1]
	v_pk_fma_f32 v[38:39], v[34:35], v[32:33], v[36:37] neg_lo:[0,0,1] neg_hi:[0,0,1]
	v_pk_fma_f32 v[32:33], v[34:35], v[32:33], v[36:37] op_sel_hi:[1,0,1]
	s_nop 0
	v_mov_b32_e32 v39, v33
	v_pk_add_f32 v[26:27], v[26:27], v[38:39]
	s_andn2_b64 exec, exec, s[4:5]
	s_cbranch_execnz .LBB75_57
; %bb.58:
	s_or_b64 exec, exec, s[4:5]
	v_mov_b32_e32 v1, 0
	ds_read_b64 v[28:29], v1 offset:88
	s_waitcnt lgkmcnt(0)
	v_pk_mul_f32 v[30:31], v[26:27], v[28:29] op_sel:[1,1] op_sel_hi:[0,1]
	v_pk_fma_f32 v[32:33], v[26:27], v[28:29], v[30:31] neg_lo:[0,0,1] neg_hi:[0,0,1]
	v_pk_fma_f32 v[26:27], v[26:27], v[28:29], v[30:31] op_sel_hi:[1,0,1]
	s_nop 0
	v_mov_b32_e32 v33, v27
	scratch_store_dwordx2 off, v[32:33], off offset:88
.LBB75_59:
	s_or_b64 exec, exec, s[0:1]
	s_mov_b64 s[4:5], -1
	; wave barrier
.LBB75_60:
	s_and_b64 vcc, exec, s[4:5]
	s_cbranch_vccz .LBB75_62
; %bb.61:
	s_lshl_b64 s[0:1], s[2:3], 2
	s_add_u32 s0, s6, s0
	s_addc_u32 s1, s7, s1
	v_mov_b32_e32 v1, 0
	global_load_dword v1, v1, s[0:1]
	s_waitcnt vmcnt(0)
	v_cmp_ne_u32_e32 vcc, 0, v1
	s_cbranch_vccz .LBB75_63
.LBB75_62:
	s_endpgm
.LBB75_63:
	v_mov_b32_e32 v1, 0x60
	v_lshl_add_u32 v1, v0, 3, v1
	v_cmp_eq_u32_e32 vcc, 11, v0
	s_and_saveexec_b64 s[0:1], vcc
	s_cbranch_execz .LBB75_65
; %bb.64:
	scratch_load_dwordx2 v[26:27], off, off offset:80
	v_mov_b32_e32 v28, 0
	v_mov_b32_e32 v29, v28
	scratch_store_dwordx2 off, v[28:29], off offset:80
	s_waitcnt vmcnt(1)
	ds_write_b64 v1, v[26:27]
.LBB75_65:
	s_or_b64 exec, exec, s[0:1]
	s_waitcnt lgkmcnt(0)
	; wave barrier
	scratch_load_dwordx2 v[28:29], off, off offset:88
	scratch_load_dwordx2 v[30:31], off, off offset:80
	v_mov_b32_e32 v26, 0
	ds_read_b64 v[32:33], v26 offset:184
	v_cmp_lt_u32_e32 vcc, 9, v0
	s_waitcnt vmcnt(1) lgkmcnt(0)
	v_pk_mul_f32 v[34:35], v[32:33], v[28:29] op_sel:[1,1] op_sel_hi:[0,1]
	v_pk_fma_f32 v[36:37], v[32:33], v[28:29], v[34:35] neg_lo:[0,0,1] neg_hi:[0,0,1]
	v_pk_fma_f32 v[28:29], v[32:33], v[28:29], v[34:35] op_sel_hi:[1,0,1]
	s_nop 0
	v_mov_b32_e32 v37, v29
	v_pk_add_f32 v[28:29], v[36:37], 0 op_sel_hi:[1,0]
	s_waitcnt vmcnt(0)
	v_pk_add_f32 v[28:29], v[30:31], v[28:29] neg_lo:[0,1] neg_hi:[0,1]
	scratch_store_dwordx2 off, v[28:29], off offset:80
	s_and_saveexec_b64 s[0:1], vcc
	s_cbranch_execz .LBB75_67
; %bb.66:
	scratch_load_dwordx2 v[28:29], off, off offset:72
	v_mov_b32_e32 v27, v26
	scratch_store_dwordx2 off, v[26:27], off offset:72
	s_waitcnt vmcnt(1)
	ds_write_b64 v1, v[28:29]
.LBB75_67:
	s_or_b64 exec, exec, s[0:1]
	s_waitcnt lgkmcnt(0)
	; wave barrier
	scratch_load_dwordx4 v[28:31], off, off offset:80
	scratch_load_dwordx2 v[36:37], off, off offset:72
	ds_read_b128 v[32:35], v26 offset:176
	v_cmp_lt_u32_e32 vcc, 8, v0
	s_waitcnt vmcnt(1) lgkmcnt(0)
	v_pk_mul_f32 v[26:27], v[32:33], v[28:29] op_sel:[1,1] op_sel_hi:[0,1]
	v_mov_b32_e32 v38, v31
	v_pk_fma_f32 v[40:41], v[32:33], v[28:29], v[26:27] neg_lo:[0,0,1] neg_hi:[0,0,1]
	v_pk_fma_f32 v[26:27], v[32:33], v[28:29], v[26:27] op_sel_hi:[1,0,1]
	v_pk_mul_f32 v[28:29], v[34:35], v[38:39] op_sel:[1,0] op_sel_hi:[0,0]
	v_mov_b32_e32 v41, v27
	v_pk_fma_f32 v[26:27], v[34:35], v[30:31], v[28:29] neg_lo:[0,0,1] neg_hi:[0,0,1]
	v_pk_fma_f32 v[28:29], v[34:35], v[30:31], v[28:29] op_sel_hi:[1,0,1]
	v_pk_add_f32 v[30:31], v[40:41], 0 op_sel_hi:[1,0]
	v_mov_b32_e32 v27, v29
	v_pk_add_f32 v[26:27], v[30:31], v[26:27]
	s_waitcnt vmcnt(0)
	v_pk_add_f32 v[26:27], v[36:37], v[26:27] neg_lo:[0,1] neg_hi:[0,1]
	scratch_store_dwordx2 off, v[26:27], off offset:72
	s_and_saveexec_b64 s[0:1], vcc
	s_cbranch_execz .LBB75_69
; %bb.68:
	scratch_load_dwordx2 v[26:27], off, off offset:64
	v_mov_b32_e32 v28, 0
	v_mov_b32_e32 v29, v28
	scratch_store_dwordx2 off, v[28:29], off offset:64
	s_waitcnt vmcnt(1)
	ds_write_b64 v1, v[26:27]
.LBB75_69:
	s_or_b64 exec, exec, s[0:1]
	s_waitcnt lgkmcnt(0)
	; wave barrier
	scratch_load_dwordx4 v[28:31], off, off offset:72
	scratch_load_dwordx2 v[36:37], off, off offset:88
	scratch_load_dwordx2 v[38:39], off, off offset:64
	v_mov_b32_e32 v26, 0
	ds_read2_b64 v[32:35], v26 offset0:21 offset1:22
	ds_read_b64 v[40:41], v26 offset:184
	v_cmp_lt_u32_e32 vcc, 7, v0
	s_waitcnt vmcnt(2) lgkmcnt(1)
	v_pk_mul_f32 v[42:43], v[32:33], v[28:29] op_sel:[1,1] op_sel_hi:[0,1]
	v_mov_b32_e32 v44, v31
	v_pk_fma_f32 v[48:49], v[32:33], v[28:29], v[42:43] neg_lo:[0,0,1] neg_hi:[0,0,1]
	v_pk_fma_f32 v[28:29], v[32:33], v[28:29], v[42:43] op_sel_hi:[1,0,1]
	v_pk_mul_f32 v[32:33], v[34:35], v[44:45] op_sel:[1,0] op_sel_hi:[0,0]
	s_waitcnt vmcnt(1) lgkmcnt(0)
	v_pk_mul_f32 v[46:47], v[40:41], v[36:37] op_sel:[1,1] op_sel_hi:[0,1]
	v_mov_b32_e32 v49, v29
	v_pk_fma_f32 v[28:29], v[34:35], v[30:31], v[32:33] neg_lo:[0,0,1] neg_hi:[0,0,1]
	v_pk_fma_f32 v[30:31], v[34:35], v[30:31], v[32:33] op_sel_hi:[1,0,1]
	v_pk_fma_f32 v[42:43], v[40:41], v[36:37], v[46:47] neg_lo:[0,0,1] neg_hi:[0,0,1]
	v_pk_fma_f32 v[36:37], v[40:41], v[36:37], v[46:47] op_sel_hi:[1,0,1]
	v_pk_add_f32 v[32:33], v[48:49], 0 op_sel_hi:[1,0]
	v_mov_b32_e32 v29, v31
	v_mov_b32_e32 v43, v37
	v_pk_add_f32 v[28:29], v[32:33], v[28:29]
	s_nop 0
	v_pk_add_f32 v[28:29], v[28:29], v[42:43]
	s_waitcnt vmcnt(0)
	v_pk_add_f32 v[28:29], v[38:39], v[28:29] neg_lo:[0,1] neg_hi:[0,1]
	scratch_store_dwordx2 off, v[28:29], off offset:64
	s_and_saveexec_b64 s[0:1], vcc
	s_cbranch_execz .LBB75_71
; %bb.70:
	scratch_load_dwordx2 v[28:29], off, off offset:56
	v_mov_b32_e32 v27, v26
	scratch_store_dwordx2 off, v[26:27], off offset:56
	s_waitcnt vmcnt(1)
	ds_write_b64 v1, v[28:29]
.LBB75_71:
	s_or_b64 exec, exec, s[0:1]
	s_waitcnt lgkmcnt(0)
	; wave barrier
	scratch_load_dwordx4 v[28:31], off, off offset:64
	scratch_load_dwordx4 v[32:35], off, off offset:80
	scratch_load_dwordx2 v[44:45], off, off offset:56
	ds_read_b128 v[36:39], v26 offset:160
	ds_read_b128 v[40:43], v26 offset:176
	v_cmp_lt_u32_e32 vcc, 6, v0
	s_waitcnt vmcnt(2) lgkmcnt(1)
	v_pk_mul_f32 v[26:27], v[36:37], v[28:29] op_sel:[1,1] op_sel_hi:[0,1]
	v_mov_b32_e32 v46, v31
	s_waitcnt vmcnt(1) lgkmcnt(0)
	v_pk_mul_f32 v[48:49], v[40:41], v[32:33] op_sel:[1,1] op_sel_hi:[0,1]
	v_mov_b32_e32 v50, v35
	v_pk_fma_f32 v[52:53], v[36:37], v[28:29], v[26:27] neg_lo:[0,0,1] neg_hi:[0,0,1]
	v_pk_fma_f32 v[26:27], v[36:37], v[28:29], v[26:27] op_sel_hi:[1,0,1]
	v_pk_mul_f32 v[28:29], v[38:39], v[46:47] op_sel:[1,0] op_sel_hi:[0,0]
	v_pk_fma_f32 v[36:37], v[40:41], v[32:33], v[48:49] neg_lo:[0,0,1] neg_hi:[0,0,1]
	v_pk_fma_f32 v[32:33], v[40:41], v[32:33], v[48:49] op_sel_hi:[1,0,1]
	v_pk_mul_f32 v[40:41], v[42:43], v[50:51] op_sel:[1,0] op_sel_hi:[0,0]
	v_mov_b32_e32 v53, v27
	v_pk_fma_f32 v[26:27], v[38:39], v[30:31], v[28:29] neg_lo:[0,0,1] neg_hi:[0,0,1]
	v_pk_fma_f32 v[28:29], v[38:39], v[30:31], v[28:29] op_sel_hi:[1,0,1]
	v_mov_b32_e32 v37, v33
	v_pk_fma_f32 v[30:31], v[42:43], v[34:35], v[40:41] neg_lo:[0,0,1] neg_hi:[0,0,1]
	v_pk_fma_f32 v[32:33], v[42:43], v[34:35], v[40:41] op_sel_hi:[1,0,1]
	v_pk_add_f32 v[34:35], v[52:53], 0 op_sel_hi:[1,0]
	v_mov_b32_e32 v27, v29
	v_pk_add_f32 v[26:27], v[34:35], v[26:27]
	v_mov_b32_e32 v31, v33
	v_pk_add_f32 v[26:27], v[26:27], v[36:37]
	s_nop 0
	v_pk_add_f32 v[26:27], v[26:27], v[30:31]
	s_waitcnt vmcnt(0)
	v_pk_add_f32 v[26:27], v[44:45], v[26:27] neg_lo:[0,1] neg_hi:[0,1]
	scratch_store_dwordx2 off, v[26:27], off offset:56
	s_and_saveexec_b64 s[0:1], vcc
	s_cbranch_execz .LBB75_73
; %bb.72:
	scratch_load_dwordx2 v[26:27], off, off offset:48
	v_mov_b32_e32 v28, 0
	v_mov_b32_e32 v29, v28
	scratch_store_dwordx2 off, v[28:29], off offset:48
	s_waitcnt vmcnt(1)
	ds_write_b64 v1, v[26:27]
.LBB75_73:
	s_or_b64 exec, exec, s[0:1]
	s_waitcnt lgkmcnt(0)
	; wave barrier
	scratch_load_dwordx4 v[28:31], off, off offset:56
	scratch_load_dwordx4 v[32:35], off, off offset:72
	scratch_load_dwordx2 v[44:45], off, off offset:88
	scratch_load_dwordx2 v[46:47], off, off offset:48
	v_mov_b32_e32 v26, 0
	ds_read2_b64 v[36:39], v26 offset0:19 offset1:20
	ds_read2_b64 v[40:43], v26 offset0:21 offset1:22
	ds_read_b64 v[48:49], v26 offset:184
	v_cmp_lt_u32_e32 vcc, 5, v0
	s_waitcnt vmcnt(3) lgkmcnt(2)
	v_pk_mul_f32 v[50:51], v[36:37], v[28:29] op_sel:[1,1] op_sel_hi:[0,1]
	v_mov_b32_e32 v52, v31
	v_pk_fma_f32 v[60:61], v[36:37], v[28:29], v[50:51] neg_lo:[0,0,1] neg_hi:[0,0,1]
	v_pk_fma_f32 v[28:29], v[36:37], v[28:29], v[50:51] op_sel_hi:[1,0,1]
	v_pk_mul_f32 v[36:37], v[38:39], v[52:53] op_sel:[1,0] op_sel_hi:[0,0]
	s_waitcnt vmcnt(2) lgkmcnt(1)
	v_pk_mul_f32 v[54:55], v[40:41], v[32:33] op_sel:[1,1] op_sel_hi:[0,1]
	v_mov_b32_e32 v56, v35
	v_mov_b32_e32 v61, v29
	v_pk_fma_f32 v[28:29], v[38:39], v[30:31], v[36:37] neg_lo:[0,0,1] neg_hi:[0,0,1]
	v_pk_fma_f32 v[30:31], v[38:39], v[30:31], v[36:37] op_sel_hi:[1,0,1]
	v_pk_fma_f32 v[50:51], v[40:41], v[32:33], v[54:55] neg_lo:[0,0,1] neg_hi:[0,0,1]
	v_pk_fma_f32 v[32:33], v[40:41], v[32:33], v[54:55] op_sel_hi:[1,0,1]
	v_pk_mul_f32 v[40:41], v[42:43], v[56:57] op_sel:[1,0] op_sel_hi:[0,0]
	v_pk_add_f32 v[36:37], v[60:61], 0 op_sel_hi:[1,0]
	v_mov_b32_e32 v29, v31
	s_waitcnt vmcnt(1) lgkmcnt(0)
	v_pk_mul_f32 v[58:59], v[48:49], v[44:45] op_sel:[1,1] op_sel_hi:[0,1]
	v_mov_b32_e32 v51, v33
	v_pk_fma_f32 v[32:33], v[42:43], v[34:35], v[40:41] neg_lo:[0,0,1] neg_hi:[0,0,1]
	v_pk_fma_f32 v[34:35], v[42:43], v[34:35], v[40:41] op_sel_hi:[1,0,1]
	v_pk_add_f32 v[28:29], v[36:37], v[28:29]
	v_pk_fma_f32 v[52:53], v[48:49], v[44:45], v[58:59] neg_lo:[0,0,1] neg_hi:[0,0,1]
	v_pk_fma_f32 v[44:45], v[48:49], v[44:45], v[58:59] op_sel_hi:[1,0,1]
	v_mov_b32_e32 v33, v35
	v_pk_add_f32 v[28:29], v[28:29], v[50:51]
	v_mov_b32_e32 v53, v45
	v_pk_add_f32 v[28:29], v[28:29], v[32:33]
	s_nop 0
	v_pk_add_f32 v[28:29], v[28:29], v[52:53]
	s_waitcnt vmcnt(0)
	v_pk_add_f32 v[28:29], v[46:47], v[28:29] neg_lo:[0,1] neg_hi:[0,1]
	scratch_store_dwordx2 off, v[28:29], off offset:48
	s_and_saveexec_b64 s[0:1], vcc
	s_cbranch_execz .LBB75_75
; %bb.74:
	scratch_load_dwordx2 v[28:29], off, off offset:40
	v_mov_b32_e32 v27, v26
	scratch_store_dwordx2 off, v[26:27], off offset:40
	s_waitcnt vmcnt(1)
	ds_write_b64 v1, v[28:29]
.LBB75_75:
	s_or_b64 exec, exec, s[0:1]
	s_waitcnt lgkmcnt(0)
	; wave barrier
	scratch_load_dwordx4 v[28:31], off, off offset:48
	scratch_load_dwordx4 v[32:35], off, off offset:64
	;; [unrolled: 1-line block ×3, first 2 shown]
	scratch_load_dwordx2 v[52:53], off, off offset:40
	ds_read_b128 v[40:43], v26 offset:144
	ds_read_b128 v[44:47], v26 offset:160
	;; [unrolled: 1-line block ×3, first 2 shown]
	v_cmp_lt_u32_e32 vcc, 4, v0
	s_waitcnt vmcnt(3) lgkmcnt(2)
	v_pk_mul_f32 v[26:27], v[40:41], v[28:29] op_sel:[1,1] op_sel_hi:[0,1]
	v_mov_b32_e32 v54, v31
	s_waitcnt vmcnt(2) lgkmcnt(1)
	v_pk_mul_f32 v[56:57], v[44:45], v[32:33] op_sel:[1,1] op_sel_hi:[0,1]
	v_mov_b32_e32 v58, v35
	;; [unrolled: 3-line block ×3, first 2 shown]
	v_pk_fma_f32 v[64:65], v[40:41], v[28:29], v[26:27] neg_lo:[0,0,1] neg_hi:[0,0,1]
	v_pk_fma_f32 v[26:27], v[40:41], v[28:29], v[26:27] op_sel_hi:[1,0,1]
	v_pk_mul_f32 v[28:29], v[42:43], v[54:55] op_sel:[1,0] op_sel_hi:[0,0]
	v_pk_fma_f32 v[40:41], v[44:45], v[32:33], v[56:57] neg_lo:[0,0,1] neg_hi:[0,0,1]
	v_pk_fma_f32 v[32:33], v[44:45], v[32:33], v[56:57] op_sel_hi:[1,0,1]
	v_pk_mul_f32 v[44:45], v[46:47], v[58:59] op_sel:[1,0] op_sel_hi:[0,0]
	;; [unrolled: 3-line block ×3, first 2 shown]
	v_mov_b32_e32 v65, v27
	v_pk_fma_f32 v[26:27], v[42:43], v[30:31], v[28:29] neg_lo:[0,0,1] neg_hi:[0,0,1]
	v_pk_fma_f32 v[28:29], v[42:43], v[30:31], v[28:29] op_sel_hi:[1,0,1]
	v_mov_b32_e32 v41, v33
	v_pk_fma_f32 v[30:31], v[46:47], v[34:35], v[44:45] neg_lo:[0,0,1] neg_hi:[0,0,1]
	v_pk_fma_f32 v[32:33], v[46:47], v[34:35], v[44:45] op_sel_hi:[1,0,1]
	;; [unrolled: 3-line block ×3, first 2 shown]
	v_pk_add_f32 v[38:39], v[64:65], 0 op_sel_hi:[1,0]
	v_mov_b32_e32 v27, v29
	v_pk_add_f32 v[26:27], v[38:39], v[26:27]
	v_mov_b32_e32 v31, v33
	v_pk_add_f32 v[26:27], v[26:27], v[40:41]
	;; [unrolled: 2-line block ×3, first 2 shown]
	s_nop 0
	v_pk_add_f32 v[26:27], v[26:27], v[54:55]
	s_nop 0
	v_pk_add_f32 v[26:27], v[26:27], v[34:35]
	s_waitcnt vmcnt(0)
	v_pk_add_f32 v[26:27], v[52:53], v[26:27] neg_lo:[0,1] neg_hi:[0,1]
	scratch_store_dwordx2 off, v[26:27], off offset:40
	s_and_saveexec_b64 s[0:1], vcc
	s_cbranch_execz .LBB75_77
; %bb.76:
	scratch_load_dwordx2 v[26:27], off, off offset:32
	v_mov_b32_e32 v28, 0
	v_mov_b32_e32 v29, v28
	scratch_store_dwordx2 off, v[28:29], off offset:32
	s_waitcnt vmcnt(1)
	ds_write_b64 v1, v[26:27]
.LBB75_77:
	s_or_b64 exec, exec, s[0:1]
	s_waitcnt lgkmcnt(0)
	; wave barrier
	scratch_load_dwordx4 v[28:31], off, off offset:40
	scratch_load_dwordx4 v[32:35], off, off offset:56
	;; [unrolled: 1-line block ×3, first 2 shown]
	scratch_load_dwordx2 v[52:53], off, off offset:88
	scratch_load_dwordx2 v[54:55], off, off offset:32
	v_mov_b32_e32 v26, 0
	ds_read2_b64 v[40:43], v26 offset0:17 offset1:18
	ds_read2_b64 v[44:47], v26 offset0:19 offset1:20
	;; [unrolled: 1-line block ×3, first 2 shown]
	ds_read_b64 v[56:57], v26 offset:184
	v_cmp_lt_u32_e32 vcc, 3, v0
	s_waitcnt vmcnt(4) lgkmcnt(3)
	v_pk_mul_f32 v[58:59], v[40:41], v[28:29] op_sel:[1,1] op_sel_hi:[0,1]
	v_mov_b32_e32 v60, v31
	v_pk_fma_f32 v[72:73], v[40:41], v[28:29], v[58:59] neg_lo:[0,0,1] neg_hi:[0,0,1]
	v_pk_fma_f32 v[28:29], v[40:41], v[28:29], v[58:59] op_sel_hi:[1,0,1]
	v_pk_mul_f32 v[40:41], v[42:43], v[60:61] op_sel:[1,0] op_sel_hi:[0,0]
	s_waitcnt vmcnt(3) lgkmcnt(2)
	v_pk_mul_f32 v[62:63], v[44:45], v[32:33] op_sel:[1,1] op_sel_hi:[0,1]
	v_mov_b32_e32 v64, v35
	v_mov_b32_e32 v73, v29
	v_pk_fma_f32 v[28:29], v[42:43], v[30:31], v[40:41] neg_lo:[0,0,1] neg_hi:[0,0,1]
	v_pk_fma_f32 v[30:31], v[42:43], v[30:31], v[40:41] op_sel_hi:[1,0,1]
	v_pk_fma_f32 v[58:59], v[44:45], v[32:33], v[62:63] neg_lo:[0,0,1] neg_hi:[0,0,1]
	v_pk_fma_f32 v[32:33], v[44:45], v[32:33], v[62:63] op_sel_hi:[1,0,1]
	v_pk_mul_f32 v[44:45], v[46:47], v[64:65] op_sel:[1,0] op_sel_hi:[0,0]
	v_pk_add_f32 v[40:41], v[72:73], 0 op_sel_hi:[1,0]
	v_mov_b32_e32 v29, v31
	s_waitcnt vmcnt(2) lgkmcnt(1)
	v_pk_mul_f32 v[66:67], v[48:49], v[36:37] op_sel:[1,1] op_sel_hi:[0,1]
	v_mov_b32_e32 v68, v39
	v_mov_b32_e32 v59, v33
	v_pk_fma_f32 v[32:33], v[46:47], v[34:35], v[44:45] neg_lo:[0,0,1] neg_hi:[0,0,1]
	v_pk_fma_f32 v[34:35], v[46:47], v[34:35], v[44:45] op_sel_hi:[1,0,1]
	v_pk_add_f32 v[28:29], v[40:41], v[28:29]
	v_pk_fma_f32 v[60:61], v[48:49], v[36:37], v[66:67] neg_lo:[0,0,1] neg_hi:[0,0,1]
	v_pk_fma_f32 v[36:37], v[48:49], v[36:37], v[66:67] op_sel_hi:[1,0,1]
	v_pk_mul_f32 v[48:49], v[50:51], v[68:69] op_sel:[1,0] op_sel_hi:[0,0]
	v_mov_b32_e32 v33, v35
	v_pk_add_f32 v[28:29], v[28:29], v[58:59]
	s_waitcnt vmcnt(1) lgkmcnt(0)
	v_pk_mul_f32 v[70:71], v[56:57], v[52:53] op_sel:[1,1] op_sel_hi:[0,1]
	v_mov_b32_e32 v61, v37
	v_pk_fma_f32 v[36:37], v[50:51], v[38:39], v[48:49] neg_lo:[0,0,1] neg_hi:[0,0,1]
	v_pk_fma_f32 v[38:39], v[50:51], v[38:39], v[48:49] op_sel_hi:[1,0,1]
	v_pk_add_f32 v[28:29], v[28:29], v[32:33]
	v_pk_fma_f32 v[62:63], v[56:57], v[52:53], v[70:71] neg_lo:[0,0,1] neg_hi:[0,0,1]
	v_pk_fma_f32 v[52:53], v[56:57], v[52:53], v[70:71] op_sel_hi:[1,0,1]
	v_mov_b32_e32 v37, v39
	v_pk_add_f32 v[28:29], v[28:29], v[60:61]
	v_mov_b32_e32 v63, v53
	v_pk_add_f32 v[28:29], v[28:29], v[36:37]
	s_nop 0
	v_pk_add_f32 v[28:29], v[28:29], v[62:63]
	s_waitcnt vmcnt(0)
	v_pk_add_f32 v[28:29], v[54:55], v[28:29] neg_lo:[0,1] neg_hi:[0,1]
	scratch_store_dwordx2 off, v[28:29], off offset:32
	s_and_saveexec_b64 s[0:1], vcc
	s_cbranch_execz .LBB75_79
; %bb.78:
	scratch_load_dwordx2 v[28:29], off, off offset:24
	v_mov_b32_e32 v27, v26
	scratch_store_dwordx2 off, v[26:27], off offset:24
	s_waitcnt vmcnt(1)
	ds_write_b64 v1, v[28:29]
.LBB75_79:
	s_or_b64 exec, exec, s[0:1]
	s_waitcnt lgkmcnt(0)
	; wave barrier
	scratch_load_dwordx4 v[28:31], off, off offset:32
	scratch_load_dwordx4 v[32:35], off, off offset:48
	;; [unrolled: 1-line block ×4, first 2 shown]
	scratch_load_dwordx2 v[60:61], off, off offset:24
	ds_read_b128 v[44:47], v26 offset:128
	ds_read_b128 v[48:51], v26 offset:144
	;; [unrolled: 1-line block ×4, first 2 shown]
	v_cmp_lt_u32_e32 vcc, 2, v0
	s_waitcnt vmcnt(4) lgkmcnt(3)
	v_pk_mul_f32 v[26:27], v[44:45], v[28:29] op_sel:[1,1] op_sel_hi:[0,1]
	v_mov_b32_e32 v62, v31
	s_waitcnt vmcnt(3) lgkmcnt(2)
	v_pk_mul_f32 v[64:65], v[48:49], v[32:33] op_sel:[1,1] op_sel_hi:[0,1]
	v_mov_b32_e32 v66, v35
	;; [unrolled: 3-line block ×4, first 2 shown]
	v_pk_fma_f32 v[76:77], v[44:45], v[28:29], v[26:27] neg_lo:[0,0,1] neg_hi:[0,0,1]
	v_pk_fma_f32 v[26:27], v[44:45], v[28:29], v[26:27] op_sel_hi:[1,0,1]
	v_pk_mul_f32 v[28:29], v[46:47], v[62:63] op_sel:[1,0] op_sel_hi:[0,0]
	v_pk_fma_f32 v[44:45], v[48:49], v[32:33], v[64:65] neg_lo:[0,0,1] neg_hi:[0,0,1]
	v_pk_fma_f32 v[32:33], v[48:49], v[32:33], v[64:65] op_sel_hi:[1,0,1]
	v_pk_mul_f32 v[48:49], v[50:51], v[66:67] op_sel:[1,0] op_sel_hi:[0,0]
	;; [unrolled: 3-line block ×4, first 2 shown]
	v_mov_b32_e32 v77, v27
	v_pk_fma_f32 v[26:27], v[46:47], v[30:31], v[28:29] neg_lo:[0,0,1] neg_hi:[0,0,1]
	v_pk_fma_f32 v[28:29], v[46:47], v[30:31], v[28:29] op_sel_hi:[1,0,1]
	v_mov_b32_e32 v45, v33
	v_pk_fma_f32 v[30:31], v[50:51], v[34:35], v[48:49] neg_lo:[0,0,1] neg_hi:[0,0,1]
	v_pk_fma_f32 v[32:33], v[50:51], v[34:35], v[48:49] op_sel_hi:[1,0,1]
	;; [unrolled: 3-line block ×4, first 2 shown]
	v_pk_add_f32 v[42:43], v[76:77], 0 op_sel_hi:[1,0]
	v_mov_b32_e32 v27, v29
	v_pk_add_f32 v[26:27], v[42:43], v[26:27]
	v_mov_b32_e32 v31, v33
	v_pk_add_f32 v[26:27], v[26:27], v[44:45]
	;; [unrolled: 2-line block ×4, first 2 shown]
	s_nop 0
	v_pk_add_f32 v[26:27], v[26:27], v[34:35]
	s_nop 0
	v_pk_add_f32 v[26:27], v[26:27], v[64:65]
	s_nop 0
	v_pk_add_f32 v[26:27], v[26:27], v[38:39]
	s_waitcnt vmcnt(0)
	v_pk_add_f32 v[26:27], v[60:61], v[26:27] neg_lo:[0,1] neg_hi:[0,1]
	scratch_store_dwordx2 off, v[26:27], off offset:24
	s_and_saveexec_b64 s[0:1], vcc
	s_cbranch_execz .LBB75_81
; %bb.80:
	scratch_load_dwordx2 v[26:27], off, off offset:16
	v_mov_b32_e32 v28, 0
	v_mov_b32_e32 v29, v28
	scratch_store_dwordx2 off, v[28:29], off offset:16
	s_waitcnt vmcnt(1)
	ds_write_b64 v1, v[26:27]
.LBB75_81:
	s_or_b64 exec, exec, s[0:1]
	s_waitcnt lgkmcnt(0)
	; wave barrier
	scratch_load_dwordx4 v[28:31], off, off offset:24
	scratch_load_dwordx4 v[32:35], off, off offset:40
	;; [unrolled: 1-line block ×4, first 2 shown]
	scratch_load_dwordx2 v[60:61], off, off offset:88
	scratch_load_dwordx2 v[62:63], off, off offset:16
	v_mov_b32_e32 v26, 0
	ds_read2_b64 v[44:47], v26 offset0:15 offset1:16
	ds_read2_b64 v[48:51], v26 offset0:17 offset1:18
	;; [unrolled: 1-line block ×4, first 2 shown]
	ds_read_b64 v[64:65], v26 offset:184
	v_cmp_lt_u32_e32 vcc, 1, v0
	s_waitcnt vmcnt(5) lgkmcnt(4)
	v_mul_f32_e32 v67, v44, v29
	v_mul_f32_e32 v27, v45, v29
	v_mov_b32_e32 v68, v31
	s_waitcnt vmcnt(4) lgkmcnt(3)
	v_pk_mul_f32 v[70:71], v[48:49], v[32:33] op_sel:[1,1] op_sel_hi:[0,1]
	v_mov_b32_e32 v72, v35
	s_waitcnt vmcnt(1) lgkmcnt(0)
	v_pk_mul_f32 v[82:83], v[64:65], v[60:61] op_sel:[1,1] op_sel_hi:[0,1]
	v_fmac_f32_e32 v67, v45, v28
	v_fma_f32 v66, v44, v28, -v27
	v_pk_mul_f32 v[28:29], v[46:47], v[68:69] op_sel:[1,0] op_sel_hi:[0,0]
	v_pk_fma_f32 v[44:45], v[48:49], v[32:33], v[70:71] neg_lo:[0,0,1] neg_hi:[0,0,1]
	v_pk_fma_f32 v[32:33], v[48:49], v[32:33], v[70:71] op_sel_hi:[1,0,1]
	v_pk_mul_f32 v[48:49], v[50:51], v[72:73] op_sel:[1,0] op_sel_hi:[0,0]
	v_pk_fma_f32 v[72:73], v[64:65], v[60:61], v[82:83] neg_lo:[0,0,1] neg_hi:[0,0,1]
	v_pk_fma_f32 v[60:61], v[64:65], v[60:61], v[82:83] op_sel_hi:[1,0,1]
	v_pk_add_f32 v[64:65], v[66:67], 0 op_sel_hi:[1,0]
	v_pk_fma_f32 v[66:67], v[46:47], v[30:31], v[28:29] neg_lo:[0,0,1] neg_hi:[0,0,1]
	v_pk_fma_f32 v[28:29], v[46:47], v[30:31], v[28:29] op_sel_hi:[1,0,1]
	v_pk_mul_f32 v[74:75], v[52:53], v[36:37] op_sel:[1,1] op_sel_hi:[0,1]
	v_mov_b32_e32 v67, v29
	v_mov_b32_e32 v76, v39
	;; [unrolled: 1-line block ×3, first 2 shown]
	v_pk_fma_f32 v[30:31], v[50:51], v[34:35], v[48:49] neg_lo:[0,0,1] neg_hi:[0,0,1]
	v_pk_fma_f32 v[32:33], v[50:51], v[34:35], v[48:49] op_sel_hi:[1,0,1]
	v_pk_add_f32 v[28:29], v[64:65], v[66:67]
	v_pk_fma_f32 v[68:69], v[52:53], v[36:37], v[74:75] neg_lo:[0,0,1] neg_hi:[0,0,1]
	v_pk_fma_f32 v[36:37], v[52:53], v[36:37], v[74:75] op_sel_hi:[1,0,1]
	v_pk_mul_f32 v[52:53], v[54:55], v[76:77] op_sel:[1,0] op_sel_hi:[0,0]
	v_mov_b32_e32 v31, v33
	v_pk_add_f32 v[28:29], v[28:29], v[44:45]
	v_pk_mul_f32 v[78:79], v[56:57], v[40:41] op_sel:[1,1] op_sel_hi:[0,1]
	v_mov_b32_e32 v80, v43
	v_mov_b32_e32 v69, v37
	v_pk_fma_f32 v[34:35], v[54:55], v[38:39], v[52:53] neg_lo:[0,0,1] neg_hi:[0,0,1]
	v_pk_fma_f32 v[36:37], v[54:55], v[38:39], v[52:53] op_sel_hi:[1,0,1]
	v_pk_add_f32 v[28:29], v[28:29], v[30:31]
	v_pk_fma_f32 v[70:71], v[56:57], v[40:41], v[78:79] neg_lo:[0,0,1] neg_hi:[0,0,1]
	v_pk_fma_f32 v[40:41], v[56:57], v[40:41], v[78:79] op_sel_hi:[1,0,1]
	v_pk_mul_f32 v[56:57], v[58:59], v[80:81] op_sel:[1,0] op_sel_hi:[0,0]
	v_mov_b32_e32 v35, v37
	v_pk_add_f32 v[28:29], v[28:29], v[68:69]
	v_mov_b32_e32 v71, v41
	v_pk_fma_f32 v[38:39], v[58:59], v[42:43], v[56:57] neg_lo:[0,0,1] neg_hi:[0,0,1]
	v_pk_fma_f32 v[40:41], v[58:59], v[42:43], v[56:57] op_sel_hi:[1,0,1]
	v_pk_add_f32 v[28:29], v[28:29], v[34:35]
	v_mov_b32_e32 v39, v41
	v_pk_add_f32 v[28:29], v[28:29], v[70:71]
	v_mov_b32_e32 v73, v61
	v_pk_add_f32 v[28:29], v[28:29], v[38:39]
	s_nop 0
	v_pk_add_f32 v[28:29], v[28:29], v[72:73]
	s_waitcnt vmcnt(0)
	v_pk_add_f32 v[28:29], v[62:63], v[28:29] neg_lo:[0,1] neg_hi:[0,1]
	scratch_store_dwordx2 off, v[28:29], off offset:16
	s_and_saveexec_b64 s[0:1], vcc
	s_cbranch_execz .LBB75_83
; %bb.82:
	scratch_load_dwordx2 v[28:29], off, off offset:8
	v_mov_b32_e32 v27, v26
	scratch_store_dwordx2 off, v[26:27], off offset:8
	s_waitcnt vmcnt(1)
	ds_write_b64 v1, v[28:29]
.LBB75_83:
	s_or_b64 exec, exec, s[0:1]
	s_waitcnt lgkmcnt(0)
	; wave barrier
	scratch_load_dwordx4 v[28:31], off, off offset:16
	scratch_load_dwordx4 v[32:35], off, off offset:32
	;; [unrolled: 1-line block ×5, first 2 shown]
	scratch_load_dwordx2 v[68:69], off, off offset:8
	ds_read_b128 v[48:51], v26 offset:112
	ds_read_b128 v[52:55], v26 offset:128
	;; [unrolled: 1-line block ×5, first 2 shown]
	v_cmp_ne_u32_e32 vcc, 0, v0
	s_waitcnt vmcnt(5) lgkmcnt(4)
	v_mul_f32_e32 v27, v48, v29
	v_mul_f32_e32 v26, v49, v29
	;; [unrolled: 1-line block ×4, first 2 shown]
	s_waitcnt vmcnt(4) lgkmcnt(3)
	v_pk_mul_f32 v[72:73], v[52:53], v[32:33] op_sel:[1,1] op_sel_hi:[0,1]
	v_mov_b32_e32 v74, v35
	v_fmac_f32_e32 v27, v49, v28
	v_fma_f32 v26, v48, v28, -v26
	v_fmac_f32_e32 v71, v51, v30
	v_fma_f32 v70, v50, v30, -v29
	v_pk_fma_f32 v[28:29], v[52:53], v[32:33], v[72:73] neg_lo:[0,0,1] neg_hi:[0,0,1]
	v_pk_fma_f32 v[30:31], v[52:53], v[32:33], v[72:73] op_sel_hi:[1,0,1]
	v_pk_mul_f32 v[32:33], v[54:55], v[74:75] op_sel:[1,0] op_sel_hi:[0,0]
	v_pk_add_f32 v[26:27], v[26:27], 0 op_sel_hi:[1,0]
	s_waitcnt vmcnt(3) lgkmcnt(2)
	v_pk_mul_f32 v[76:77], v[56:57], v[36:37] op_sel:[1,1] op_sel_hi:[0,1]
	v_mov_b32_e32 v78, v39
	v_mov_b32_e32 v29, v31
	v_pk_fma_f32 v[30:31], v[54:55], v[34:35], v[32:33] neg_lo:[0,0,1] neg_hi:[0,0,1]
	v_pk_fma_f32 v[32:33], v[54:55], v[34:35], v[32:33] op_sel_hi:[1,0,1]
	v_pk_add_f32 v[26:27], v[26:27], v[70:71]
	v_pk_fma_f32 v[48:49], v[56:57], v[36:37], v[76:77] neg_lo:[0,0,1] neg_hi:[0,0,1]
	v_pk_fma_f32 v[36:37], v[56:57], v[36:37], v[76:77] op_sel_hi:[1,0,1]
	v_pk_mul_f32 v[50:51], v[58:59], v[78:79] op_sel:[1,0] op_sel_hi:[0,0]
	v_mov_b32_e32 v31, v33
	v_pk_add_f32 v[26:27], v[26:27], v[28:29]
	s_waitcnt vmcnt(2) lgkmcnt(1)
	v_pk_mul_f32 v[80:81], v[60:61], v[40:41] op_sel:[1,1] op_sel_hi:[0,1]
	v_mov_b32_e32 v82, v43
	v_mov_b32_e32 v49, v37
	v_pk_fma_f32 v[34:35], v[58:59], v[38:39], v[50:51] neg_lo:[0,0,1] neg_hi:[0,0,1]
	v_pk_fma_f32 v[36:37], v[58:59], v[38:39], v[50:51] op_sel_hi:[1,0,1]
	v_pk_add_f32 v[26:27], v[26:27], v[30:31]
	v_pk_fma_f32 v[52:53], v[60:61], v[40:41], v[80:81] neg_lo:[0,0,1] neg_hi:[0,0,1]
	v_pk_fma_f32 v[40:41], v[60:61], v[40:41], v[80:81] op_sel_hi:[1,0,1]
	v_pk_mul_f32 v[56:57], v[62:63], v[82:83] op_sel:[1,0] op_sel_hi:[0,0]
	v_mov_b32_e32 v35, v37
	v_pk_add_f32 v[26:27], v[26:27], v[48:49]
	;; [unrolled: 12-line block ×3, first 2 shown]
	v_mov_b32_e32 v61, v45
	v_pk_fma_f32 v[42:43], v[66:67], v[46:47], v[64:65] neg_lo:[0,0,1] neg_hi:[0,0,1]
	v_pk_fma_f32 v[44:45], v[66:67], v[46:47], v[64:65] op_sel_hi:[1,0,1]
	v_pk_add_f32 v[26:27], v[26:27], v[38:39]
	v_mov_b32_e32 v43, v45
	v_pk_add_f32 v[26:27], v[26:27], v[60:61]
	s_nop 0
	v_pk_add_f32 v[26:27], v[26:27], v[42:43]
	s_waitcnt vmcnt(0)
	v_pk_add_f32 v[26:27], v[68:69], v[26:27] neg_lo:[0,1] neg_hi:[0,1]
	scratch_store_dwordx2 off, v[26:27], off offset:8
	s_and_saveexec_b64 s[0:1], vcc
	s_cbranch_execz .LBB75_85
; %bb.84:
	scratch_load_dwordx2 v[26:27], off, off
	v_mov_b32_e32 v28, 0
	v_mov_b32_e32 v29, v28
	scratch_store_dwordx2 off, v[28:29], off
	s_waitcnt vmcnt(1)
	ds_write_b64 v1, v[26:27]
.LBB75_85:
	s_or_b64 exec, exec, s[0:1]
	s_waitcnt lgkmcnt(0)
	; wave barrier
	scratch_load_dwordx4 v[28:31], off, off offset:8
	scratch_load_dwordx4 v[32:35], off, off offset:24
	;; [unrolled: 1-line block ×5, first 2 shown]
	scratch_load_dwordx2 v[0:1], off, off offset:88
	scratch_load_dwordx2 v[68:69], off, off
	v_mov_b32_e32 v26, 0
	ds_read2_b64 v[48:51], v26 offset0:13 offset1:14
	ds_read2_b64 v[52:55], v26 offset0:15 offset1:16
	;; [unrolled: 1-line block ×5, first 2 shown]
	ds_read_b64 v[70:71], v26 offset:184
	s_and_b64 vcc, exec, s[10:11]
	s_waitcnt vmcnt(6) lgkmcnt(5)
	v_mul_f32_e32 v27, v48, v29
	v_mul_f32_e32 v29, v49, v29
	;; [unrolled: 1-line block ×3, first 2 shown]
	s_waitcnt vmcnt(5) lgkmcnt(4)
	v_mul_f32_e32 v75, v52, v33
	v_mul_f32_e32 v31, v51, v31
	;; [unrolled: 1-line block ×3, first 2 shown]
	v_mov_b32_e32 v76, v35
	s_waitcnt vmcnt(3) lgkmcnt(2)
	v_pk_mul_f32 v[82:83], v[60:61], v[40:41] op_sel:[1,1] op_sel_hi:[0,1]
	s_waitcnt vmcnt(2) lgkmcnt(1)
	v_pk_mul_f32 v[86:87], v[64:65], v[44:45] op_sel:[1,1] op_sel_hi:[0,1]
	;; [unrolled: 2-line block ×3, first 2 shown]
	v_fmac_f32_e32 v27, v49, v28
	v_fma_f32 v77, v48, v28, -v29
	v_fmac_f32_e32 v73, v51, v30
	v_fmac_f32_e32 v75, v53, v32
	v_fma_f32 v72, v50, v30, -v31
	v_fma_f32 v74, v52, v32, -v33
	v_pk_mul_f32 v[28:29], v[54:55], v[76:77] op_sel:[1,0] op_sel_hi:[0,0]
	v_pk_fma_f32 v[48:49], v[60:61], v[40:41], v[82:83] neg_lo:[0,0,1] neg_hi:[0,0,1]
	v_pk_fma_f32 v[40:41], v[60:61], v[40:41], v[82:83] op_sel_hi:[1,0,1]
	v_pk_fma_f32 v[52:53], v[64:65], v[44:45], v[86:87] neg_lo:[0,0,1] neg_hi:[0,0,1]
	v_pk_fma_f32 v[44:45], v[64:65], v[44:45], v[86:87] op_sel_hi:[1,0,1]
	;; [unrolled: 2-line block ×3, first 2 shown]
	v_add_f32_e32 v65, 0, v27
	v_add_f32_e32 v64, 0, v77
	v_pk_mul_f32 v[78:79], v[56:57], v[36:37] op_sel:[1,1] op_sel_hi:[0,1]
	v_mov_b32_e32 v80, v39
	v_pk_fma_f32 v[70:71], v[54:55], v[34:35], v[28:29] neg_lo:[0,0,1] neg_hi:[0,0,1]
	v_pk_fma_f32 v[28:29], v[54:55], v[34:35], v[28:29] op_sel_hi:[1,0,1]
	v_mov_b32_e32 v61, v1
	v_pk_add_f32 v[0:1], v[64:65], v[72:73]
	v_pk_fma_f32 v[30:31], v[56:57], v[36:37], v[78:79] neg_lo:[0,0,1] neg_hi:[0,0,1]
	v_pk_fma_f32 v[32:33], v[56:57], v[36:37], v[78:79] op_sel_hi:[1,0,1]
	v_pk_mul_f32 v[36:37], v[58:59], v[80:81] op_sel:[1,0] op_sel_hi:[0,0]
	v_mov_b32_e32 v71, v29
	v_pk_add_f32 v[0:1], v[0:1], v[74:75]
	v_mov_b32_e32 v84, v43
	v_mov_b32_e32 v31, v33
	v_pk_fma_f32 v[32:33], v[58:59], v[38:39], v[36:37] neg_lo:[0,0,1] neg_hi:[0,0,1]
	v_pk_fma_f32 v[34:35], v[58:59], v[38:39], v[36:37] op_sel_hi:[1,0,1]
	v_pk_add_f32 v[0:1], v[0:1], v[70:71]
	v_pk_mul_f32 v[50:51], v[62:63], v[84:85] op_sel:[1,0] op_sel_hi:[0,0]
	v_mov_b32_e32 v33, v35
	v_pk_add_f32 v[0:1], v[0:1], v[30:31]
	v_mov_b32_e32 v88, v47
	v_mov_b32_e32 v49, v41
	v_pk_fma_f32 v[36:37], v[62:63], v[42:43], v[50:51] neg_lo:[0,0,1] neg_hi:[0,0,1]
	v_pk_fma_f32 v[38:39], v[62:63], v[42:43], v[50:51] op_sel_hi:[1,0,1]
	v_pk_add_f32 v[0:1], v[0:1], v[32:33]
	v_pk_mul_f32 v[56:57], v[66:67], v[88:89] op_sel:[1,0] op_sel_hi:[0,0]
	v_mov_b32_e32 v37, v39
	v_pk_add_f32 v[0:1], v[0:1], v[48:49]
	v_mov_b32_e32 v53, v45
	v_pk_fma_f32 v[40:41], v[66:67], v[46:47], v[56:57] neg_lo:[0,0,1] neg_hi:[0,0,1]
	v_pk_fma_f32 v[42:43], v[66:67], v[46:47], v[56:57] op_sel_hi:[1,0,1]
	v_pk_add_f32 v[0:1], v[0:1], v[36:37]
	v_mov_b32_e32 v41, v43
	v_pk_add_f32 v[0:1], v[0:1], v[52:53]
	s_nop 0
	v_pk_add_f32 v[0:1], v[0:1], v[40:41]
	s_nop 0
	v_pk_add_f32 v[0:1], v[0:1], v[60:61]
	s_waitcnt vmcnt(0)
	v_pk_add_f32 v[0:1], v[68:69], v[0:1] neg_lo:[0,1] neg_hi:[0,1]
	scratch_store_dwordx2 off, v[0:1], off
	s_cbranch_vccz .LBB75_108
; %bb.86:
	global_load_dword v0, v26, s[8:9] offset:40
	s_waitcnt vmcnt(0)
	v_readfirstlane_b32 s0, v0
	s_add_i32 s0, s0, -1
	s_cmp_lg_u32 s0, 10
	s_cbranch_scc0 .LBB75_88
; %bb.87:
	s_lshl_b32 s0, s0, 3
	s_nop 0
	scratch_load_dwordx2 v[0:1], off, s0
	scratch_load_dwordx2 v[26:27], off, off offset:80
	s_waitcnt vmcnt(1)
	scratch_store_dwordx2 off, v[0:1], off offset:80
	s_waitcnt vmcnt(1)
	scratch_store_dwordx2 off, v[26:27], s0
.LBB75_88:
	v_mov_b32_e32 v0, 0
	global_load_dword v1, v0, s[8:9] offset:36
	s_waitcnt vmcnt(0)
	v_readfirstlane_b32 s0, v1
	s_add_i32 s0, s0, -1
	s_cmp_eq_u32 s0, 9
	s_cbranch_scc1 .LBB75_90
; %bb.89:
	s_lshl_b32 s0, s0, 3
	s_nop 0
	scratch_load_dwordx2 v[26:27], off, s0
	scratch_load_dwordx2 v[28:29], off, off offset:72
	s_waitcnt vmcnt(1)
	scratch_store_dwordx2 off, v[26:27], off offset:72
	s_waitcnt vmcnt(1)
	scratch_store_dwordx2 off, v[28:29], s0
.LBB75_90:
	global_load_dword v0, v0, s[8:9] offset:32
	s_waitcnt vmcnt(0)
	v_readfirstlane_b32 s0, v0
	s_add_i32 s0, s0, -1
	s_cmp_eq_u32 s0, 8
	s_cbranch_scc1 .LBB75_92
; %bb.91:
	s_lshl_b32 s0, s0, 3
	s_nop 0
	scratch_load_dwordx2 v[0:1], off, s0
	scratch_load_dwordx2 v[26:27], off, off offset:64
	s_waitcnt vmcnt(1)
	scratch_store_dwordx2 off, v[0:1], off offset:64
	s_waitcnt vmcnt(1)
	scratch_store_dwordx2 off, v[26:27], s0
.LBB75_92:
	v_mov_b32_e32 v0, 0
	global_load_dword v1, v0, s[8:9] offset:28
	s_waitcnt vmcnt(0)
	v_readfirstlane_b32 s0, v1
	s_add_i32 s0, s0, -1
	s_cmp_eq_u32 s0, 7
	s_cbranch_scc1 .LBB75_94
; %bb.93:
	s_lshl_b32 s0, s0, 3
	s_nop 0
	scratch_load_dwordx2 v[26:27], off, s0
	scratch_load_dwordx2 v[28:29], off, off offset:56
	s_waitcnt vmcnt(1)
	scratch_store_dwordx2 off, v[26:27], off offset:56
	s_waitcnt vmcnt(1)
	scratch_store_dwordx2 off, v[28:29], s0
.LBB75_94:
	global_load_dword v0, v0, s[8:9] offset:24
	s_waitcnt vmcnt(0)
	v_readfirstlane_b32 s0, v0
	s_add_i32 s0, s0, -1
	s_cmp_eq_u32 s0, 6
	s_cbranch_scc1 .LBB75_96
; %bb.95:
	s_lshl_b32 s0, s0, 3
	s_nop 0
	scratch_load_dwordx2 v[0:1], off, s0
	scratch_load_dwordx2 v[26:27], off, off offset:48
	s_waitcnt vmcnt(1)
	scratch_store_dwordx2 off, v[0:1], off offset:48
	s_waitcnt vmcnt(1)
	scratch_store_dwordx2 off, v[26:27], s0
.LBB75_96:
	;; [unrolled: 33-line block ×4, first 2 shown]
	v_mov_b32_e32 v0, 0
	global_load_dword v1, v0, s[8:9] offset:4
	s_waitcnt vmcnt(0)
	v_readfirstlane_b32 s0, v1
	s_add_i32 s0, s0, -1
	s_cmp_eq_u32 s0, 1
	s_cbranch_scc1 .LBB75_106
; %bb.105:
	s_lshl_b32 s0, s0, 3
	s_nop 0
	scratch_load_dwordx2 v[26:27], off, s0
	scratch_load_dwordx2 v[28:29], off, off offset:8
	s_waitcnt vmcnt(1)
	scratch_store_dwordx2 off, v[26:27], off offset:8
	s_waitcnt vmcnt(1)
	scratch_store_dwordx2 off, v[28:29], s0
.LBB75_106:
	global_load_dword v26, v0, s[8:9]
	s_nop 0
	scratch_load_dwordx2 v[0:1], off, off
	s_waitcnt vmcnt(1)
	v_readfirstlane_b32 s0, v26
	s_add_i32 s0, s0, -1
	s_cmp_eq_u32 s0, 0
	s_cbranch_scc1 .LBB75_108
; %bb.107:
	s_lshl_b32 s0, s0, 3
	s_nop 0
	scratch_load_dwordx2 v[26:27], off, s0
	s_waitcnt vmcnt(0)
	scratch_store_dwordx2 off, v[26:27], off
	scratch_store_dwordx2 off, v[0:1], s0
	scratch_load_dwordx2 v[0:1], off, off
.LBB75_108:
	s_waitcnt vmcnt(0)
	flat_store_dwordx2 v[2:3], v[0:1]
	scratch_load_dwordx2 v[0:1], off, off offset:8
	s_waitcnt vmcnt(0)
	flat_store_dwordx2 v[4:5], v[0:1]
	scratch_load_dwordx2 v[0:1], off, off offset:16
	;; [unrolled: 3-line block ×11, first 2 shown]
	s_waitcnt vmcnt(0)
	flat_store_dwordx2 v[24:25], v[0:1]
	s_endpgm
	.section	.rodata,"a",@progbits
	.p2align	6, 0x0
	.amdhsa_kernel _ZN9rocsolver6v33100L18getri_kernel_smallILi12E19rocblas_complex_numIfEPKPS3_EEvT1_iilPiilS8_bb
		.amdhsa_group_segment_fixed_size 196
		.amdhsa_private_segment_fixed_size 112
		.amdhsa_kernarg_size 60
		.amdhsa_user_sgpr_count 2
		.amdhsa_user_sgpr_dispatch_ptr 0
		.amdhsa_user_sgpr_queue_ptr 0
		.amdhsa_user_sgpr_kernarg_segment_ptr 1
		.amdhsa_user_sgpr_dispatch_id 0
		.amdhsa_user_sgpr_kernarg_preload_length 0
		.amdhsa_user_sgpr_kernarg_preload_offset 0
		.amdhsa_user_sgpr_private_segment_size 0
		.amdhsa_uses_dynamic_stack 0
		.amdhsa_enable_private_segment 1
		.amdhsa_system_sgpr_workgroup_id_x 1
		.amdhsa_system_sgpr_workgroup_id_y 0
		.amdhsa_system_sgpr_workgroup_id_z 0
		.amdhsa_system_sgpr_workgroup_info 0
		.amdhsa_system_vgpr_workitem_id 0
		.amdhsa_next_free_vgpr 92
		.amdhsa_next_free_sgpr 17
		.amdhsa_accum_offset 92
		.amdhsa_reserve_vcc 1
		.amdhsa_float_round_mode_32 0
		.amdhsa_float_round_mode_16_64 0
		.amdhsa_float_denorm_mode_32 3
		.amdhsa_float_denorm_mode_16_64 3
		.amdhsa_dx10_clamp 1
		.amdhsa_ieee_mode 1
		.amdhsa_fp16_overflow 0
		.amdhsa_tg_split 0
		.amdhsa_exception_fp_ieee_invalid_op 0
		.amdhsa_exception_fp_denorm_src 0
		.amdhsa_exception_fp_ieee_div_zero 0
		.amdhsa_exception_fp_ieee_overflow 0
		.amdhsa_exception_fp_ieee_underflow 0
		.amdhsa_exception_fp_ieee_inexact 0
		.amdhsa_exception_int_div_zero 0
	.end_amdhsa_kernel
	.section	.text._ZN9rocsolver6v33100L18getri_kernel_smallILi12E19rocblas_complex_numIfEPKPS3_EEvT1_iilPiilS8_bb,"axG",@progbits,_ZN9rocsolver6v33100L18getri_kernel_smallILi12E19rocblas_complex_numIfEPKPS3_EEvT1_iilPiilS8_bb,comdat
.Lfunc_end75:
	.size	_ZN9rocsolver6v33100L18getri_kernel_smallILi12E19rocblas_complex_numIfEPKPS3_EEvT1_iilPiilS8_bb, .Lfunc_end75-_ZN9rocsolver6v33100L18getri_kernel_smallILi12E19rocblas_complex_numIfEPKPS3_EEvT1_iilPiilS8_bb
                                        ; -- End function
	.set _ZN9rocsolver6v33100L18getri_kernel_smallILi12E19rocblas_complex_numIfEPKPS3_EEvT1_iilPiilS8_bb.num_vgpr, 92
	.set _ZN9rocsolver6v33100L18getri_kernel_smallILi12E19rocblas_complex_numIfEPKPS3_EEvT1_iilPiilS8_bb.num_agpr, 0
	.set _ZN9rocsolver6v33100L18getri_kernel_smallILi12E19rocblas_complex_numIfEPKPS3_EEvT1_iilPiilS8_bb.numbered_sgpr, 17
	.set _ZN9rocsolver6v33100L18getri_kernel_smallILi12E19rocblas_complex_numIfEPKPS3_EEvT1_iilPiilS8_bb.num_named_barrier, 0
	.set _ZN9rocsolver6v33100L18getri_kernel_smallILi12E19rocblas_complex_numIfEPKPS3_EEvT1_iilPiilS8_bb.private_seg_size, 112
	.set _ZN9rocsolver6v33100L18getri_kernel_smallILi12E19rocblas_complex_numIfEPKPS3_EEvT1_iilPiilS8_bb.uses_vcc, 1
	.set _ZN9rocsolver6v33100L18getri_kernel_smallILi12E19rocblas_complex_numIfEPKPS3_EEvT1_iilPiilS8_bb.uses_flat_scratch, 0
	.set _ZN9rocsolver6v33100L18getri_kernel_smallILi12E19rocblas_complex_numIfEPKPS3_EEvT1_iilPiilS8_bb.has_dyn_sized_stack, 0
	.set _ZN9rocsolver6v33100L18getri_kernel_smallILi12E19rocblas_complex_numIfEPKPS3_EEvT1_iilPiilS8_bb.has_recursion, 0
	.set _ZN9rocsolver6v33100L18getri_kernel_smallILi12E19rocblas_complex_numIfEPKPS3_EEvT1_iilPiilS8_bb.has_indirect_call, 0
	.section	.AMDGPU.csdata,"",@progbits
; Kernel info:
; codeLenInByte = 8924
; TotalNumSgprs: 23
; NumVgprs: 92
; NumAgprs: 0
; TotalNumVgprs: 92
; ScratchSize: 112
; MemoryBound: 0
; FloatMode: 240
; IeeeMode: 1
; LDSByteSize: 196 bytes/workgroup (compile time only)
; SGPRBlocks: 2
; VGPRBlocks: 11
; NumSGPRsForWavesPerEU: 23
; NumVGPRsForWavesPerEU: 92
; AccumOffset: 92
; Occupancy: 5
; WaveLimiterHint : 1
; COMPUTE_PGM_RSRC2:SCRATCH_EN: 1
; COMPUTE_PGM_RSRC2:USER_SGPR: 2
; COMPUTE_PGM_RSRC2:TRAP_HANDLER: 0
; COMPUTE_PGM_RSRC2:TGID_X_EN: 1
; COMPUTE_PGM_RSRC2:TGID_Y_EN: 0
; COMPUTE_PGM_RSRC2:TGID_Z_EN: 0
; COMPUTE_PGM_RSRC2:TIDIG_COMP_CNT: 0
; COMPUTE_PGM_RSRC3_GFX90A:ACCUM_OFFSET: 22
; COMPUTE_PGM_RSRC3_GFX90A:TG_SPLIT: 0
	.section	.text._ZN9rocsolver6v33100L18getri_kernel_smallILi13E19rocblas_complex_numIfEPKPS3_EEvT1_iilPiilS8_bb,"axG",@progbits,_ZN9rocsolver6v33100L18getri_kernel_smallILi13E19rocblas_complex_numIfEPKPS3_EEvT1_iilPiilS8_bb,comdat
	.globl	_ZN9rocsolver6v33100L18getri_kernel_smallILi13E19rocblas_complex_numIfEPKPS3_EEvT1_iilPiilS8_bb ; -- Begin function _ZN9rocsolver6v33100L18getri_kernel_smallILi13E19rocblas_complex_numIfEPKPS3_EEvT1_iilPiilS8_bb
	.p2align	8
	.type	_ZN9rocsolver6v33100L18getri_kernel_smallILi13E19rocblas_complex_numIfEPKPS3_EEvT1_iilPiilS8_bb,@function
_ZN9rocsolver6v33100L18getri_kernel_smallILi13E19rocblas_complex_numIfEPKPS3_EEvT1_iilPiilS8_bb: ; @_ZN9rocsolver6v33100L18getri_kernel_smallILi13E19rocblas_complex_numIfEPKPS3_EEvT1_iilPiilS8_bb
; %bb.0:
	v_cmp_gt_u32_e32 vcc, 13, v0
	s_and_saveexec_b64 s[4:5], vcc
	s_cbranch_execz .LBB76_66
; %bb.1:
	s_load_dword s14, s[0:1], 0x38
	s_load_dwordx2 s[8:9], s[0:1], 0x0
	s_load_dwordx4 s[4:7], s[0:1], 0x28
	s_waitcnt lgkmcnt(0)
	s_bitcmp1_b32 s14, 8
	s_cselect_b64 s[10:11], -1, 0
	s_ashr_i32 s3, s2, 31
	s_lshl_b64 s[12:13], s[2:3], 3
	s_add_u32 s8, s8, s12
	s_addc_u32 s9, s9, s13
	s_load_dwordx2 s[12:13], s[8:9], 0x0
	s_bfe_u32 s8, s14, 0x10008
	s_cmp_eq_u32 s8, 0
                                        ; implicit-def: $sgpr8_sgpr9
	s_cbranch_scc1 .LBB76_3
; %bb.2:
	s_load_dword s8, s[0:1], 0x20
	s_load_dwordx2 s[14:15], s[0:1], 0x18
	s_mul_i32 s9, s4, s3
	s_mul_hi_u32 s16, s4, s2
	s_add_i32 s16, s16, s9
	s_mul_i32 s5, s5, s2
	s_add_i32 s5, s16, s5
	s_mul_i32 s4, s4, s2
	s_waitcnt lgkmcnt(0)
	s_ashr_i32 s9, s8, 31
	s_lshl_b64 s[4:5], s[4:5], 2
	s_add_u32 s14, s14, s4
	s_addc_u32 s15, s15, s5
	s_lshl_b64 s[4:5], s[8:9], 2
	s_add_u32 s8, s14, s4
	s_addc_u32 s9, s15, s5
.LBB76_3:
	s_load_dwordx2 s[4:5], s[0:1], 0x8
	s_load_dword s14, s[0:1], 0x38
	v_lshlrev_b32_e32 v28, 3, v0
	v_mov_b32_e32 v29, 0
	s_waitcnt lgkmcnt(0)
	s_ashr_i32 s1, s4, 31
	s_mov_b32 s0, s4
	s_lshl_b64 s[0:1], s[0:1], 3
	s_add_u32 s0, s12, s0
	s_addc_u32 s1, s13, s1
	v_lshl_add_u64 v[2:3], s[0:1], 0, v[28:29]
	flat_load_dwordx2 v[6:7], v[2:3]
	s_mov_b32 s12, s5
	s_ashr_i32 s13, s5, 31
	v_lshl_add_u64 v[4:5], s[12:13], 3, v[2:3]
	s_add_i32 s4, s5, s5
	v_add_u32_e32 v10, s4, v0
	v_ashrrev_i32_e32 v11, 31, v10
	s_bitcmp0_b32 s14, 0
	s_waitcnt vmcnt(0) lgkmcnt(0)
	scratch_store_dwordx2 off, v[6:7], off
	flat_load_dwordx2 v[8:9], v[4:5]
	v_lshl_add_u64 v[6:7], v[10:11], 3, s[0:1]
	v_add_u32_e32 v10, s5, v10
	v_ashrrev_i32_e32 v11, 31, v10
	v_add_u32_e32 v14, s5, v10
	v_ashrrev_i32_e32 v15, 31, v14
	s_waitcnt vmcnt(0) lgkmcnt(0)
	scratch_store_dwordx2 off, v[8:9], off offset:8
	flat_load_dwordx2 v[12:13], v[6:7]
	v_lshl_add_u64 v[8:9], v[10:11], 3, s[0:1]
	v_lshl_add_u64 v[10:11], v[14:15], 3, s[0:1]
	v_add_u32_e32 v14, s5, v14
	v_ashrrev_i32_e32 v15, 31, v14
	v_add_u32_e32 v18, s5, v14
	v_ashrrev_i32_e32 v19, 31, v18
	s_waitcnt vmcnt(0) lgkmcnt(0)
	scratch_store_dwordx2 off, v[12:13], off offset:16
	flat_load_dwordx2 v[12:13], v[8:9]
	s_waitcnt vmcnt(0) lgkmcnt(0)
	scratch_store_dwordx2 off, v[12:13], off offset:24
	flat_load_dwordx2 v[16:17], v[10:11]
	v_lshl_add_u64 v[12:13], v[14:15], 3, s[0:1]
	v_lshl_add_u64 v[14:15], v[18:19], 3, s[0:1]
	v_add_u32_e32 v18, s5, v18
	v_ashrrev_i32_e32 v19, 31, v18
	v_add_u32_e32 v22, s5, v18
	v_ashrrev_i32_e32 v23, 31, v22
	s_waitcnt vmcnt(0) lgkmcnt(0)
	scratch_store_dwordx2 off, v[16:17], off offset:32
	flat_load_dwordx2 v[16:17], v[12:13]
	;; [unrolled: 12-line block ×3, first 2 shown]
	s_waitcnt vmcnt(0) lgkmcnt(0)
	scratch_store_dwordx2 off, v[20:21], off offset:56
	flat_load_dwordx2 v[24:25], v[18:19]
	v_lshl_add_u64 v[20:21], v[22:23], 3, s[0:1]
	v_lshl_add_u64 v[22:23], v[26:27], 3, s[0:1]
	v_add_u32_e32 v26, s5, v26
	v_ashrrev_i32_e32 v27, 31, v26
	s_waitcnt vmcnt(0) lgkmcnt(0)
	scratch_store_dwordx2 off, v[24:25], off offset:64
	flat_load_dwordx2 v[24:25], v[20:21]
	s_waitcnt vmcnt(0) lgkmcnt(0)
	scratch_store_dwordx2 off, v[24:25], off offset:72
	flat_load_dwordx2 v[30:31], v[22:23]
	v_lshl_add_u64 v[24:25], v[26:27], 3, s[0:1]
	v_add_u32_e32 v26, s5, v26
	v_ashrrev_i32_e32 v27, 31, v26
	v_lshl_add_u64 v[26:27], v[26:27], 3, s[0:1]
	s_mov_b64 s[4:5], -1
	s_waitcnt vmcnt(0) lgkmcnt(0)
	scratch_store_dwordx2 off, v[30:31], off offset:80
	flat_load_dwordx2 v[30:31], v[24:25]
	s_waitcnt vmcnt(0) lgkmcnt(0)
	scratch_store_dwordx2 off, v[30:31], off offset:88
	flat_load_dwordx2 v[30:31], v[26:27]
	s_waitcnt vmcnt(0) lgkmcnt(0)
	scratch_store_dwordx2 off, v[30:31], off offset:96
	s_cbranch_scc1 .LBB76_64
; %bb.4:
	v_cmp_eq_u32_e64 s[0:1], 0, v0
	s_and_saveexec_b64 s[4:5], s[0:1]
; %bb.5:
	v_mov_b32_e32 v1, 0
	ds_write_b32 v1, v1 offset:104
; %bb.6:
	s_or_b64 exec, exec, s[4:5]
	s_waitcnt lgkmcnt(0)
	; wave barrier
	scratch_load_dwordx2 v[30:31], v28, off
	s_waitcnt vmcnt(0)
	v_cmp_eq_f32_e32 vcc, 0, v30
	v_cmp_eq_f32_e64 s[4:5], 0, v31
	s_and_b64 s[4:5], vcc, s[4:5]
	s_and_saveexec_b64 s[12:13], s[4:5]
	s_cbranch_execz .LBB76_10
; %bb.7:
	v_mov_b32_e32 v1, 0
	ds_read_b32 v30, v1 offset:104
	v_add_u32_e32 v29, 1, v0
	s_waitcnt lgkmcnt(0)
	v_readfirstlane_b32 s4, v30
	s_cmp_eq_u32 s4, 0
	s_cselect_b64 s[14:15], -1, 0
	v_cmp_gt_i32_e32 vcc, s4, v29
	s_or_b64 s[14:15], s[14:15], vcc
	s_and_b64 exec, exec, s[14:15]
	s_cbranch_execz .LBB76_10
; %bb.8:
	s_mov_b64 s[14:15], 0
	v_mov_b32_e32 v30, s4
.LBB76_9:                               ; =>This Inner Loop Header: Depth=1
	ds_cmpst_rtn_b32 v30, v1, v30, v29 offset:104
	s_waitcnt lgkmcnt(0)
	v_cmp_ne_u32_e32 vcc, 0, v30
	v_cmp_le_i32_e64 s[4:5], v30, v29
	s_and_b64 s[4:5], vcc, s[4:5]
	s_and_b64 s[4:5], exec, s[4:5]
	s_or_b64 s[14:15], s[4:5], s[14:15]
	s_andn2_b64 exec, exec, s[14:15]
	s_cbranch_execnz .LBB76_9
.LBB76_10:
	s_or_b64 exec, exec, s[12:13]
	v_mov_b32_e32 v29, 0
	; wave barrier
	ds_read_b32 v1, v29 offset:104
	s_and_saveexec_b64 s[4:5], s[0:1]
	s_cbranch_execz .LBB76_12
; %bb.11:
	s_lshl_b64 s[12:13], s[2:3], 2
	s_add_u32 s12, s6, s12
	s_addc_u32 s13, s7, s13
	s_waitcnt lgkmcnt(0)
	global_store_dword v29, v1, s[12:13]
.LBB76_12:
	s_or_b64 exec, exec, s[4:5]
	s_waitcnt lgkmcnt(0)
	v_cmp_ne_u32_e32 vcc, 0, v1
	s_mov_b64 s[4:5], 0
	s_cbranch_vccnz .LBB76_64
; %bb.13:
	v_mov_b32_e32 v29, v28
	scratch_load_dwordx2 v[30:31], v29, off
                                        ; implicit-def: $vgpr33
                                        ; implicit-def: $vgpr34
	s_waitcnt vmcnt(0)
	v_cmp_ngt_f32_e64 s[4:5], |v30|, |v31|
	s_and_saveexec_b64 s[12:13], s[4:5]
	s_xor_b64 s[4:5], exec, s[12:13]
	s_cbranch_execz .LBB76_15
; %bb.14:
	v_div_scale_f32 v1, s[12:13], v31, v31, v30
	v_rcp_f32_e32 v32, v1
	v_div_scale_f32 v33, vcc, v30, v31, v30
	v_fma_f32 v34, -v1, v32, 1.0
	v_fmac_f32_e32 v32, v34, v32
	v_mul_f32_e32 v34, v33, v32
	v_fma_f32 v35, -v1, v34, v33
	v_fmac_f32_e32 v34, v35, v32
	v_fma_f32 v1, -v1, v34, v33
	v_div_fmas_f32 v1, v1, v32, v34
	v_div_fixup_f32 v1, v1, v31, v30
	v_fmac_f32_e32 v31, v30, v1
	v_div_scale_f32 v30, s[12:13], v31, v31, -1.0
	v_rcp_f32_e32 v32, v30
	s_nop 0
	v_fma_f32 v33, -v30, v32, 1.0
	v_fmac_f32_e32 v32, v33, v32
	v_div_scale_f32 v33, vcc, -1.0, v31, -1.0
	v_mul_f32_e32 v34, v33, v32
	v_fma_f32 v35, -v30, v34, v33
	v_fmac_f32_e32 v34, v35, v32
	v_fma_f32 v30, -v30, v34, v33
	v_div_fmas_f32 v30, v30, v32, v34
	v_div_fixup_f32 v33, v30, v31, -1.0
	v_mul_f32_e32 v34, v1, v33
	v_xor_b32_e32 v32, 0x80000000, v34
                                        ; implicit-def: $vgpr30_vgpr31
.LBB76_15:
	s_andn2_saveexec_b64 s[4:5], s[4:5]
	s_cbranch_execz .LBB76_17
; %bb.16:
	v_div_scale_f32 v1, s[12:13], v30, v30, v31
	v_rcp_f32_e32 v32, v1
	v_div_scale_f32 v33, vcc, v31, v30, v31
	v_fma_f32 v34, -v1, v32, 1.0
	v_fmac_f32_e32 v32, v34, v32
	v_mul_f32_e32 v34, v33, v32
	v_fma_f32 v35, -v1, v34, v33
	v_fmac_f32_e32 v34, v35, v32
	v_fma_f32 v1, -v1, v34, v33
	v_div_fmas_f32 v1, v1, v32, v34
	v_div_fixup_f32 v1, v1, v30, v31
	v_fmac_f32_e32 v30, v31, v1
	v_div_scale_f32 v31, s[12:13], v30, v30, 1.0
	v_rcp_f32_e32 v32, v31
	s_nop 0
	v_fma_f32 v33, -v31, v32, 1.0
	v_fmac_f32_e32 v32, v33, v32
	v_div_scale_f32 v33, vcc, 1.0, v30, 1.0
	v_mul_f32_e32 v34, v33, v32
	v_fma_f32 v35, -v31, v34, v33
	v_fmac_f32_e32 v34, v35, v32
	v_fma_f32 v31, -v31, v34, v33
	v_div_fmas_f32 v31, v31, v32, v34
	v_div_fixup_f32 v32, v31, v30, 1.0
	v_xor_b32_e32 v34, 0x80000000, v32
	v_mul_f32_e64 v33, v1, -v32
.LBB76_17:
	s_or_b64 exec, exec, s[4:5]
	scratch_store_dwordx2 v29, v[32:33], off
	scratch_load_dwordx2 v[30:31], off, off offset:8
	v_xor_b32_e32 v35, 0x80000000, v33
	v_add_u32_e32 v1, 0x70, v28
	s_waitcnt vmcnt(0)
	ds_write2_b64 v28, v[34:35], v[30:31] offset1:14
	s_waitcnt lgkmcnt(0)
	; wave barrier
	s_and_saveexec_b64 s[4:5], s[0:1]
	s_cbranch_execz .LBB76_19
; %bb.18:
	scratch_load_dwordx2 v[30:31], v29, off
	ds_read_b64 v[32:33], v1
	v_mov_b32_e32 v34, 0
	ds_read_b64 v[34:35], v34 offset:8
	s_waitcnt vmcnt(0) lgkmcnt(1)
	v_pk_mul_f32 v[36:37], v[32:33], v[30:31] op_sel:[1,1] op_sel_hi:[0,1]
	v_pk_fma_f32 v[38:39], v[32:33], v[30:31], v[36:37] neg_lo:[0,0,1] neg_hi:[0,0,1]
	v_pk_fma_f32 v[30:31], v[32:33], v[30:31], v[36:37] op_sel_hi:[1,0,1]
	s_nop 0
	v_mov_b32_e32 v39, v31
	v_pk_add_f32 v[30:31], v[38:39], 0 op_sel_hi:[1,0]
	s_waitcnt lgkmcnt(0)
	v_pk_mul_f32 v[32:33], v[30:31], v[34:35] op_sel:[1,1] op_sel_hi:[0,1]
	v_pk_fma_f32 v[36:37], v[30:31], v[34:35], v[32:33] neg_lo:[0,0,1] neg_hi:[0,0,1]
	v_pk_fma_f32 v[30:31], v[30:31], v[34:35], v[32:33] op_sel_hi:[1,0,1]
	s_nop 0
	v_mov_b32_e32 v37, v31
	scratch_store_dwordx2 off, v[36:37], off offset:8
.LBB76_19:
	s_or_b64 exec, exec, s[4:5]
	; wave barrier
	scratch_load_dwordx2 v[30:31], off, off offset:16
	v_cmp_gt_u32_e32 vcc, 2, v0
	s_waitcnt vmcnt(0)
	ds_write_b64 v1, v[30:31]
	s_waitcnt lgkmcnt(0)
	; wave barrier
	s_and_saveexec_b64 s[4:5], vcc
	s_cbranch_execz .LBB76_23
; %bb.20:
	scratch_load_dwordx2 v[30:31], v29, off
	ds_read_b64 v[32:33], v1
	s_waitcnt vmcnt(0) lgkmcnt(0)
	v_pk_mul_f32 v[34:35], v[32:33], v[30:31] op_sel:[1,1] op_sel_hi:[0,1]
	v_pk_fma_f32 v[36:37], v[32:33], v[30:31], v[34:35] neg_lo:[0,0,1] neg_hi:[0,0,1]
	v_pk_fma_f32 v[30:31], v[32:33], v[30:31], v[34:35] op_sel_hi:[1,0,1]
	s_nop 0
	v_mov_b32_e32 v37, v31
	v_pk_add_f32 v[30:31], v[36:37], 0 op_sel_hi:[1,0]
	s_and_saveexec_b64 s[12:13], s[0:1]
	s_cbranch_execz .LBB76_22
; %bb.21:
	scratch_load_dwordx2 v[32:33], off, off offset:8
	v_mov_b32_e32 v29, 0
	ds_read_b64 v[34:35], v29 offset:120
	s_waitcnt vmcnt(0) lgkmcnt(0)
	v_pk_mul_f32 v[36:37], v[34:35], v[32:33] op_sel:[1,1] op_sel_hi:[0,1]
	v_pk_fma_f32 v[38:39], v[34:35], v[32:33], v[36:37] neg_lo:[0,0,1] neg_hi:[0,0,1]
	v_pk_fma_f32 v[32:33], v[34:35], v[32:33], v[36:37] op_sel_hi:[1,0,1]
	s_nop 0
	v_mov_b32_e32 v39, v33
	v_pk_add_f32 v[30:31], v[30:31], v[38:39]
.LBB76_22:
	s_or_b64 exec, exec, s[12:13]
	v_mov_b32_e32 v29, 0
	ds_read_b64 v[32:33], v29 offset:16
	s_waitcnt lgkmcnt(0)
	v_pk_mul_f32 v[34:35], v[30:31], v[32:33] op_sel:[1,1] op_sel_hi:[0,1]
	v_pk_fma_f32 v[36:37], v[30:31], v[32:33], v[34:35] neg_lo:[0,0,1] neg_hi:[0,0,1]
	v_pk_fma_f32 v[30:31], v[30:31], v[32:33], v[34:35] op_sel_hi:[1,0,1]
	s_nop 0
	v_mov_b32_e32 v37, v31
	scratch_store_dwordx2 off, v[36:37], off offset:16
.LBB76_23:
	s_or_b64 exec, exec, s[4:5]
	; wave barrier
	scratch_load_dwordx2 v[30:31], off, off offset:24
	v_cmp_gt_u32_e32 vcc, 3, v0
	v_add_u32_e32 v32, -1, v0
	s_waitcnt vmcnt(0)
	ds_write_b64 v1, v[30:31]
	s_waitcnt lgkmcnt(0)
	; wave barrier
	s_and_saveexec_b64 s[0:1], vcc
	s_cbranch_execz .LBB76_27
; %bb.24:
	v_mov_b32_e32 v30, 0
	v_add_u32_e32 v29, -1, v0
	v_add_u32_e32 v33, 0x70, v28
	v_mov_b32_e32 v34, v28
	s_mov_b64 s[4:5], 0
	v_mov_b32_e32 v31, v30
.LBB76_25:                              ; =>This Inner Loop Header: Depth=1
	scratch_load_dwordx2 v[36:37], v34, off
	ds_read_b64 v[38:39], v33
	v_add_u32_e32 v29, 1, v29
	v_cmp_lt_u32_e32 vcc, 1, v29
	v_add_u32_e32 v33, 8, v33
	v_add_u32_e32 v34, 8, v34
	s_or_b64 s[4:5], vcc, s[4:5]
	s_waitcnt vmcnt(0) lgkmcnt(0)
	v_pk_mul_f32 v[40:41], v[38:39], v[36:37] op_sel:[1,1] op_sel_hi:[0,1]
	v_pk_fma_f32 v[42:43], v[38:39], v[36:37], v[40:41] neg_lo:[0,0,1] neg_hi:[0,0,1]
	v_pk_fma_f32 v[36:37], v[38:39], v[36:37], v[40:41] op_sel_hi:[1,0,1]
	s_nop 0
	v_mov_b32_e32 v43, v37
	v_pk_add_f32 v[30:31], v[30:31], v[42:43]
	s_andn2_b64 exec, exec, s[4:5]
	s_cbranch_execnz .LBB76_25
; %bb.26:
	s_or_b64 exec, exec, s[4:5]
	v_mov_b32_e32 v29, 0
	ds_read_b64 v[34:35], v29 offset:24
	s_waitcnt lgkmcnt(0)
	v_pk_mul_f32 v[36:37], v[30:31], v[34:35] op_sel:[1,1] op_sel_hi:[0,1]
	v_pk_fma_f32 v[38:39], v[30:31], v[34:35], v[36:37] neg_lo:[0,0,1] neg_hi:[0,0,1]
	v_pk_fma_f32 v[30:31], v[30:31], v[34:35], v[36:37] op_sel_hi:[1,0,1]
	s_nop 0
	v_mov_b32_e32 v39, v31
	scratch_store_dwordx2 off, v[38:39], off offset:24
.LBB76_27:
	s_or_b64 exec, exec, s[0:1]
	; wave barrier
	scratch_load_dwordx2 v[30:31], off, off offset:32
	v_cmp_gt_u32_e32 vcc, 4, v0
	s_waitcnt vmcnt(0)
	ds_write_b64 v1, v[30:31]
	s_waitcnt lgkmcnt(0)
	; wave barrier
	s_and_saveexec_b64 s[0:1], vcc
	s_cbranch_execz .LBB76_31
; %bb.28:
	v_mov_b32_e32 v30, 0
	v_add_u32_e32 v29, -1, v0
	v_add_u32_e32 v33, 0x70, v28
	v_mov_b32_e32 v34, v28
	s_mov_b64 s[4:5], 0
	v_mov_b32_e32 v31, v30
.LBB76_29:                              ; =>This Inner Loop Header: Depth=1
	scratch_load_dwordx2 v[36:37], v34, off
	ds_read_b64 v[38:39], v33
	v_add_u32_e32 v29, 1, v29
	v_cmp_lt_u32_e32 vcc, 2, v29
	v_add_u32_e32 v33, 8, v33
	v_add_u32_e32 v34, 8, v34
	s_or_b64 s[4:5], vcc, s[4:5]
	s_waitcnt vmcnt(0) lgkmcnt(0)
	v_pk_mul_f32 v[40:41], v[38:39], v[36:37] op_sel:[1,1] op_sel_hi:[0,1]
	v_pk_fma_f32 v[42:43], v[38:39], v[36:37], v[40:41] neg_lo:[0,0,1] neg_hi:[0,0,1]
	v_pk_fma_f32 v[36:37], v[38:39], v[36:37], v[40:41] op_sel_hi:[1,0,1]
	s_nop 0
	v_mov_b32_e32 v43, v37
	v_pk_add_f32 v[30:31], v[30:31], v[42:43]
	s_andn2_b64 exec, exec, s[4:5]
	s_cbranch_execnz .LBB76_29
; %bb.30:
	s_or_b64 exec, exec, s[4:5]
	v_mov_b32_e32 v29, 0
	ds_read_b64 v[34:35], v29 offset:32
	s_waitcnt lgkmcnt(0)
	v_pk_mul_f32 v[36:37], v[30:31], v[34:35] op_sel:[1,1] op_sel_hi:[0,1]
	v_pk_fma_f32 v[38:39], v[30:31], v[34:35], v[36:37] neg_lo:[0,0,1] neg_hi:[0,0,1]
	v_pk_fma_f32 v[30:31], v[30:31], v[34:35], v[36:37] op_sel_hi:[1,0,1]
	s_nop 0
	v_mov_b32_e32 v39, v31
	scratch_store_dwordx2 off, v[38:39], off offset:32
.LBB76_31:
	s_or_b64 exec, exec, s[0:1]
	; wave barrier
	scratch_load_dwordx2 v[30:31], off, off offset:40
	v_cmp_gt_u32_e32 vcc, 5, v0
	;; [unrolled: 46-line block ×8, first 2 shown]
	s_waitcnt vmcnt(0)
	ds_write_b64 v1, v[30:31]
	s_waitcnt lgkmcnt(0)
	; wave barrier
	s_and_saveexec_b64 s[0:1], vcc
	s_cbranch_execz .LBB76_59
; %bb.56:
	v_mov_b32_e32 v30, 0
	v_add_u32_e32 v29, -1, v0
	v_add_u32_e32 v33, 0x70, v28
	v_mov_b32_e32 v34, v28
	s_mov_b64 s[4:5], 0
	v_mov_b32_e32 v31, v30
.LBB76_57:                              ; =>This Inner Loop Header: Depth=1
	scratch_load_dwordx2 v[36:37], v34, off
	ds_read_b64 v[38:39], v33
	v_add_u32_e32 v29, 1, v29
	v_cmp_lt_u32_e32 vcc, 9, v29
	v_add_u32_e32 v33, 8, v33
	v_add_u32_e32 v34, 8, v34
	s_or_b64 s[4:5], vcc, s[4:5]
	s_waitcnt vmcnt(0) lgkmcnt(0)
	v_pk_mul_f32 v[40:41], v[38:39], v[36:37] op_sel:[1,1] op_sel_hi:[0,1]
	v_pk_fma_f32 v[42:43], v[38:39], v[36:37], v[40:41] neg_lo:[0,0,1] neg_hi:[0,0,1]
	v_pk_fma_f32 v[36:37], v[38:39], v[36:37], v[40:41] op_sel_hi:[1,0,1]
	s_nop 0
	v_mov_b32_e32 v43, v37
	v_pk_add_f32 v[30:31], v[30:31], v[42:43]
	s_andn2_b64 exec, exec, s[4:5]
	s_cbranch_execnz .LBB76_57
; %bb.58:
	s_or_b64 exec, exec, s[4:5]
	v_mov_b32_e32 v29, 0
	ds_read_b64 v[34:35], v29 offset:88
	s_waitcnt lgkmcnt(0)
	v_pk_mul_f32 v[36:37], v[30:31], v[34:35] op_sel:[1,1] op_sel_hi:[0,1]
	v_pk_fma_f32 v[38:39], v[30:31], v[34:35], v[36:37] neg_lo:[0,0,1] neg_hi:[0,0,1]
	v_pk_fma_f32 v[30:31], v[30:31], v[34:35], v[36:37] op_sel_hi:[1,0,1]
	s_nop 0
	v_mov_b32_e32 v39, v31
	scratch_store_dwordx2 off, v[38:39], off offset:88
.LBB76_59:
	s_or_b64 exec, exec, s[0:1]
	; wave barrier
	scratch_load_dwordx2 v[30:31], off, off offset:96
	v_cmp_ne_u32_e32 vcc, 12, v0
	s_waitcnt vmcnt(0)
	ds_write_b64 v1, v[30:31]
	s_waitcnt lgkmcnt(0)
	; wave barrier
	s_and_saveexec_b64 s[0:1], vcc
	s_cbranch_execz .LBB76_63
; %bb.60:
	v_add_u32_e32 v1, 0x70, v28
	v_mov_b32_e32 v30, v28
	v_mov_b32_e32 v28, 0
	s_mov_b64 s[4:5], 0
	v_mov_b32_e32 v29, v28
.LBB76_61:                              ; =>This Inner Loop Header: Depth=1
	scratch_load_dwordx2 v[34:35], v30, off
	ds_read_b64 v[36:37], v1
	v_add_u32_e32 v32, 1, v32
	v_cmp_lt_u32_e32 vcc, 10, v32
	v_add_u32_e32 v1, 8, v1
	v_add_u32_e32 v30, 8, v30
	s_or_b64 s[4:5], vcc, s[4:5]
	s_waitcnt vmcnt(0) lgkmcnt(0)
	v_pk_mul_f32 v[38:39], v[36:37], v[34:35] op_sel:[1,1] op_sel_hi:[0,1]
	v_pk_fma_f32 v[40:41], v[36:37], v[34:35], v[38:39] neg_lo:[0,0,1] neg_hi:[0,0,1]
	v_pk_fma_f32 v[34:35], v[36:37], v[34:35], v[38:39] op_sel_hi:[1,0,1]
	s_nop 0
	v_mov_b32_e32 v41, v35
	v_pk_add_f32 v[28:29], v[28:29], v[40:41]
	s_andn2_b64 exec, exec, s[4:5]
	s_cbranch_execnz .LBB76_61
; %bb.62:
	s_or_b64 exec, exec, s[4:5]
	v_mov_b32_e32 v1, 0
	ds_read_b64 v[30:31], v1 offset:96
	s_waitcnt lgkmcnt(0)
	v_pk_mul_f32 v[32:33], v[28:29], v[30:31] op_sel:[1,1] op_sel_hi:[0,1]
	v_pk_fma_f32 v[34:35], v[28:29], v[30:31], v[32:33] neg_lo:[0,0,1] neg_hi:[0,0,1]
	v_pk_fma_f32 v[28:29], v[28:29], v[30:31], v[32:33] op_sel_hi:[1,0,1]
	s_nop 0
	v_mov_b32_e32 v35, v29
	scratch_store_dwordx2 off, v[34:35], off offset:96
.LBB76_63:
	s_or_b64 exec, exec, s[0:1]
	s_mov_b64 s[4:5], -1
	; wave barrier
.LBB76_64:
	s_and_b64 vcc, exec, s[4:5]
	s_cbranch_vccz .LBB76_66
; %bb.65:
	s_lshl_b64 s[0:1], s[2:3], 2
	s_add_u32 s0, s6, s0
	s_addc_u32 s1, s7, s1
	v_mov_b32_e32 v1, 0
	global_load_dword v1, v1, s[0:1]
	s_waitcnt vmcnt(0)
	v_cmp_ne_u32_e32 vcc, 0, v1
	s_cbranch_vccz .LBB76_67
.LBB76_66:
	s_endpgm
.LBB76_67:
	v_mov_b32_e32 v1, 0x70
	v_lshl_add_u32 v1, v0, 3, v1
	v_cmp_eq_u32_e32 vcc, 12, v0
	s_and_saveexec_b64 s[0:1], vcc
	s_cbranch_execz .LBB76_69
; %bb.68:
	scratch_load_dwordx2 v[28:29], off, off offset:88
	v_mov_b32_e32 v30, 0
	v_mov_b32_e32 v31, v30
	scratch_store_dwordx2 off, v[30:31], off offset:88
	s_waitcnt vmcnt(1)
	ds_write_b64 v1, v[28:29]
.LBB76_69:
	s_or_b64 exec, exec, s[0:1]
	s_waitcnt lgkmcnt(0)
	; wave barrier
	scratch_load_dwordx2 v[30:31], off, off offset:96
	scratch_load_dwordx2 v[32:33], off, off offset:88
	v_mov_b32_e32 v28, 0
	ds_read_b64 v[34:35], v28 offset:208
	v_cmp_lt_u32_e32 vcc, 10, v0
	s_waitcnt vmcnt(1) lgkmcnt(0)
	v_pk_mul_f32 v[36:37], v[34:35], v[30:31] op_sel:[1,1] op_sel_hi:[0,1]
	v_pk_fma_f32 v[38:39], v[34:35], v[30:31], v[36:37] neg_lo:[0,0,1] neg_hi:[0,0,1]
	v_pk_fma_f32 v[30:31], v[34:35], v[30:31], v[36:37] op_sel_hi:[1,0,1]
	s_nop 0
	v_mov_b32_e32 v39, v31
	v_pk_add_f32 v[30:31], v[38:39], 0 op_sel_hi:[1,0]
	s_waitcnt vmcnt(0)
	v_pk_add_f32 v[30:31], v[32:33], v[30:31] neg_lo:[0,1] neg_hi:[0,1]
	scratch_store_dwordx2 off, v[30:31], off offset:88
	s_and_saveexec_b64 s[0:1], vcc
	s_cbranch_execz .LBB76_71
; %bb.70:
	scratch_load_dwordx2 v[30:31], off, off offset:80
	v_mov_b32_e32 v29, v28
	scratch_store_dwordx2 off, v[28:29], off offset:80
	s_waitcnt vmcnt(1)
	ds_write_b64 v1, v[30:31]
.LBB76_71:
	s_or_b64 exec, exec, s[0:1]
	s_waitcnt lgkmcnt(0)
	; wave barrier
	scratch_load_dwordx4 v[30:33], off, off offset:88
	scratch_load_dwordx2 v[38:39], off, off offset:80
	ds_read2_b64 v[34:37], v28 offset0:25 offset1:26
	v_cmp_lt_u32_e32 vcc, 9, v0
	s_waitcnt vmcnt(1) lgkmcnt(0)
	v_pk_mul_f32 v[28:29], v[34:35], v[30:31] op_sel:[1,1] op_sel_hi:[0,1]
	v_mov_b32_e32 v40, v33
	v_pk_fma_f32 v[42:43], v[34:35], v[30:31], v[28:29] neg_lo:[0,0,1] neg_hi:[0,0,1]
	v_pk_fma_f32 v[28:29], v[34:35], v[30:31], v[28:29] op_sel_hi:[1,0,1]
	v_pk_mul_f32 v[30:31], v[36:37], v[40:41] op_sel:[1,0] op_sel_hi:[0,0]
	v_mov_b32_e32 v43, v29
	v_pk_fma_f32 v[28:29], v[36:37], v[32:33], v[30:31] neg_lo:[0,0,1] neg_hi:[0,0,1]
	v_pk_fma_f32 v[30:31], v[36:37], v[32:33], v[30:31] op_sel_hi:[1,0,1]
	v_pk_add_f32 v[32:33], v[42:43], 0 op_sel_hi:[1,0]
	v_mov_b32_e32 v29, v31
	v_pk_add_f32 v[28:29], v[32:33], v[28:29]
	s_waitcnt vmcnt(0)
	v_pk_add_f32 v[28:29], v[38:39], v[28:29] neg_lo:[0,1] neg_hi:[0,1]
	scratch_store_dwordx2 off, v[28:29], off offset:80
	s_and_saveexec_b64 s[0:1], vcc
	s_cbranch_execz .LBB76_73
; %bb.72:
	scratch_load_dwordx2 v[28:29], off, off offset:72
	v_mov_b32_e32 v30, 0
	v_mov_b32_e32 v31, v30
	scratch_store_dwordx2 off, v[30:31], off offset:72
	s_waitcnt vmcnt(1)
	ds_write_b64 v1, v[28:29]
.LBB76_73:
	s_or_b64 exec, exec, s[0:1]
	s_waitcnt lgkmcnt(0)
	; wave barrier
	scratch_load_dwordx4 v[30:33], off, off offset:80
	scratch_load_dwordx2 v[38:39], off, off offset:96
	scratch_load_dwordx2 v[40:41], off, off offset:72
	v_mov_b32_e32 v28, 0
	ds_read_b128 v[34:37], v28 offset:192
	ds_read_b64 v[42:43], v28 offset:208
	v_cmp_lt_u32_e32 vcc, 8, v0
	s_waitcnt vmcnt(2) lgkmcnt(1)
	v_pk_mul_f32 v[44:45], v[34:35], v[30:31] op_sel:[1,1] op_sel_hi:[0,1]
	v_mov_b32_e32 v46, v33
	v_pk_fma_f32 v[50:51], v[34:35], v[30:31], v[44:45] neg_lo:[0,0,1] neg_hi:[0,0,1]
	v_pk_fma_f32 v[30:31], v[34:35], v[30:31], v[44:45] op_sel_hi:[1,0,1]
	v_pk_mul_f32 v[34:35], v[36:37], v[46:47] op_sel:[1,0] op_sel_hi:[0,0]
	s_waitcnt vmcnt(1) lgkmcnt(0)
	v_pk_mul_f32 v[48:49], v[42:43], v[38:39] op_sel:[1,1] op_sel_hi:[0,1]
	v_mov_b32_e32 v51, v31
	v_pk_fma_f32 v[30:31], v[36:37], v[32:33], v[34:35] neg_lo:[0,0,1] neg_hi:[0,0,1]
	v_pk_fma_f32 v[32:33], v[36:37], v[32:33], v[34:35] op_sel_hi:[1,0,1]
	v_pk_fma_f32 v[44:45], v[42:43], v[38:39], v[48:49] neg_lo:[0,0,1] neg_hi:[0,0,1]
	v_pk_fma_f32 v[38:39], v[42:43], v[38:39], v[48:49] op_sel_hi:[1,0,1]
	v_pk_add_f32 v[34:35], v[50:51], 0 op_sel_hi:[1,0]
	v_mov_b32_e32 v31, v33
	v_mov_b32_e32 v45, v39
	v_pk_add_f32 v[30:31], v[34:35], v[30:31]
	s_nop 0
	v_pk_add_f32 v[30:31], v[30:31], v[44:45]
	s_waitcnt vmcnt(0)
	v_pk_add_f32 v[30:31], v[40:41], v[30:31] neg_lo:[0,1] neg_hi:[0,1]
	scratch_store_dwordx2 off, v[30:31], off offset:72
	s_and_saveexec_b64 s[0:1], vcc
	s_cbranch_execz .LBB76_75
; %bb.74:
	scratch_load_dwordx2 v[30:31], off, off offset:64
	v_mov_b32_e32 v29, v28
	scratch_store_dwordx2 off, v[28:29], off offset:64
	s_waitcnt vmcnt(1)
	ds_write_b64 v1, v[30:31]
.LBB76_75:
	s_or_b64 exec, exec, s[0:1]
	s_waitcnt lgkmcnt(0)
	; wave barrier
	scratch_load_dwordx4 v[30:33], off, off offset:72
	scratch_load_dwordx4 v[34:37], off, off offset:88
	scratch_load_dwordx2 v[46:47], off, off offset:64
	ds_read2_b64 v[38:41], v28 offset0:23 offset1:24
	ds_read2_b64 v[42:45], v28 offset0:25 offset1:26
	v_cmp_lt_u32_e32 vcc, 7, v0
	s_waitcnt vmcnt(2) lgkmcnt(1)
	v_pk_mul_f32 v[28:29], v[38:39], v[30:31] op_sel:[1,1] op_sel_hi:[0,1]
	v_mov_b32_e32 v48, v33
	s_waitcnt vmcnt(1) lgkmcnt(0)
	v_pk_mul_f32 v[50:51], v[42:43], v[34:35] op_sel:[1,1] op_sel_hi:[0,1]
	v_mov_b32_e32 v52, v37
	v_pk_fma_f32 v[54:55], v[38:39], v[30:31], v[28:29] neg_lo:[0,0,1] neg_hi:[0,0,1]
	v_pk_fma_f32 v[28:29], v[38:39], v[30:31], v[28:29] op_sel_hi:[1,0,1]
	v_pk_mul_f32 v[30:31], v[40:41], v[48:49] op_sel:[1,0] op_sel_hi:[0,0]
	v_pk_fma_f32 v[38:39], v[42:43], v[34:35], v[50:51] neg_lo:[0,0,1] neg_hi:[0,0,1]
	v_pk_fma_f32 v[34:35], v[42:43], v[34:35], v[50:51] op_sel_hi:[1,0,1]
	v_pk_mul_f32 v[42:43], v[44:45], v[52:53] op_sel:[1,0] op_sel_hi:[0,0]
	v_mov_b32_e32 v55, v29
	v_pk_fma_f32 v[28:29], v[40:41], v[32:33], v[30:31] neg_lo:[0,0,1] neg_hi:[0,0,1]
	v_pk_fma_f32 v[30:31], v[40:41], v[32:33], v[30:31] op_sel_hi:[1,0,1]
	v_mov_b32_e32 v39, v35
	v_pk_fma_f32 v[32:33], v[44:45], v[36:37], v[42:43] neg_lo:[0,0,1] neg_hi:[0,0,1]
	v_pk_fma_f32 v[34:35], v[44:45], v[36:37], v[42:43] op_sel_hi:[1,0,1]
	v_pk_add_f32 v[36:37], v[54:55], 0 op_sel_hi:[1,0]
	v_mov_b32_e32 v29, v31
	v_pk_add_f32 v[28:29], v[36:37], v[28:29]
	v_mov_b32_e32 v33, v35
	v_pk_add_f32 v[28:29], v[28:29], v[38:39]
	s_nop 0
	v_pk_add_f32 v[28:29], v[28:29], v[32:33]
	s_waitcnt vmcnt(0)
	v_pk_add_f32 v[28:29], v[46:47], v[28:29] neg_lo:[0,1] neg_hi:[0,1]
	scratch_store_dwordx2 off, v[28:29], off offset:64
	s_and_saveexec_b64 s[0:1], vcc
	s_cbranch_execz .LBB76_77
; %bb.76:
	scratch_load_dwordx2 v[28:29], off, off offset:56
	v_mov_b32_e32 v30, 0
	v_mov_b32_e32 v31, v30
	scratch_store_dwordx2 off, v[30:31], off offset:56
	s_waitcnt vmcnt(1)
	ds_write_b64 v1, v[28:29]
.LBB76_77:
	s_or_b64 exec, exec, s[0:1]
	s_waitcnt lgkmcnt(0)
	; wave barrier
	scratch_load_dwordx4 v[30:33], off, off offset:64
	scratch_load_dwordx4 v[34:37], off, off offset:80
	scratch_load_dwordx2 v[46:47], off, off offset:96
	scratch_load_dwordx2 v[48:49], off, off offset:56
	v_mov_b32_e32 v28, 0
	ds_read_b128 v[38:41], v28 offset:176
	ds_read_b128 v[42:45], v28 offset:192
	ds_read_b64 v[50:51], v28 offset:208
	v_cmp_lt_u32_e32 vcc, 6, v0
	s_waitcnt vmcnt(3) lgkmcnt(2)
	v_pk_mul_f32 v[52:53], v[38:39], v[30:31] op_sel:[1,1] op_sel_hi:[0,1]
	v_mov_b32_e32 v54, v33
	v_pk_fma_f32 v[62:63], v[38:39], v[30:31], v[52:53] neg_lo:[0,0,1] neg_hi:[0,0,1]
	v_pk_fma_f32 v[30:31], v[38:39], v[30:31], v[52:53] op_sel_hi:[1,0,1]
	v_pk_mul_f32 v[38:39], v[40:41], v[54:55] op_sel:[1,0] op_sel_hi:[0,0]
	s_waitcnt vmcnt(2) lgkmcnt(1)
	v_pk_mul_f32 v[56:57], v[42:43], v[34:35] op_sel:[1,1] op_sel_hi:[0,1]
	v_mov_b32_e32 v58, v37
	v_mov_b32_e32 v63, v31
	v_pk_fma_f32 v[30:31], v[40:41], v[32:33], v[38:39] neg_lo:[0,0,1] neg_hi:[0,0,1]
	v_pk_fma_f32 v[32:33], v[40:41], v[32:33], v[38:39] op_sel_hi:[1,0,1]
	v_pk_fma_f32 v[52:53], v[42:43], v[34:35], v[56:57] neg_lo:[0,0,1] neg_hi:[0,0,1]
	v_pk_fma_f32 v[34:35], v[42:43], v[34:35], v[56:57] op_sel_hi:[1,0,1]
	v_pk_mul_f32 v[42:43], v[44:45], v[58:59] op_sel:[1,0] op_sel_hi:[0,0]
	v_pk_add_f32 v[38:39], v[62:63], 0 op_sel_hi:[1,0]
	v_mov_b32_e32 v31, v33
	s_waitcnt vmcnt(1) lgkmcnt(0)
	v_pk_mul_f32 v[60:61], v[50:51], v[46:47] op_sel:[1,1] op_sel_hi:[0,1]
	v_mov_b32_e32 v53, v35
	v_pk_fma_f32 v[34:35], v[44:45], v[36:37], v[42:43] neg_lo:[0,0,1] neg_hi:[0,0,1]
	v_pk_fma_f32 v[36:37], v[44:45], v[36:37], v[42:43] op_sel_hi:[1,0,1]
	v_pk_add_f32 v[30:31], v[38:39], v[30:31]
	v_pk_fma_f32 v[54:55], v[50:51], v[46:47], v[60:61] neg_lo:[0,0,1] neg_hi:[0,0,1]
	v_pk_fma_f32 v[46:47], v[50:51], v[46:47], v[60:61] op_sel_hi:[1,0,1]
	v_mov_b32_e32 v35, v37
	v_pk_add_f32 v[30:31], v[30:31], v[52:53]
	v_mov_b32_e32 v55, v47
	v_pk_add_f32 v[30:31], v[30:31], v[34:35]
	s_nop 0
	v_pk_add_f32 v[30:31], v[30:31], v[54:55]
	s_waitcnt vmcnt(0)
	v_pk_add_f32 v[30:31], v[48:49], v[30:31] neg_lo:[0,1] neg_hi:[0,1]
	scratch_store_dwordx2 off, v[30:31], off offset:56
	s_and_saveexec_b64 s[0:1], vcc
	s_cbranch_execz .LBB76_79
; %bb.78:
	scratch_load_dwordx2 v[30:31], off, off offset:48
	v_mov_b32_e32 v29, v28
	scratch_store_dwordx2 off, v[28:29], off offset:48
	s_waitcnt vmcnt(1)
	ds_write_b64 v1, v[30:31]
.LBB76_79:
	s_or_b64 exec, exec, s[0:1]
	s_waitcnt lgkmcnt(0)
	; wave barrier
	scratch_load_dwordx4 v[30:33], off, off offset:56
	scratch_load_dwordx4 v[34:37], off, off offset:72
	;; [unrolled: 1-line block ×3, first 2 shown]
	scratch_load_dwordx2 v[54:55], off, off offset:48
	ds_read2_b64 v[42:45], v28 offset0:21 offset1:22
	ds_read2_b64 v[46:49], v28 offset0:23 offset1:24
	;; [unrolled: 1-line block ×3, first 2 shown]
	v_cmp_lt_u32_e32 vcc, 5, v0
	s_waitcnt vmcnt(3) lgkmcnt(2)
	v_pk_mul_f32 v[28:29], v[42:43], v[30:31] op_sel:[1,1] op_sel_hi:[0,1]
	v_mov_b32_e32 v56, v33
	s_waitcnt vmcnt(2) lgkmcnt(1)
	v_pk_mul_f32 v[58:59], v[46:47], v[34:35] op_sel:[1,1] op_sel_hi:[0,1]
	v_mov_b32_e32 v60, v37
	;; [unrolled: 3-line block ×3, first 2 shown]
	v_pk_fma_f32 v[66:67], v[42:43], v[30:31], v[28:29] neg_lo:[0,0,1] neg_hi:[0,0,1]
	v_pk_fma_f32 v[28:29], v[42:43], v[30:31], v[28:29] op_sel_hi:[1,0,1]
	v_pk_mul_f32 v[30:31], v[44:45], v[56:57] op_sel:[1,0] op_sel_hi:[0,0]
	v_pk_fma_f32 v[42:43], v[46:47], v[34:35], v[58:59] neg_lo:[0,0,1] neg_hi:[0,0,1]
	v_pk_fma_f32 v[34:35], v[46:47], v[34:35], v[58:59] op_sel_hi:[1,0,1]
	v_pk_mul_f32 v[46:47], v[48:49], v[60:61] op_sel:[1,0] op_sel_hi:[0,0]
	;; [unrolled: 3-line block ×3, first 2 shown]
	v_mov_b32_e32 v67, v29
	v_pk_fma_f32 v[28:29], v[44:45], v[32:33], v[30:31] neg_lo:[0,0,1] neg_hi:[0,0,1]
	v_pk_fma_f32 v[30:31], v[44:45], v[32:33], v[30:31] op_sel_hi:[1,0,1]
	v_mov_b32_e32 v43, v35
	v_pk_fma_f32 v[32:33], v[48:49], v[36:37], v[46:47] neg_lo:[0,0,1] neg_hi:[0,0,1]
	v_pk_fma_f32 v[34:35], v[48:49], v[36:37], v[46:47] op_sel_hi:[1,0,1]
	;; [unrolled: 3-line block ×3, first 2 shown]
	v_pk_add_f32 v[40:41], v[66:67], 0 op_sel_hi:[1,0]
	v_mov_b32_e32 v29, v31
	v_pk_add_f32 v[28:29], v[40:41], v[28:29]
	v_mov_b32_e32 v33, v35
	v_pk_add_f32 v[28:29], v[28:29], v[42:43]
	;; [unrolled: 2-line block ×3, first 2 shown]
	s_nop 0
	v_pk_add_f32 v[28:29], v[28:29], v[56:57]
	s_nop 0
	v_pk_add_f32 v[28:29], v[28:29], v[36:37]
	s_waitcnt vmcnt(0)
	v_pk_add_f32 v[28:29], v[54:55], v[28:29] neg_lo:[0,1] neg_hi:[0,1]
	scratch_store_dwordx2 off, v[28:29], off offset:48
	s_and_saveexec_b64 s[0:1], vcc
	s_cbranch_execz .LBB76_81
; %bb.80:
	scratch_load_dwordx2 v[28:29], off, off offset:40
	v_mov_b32_e32 v30, 0
	v_mov_b32_e32 v31, v30
	scratch_store_dwordx2 off, v[30:31], off offset:40
	s_waitcnt vmcnt(1)
	ds_write_b64 v1, v[28:29]
.LBB76_81:
	s_or_b64 exec, exec, s[0:1]
	s_waitcnt lgkmcnt(0)
	; wave barrier
	scratch_load_dwordx4 v[30:33], off, off offset:48
	scratch_load_dwordx4 v[34:37], off, off offset:64
	;; [unrolled: 1-line block ×3, first 2 shown]
	scratch_load_dwordx2 v[54:55], off, off offset:96
	scratch_load_dwordx2 v[56:57], off, off offset:40
	v_mov_b32_e32 v28, 0
	ds_read_b128 v[42:45], v28 offset:160
	ds_read_b128 v[46:49], v28 offset:176
	;; [unrolled: 1-line block ×3, first 2 shown]
	ds_read_b64 v[58:59], v28 offset:208
	v_cmp_lt_u32_e32 vcc, 4, v0
	s_waitcnt vmcnt(4) lgkmcnt(3)
	v_pk_mul_f32 v[60:61], v[42:43], v[30:31] op_sel:[1,1] op_sel_hi:[0,1]
	v_mov_b32_e32 v62, v33
	v_pk_fma_f32 v[74:75], v[42:43], v[30:31], v[60:61] neg_lo:[0,0,1] neg_hi:[0,0,1]
	v_pk_fma_f32 v[30:31], v[42:43], v[30:31], v[60:61] op_sel_hi:[1,0,1]
	v_pk_mul_f32 v[42:43], v[44:45], v[62:63] op_sel:[1,0] op_sel_hi:[0,0]
	s_waitcnt vmcnt(3) lgkmcnt(2)
	v_pk_mul_f32 v[64:65], v[46:47], v[34:35] op_sel:[1,1] op_sel_hi:[0,1]
	v_mov_b32_e32 v66, v37
	v_mov_b32_e32 v75, v31
	v_pk_fma_f32 v[30:31], v[44:45], v[32:33], v[42:43] neg_lo:[0,0,1] neg_hi:[0,0,1]
	v_pk_fma_f32 v[32:33], v[44:45], v[32:33], v[42:43] op_sel_hi:[1,0,1]
	v_pk_fma_f32 v[60:61], v[46:47], v[34:35], v[64:65] neg_lo:[0,0,1] neg_hi:[0,0,1]
	v_pk_fma_f32 v[34:35], v[46:47], v[34:35], v[64:65] op_sel_hi:[1,0,1]
	v_pk_mul_f32 v[46:47], v[48:49], v[66:67] op_sel:[1,0] op_sel_hi:[0,0]
	v_pk_add_f32 v[42:43], v[74:75], 0 op_sel_hi:[1,0]
	v_mov_b32_e32 v31, v33
	s_waitcnt vmcnt(2) lgkmcnt(1)
	v_pk_mul_f32 v[68:69], v[50:51], v[38:39] op_sel:[1,1] op_sel_hi:[0,1]
	v_mov_b32_e32 v70, v41
	v_mov_b32_e32 v61, v35
	v_pk_fma_f32 v[34:35], v[48:49], v[36:37], v[46:47] neg_lo:[0,0,1] neg_hi:[0,0,1]
	v_pk_fma_f32 v[36:37], v[48:49], v[36:37], v[46:47] op_sel_hi:[1,0,1]
	v_pk_add_f32 v[30:31], v[42:43], v[30:31]
	v_pk_fma_f32 v[62:63], v[50:51], v[38:39], v[68:69] neg_lo:[0,0,1] neg_hi:[0,0,1]
	v_pk_fma_f32 v[38:39], v[50:51], v[38:39], v[68:69] op_sel_hi:[1,0,1]
	v_pk_mul_f32 v[50:51], v[52:53], v[70:71] op_sel:[1,0] op_sel_hi:[0,0]
	v_mov_b32_e32 v35, v37
	v_pk_add_f32 v[30:31], v[30:31], v[60:61]
	s_waitcnt vmcnt(1) lgkmcnt(0)
	v_pk_mul_f32 v[72:73], v[58:59], v[54:55] op_sel:[1,1] op_sel_hi:[0,1]
	v_mov_b32_e32 v63, v39
	v_pk_fma_f32 v[38:39], v[52:53], v[40:41], v[50:51] neg_lo:[0,0,1] neg_hi:[0,0,1]
	v_pk_fma_f32 v[40:41], v[52:53], v[40:41], v[50:51] op_sel_hi:[1,0,1]
	v_pk_add_f32 v[30:31], v[30:31], v[34:35]
	v_pk_fma_f32 v[64:65], v[58:59], v[54:55], v[72:73] neg_lo:[0,0,1] neg_hi:[0,0,1]
	v_pk_fma_f32 v[54:55], v[58:59], v[54:55], v[72:73] op_sel_hi:[1,0,1]
	v_mov_b32_e32 v39, v41
	v_pk_add_f32 v[30:31], v[30:31], v[62:63]
	v_mov_b32_e32 v65, v55
	v_pk_add_f32 v[30:31], v[30:31], v[38:39]
	s_nop 0
	v_pk_add_f32 v[30:31], v[30:31], v[64:65]
	s_waitcnt vmcnt(0)
	v_pk_add_f32 v[30:31], v[56:57], v[30:31] neg_lo:[0,1] neg_hi:[0,1]
	scratch_store_dwordx2 off, v[30:31], off offset:40
	s_and_saveexec_b64 s[0:1], vcc
	s_cbranch_execz .LBB76_83
; %bb.82:
	scratch_load_dwordx2 v[30:31], off, off offset:32
	v_mov_b32_e32 v29, v28
	scratch_store_dwordx2 off, v[28:29], off offset:32
	s_waitcnt vmcnt(1)
	ds_write_b64 v1, v[30:31]
.LBB76_83:
	s_or_b64 exec, exec, s[0:1]
	s_waitcnt lgkmcnt(0)
	; wave barrier
	scratch_load_dwordx4 v[30:33], off, off offset:40
	scratch_load_dwordx4 v[34:37], off, off offset:56
	;; [unrolled: 1-line block ×4, first 2 shown]
	scratch_load_dwordx2 v[62:63], off, off offset:32
	ds_read2_b64 v[46:49], v28 offset0:19 offset1:20
	ds_read2_b64 v[50:53], v28 offset0:21 offset1:22
	;; [unrolled: 1-line block ×4, first 2 shown]
	v_cmp_lt_u32_e32 vcc, 3, v0
	s_waitcnt vmcnt(4) lgkmcnt(3)
	v_pk_mul_f32 v[28:29], v[46:47], v[30:31] op_sel:[1,1] op_sel_hi:[0,1]
	v_mov_b32_e32 v64, v33
	s_waitcnt vmcnt(3) lgkmcnt(2)
	v_pk_mul_f32 v[66:67], v[50:51], v[34:35] op_sel:[1,1] op_sel_hi:[0,1]
	v_mov_b32_e32 v68, v37
	;; [unrolled: 3-line block ×4, first 2 shown]
	v_pk_fma_f32 v[78:79], v[46:47], v[30:31], v[28:29] neg_lo:[0,0,1] neg_hi:[0,0,1]
	v_pk_fma_f32 v[28:29], v[46:47], v[30:31], v[28:29] op_sel_hi:[1,0,1]
	v_pk_mul_f32 v[30:31], v[48:49], v[64:65] op_sel:[1,0] op_sel_hi:[0,0]
	v_pk_fma_f32 v[46:47], v[50:51], v[34:35], v[66:67] neg_lo:[0,0,1] neg_hi:[0,0,1]
	v_pk_fma_f32 v[34:35], v[50:51], v[34:35], v[66:67] op_sel_hi:[1,0,1]
	v_pk_mul_f32 v[50:51], v[52:53], v[68:69] op_sel:[1,0] op_sel_hi:[0,0]
	;; [unrolled: 3-line block ×4, first 2 shown]
	v_mov_b32_e32 v79, v29
	v_pk_fma_f32 v[28:29], v[48:49], v[32:33], v[30:31] neg_lo:[0,0,1] neg_hi:[0,0,1]
	v_pk_fma_f32 v[30:31], v[48:49], v[32:33], v[30:31] op_sel_hi:[1,0,1]
	v_mov_b32_e32 v47, v35
	v_pk_fma_f32 v[32:33], v[52:53], v[36:37], v[50:51] neg_lo:[0,0,1] neg_hi:[0,0,1]
	v_pk_fma_f32 v[34:35], v[52:53], v[36:37], v[50:51] op_sel_hi:[1,0,1]
	;; [unrolled: 3-line block ×4, first 2 shown]
	v_pk_add_f32 v[44:45], v[78:79], 0 op_sel_hi:[1,0]
	v_mov_b32_e32 v29, v31
	v_pk_add_f32 v[28:29], v[44:45], v[28:29]
	v_mov_b32_e32 v33, v35
	v_pk_add_f32 v[28:29], v[28:29], v[46:47]
	;; [unrolled: 2-line block ×4, first 2 shown]
	s_nop 0
	v_pk_add_f32 v[28:29], v[28:29], v[36:37]
	s_nop 0
	v_pk_add_f32 v[28:29], v[28:29], v[66:67]
	s_nop 0
	v_pk_add_f32 v[28:29], v[28:29], v[40:41]
	s_waitcnt vmcnt(0)
	v_pk_add_f32 v[28:29], v[62:63], v[28:29] neg_lo:[0,1] neg_hi:[0,1]
	scratch_store_dwordx2 off, v[28:29], off offset:32
	s_and_saveexec_b64 s[0:1], vcc
	s_cbranch_execz .LBB76_85
; %bb.84:
	scratch_load_dwordx2 v[28:29], off, off offset:24
	v_mov_b32_e32 v30, 0
	v_mov_b32_e32 v31, v30
	scratch_store_dwordx2 off, v[30:31], off offset:24
	s_waitcnt vmcnt(1)
	ds_write_b64 v1, v[28:29]
.LBB76_85:
	s_or_b64 exec, exec, s[0:1]
	s_waitcnt lgkmcnt(0)
	; wave barrier
	scratch_load_dwordx4 v[30:33], off, off offset:32
	scratch_load_dwordx4 v[34:37], off, off offset:48
	;; [unrolled: 1-line block ×4, first 2 shown]
	scratch_load_dwordx2 v[62:63], off, off offset:96
	scratch_load_dwordx2 v[64:65], off, off offset:24
	v_mov_b32_e32 v28, 0
	ds_read_b128 v[46:49], v28 offset:144
	ds_read_b128 v[50:53], v28 offset:160
	;; [unrolled: 1-line block ×4, first 2 shown]
	ds_read_b64 v[66:67], v28 offset:208
	v_cmp_lt_u32_e32 vcc, 2, v0
	s_waitcnt vmcnt(5) lgkmcnt(4)
	v_mul_f32_e32 v69, v46, v31
	v_mul_f32_e32 v29, v47, v31
	v_mov_b32_e32 v70, v33
	s_waitcnt vmcnt(4) lgkmcnt(3)
	v_pk_mul_f32 v[72:73], v[50:51], v[34:35] op_sel:[1,1] op_sel_hi:[0,1]
	v_mov_b32_e32 v74, v37
	s_waitcnt vmcnt(1) lgkmcnt(0)
	v_pk_mul_f32 v[84:85], v[66:67], v[62:63] op_sel:[1,1] op_sel_hi:[0,1]
	v_fmac_f32_e32 v69, v47, v30
	v_fma_f32 v68, v46, v30, -v29
	v_pk_mul_f32 v[30:31], v[48:49], v[70:71] op_sel:[1,0] op_sel_hi:[0,0]
	v_pk_fma_f32 v[46:47], v[50:51], v[34:35], v[72:73] neg_lo:[0,0,1] neg_hi:[0,0,1]
	v_pk_fma_f32 v[34:35], v[50:51], v[34:35], v[72:73] op_sel_hi:[1,0,1]
	v_pk_mul_f32 v[50:51], v[52:53], v[74:75] op_sel:[1,0] op_sel_hi:[0,0]
	v_pk_fma_f32 v[74:75], v[66:67], v[62:63], v[84:85] neg_lo:[0,0,1] neg_hi:[0,0,1]
	v_pk_fma_f32 v[62:63], v[66:67], v[62:63], v[84:85] op_sel_hi:[1,0,1]
	v_pk_add_f32 v[66:67], v[68:69], 0 op_sel_hi:[1,0]
	v_pk_fma_f32 v[68:69], v[48:49], v[32:33], v[30:31] neg_lo:[0,0,1] neg_hi:[0,0,1]
	v_pk_fma_f32 v[30:31], v[48:49], v[32:33], v[30:31] op_sel_hi:[1,0,1]
	v_pk_mul_f32 v[76:77], v[54:55], v[38:39] op_sel:[1,1] op_sel_hi:[0,1]
	v_mov_b32_e32 v69, v31
	v_mov_b32_e32 v78, v41
	;; [unrolled: 1-line block ×3, first 2 shown]
	v_pk_fma_f32 v[32:33], v[52:53], v[36:37], v[50:51] neg_lo:[0,0,1] neg_hi:[0,0,1]
	v_pk_fma_f32 v[34:35], v[52:53], v[36:37], v[50:51] op_sel_hi:[1,0,1]
	v_pk_add_f32 v[30:31], v[66:67], v[68:69]
	v_pk_fma_f32 v[70:71], v[54:55], v[38:39], v[76:77] neg_lo:[0,0,1] neg_hi:[0,0,1]
	v_pk_fma_f32 v[38:39], v[54:55], v[38:39], v[76:77] op_sel_hi:[1,0,1]
	v_pk_mul_f32 v[54:55], v[56:57], v[78:79] op_sel:[1,0] op_sel_hi:[0,0]
	v_mov_b32_e32 v33, v35
	v_pk_add_f32 v[30:31], v[30:31], v[46:47]
	v_pk_mul_f32 v[80:81], v[58:59], v[42:43] op_sel:[1,1] op_sel_hi:[0,1]
	v_mov_b32_e32 v82, v45
	v_mov_b32_e32 v71, v39
	v_pk_fma_f32 v[36:37], v[56:57], v[40:41], v[54:55] neg_lo:[0,0,1] neg_hi:[0,0,1]
	v_pk_fma_f32 v[38:39], v[56:57], v[40:41], v[54:55] op_sel_hi:[1,0,1]
	v_pk_add_f32 v[30:31], v[30:31], v[32:33]
	v_pk_fma_f32 v[72:73], v[58:59], v[42:43], v[80:81] neg_lo:[0,0,1] neg_hi:[0,0,1]
	v_pk_fma_f32 v[42:43], v[58:59], v[42:43], v[80:81] op_sel_hi:[1,0,1]
	v_pk_mul_f32 v[58:59], v[60:61], v[82:83] op_sel:[1,0] op_sel_hi:[0,0]
	v_mov_b32_e32 v37, v39
	v_pk_add_f32 v[30:31], v[30:31], v[70:71]
	v_mov_b32_e32 v73, v43
	v_pk_fma_f32 v[40:41], v[60:61], v[44:45], v[58:59] neg_lo:[0,0,1] neg_hi:[0,0,1]
	v_pk_fma_f32 v[42:43], v[60:61], v[44:45], v[58:59] op_sel_hi:[1,0,1]
	v_pk_add_f32 v[30:31], v[30:31], v[36:37]
	v_mov_b32_e32 v41, v43
	v_pk_add_f32 v[30:31], v[30:31], v[72:73]
	v_mov_b32_e32 v75, v63
	v_pk_add_f32 v[30:31], v[30:31], v[40:41]
	s_nop 0
	v_pk_add_f32 v[30:31], v[30:31], v[74:75]
	s_waitcnt vmcnt(0)
	v_pk_add_f32 v[30:31], v[64:65], v[30:31] neg_lo:[0,1] neg_hi:[0,1]
	scratch_store_dwordx2 off, v[30:31], off offset:24
	s_and_saveexec_b64 s[0:1], vcc
	s_cbranch_execz .LBB76_87
; %bb.86:
	scratch_load_dwordx2 v[30:31], off, off offset:16
	v_mov_b32_e32 v29, v28
	scratch_store_dwordx2 off, v[28:29], off offset:16
	s_waitcnt vmcnt(1)
	ds_write_b64 v1, v[30:31]
.LBB76_87:
	s_or_b64 exec, exec, s[0:1]
	s_waitcnt lgkmcnt(0)
	; wave barrier
	scratch_load_dwordx4 v[30:33], off, off offset:24
	scratch_load_dwordx4 v[34:37], off, off offset:40
	;; [unrolled: 1-line block ×5, first 2 shown]
	scratch_load_dwordx2 v[70:71], off, off offset:16
	ds_read2_b64 v[50:53], v28 offset0:17 offset1:18
	ds_read2_b64 v[54:57], v28 offset0:19 offset1:20
	;; [unrolled: 1-line block ×5, first 2 shown]
	v_cmp_lt_u32_e32 vcc, 1, v0
	s_waitcnt vmcnt(5) lgkmcnt(4)
	v_mul_f32_e32 v29, v50, v31
	v_mul_f32_e32 v28, v51, v31
	;; [unrolled: 1-line block ×4, first 2 shown]
	s_waitcnt vmcnt(4) lgkmcnt(3)
	v_pk_mul_f32 v[74:75], v[54:55], v[34:35] op_sel:[1,1] op_sel_hi:[0,1]
	v_mov_b32_e32 v76, v37
	v_fmac_f32_e32 v29, v51, v30
	v_fma_f32 v28, v50, v30, -v28
	v_fmac_f32_e32 v73, v53, v32
	v_fma_f32 v72, v52, v32, -v31
	v_pk_fma_f32 v[30:31], v[54:55], v[34:35], v[74:75] neg_lo:[0,0,1] neg_hi:[0,0,1]
	v_pk_fma_f32 v[32:33], v[54:55], v[34:35], v[74:75] op_sel_hi:[1,0,1]
	v_pk_mul_f32 v[34:35], v[56:57], v[76:77] op_sel:[1,0] op_sel_hi:[0,0]
	v_pk_add_f32 v[28:29], v[28:29], 0 op_sel_hi:[1,0]
	s_waitcnt vmcnt(3) lgkmcnt(2)
	v_pk_mul_f32 v[78:79], v[58:59], v[38:39] op_sel:[1,1] op_sel_hi:[0,1]
	v_mov_b32_e32 v80, v41
	v_mov_b32_e32 v31, v33
	v_pk_fma_f32 v[32:33], v[56:57], v[36:37], v[34:35] neg_lo:[0,0,1] neg_hi:[0,0,1]
	v_pk_fma_f32 v[34:35], v[56:57], v[36:37], v[34:35] op_sel_hi:[1,0,1]
	v_pk_add_f32 v[28:29], v[28:29], v[72:73]
	v_pk_fma_f32 v[50:51], v[58:59], v[38:39], v[78:79] neg_lo:[0,0,1] neg_hi:[0,0,1]
	v_pk_fma_f32 v[38:39], v[58:59], v[38:39], v[78:79] op_sel_hi:[1,0,1]
	v_pk_mul_f32 v[52:53], v[60:61], v[80:81] op_sel:[1,0] op_sel_hi:[0,0]
	v_mov_b32_e32 v33, v35
	v_pk_add_f32 v[28:29], v[28:29], v[30:31]
	s_waitcnt vmcnt(2) lgkmcnt(1)
	v_pk_mul_f32 v[82:83], v[62:63], v[42:43] op_sel:[1,1] op_sel_hi:[0,1]
	v_mov_b32_e32 v84, v45
	v_mov_b32_e32 v51, v39
	v_pk_fma_f32 v[36:37], v[60:61], v[40:41], v[52:53] neg_lo:[0,0,1] neg_hi:[0,0,1]
	v_pk_fma_f32 v[38:39], v[60:61], v[40:41], v[52:53] op_sel_hi:[1,0,1]
	v_pk_add_f32 v[28:29], v[28:29], v[32:33]
	v_pk_fma_f32 v[54:55], v[62:63], v[42:43], v[82:83] neg_lo:[0,0,1] neg_hi:[0,0,1]
	v_pk_fma_f32 v[42:43], v[62:63], v[42:43], v[82:83] op_sel_hi:[1,0,1]
	v_pk_mul_f32 v[58:59], v[64:65], v[84:85] op_sel:[1,0] op_sel_hi:[0,0]
	v_mov_b32_e32 v37, v39
	v_pk_add_f32 v[28:29], v[28:29], v[50:51]
	;; [unrolled: 12-line block ×3, first 2 shown]
	v_mov_b32_e32 v63, v47
	v_pk_fma_f32 v[44:45], v[68:69], v[48:49], v[66:67] neg_lo:[0,0,1] neg_hi:[0,0,1]
	v_pk_fma_f32 v[46:47], v[68:69], v[48:49], v[66:67] op_sel_hi:[1,0,1]
	v_pk_add_f32 v[28:29], v[28:29], v[40:41]
	v_mov_b32_e32 v45, v47
	v_pk_add_f32 v[28:29], v[28:29], v[62:63]
	s_nop 0
	v_pk_add_f32 v[28:29], v[28:29], v[44:45]
	s_waitcnt vmcnt(0)
	v_pk_add_f32 v[28:29], v[70:71], v[28:29] neg_lo:[0,1] neg_hi:[0,1]
	scratch_store_dwordx2 off, v[28:29], off offset:16
	s_and_saveexec_b64 s[0:1], vcc
	s_cbranch_execz .LBB76_89
; %bb.88:
	scratch_load_dwordx2 v[28:29], off, off offset:8
	v_mov_b32_e32 v30, 0
	v_mov_b32_e32 v31, v30
	scratch_store_dwordx2 off, v[30:31], off offset:8
	s_waitcnt vmcnt(1)
	ds_write_b64 v1, v[28:29]
.LBB76_89:
	s_or_b64 exec, exec, s[0:1]
	s_waitcnt lgkmcnt(0)
	; wave barrier
	scratch_load_dwordx4 v[30:33], off, off offset:16
	scratch_load_dwordx4 v[34:37], off, off offset:32
	;; [unrolled: 1-line block ×5, first 2 shown]
	scratch_load_dwordx2 v[70:71], off, off offset:96
	scratch_load_dwordx2 v[72:73], off, off offset:8
	v_mov_b32_e32 v28, 0
	ds_read_b128 v[50:53], v28 offset:128
	ds_read_b128 v[54:57], v28 offset:144
	;; [unrolled: 1-line block ×5, first 2 shown]
	ds_read_b64 v[74:75], v28 offset:208
	v_cmp_ne_u32_e32 vcc, 0, v0
	s_waitcnt vmcnt(6) lgkmcnt(5)
	v_mul_f32_e32 v29, v50, v31
	v_mul_f32_e32 v31, v51, v31
	;; [unrolled: 1-line block ×3, first 2 shown]
	s_waitcnt vmcnt(5) lgkmcnt(4)
	v_mul_f32_e32 v79, v54, v35
	v_mul_f32_e32 v33, v53, v33
	;; [unrolled: 1-line block ×3, first 2 shown]
	v_mov_b32_e32 v80, v37
	s_waitcnt vmcnt(3) lgkmcnt(2)
	v_pk_mul_f32 v[86:87], v[62:63], v[42:43] op_sel:[1,1] op_sel_hi:[0,1]
	s_waitcnt vmcnt(2) lgkmcnt(1)
	v_pk_mul_f32 v[90:91], v[66:67], v[46:47] op_sel:[1,1] op_sel_hi:[0,1]
	;; [unrolled: 2-line block ×3, first 2 shown]
	v_fmac_f32_e32 v29, v51, v30
	v_fma_f32 v81, v50, v30, -v31
	v_fmac_f32_e32 v77, v53, v32
	v_fmac_f32_e32 v79, v55, v34
	v_fma_f32 v76, v52, v32, -v33
	v_fma_f32 v78, v54, v34, -v35
	v_pk_mul_f32 v[30:31], v[56:57], v[80:81] op_sel:[1,0] op_sel_hi:[0,0]
	v_pk_fma_f32 v[50:51], v[62:63], v[42:43], v[86:87] neg_lo:[0,0,1] neg_hi:[0,0,1]
	v_pk_fma_f32 v[42:43], v[62:63], v[42:43], v[86:87] op_sel_hi:[1,0,1]
	v_pk_fma_f32 v[54:55], v[66:67], v[46:47], v[90:91] neg_lo:[0,0,1] neg_hi:[0,0,1]
	v_pk_fma_f32 v[46:47], v[66:67], v[46:47], v[90:91] op_sel_hi:[1,0,1]
	;; [unrolled: 2-line block ×3, first 2 shown]
	v_add_f32_e32 v71, 0, v29
	v_add_f32_e32 v70, 0, v81
	v_pk_mul_f32 v[82:83], v[58:59], v[38:39] op_sel:[1,1] op_sel_hi:[0,1]
	v_mov_b32_e32 v84, v41
	v_pk_fma_f32 v[74:75], v[56:57], v[36:37], v[30:31] neg_lo:[0,0,1] neg_hi:[0,0,1]
	v_pk_fma_f32 v[30:31], v[56:57], v[36:37], v[30:31] op_sel_hi:[1,0,1]
	v_mov_b32_e32 v55, v47
	v_pk_add_f32 v[46:47], v[70:71], v[76:77]
	v_pk_fma_f32 v[32:33], v[58:59], v[38:39], v[82:83] neg_lo:[0,0,1] neg_hi:[0,0,1]
	v_pk_fma_f32 v[34:35], v[58:59], v[38:39], v[82:83] op_sel_hi:[1,0,1]
	v_pk_mul_f32 v[38:39], v[60:61], v[84:85] op_sel:[1,0] op_sel_hi:[0,0]
	v_mov_b32_e32 v75, v31
	v_pk_add_f32 v[30:31], v[46:47], v[78:79]
	v_mov_b32_e32 v88, v45
	v_mov_b32_e32 v33, v35
	v_pk_fma_f32 v[34:35], v[60:61], v[40:41], v[38:39] neg_lo:[0,0,1] neg_hi:[0,0,1]
	v_pk_fma_f32 v[36:37], v[60:61], v[40:41], v[38:39] op_sel_hi:[1,0,1]
	v_pk_add_f32 v[30:31], v[30:31], v[74:75]
	v_pk_mul_f32 v[52:53], v[64:65], v[88:89] op_sel:[1,0] op_sel_hi:[0,0]
	v_mov_b32_e32 v35, v37
	v_pk_add_f32 v[30:31], v[30:31], v[32:33]
	v_mov_b32_e32 v92, v49
	v_mov_b32_e32 v51, v43
	v_pk_fma_f32 v[38:39], v[64:65], v[44:45], v[52:53] neg_lo:[0,0,1] neg_hi:[0,0,1]
	v_pk_fma_f32 v[40:41], v[64:65], v[44:45], v[52:53] op_sel_hi:[1,0,1]
	v_pk_add_f32 v[30:31], v[30:31], v[34:35]
	v_pk_mul_f32 v[58:59], v[68:69], v[92:93] op_sel:[1,0] op_sel_hi:[0,0]
	v_mov_b32_e32 v39, v41
	v_pk_add_f32 v[30:31], v[30:31], v[50:51]
	v_pk_fma_f32 v[42:43], v[68:69], v[48:49], v[58:59] neg_lo:[0,0,1] neg_hi:[0,0,1]
	v_pk_fma_f32 v[44:45], v[68:69], v[48:49], v[58:59] op_sel_hi:[1,0,1]
	v_pk_add_f32 v[30:31], v[30:31], v[38:39]
	v_mov_b32_e32 v43, v45
	v_pk_add_f32 v[30:31], v[30:31], v[54:55]
	v_mov_b32_e32 v63, v67
	v_pk_add_f32 v[30:31], v[30:31], v[42:43]
	s_nop 0
	v_pk_add_f32 v[30:31], v[30:31], v[62:63]
	s_waitcnt vmcnt(0)
	v_pk_add_f32 v[30:31], v[72:73], v[30:31] neg_lo:[0,1] neg_hi:[0,1]
	scratch_store_dwordx2 off, v[30:31], off offset:8
	s_and_saveexec_b64 s[0:1], vcc
	s_cbranch_execz .LBB76_91
; %bb.90:
	scratch_load_dwordx2 v[30:31], off, off
	v_mov_b32_e32 v29, v28
	scratch_store_dwordx2 off, v[28:29], off
	s_waitcnt vmcnt(1)
	ds_write_b64 v1, v[30:31]
.LBB76_91:
	s_or_b64 exec, exec, s[0:1]
	s_waitcnt lgkmcnt(0)
	; wave barrier
	scratch_load_dwordx4 v[30:33], off, off offset:8
	scratch_load_dwordx4 v[34:37], off, off offset:24
	;; [unrolled: 1-line block ×6, first 2 shown]
	scratch_load_dwordx2 v[0:1], off, off
	ds_read2_b64 v[54:57], v28 offset0:15 offset1:16
	ds_read2_b64 v[58:61], v28 offset0:17 offset1:18
	;; [unrolled: 1-line block ×6, first 2 shown]
	s_and_b64 vcc, exec, s[10:11]
	s_waitcnt vmcnt(6) lgkmcnt(5)
	v_mul_f32_e32 v83, v54, v31
	v_mul_f32_e32 v87, v56, v33
	s_waitcnt vmcnt(5) lgkmcnt(4)
	v_mul_f32_e32 v29, v58, v35
	v_mul_f32_e32 v28, v55, v31
	;; [unrolled: 1-line block ×4, first 2 shown]
	s_waitcnt vmcnt(1) lgkmcnt(0)
	v_pk_mul_f32 v[92:93], v[74:75], v[50:51] op_sel:[1,1] op_sel_hi:[0,1]
	v_pk_mul_f32 v[80:81], v[62:63], v[38:39] op_sel:[1,1] op_sel_hi:[0,1]
	v_fmac_f32_e32 v83, v55, v30
	v_fmac_f32_e32 v29, v59, v34
	v_fma_f32 v91, v54, v30, -v28
	v_fma_f32 v28, v58, v34, -v33
	v_pk_fma_f32 v[58:59], v[74:75], v[50:51], v[92:93] neg_lo:[0,0,1] neg_hi:[0,0,1]
	v_pk_fma_f32 v[50:51], v[74:75], v[50:51], v[92:93] op_sel_hi:[1,0,1]
	v_fmac_f32_e32 v87, v57, v32
	v_fma_f32 v95, v56, v32, -v31
	v_pk_fma_f32 v[30:31], v[62:63], v[38:39], v[80:81] neg_lo:[0,0,1] neg_hi:[0,0,1]
	v_pk_fma_f32 v[32:33], v[62:63], v[38:39], v[80:81] op_sel_hi:[1,0,1]
	v_add_f32_e32 v50, 0, v83
	v_add_f32_e32 v62, 0, v91
	v_mul_f32_e32 v79, v60, v37
	v_mul_f32_e32 v35, v61, v37
	v_mov_b32_e32 v82, v41
	v_mov_b32_e32 v59, v51
	v_add_f32_e32 v51, v50, v87
	v_add_f32_e32 v50, v62, v95
	v_fmac_f32_e32 v79, v61, v36
	v_fma_f32 v78, v60, v36, -v35
	v_pk_mul_f32 v[34:35], v[64:65], v[82:83] op_sel:[1,0] op_sel_hi:[0,0]
	v_pk_add_f32 v[28:29], v[50:51], v[28:29]
	v_pk_mul_f32 v[84:85], v[66:67], v[42:43] op_sel:[1,1] op_sel_hi:[0,1]
	v_mov_b32_e32 v86, v45
	v_mov_b32_e32 v31, v33
	v_pk_fma_f32 v[32:33], v[64:65], v[40:41], v[34:35] neg_lo:[0,0,1] neg_hi:[0,0,1]
	v_pk_fma_f32 v[34:35], v[64:65], v[40:41], v[34:35] op_sel_hi:[1,0,1]
	v_pk_add_f32 v[28:29], v[28:29], v[78:79]
	v_pk_fma_f32 v[36:37], v[66:67], v[42:43], v[84:85] neg_lo:[0,0,1] neg_hi:[0,0,1]
	v_pk_fma_f32 v[38:39], v[66:67], v[42:43], v[84:85] op_sel_hi:[1,0,1]
	v_pk_mul_f32 v[42:43], v[68:69], v[86:87] op_sel:[1,0] op_sel_hi:[0,0]
	v_mov_b32_e32 v33, v35
	v_pk_add_f32 v[28:29], v[28:29], v[30:31]
	v_pk_mul_f32 v[88:89], v[70:71], v[46:47] op_sel:[1,1] op_sel_hi:[0,1]
	v_mov_b32_e32 v90, v49
	v_mov_b32_e32 v37, v39
	v_pk_fma_f32 v[38:39], v[68:69], v[44:45], v[42:43] neg_lo:[0,0,1] neg_hi:[0,0,1]
	v_pk_fma_f32 v[40:41], v[68:69], v[44:45], v[42:43] op_sel_hi:[1,0,1]
	v_pk_add_f32 v[28:29], v[28:29], v[32:33]
	v_pk_fma_f32 v[54:55], v[70:71], v[46:47], v[88:89] neg_lo:[0,0,1] neg_hi:[0,0,1]
	v_pk_fma_f32 v[46:47], v[70:71], v[46:47], v[88:89] op_sel_hi:[1,0,1]
	v_pk_mul_f32 v[56:57], v[72:73], v[90:91] op_sel:[1,0] op_sel_hi:[0,0]
	v_mov_b32_e32 v39, v41
	v_pk_add_f32 v[28:29], v[28:29], v[36:37]
	v_mov_b32_e32 v94, v53
	v_mov_b32_e32 v55, v47
	v_pk_fma_f32 v[42:43], v[72:73], v[48:49], v[56:57] neg_lo:[0,0,1] neg_hi:[0,0,1]
	v_pk_fma_f32 v[44:45], v[72:73], v[48:49], v[56:57] op_sel_hi:[1,0,1]
	v_pk_add_f32 v[28:29], v[28:29], v[38:39]
	v_pk_mul_f32 v[60:61], v[76:77], v[94:95] op_sel:[1,0] op_sel_hi:[0,0]
	v_mov_b32_e32 v43, v45
	v_pk_add_f32 v[28:29], v[28:29], v[54:55]
	v_pk_fma_f32 v[46:47], v[76:77], v[52:53], v[60:61] neg_lo:[0,0,1] neg_hi:[0,0,1]
	v_pk_fma_f32 v[48:49], v[76:77], v[52:53], v[60:61] op_sel_hi:[1,0,1]
	v_pk_add_f32 v[28:29], v[28:29], v[42:43]
	v_mov_b32_e32 v47, v49
	v_pk_add_f32 v[28:29], v[28:29], v[58:59]
	s_nop 0
	v_pk_add_f32 v[28:29], v[28:29], v[46:47]
	s_waitcnt vmcnt(0)
	v_pk_add_f32 v[0:1], v[0:1], v[28:29] neg_lo:[0,1] neg_hi:[0,1]
	scratch_store_dwordx2 off, v[0:1], off
	s_cbranch_vccz .LBB76_116
; %bb.92:
	v_mov_b32_e32 v0, 0
	global_load_dword v1, v0, s[8:9] offset:44
	s_waitcnt vmcnt(0)
	v_readfirstlane_b32 s0, v1
	s_add_i32 s0, s0, -1
	s_cmp_lg_u32 s0, 11
	s_cbranch_scc0 .LBB76_94
; %bb.93:
	s_lshl_b32 s0, s0, 3
	s_nop 0
	scratch_load_dwordx2 v[28:29], off, s0
	scratch_load_dwordx2 v[30:31], off, off offset:88
	s_waitcnt vmcnt(1)
	scratch_store_dwordx2 off, v[28:29], off offset:88
	s_waitcnt vmcnt(1)
	scratch_store_dwordx2 off, v[30:31], s0
.LBB76_94:
	global_load_dword v0, v0, s[8:9] offset:40
	s_waitcnt vmcnt(0)
	v_readfirstlane_b32 s0, v0
	s_add_i32 s0, s0, -1
	s_cmp_eq_u32 s0, 10
	s_cbranch_scc1 .LBB76_96
; %bb.95:
	s_lshl_b32 s0, s0, 3
	s_nop 0
	scratch_load_dwordx2 v[0:1], off, s0
	scratch_load_dwordx2 v[28:29], off, off offset:80
	s_waitcnt vmcnt(1)
	scratch_store_dwordx2 off, v[0:1], off offset:80
	s_waitcnt vmcnt(1)
	scratch_store_dwordx2 off, v[28:29], s0
.LBB76_96:
	v_mov_b32_e32 v0, 0
	global_load_dword v1, v0, s[8:9] offset:36
	s_waitcnt vmcnt(0)
	v_readfirstlane_b32 s0, v1
	s_add_i32 s0, s0, -1
	s_cmp_eq_u32 s0, 9
	s_cbranch_scc1 .LBB76_98
; %bb.97:
	s_lshl_b32 s0, s0, 3
	s_nop 0
	scratch_load_dwordx2 v[28:29], off, s0
	scratch_load_dwordx2 v[30:31], off, off offset:72
	s_waitcnt vmcnt(1)
	scratch_store_dwordx2 off, v[28:29], off offset:72
	s_waitcnt vmcnt(1)
	scratch_store_dwordx2 off, v[30:31], s0
.LBB76_98:
	global_load_dword v0, v0, s[8:9] offset:32
	s_waitcnt vmcnt(0)
	v_readfirstlane_b32 s0, v0
	s_add_i32 s0, s0, -1
	s_cmp_eq_u32 s0, 8
	s_cbranch_scc1 .LBB76_100
; %bb.99:
	s_lshl_b32 s0, s0, 3
	s_nop 0
	scratch_load_dwordx2 v[0:1], off, s0
	scratch_load_dwordx2 v[28:29], off, off offset:64
	s_waitcnt vmcnt(1)
	scratch_store_dwordx2 off, v[0:1], off offset:64
	s_waitcnt vmcnt(1)
	scratch_store_dwordx2 off, v[28:29], s0
.LBB76_100:
	v_mov_b32_e32 v0, 0
	global_load_dword v1, v0, s[8:9] offset:28
	s_waitcnt vmcnt(0)
	v_readfirstlane_b32 s0, v1
	s_add_i32 s0, s0, -1
	s_cmp_eq_u32 s0, 7
	s_cbranch_scc1 .LBB76_102
; %bb.101:
	s_lshl_b32 s0, s0, 3
	s_nop 0
	scratch_load_dwordx2 v[28:29], off, s0
	scratch_load_dwordx2 v[30:31], off, off offset:56
	s_waitcnt vmcnt(1)
	scratch_store_dwordx2 off, v[28:29], off offset:56
	s_waitcnt vmcnt(1)
	scratch_store_dwordx2 off, v[30:31], s0
.LBB76_102:
	;; [unrolled: 33-line block ×5, first 2 shown]
	global_load_dword v28, v0, s[8:9]
	s_nop 0
	scratch_load_dwordx2 v[0:1], off, off
	s_waitcnt vmcnt(1)
	v_readfirstlane_b32 s0, v28
	s_add_i32 s0, s0, -1
	s_cmp_eq_u32 s0, 0
	s_cbranch_scc1 .LBB76_116
; %bb.115:
	s_lshl_b32 s0, s0, 3
	s_nop 0
	scratch_load_dwordx2 v[28:29], off, s0
	s_waitcnt vmcnt(0)
	scratch_store_dwordx2 off, v[28:29], off
	scratch_store_dwordx2 off, v[0:1], s0
	scratch_load_dwordx2 v[0:1], off, off
.LBB76_116:
	s_waitcnt vmcnt(0)
	flat_store_dwordx2 v[2:3], v[0:1]
	scratch_load_dwordx2 v[0:1], off, off offset:8
	s_waitcnt vmcnt(0)
	flat_store_dwordx2 v[4:5], v[0:1]
	scratch_load_dwordx2 v[0:1], off, off offset:16
	;; [unrolled: 3-line block ×12, first 2 shown]
	s_waitcnt vmcnt(0)
	flat_store_dwordx2 v[26:27], v[0:1]
	s_endpgm
	.section	.rodata,"a",@progbits
	.p2align	6, 0x0
	.amdhsa_kernel _ZN9rocsolver6v33100L18getri_kernel_smallILi13E19rocblas_complex_numIfEPKPS3_EEvT1_iilPiilS8_bb
		.amdhsa_group_segment_fixed_size 216
		.amdhsa_private_segment_fixed_size 112
		.amdhsa_kernarg_size 60
		.amdhsa_user_sgpr_count 2
		.amdhsa_user_sgpr_dispatch_ptr 0
		.amdhsa_user_sgpr_queue_ptr 0
		.amdhsa_user_sgpr_kernarg_segment_ptr 1
		.amdhsa_user_sgpr_dispatch_id 0
		.amdhsa_user_sgpr_kernarg_preload_length 0
		.amdhsa_user_sgpr_kernarg_preload_offset 0
		.amdhsa_user_sgpr_private_segment_size 0
		.amdhsa_uses_dynamic_stack 0
		.amdhsa_enable_private_segment 1
		.amdhsa_system_sgpr_workgroup_id_x 1
		.amdhsa_system_sgpr_workgroup_id_y 0
		.amdhsa_system_sgpr_workgroup_id_z 0
		.amdhsa_system_sgpr_workgroup_info 0
		.amdhsa_system_vgpr_workitem_id 0
		.amdhsa_next_free_vgpr 96
		.amdhsa_next_free_sgpr 17
		.amdhsa_accum_offset 96
		.amdhsa_reserve_vcc 1
		.amdhsa_float_round_mode_32 0
		.amdhsa_float_round_mode_16_64 0
		.amdhsa_float_denorm_mode_32 3
		.amdhsa_float_denorm_mode_16_64 3
		.amdhsa_dx10_clamp 1
		.amdhsa_ieee_mode 1
		.amdhsa_fp16_overflow 0
		.amdhsa_tg_split 0
		.amdhsa_exception_fp_ieee_invalid_op 0
		.amdhsa_exception_fp_denorm_src 0
		.amdhsa_exception_fp_ieee_div_zero 0
		.amdhsa_exception_fp_ieee_overflow 0
		.amdhsa_exception_fp_ieee_underflow 0
		.amdhsa_exception_fp_ieee_inexact 0
		.amdhsa_exception_int_div_zero 0
	.end_amdhsa_kernel
	.section	.text._ZN9rocsolver6v33100L18getri_kernel_smallILi13E19rocblas_complex_numIfEPKPS3_EEvT1_iilPiilS8_bb,"axG",@progbits,_ZN9rocsolver6v33100L18getri_kernel_smallILi13E19rocblas_complex_numIfEPKPS3_EEvT1_iilPiilS8_bb,comdat
.Lfunc_end76:
	.size	_ZN9rocsolver6v33100L18getri_kernel_smallILi13E19rocblas_complex_numIfEPKPS3_EEvT1_iilPiilS8_bb, .Lfunc_end76-_ZN9rocsolver6v33100L18getri_kernel_smallILi13E19rocblas_complex_numIfEPKPS3_EEvT1_iilPiilS8_bb
                                        ; -- End function
	.set _ZN9rocsolver6v33100L18getri_kernel_smallILi13E19rocblas_complex_numIfEPKPS3_EEvT1_iilPiilS8_bb.num_vgpr, 96
	.set _ZN9rocsolver6v33100L18getri_kernel_smallILi13E19rocblas_complex_numIfEPKPS3_EEvT1_iilPiilS8_bb.num_agpr, 0
	.set _ZN9rocsolver6v33100L18getri_kernel_smallILi13E19rocblas_complex_numIfEPKPS3_EEvT1_iilPiilS8_bb.numbered_sgpr, 17
	.set _ZN9rocsolver6v33100L18getri_kernel_smallILi13E19rocblas_complex_numIfEPKPS3_EEvT1_iilPiilS8_bb.num_named_barrier, 0
	.set _ZN9rocsolver6v33100L18getri_kernel_smallILi13E19rocblas_complex_numIfEPKPS3_EEvT1_iilPiilS8_bb.private_seg_size, 112
	.set _ZN9rocsolver6v33100L18getri_kernel_smallILi13E19rocblas_complex_numIfEPKPS3_EEvT1_iilPiilS8_bb.uses_vcc, 1
	.set _ZN9rocsolver6v33100L18getri_kernel_smallILi13E19rocblas_complex_numIfEPKPS3_EEvT1_iilPiilS8_bb.uses_flat_scratch, 0
	.set _ZN9rocsolver6v33100L18getri_kernel_smallILi13E19rocblas_complex_numIfEPKPS3_EEvT1_iilPiilS8_bb.has_dyn_sized_stack, 0
	.set _ZN9rocsolver6v33100L18getri_kernel_smallILi13E19rocblas_complex_numIfEPKPS3_EEvT1_iilPiilS8_bb.has_recursion, 0
	.set _ZN9rocsolver6v33100L18getri_kernel_smallILi13E19rocblas_complex_numIfEPKPS3_EEvT1_iilPiilS8_bb.has_indirect_call, 0
	.section	.AMDGPU.csdata,"",@progbits
; Kernel info:
; codeLenInByte = 9880
; TotalNumSgprs: 23
; NumVgprs: 96
; NumAgprs: 0
; TotalNumVgprs: 96
; ScratchSize: 112
; MemoryBound: 0
; FloatMode: 240
; IeeeMode: 1
; LDSByteSize: 216 bytes/workgroup (compile time only)
; SGPRBlocks: 2
; VGPRBlocks: 11
; NumSGPRsForWavesPerEU: 23
; NumVGPRsForWavesPerEU: 96
; AccumOffset: 96
; Occupancy: 5
; WaveLimiterHint : 1
; COMPUTE_PGM_RSRC2:SCRATCH_EN: 1
; COMPUTE_PGM_RSRC2:USER_SGPR: 2
; COMPUTE_PGM_RSRC2:TRAP_HANDLER: 0
; COMPUTE_PGM_RSRC2:TGID_X_EN: 1
; COMPUTE_PGM_RSRC2:TGID_Y_EN: 0
; COMPUTE_PGM_RSRC2:TGID_Z_EN: 0
; COMPUTE_PGM_RSRC2:TIDIG_COMP_CNT: 0
; COMPUTE_PGM_RSRC3_GFX90A:ACCUM_OFFSET: 23
; COMPUTE_PGM_RSRC3_GFX90A:TG_SPLIT: 0
	.section	.text._ZN9rocsolver6v33100L18getri_kernel_smallILi14E19rocblas_complex_numIfEPKPS3_EEvT1_iilPiilS8_bb,"axG",@progbits,_ZN9rocsolver6v33100L18getri_kernel_smallILi14E19rocblas_complex_numIfEPKPS3_EEvT1_iilPiilS8_bb,comdat
	.globl	_ZN9rocsolver6v33100L18getri_kernel_smallILi14E19rocblas_complex_numIfEPKPS3_EEvT1_iilPiilS8_bb ; -- Begin function _ZN9rocsolver6v33100L18getri_kernel_smallILi14E19rocblas_complex_numIfEPKPS3_EEvT1_iilPiilS8_bb
	.p2align	8
	.type	_ZN9rocsolver6v33100L18getri_kernel_smallILi14E19rocblas_complex_numIfEPKPS3_EEvT1_iilPiilS8_bb,@function
_ZN9rocsolver6v33100L18getri_kernel_smallILi14E19rocblas_complex_numIfEPKPS3_EEvT1_iilPiilS8_bb: ; @_ZN9rocsolver6v33100L18getri_kernel_smallILi14E19rocblas_complex_numIfEPKPS3_EEvT1_iilPiilS8_bb
; %bb.0:
	v_cmp_gt_u32_e32 vcc, 14, v0
	s_and_saveexec_b64 s[4:5], vcc
	s_cbranch_execz .LBB77_70
; %bb.1:
	s_load_dword s14, s[0:1], 0x38
	s_load_dwordx2 s[8:9], s[0:1], 0x0
	s_load_dwordx4 s[4:7], s[0:1], 0x28
	s_waitcnt lgkmcnt(0)
	s_bitcmp1_b32 s14, 8
	s_cselect_b64 s[10:11], -1, 0
	s_ashr_i32 s3, s2, 31
	s_lshl_b64 s[12:13], s[2:3], 3
	s_add_u32 s8, s8, s12
	s_addc_u32 s9, s9, s13
	s_load_dwordx2 s[12:13], s[8:9], 0x0
	s_bfe_u32 s8, s14, 0x10008
	s_cmp_eq_u32 s8, 0
                                        ; implicit-def: $sgpr8_sgpr9
	s_cbranch_scc1 .LBB77_3
; %bb.2:
	s_load_dword s8, s[0:1], 0x20
	s_load_dwordx2 s[14:15], s[0:1], 0x18
	s_mul_i32 s9, s4, s3
	s_mul_hi_u32 s16, s4, s2
	s_add_i32 s16, s16, s9
	s_mul_i32 s5, s5, s2
	s_add_i32 s5, s16, s5
	s_mul_i32 s4, s4, s2
	s_waitcnt lgkmcnt(0)
	s_ashr_i32 s9, s8, 31
	s_lshl_b64 s[4:5], s[4:5], 2
	s_add_u32 s14, s14, s4
	s_addc_u32 s15, s15, s5
	s_lshl_b64 s[4:5], s[8:9], 2
	s_add_u32 s8, s14, s4
	s_addc_u32 s9, s15, s5
.LBB77_3:
	s_load_dwordx2 s[4:5], s[0:1], 0x8
	s_load_dword s14, s[0:1], 0x38
	v_lshlrev_b32_e32 v30, 3, v0
	v_mov_b32_e32 v31, 0
	s_waitcnt lgkmcnt(0)
	s_ashr_i32 s1, s4, 31
	s_mov_b32 s0, s4
	s_lshl_b64 s[0:1], s[0:1], 3
	s_add_u32 s0, s12, s0
	s_addc_u32 s1, s13, s1
	v_lshl_add_u64 v[2:3], s[0:1], 0, v[30:31]
	flat_load_dwordx2 v[6:7], v[2:3]
	s_mov_b32 s12, s5
	s_ashr_i32 s13, s5, 31
	v_lshl_add_u64 v[4:5], s[12:13], 3, v[2:3]
	s_add_i32 s4, s5, s5
	v_add_u32_e32 v10, s4, v0
	v_ashrrev_i32_e32 v11, 31, v10
	s_bitcmp0_b32 s14, 0
	s_waitcnt vmcnt(0) lgkmcnt(0)
	scratch_store_dwordx2 off, v[6:7], off
	flat_load_dwordx2 v[8:9], v[4:5]
	v_lshl_add_u64 v[6:7], v[10:11], 3, s[0:1]
	v_add_u32_e32 v10, s5, v10
	v_ashrrev_i32_e32 v11, 31, v10
	v_add_u32_e32 v14, s5, v10
	v_ashrrev_i32_e32 v15, 31, v14
	s_waitcnt vmcnt(0) lgkmcnt(0)
	scratch_store_dwordx2 off, v[8:9], off offset:8
	flat_load_dwordx2 v[12:13], v[6:7]
	v_lshl_add_u64 v[8:9], v[10:11], 3, s[0:1]
	v_lshl_add_u64 v[10:11], v[14:15], 3, s[0:1]
	v_add_u32_e32 v14, s5, v14
	v_ashrrev_i32_e32 v15, 31, v14
	v_add_u32_e32 v18, s5, v14
	v_ashrrev_i32_e32 v19, 31, v18
	s_waitcnt vmcnt(0) lgkmcnt(0)
	scratch_store_dwordx2 off, v[12:13], off offset:16
	flat_load_dwordx2 v[12:13], v[8:9]
	s_waitcnt vmcnt(0) lgkmcnt(0)
	scratch_store_dwordx2 off, v[12:13], off offset:24
	flat_load_dwordx2 v[16:17], v[10:11]
	v_lshl_add_u64 v[12:13], v[14:15], 3, s[0:1]
	v_lshl_add_u64 v[14:15], v[18:19], 3, s[0:1]
	v_add_u32_e32 v18, s5, v18
	v_ashrrev_i32_e32 v19, 31, v18
	v_add_u32_e32 v22, s5, v18
	v_ashrrev_i32_e32 v23, 31, v22
	s_waitcnt vmcnt(0) lgkmcnt(0)
	scratch_store_dwordx2 off, v[16:17], off offset:32
	flat_load_dwordx2 v[16:17], v[12:13]
	s_waitcnt vmcnt(0) lgkmcnt(0)
	scratch_store_dwordx2 off, v[16:17], off offset:40
	flat_load_dwordx2 v[20:21], v[14:15]
	v_lshl_add_u64 v[16:17], v[18:19], 3, s[0:1]
	v_lshl_add_u64 v[18:19], v[22:23], 3, s[0:1]
	v_add_u32_e32 v22, s5, v22
	v_ashrrev_i32_e32 v23, 31, v22
	v_add_u32_e32 v26, s5, v22
	v_ashrrev_i32_e32 v27, 31, v26
	s_waitcnt vmcnt(0) lgkmcnt(0)
	scratch_store_dwordx2 off, v[20:21], off offset:48
	flat_load_dwordx2 v[20:21], v[16:17]
	s_waitcnt vmcnt(0) lgkmcnt(0)
	scratch_store_dwordx2 off, v[20:21], off offset:56
	flat_load_dwordx2 v[24:25], v[18:19]
	v_lshl_add_u64 v[20:21], v[22:23], 3, s[0:1]
	v_lshl_add_u64 v[22:23], v[26:27], 3, s[0:1]
	v_add_u32_e32 v26, s5, v26
	v_ashrrev_i32_e32 v27, 31, v26
	v_add_u32_e32 v32, s5, v26
	v_ashrrev_i32_e32 v33, 31, v32
	s_waitcnt vmcnt(0) lgkmcnt(0)
	scratch_store_dwordx2 off, v[24:25], off offset:64
	flat_load_dwordx2 v[24:25], v[20:21]
	s_waitcnt vmcnt(0) lgkmcnt(0)
	scratch_store_dwordx2 off, v[24:25], off offset:72
	flat_load_dwordx2 v[28:29], v[22:23]
	v_lshl_add_u64 v[24:25], v[26:27], 3, s[0:1]
	v_lshl_add_u64 v[26:27], v[32:33], 3, s[0:1]
	s_waitcnt vmcnt(0) lgkmcnt(0)
	scratch_store_dwordx2 off, v[28:29], off offset:80
	flat_load_dwordx2 v[28:29], v[24:25]
	s_waitcnt vmcnt(0) lgkmcnt(0)
	scratch_store_dwordx2 off, v[28:29], off offset:88
	flat_load_dwordx2 v[34:35], v[26:27]
	v_add_u32_e32 v28, s5, v32
	v_ashrrev_i32_e32 v29, 31, v28
	v_lshl_add_u64 v[28:29], v[28:29], 3, s[0:1]
	s_mov_b64 s[4:5], -1
	s_waitcnt vmcnt(0) lgkmcnt(0)
	scratch_store_dwordx2 off, v[34:35], off offset:96
	flat_load_dwordx2 v[32:33], v[28:29]
	s_waitcnt vmcnt(0) lgkmcnt(0)
	scratch_store_dwordx2 off, v[32:33], off offset:104
	s_cbranch_scc1 .LBB77_68
; %bb.4:
	v_cmp_eq_u32_e64 s[0:1], 0, v0
	s_and_saveexec_b64 s[4:5], s[0:1]
; %bb.5:
	v_mov_b32_e32 v1, 0
	ds_write_b32 v1, v1 offset:224
; %bb.6:
	s_or_b64 exec, exec, s[4:5]
	s_waitcnt lgkmcnt(0)
	; wave barrier
	scratch_load_dwordx2 v[32:33], v30, off
	s_waitcnt vmcnt(0)
	v_cmp_eq_f32_e32 vcc, 0, v32
	v_cmp_eq_f32_e64 s[4:5], 0, v33
	s_and_b64 s[4:5], vcc, s[4:5]
	s_and_saveexec_b64 s[12:13], s[4:5]
	s_cbranch_execz .LBB77_10
; %bb.7:
	v_mov_b32_e32 v1, 0
	ds_read_b32 v32, v1 offset:224
	v_add_u32_e32 v31, 1, v0
	s_waitcnt lgkmcnt(0)
	v_readfirstlane_b32 s4, v32
	s_cmp_eq_u32 s4, 0
	s_cselect_b64 s[14:15], -1, 0
	v_cmp_gt_i32_e32 vcc, s4, v31
	s_or_b64 s[14:15], s[14:15], vcc
	s_and_b64 exec, exec, s[14:15]
	s_cbranch_execz .LBB77_10
; %bb.8:
	s_mov_b64 s[14:15], 0
	v_mov_b32_e32 v32, s4
.LBB77_9:                               ; =>This Inner Loop Header: Depth=1
	ds_cmpst_rtn_b32 v32, v1, v32, v31 offset:224
	s_waitcnt lgkmcnt(0)
	v_cmp_ne_u32_e32 vcc, 0, v32
	v_cmp_le_i32_e64 s[4:5], v32, v31
	s_and_b64 s[4:5], vcc, s[4:5]
	s_and_b64 s[4:5], exec, s[4:5]
	s_or_b64 s[14:15], s[4:5], s[14:15]
	s_andn2_b64 exec, exec, s[14:15]
	s_cbranch_execnz .LBB77_9
.LBB77_10:
	s_or_b64 exec, exec, s[12:13]
	v_mov_b32_e32 v31, 0
	; wave barrier
	ds_read_b32 v1, v31 offset:224
	s_and_saveexec_b64 s[4:5], s[0:1]
	s_cbranch_execz .LBB77_12
; %bb.11:
	s_lshl_b64 s[12:13], s[2:3], 2
	s_add_u32 s12, s6, s12
	s_addc_u32 s13, s7, s13
	s_waitcnt lgkmcnt(0)
	global_store_dword v31, v1, s[12:13]
.LBB77_12:
	s_or_b64 exec, exec, s[4:5]
	s_waitcnt lgkmcnt(0)
	v_cmp_ne_u32_e32 vcc, 0, v1
	s_mov_b64 s[4:5], 0
	s_cbranch_vccnz .LBB77_68
; %bb.13:
	v_mov_b32_e32 v31, v30
	scratch_load_dwordx2 v[32:33], v31, off
                                        ; implicit-def: $vgpr35
                                        ; implicit-def: $vgpr36
	s_waitcnt vmcnt(0)
	v_cmp_ngt_f32_e64 s[4:5], |v32|, |v33|
	s_and_saveexec_b64 s[12:13], s[4:5]
	s_xor_b64 s[4:5], exec, s[12:13]
	s_cbranch_execz .LBB77_15
; %bb.14:
	v_div_scale_f32 v1, s[12:13], v33, v33, v32
	v_rcp_f32_e32 v34, v1
	v_div_scale_f32 v35, vcc, v32, v33, v32
	v_fma_f32 v36, -v1, v34, 1.0
	v_fmac_f32_e32 v34, v36, v34
	v_mul_f32_e32 v36, v35, v34
	v_fma_f32 v37, -v1, v36, v35
	v_fmac_f32_e32 v36, v37, v34
	v_fma_f32 v1, -v1, v36, v35
	v_div_fmas_f32 v1, v1, v34, v36
	v_div_fixup_f32 v1, v1, v33, v32
	v_fmac_f32_e32 v33, v32, v1
	v_div_scale_f32 v32, s[12:13], v33, v33, -1.0
	v_rcp_f32_e32 v34, v32
	s_nop 0
	v_fma_f32 v35, -v32, v34, 1.0
	v_fmac_f32_e32 v34, v35, v34
	v_div_scale_f32 v35, vcc, -1.0, v33, -1.0
	v_mul_f32_e32 v36, v35, v34
	v_fma_f32 v37, -v32, v36, v35
	v_fmac_f32_e32 v36, v37, v34
	v_fma_f32 v32, -v32, v36, v35
	v_div_fmas_f32 v32, v32, v34, v36
	v_div_fixup_f32 v35, v32, v33, -1.0
	v_mul_f32_e32 v36, v1, v35
	v_xor_b32_e32 v34, 0x80000000, v36
                                        ; implicit-def: $vgpr32_vgpr33
.LBB77_15:
	s_andn2_saveexec_b64 s[4:5], s[4:5]
	s_cbranch_execz .LBB77_17
; %bb.16:
	v_div_scale_f32 v1, s[12:13], v32, v32, v33
	v_rcp_f32_e32 v34, v1
	v_div_scale_f32 v35, vcc, v33, v32, v33
	v_fma_f32 v36, -v1, v34, 1.0
	v_fmac_f32_e32 v34, v36, v34
	v_mul_f32_e32 v36, v35, v34
	v_fma_f32 v37, -v1, v36, v35
	v_fmac_f32_e32 v36, v37, v34
	v_fma_f32 v1, -v1, v36, v35
	v_div_fmas_f32 v1, v1, v34, v36
	v_div_fixup_f32 v1, v1, v32, v33
	v_fmac_f32_e32 v32, v33, v1
	v_div_scale_f32 v33, s[12:13], v32, v32, 1.0
	v_rcp_f32_e32 v34, v33
	s_nop 0
	v_fma_f32 v35, -v33, v34, 1.0
	v_fmac_f32_e32 v34, v35, v34
	v_div_scale_f32 v35, vcc, 1.0, v32, 1.0
	v_mul_f32_e32 v36, v35, v34
	v_fma_f32 v37, -v33, v36, v35
	v_fmac_f32_e32 v36, v37, v34
	v_fma_f32 v33, -v33, v36, v35
	v_div_fmas_f32 v33, v33, v34, v36
	v_div_fixup_f32 v34, v33, v32, 1.0
	v_xor_b32_e32 v36, 0x80000000, v34
	v_mul_f32_e64 v35, v1, -v34
.LBB77_17:
	s_or_b64 exec, exec, s[4:5]
	scratch_store_dwordx2 v31, v[34:35], off
	scratch_load_dwordx2 v[32:33], off, off offset:8
	v_xor_b32_e32 v37, 0x80000000, v35
	v_add_u32_e32 v1, 0x70, v30
	s_waitcnt vmcnt(0)
	ds_write2_b64 v30, v[36:37], v[32:33] offset1:14
	s_waitcnt lgkmcnt(0)
	; wave barrier
	s_and_saveexec_b64 s[4:5], s[0:1]
	s_cbranch_execz .LBB77_19
; %bb.18:
	scratch_load_dwordx2 v[32:33], v31, off
	ds_read_b64 v[34:35], v1
	v_mov_b32_e32 v36, 0
	ds_read_b64 v[36:37], v36 offset:8
	s_waitcnt vmcnt(0) lgkmcnt(1)
	v_pk_mul_f32 v[38:39], v[34:35], v[32:33] op_sel:[1,1] op_sel_hi:[0,1]
	v_pk_fma_f32 v[40:41], v[34:35], v[32:33], v[38:39] neg_lo:[0,0,1] neg_hi:[0,0,1]
	v_pk_fma_f32 v[32:33], v[34:35], v[32:33], v[38:39] op_sel_hi:[1,0,1]
	s_nop 0
	v_mov_b32_e32 v41, v33
	v_pk_add_f32 v[32:33], v[40:41], 0 op_sel_hi:[1,0]
	s_waitcnt lgkmcnt(0)
	v_pk_mul_f32 v[34:35], v[32:33], v[36:37] op_sel:[1,1] op_sel_hi:[0,1]
	v_pk_fma_f32 v[38:39], v[32:33], v[36:37], v[34:35] neg_lo:[0,0,1] neg_hi:[0,0,1]
	v_pk_fma_f32 v[32:33], v[32:33], v[36:37], v[34:35] op_sel_hi:[1,0,1]
	s_nop 0
	v_mov_b32_e32 v39, v33
	scratch_store_dwordx2 off, v[38:39], off offset:8
.LBB77_19:
	s_or_b64 exec, exec, s[4:5]
	; wave barrier
	scratch_load_dwordx2 v[32:33], off, off offset:16
	v_cmp_gt_u32_e32 vcc, 2, v0
	s_waitcnt vmcnt(0)
	ds_write_b64 v1, v[32:33]
	s_waitcnt lgkmcnt(0)
	; wave barrier
	s_and_saveexec_b64 s[4:5], vcc
	s_cbranch_execz .LBB77_23
; %bb.20:
	scratch_load_dwordx2 v[32:33], v31, off
	ds_read_b64 v[34:35], v1
	s_waitcnt vmcnt(0) lgkmcnt(0)
	v_pk_mul_f32 v[36:37], v[34:35], v[32:33] op_sel:[1,1] op_sel_hi:[0,1]
	v_pk_fma_f32 v[38:39], v[34:35], v[32:33], v[36:37] neg_lo:[0,0,1] neg_hi:[0,0,1]
	v_pk_fma_f32 v[32:33], v[34:35], v[32:33], v[36:37] op_sel_hi:[1,0,1]
	s_nop 0
	v_mov_b32_e32 v39, v33
	v_pk_add_f32 v[32:33], v[38:39], 0 op_sel_hi:[1,0]
	s_and_saveexec_b64 s[12:13], s[0:1]
	s_cbranch_execz .LBB77_22
; %bb.21:
	scratch_load_dwordx2 v[34:35], off, off offset:8
	v_mov_b32_e32 v31, 0
	ds_read_b64 v[36:37], v31 offset:120
	s_waitcnt vmcnt(0) lgkmcnt(0)
	v_pk_mul_f32 v[38:39], v[36:37], v[34:35] op_sel:[1,1] op_sel_hi:[0,1]
	v_pk_fma_f32 v[40:41], v[36:37], v[34:35], v[38:39] neg_lo:[0,0,1] neg_hi:[0,0,1]
	v_pk_fma_f32 v[34:35], v[36:37], v[34:35], v[38:39] op_sel_hi:[1,0,1]
	s_nop 0
	v_mov_b32_e32 v41, v35
	v_pk_add_f32 v[32:33], v[32:33], v[40:41]
.LBB77_22:
	s_or_b64 exec, exec, s[12:13]
	v_mov_b32_e32 v31, 0
	ds_read_b64 v[34:35], v31 offset:16
	s_waitcnt lgkmcnt(0)
	v_pk_mul_f32 v[36:37], v[32:33], v[34:35] op_sel:[1,1] op_sel_hi:[0,1]
	v_pk_fma_f32 v[38:39], v[32:33], v[34:35], v[36:37] neg_lo:[0,0,1] neg_hi:[0,0,1]
	v_pk_fma_f32 v[32:33], v[32:33], v[34:35], v[36:37] op_sel_hi:[1,0,1]
	s_nop 0
	v_mov_b32_e32 v39, v33
	scratch_store_dwordx2 off, v[38:39], off offset:16
.LBB77_23:
	s_or_b64 exec, exec, s[4:5]
	; wave barrier
	scratch_load_dwordx2 v[32:33], off, off offset:24
	v_cmp_gt_u32_e32 vcc, 3, v0
	v_add_u32_e32 v34, -1, v0
	s_waitcnt vmcnt(0)
	ds_write_b64 v1, v[32:33]
	s_waitcnt lgkmcnt(0)
	; wave barrier
	s_and_saveexec_b64 s[0:1], vcc
	s_cbranch_execz .LBB77_27
; %bb.24:
	v_mov_b32_e32 v32, 0
	v_add_u32_e32 v31, -1, v0
	v_add_u32_e32 v35, 0x70, v30
	v_mov_b32_e32 v36, v30
	s_mov_b64 s[4:5], 0
	v_mov_b32_e32 v33, v32
.LBB77_25:                              ; =>This Inner Loop Header: Depth=1
	scratch_load_dwordx2 v[38:39], v36, off
	ds_read_b64 v[40:41], v35
	v_add_u32_e32 v31, 1, v31
	v_cmp_lt_u32_e32 vcc, 1, v31
	v_add_u32_e32 v35, 8, v35
	v_add_u32_e32 v36, 8, v36
	s_or_b64 s[4:5], vcc, s[4:5]
	s_waitcnt vmcnt(0) lgkmcnt(0)
	v_pk_mul_f32 v[42:43], v[40:41], v[38:39] op_sel:[1,1] op_sel_hi:[0,1]
	v_pk_fma_f32 v[44:45], v[40:41], v[38:39], v[42:43] neg_lo:[0,0,1] neg_hi:[0,0,1]
	v_pk_fma_f32 v[38:39], v[40:41], v[38:39], v[42:43] op_sel_hi:[1,0,1]
	s_nop 0
	v_mov_b32_e32 v45, v39
	v_pk_add_f32 v[32:33], v[32:33], v[44:45]
	s_andn2_b64 exec, exec, s[4:5]
	s_cbranch_execnz .LBB77_25
; %bb.26:
	s_or_b64 exec, exec, s[4:5]
	v_mov_b32_e32 v31, 0
	ds_read_b64 v[36:37], v31 offset:24
	s_waitcnt lgkmcnt(0)
	v_pk_mul_f32 v[38:39], v[32:33], v[36:37] op_sel:[1,1] op_sel_hi:[0,1]
	v_pk_fma_f32 v[40:41], v[32:33], v[36:37], v[38:39] neg_lo:[0,0,1] neg_hi:[0,0,1]
	v_pk_fma_f32 v[32:33], v[32:33], v[36:37], v[38:39] op_sel_hi:[1,0,1]
	s_nop 0
	v_mov_b32_e32 v41, v33
	scratch_store_dwordx2 off, v[40:41], off offset:24
.LBB77_27:
	s_or_b64 exec, exec, s[0:1]
	; wave barrier
	scratch_load_dwordx2 v[32:33], off, off offset:32
	v_cmp_gt_u32_e32 vcc, 4, v0
	s_waitcnt vmcnt(0)
	ds_write_b64 v1, v[32:33]
	s_waitcnt lgkmcnt(0)
	; wave barrier
	s_and_saveexec_b64 s[0:1], vcc
	s_cbranch_execz .LBB77_31
; %bb.28:
	v_mov_b32_e32 v32, 0
	v_add_u32_e32 v31, -1, v0
	v_add_u32_e32 v35, 0x70, v30
	v_mov_b32_e32 v36, v30
	s_mov_b64 s[4:5], 0
	v_mov_b32_e32 v33, v32
.LBB77_29:                              ; =>This Inner Loop Header: Depth=1
	scratch_load_dwordx2 v[38:39], v36, off
	ds_read_b64 v[40:41], v35
	v_add_u32_e32 v31, 1, v31
	v_cmp_lt_u32_e32 vcc, 2, v31
	v_add_u32_e32 v35, 8, v35
	v_add_u32_e32 v36, 8, v36
	s_or_b64 s[4:5], vcc, s[4:5]
	s_waitcnt vmcnt(0) lgkmcnt(0)
	v_pk_mul_f32 v[42:43], v[40:41], v[38:39] op_sel:[1,1] op_sel_hi:[0,1]
	v_pk_fma_f32 v[44:45], v[40:41], v[38:39], v[42:43] neg_lo:[0,0,1] neg_hi:[0,0,1]
	v_pk_fma_f32 v[38:39], v[40:41], v[38:39], v[42:43] op_sel_hi:[1,0,1]
	s_nop 0
	v_mov_b32_e32 v45, v39
	v_pk_add_f32 v[32:33], v[32:33], v[44:45]
	s_andn2_b64 exec, exec, s[4:5]
	s_cbranch_execnz .LBB77_29
; %bb.30:
	s_or_b64 exec, exec, s[4:5]
	v_mov_b32_e32 v31, 0
	ds_read_b64 v[36:37], v31 offset:32
	s_waitcnt lgkmcnt(0)
	v_pk_mul_f32 v[38:39], v[32:33], v[36:37] op_sel:[1,1] op_sel_hi:[0,1]
	v_pk_fma_f32 v[40:41], v[32:33], v[36:37], v[38:39] neg_lo:[0,0,1] neg_hi:[0,0,1]
	v_pk_fma_f32 v[32:33], v[32:33], v[36:37], v[38:39] op_sel_hi:[1,0,1]
	s_nop 0
	v_mov_b32_e32 v41, v33
	scratch_store_dwordx2 off, v[40:41], off offset:32
.LBB77_31:
	s_or_b64 exec, exec, s[0:1]
	; wave barrier
	scratch_load_dwordx2 v[32:33], off, off offset:40
	v_cmp_gt_u32_e32 vcc, 5, v0
	;; [unrolled: 46-line block ×9, first 2 shown]
	s_waitcnt vmcnt(0)
	ds_write_b64 v1, v[32:33]
	s_waitcnt lgkmcnt(0)
	; wave barrier
	s_and_saveexec_b64 s[0:1], vcc
	s_cbranch_execz .LBB77_63
; %bb.60:
	v_mov_b32_e32 v32, 0
	v_add_u32_e32 v31, -1, v0
	v_add_u32_e32 v35, 0x70, v30
	v_mov_b32_e32 v36, v30
	s_mov_b64 s[4:5], 0
	v_mov_b32_e32 v33, v32
.LBB77_61:                              ; =>This Inner Loop Header: Depth=1
	scratch_load_dwordx2 v[38:39], v36, off
	ds_read_b64 v[40:41], v35
	v_add_u32_e32 v31, 1, v31
	v_cmp_lt_u32_e32 vcc, 10, v31
	v_add_u32_e32 v35, 8, v35
	v_add_u32_e32 v36, 8, v36
	s_or_b64 s[4:5], vcc, s[4:5]
	s_waitcnt vmcnt(0) lgkmcnt(0)
	v_pk_mul_f32 v[42:43], v[40:41], v[38:39] op_sel:[1,1] op_sel_hi:[0,1]
	v_pk_fma_f32 v[44:45], v[40:41], v[38:39], v[42:43] neg_lo:[0,0,1] neg_hi:[0,0,1]
	v_pk_fma_f32 v[38:39], v[40:41], v[38:39], v[42:43] op_sel_hi:[1,0,1]
	s_nop 0
	v_mov_b32_e32 v45, v39
	v_pk_add_f32 v[32:33], v[32:33], v[44:45]
	s_andn2_b64 exec, exec, s[4:5]
	s_cbranch_execnz .LBB77_61
; %bb.62:
	s_or_b64 exec, exec, s[4:5]
	v_mov_b32_e32 v31, 0
	ds_read_b64 v[36:37], v31 offset:96
	s_waitcnt lgkmcnt(0)
	v_pk_mul_f32 v[38:39], v[32:33], v[36:37] op_sel:[1,1] op_sel_hi:[0,1]
	v_pk_fma_f32 v[40:41], v[32:33], v[36:37], v[38:39] neg_lo:[0,0,1] neg_hi:[0,0,1]
	v_pk_fma_f32 v[32:33], v[32:33], v[36:37], v[38:39] op_sel_hi:[1,0,1]
	s_nop 0
	v_mov_b32_e32 v41, v33
	scratch_store_dwordx2 off, v[40:41], off offset:96
.LBB77_63:
	s_or_b64 exec, exec, s[0:1]
	; wave barrier
	scratch_load_dwordx2 v[32:33], off, off offset:104
	v_cmp_ne_u32_e32 vcc, 13, v0
	s_waitcnt vmcnt(0)
	ds_write_b64 v1, v[32:33]
	s_waitcnt lgkmcnt(0)
	; wave barrier
	s_and_saveexec_b64 s[0:1], vcc
	s_cbranch_execz .LBB77_67
; %bb.64:
	v_add_u32_e32 v1, 0x70, v30
	v_mov_b32_e32 v32, v30
	v_mov_b32_e32 v30, 0
	s_mov_b64 s[4:5], 0
	v_mov_b32_e32 v31, v30
.LBB77_65:                              ; =>This Inner Loop Header: Depth=1
	scratch_load_dwordx2 v[36:37], v32, off
	ds_read_b64 v[38:39], v1
	v_add_u32_e32 v34, 1, v34
	v_cmp_lt_u32_e32 vcc, 11, v34
	v_add_u32_e32 v1, 8, v1
	v_add_u32_e32 v32, 8, v32
	s_or_b64 s[4:5], vcc, s[4:5]
	s_waitcnt vmcnt(0) lgkmcnt(0)
	v_pk_mul_f32 v[40:41], v[38:39], v[36:37] op_sel:[1,1] op_sel_hi:[0,1]
	v_pk_fma_f32 v[42:43], v[38:39], v[36:37], v[40:41] neg_lo:[0,0,1] neg_hi:[0,0,1]
	v_pk_fma_f32 v[36:37], v[38:39], v[36:37], v[40:41] op_sel_hi:[1,0,1]
	s_nop 0
	v_mov_b32_e32 v43, v37
	v_pk_add_f32 v[30:31], v[30:31], v[42:43]
	s_andn2_b64 exec, exec, s[4:5]
	s_cbranch_execnz .LBB77_65
; %bb.66:
	s_or_b64 exec, exec, s[4:5]
	v_mov_b32_e32 v1, 0
	ds_read_b64 v[32:33], v1 offset:104
	s_waitcnt lgkmcnt(0)
	v_pk_mul_f32 v[34:35], v[30:31], v[32:33] op_sel:[1,1] op_sel_hi:[0,1]
	v_pk_fma_f32 v[36:37], v[30:31], v[32:33], v[34:35] neg_lo:[0,0,1] neg_hi:[0,0,1]
	v_pk_fma_f32 v[30:31], v[30:31], v[32:33], v[34:35] op_sel_hi:[1,0,1]
	s_nop 0
	v_mov_b32_e32 v37, v31
	scratch_store_dwordx2 off, v[36:37], off offset:104
.LBB77_67:
	s_or_b64 exec, exec, s[0:1]
	s_mov_b64 s[4:5], -1
	; wave barrier
.LBB77_68:
	s_and_b64 vcc, exec, s[4:5]
	s_cbranch_vccz .LBB77_70
; %bb.69:
	s_lshl_b64 s[0:1], s[2:3], 2
	s_add_u32 s0, s6, s0
	s_addc_u32 s1, s7, s1
	v_mov_b32_e32 v1, 0
	global_load_dword v1, v1, s[0:1]
	s_waitcnt vmcnt(0)
	v_cmp_ne_u32_e32 vcc, 0, v1
	s_cbranch_vccz .LBB77_71
.LBB77_70:
	s_endpgm
.LBB77_71:
	v_mov_b32_e32 v1, 0x70
	v_lshl_add_u32 v1, v0, 3, v1
	v_cmp_eq_u32_e32 vcc, 13, v0
	s_and_saveexec_b64 s[0:1], vcc
	s_cbranch_execz .LBB77_73
; %bb.72:
	scratch_load_dwordx2 v[30:31], off, off offset:96
	v_mov_b32_e32 v32, 0
	v_mov_b32_e32 v33, v32
	scratch_store_dwordx2 off, v[32:33], off offset:96
	s_waitcnt vmcnt(1)
	ds_write_b64 v1, v[30:31]
.LBB77_73:
	s_or_b64 exec, exec, s[0:1]
	s_waitcnt lgkmcnt(0)
	; wave barrier
	scratch_load_dwordx2 v[32:33], off, off offset:104
	scratch_load_dwordx2 v[34:35], off, off offset:96
	v_mov_b32_e32 v30, 0
	ds_read_b64 v[36:37], v30 offset:216
	v_cmp_lt_u32_e32 vcc, 11, v0
	s_waitcnt vmcnt(1) lgkmcnt(0)
	v_pk_mul_f32 v[38:39], v[36:37], v[32:33] op_sel:[1,1] op_sel_hi:[0,1]
	v_pk_fma_f32 v[40:41], v[36:37], v[32:33], v[38:39] neg_lo:[0,0,1] neg_hi:[0,0,1]
	v_pk_fma_f32 v[32:33], v[36:37], v[32:33], v[38:39] op_sel_hi:[1,0,1]
	s_nop 0
	v_mov_b32_e32 v41, v33
	v_pk_add_f32 v[32:33], v[40:41], 0 op_sel_hi:[1,0]
	s_waitcnt vmcnt(0)
	v_pk_add_f32 v[32:33], v[34:35], v[32:33] neg_lo:[0,1] neg_hi:[0,1]
	scratch_store_dwordx2 off, v[32:33], off offset:96
	s_and_saveexec_b64 s[0:1], vcc
	s_cbranch_execz .LBB77_75
; %bb.74:
	scratch_load_dwordx2 v[32:33], off, off offset:88
	v_mov_b32_e32 v31, v30
	scratch_store_dwordx2 off, v[30:31], off offset:88
	s_waitcnt vmcnt(1)
	ds_write_b64 v1, v[32:33]
.LBB77_75:
	s_or_b64 exec, exec, s[0:1]
	s_waitcnt lgkmcnt(0)
	; wave barrier
	scratch_load_dwordx4 v[32:35], off, off offset:96
	scratch_load_dwordx2 v[40:41], off, off offset:88
	ds_read_b128 v[36:39], v30 offset:208
	v_cmp_lt_u32_e32 vcc, 10, v0
	s_waitcnt vmcnt(1) lgkmcnt(0)
	v_pk_mul_f32 v[30:31], v[36:37], v[32:33] op_sel:[1,1] op_sel_hi:[0,1]
	v_mov_b32_e32 v42, v35
	v_pk_fma_f32 v[44:45], v[36:37], v[32:33], v[30:31] neg_lo:[0,0,1] neg_hi:[0,0,1]
	v_pk_fma_f32 v[30:31], v[36:37], v[32:33], v[30:31] op_sel_hi:[1,0,1]
	v_pk_mul_f32 v[32:33], v[38:39], v[42:43] op_sel:[1,0] op_sel_hi:[0,0]
	v_mov_b32_e32 v45, v31
	v_pk_fma_f32 v[30:31], v[38:39], v[34:35], v[32:33] neg_lo:[0,0,1] neg_hi:[0,0,1]
	v_pk_fma_f32 v[32:33], v[38:39], v[34:35], v[32:33] op_sel_hi:[1,0,1]
	v_pk_add_f32 v[34:35], v[44:45], 0 op_sel_hi:[1,0]
	v_mov_b32_e32 v31, v33
	v_pk_add_f32 v[30:31], v[34:35], v[30:31]
	s_waitcnt vmcnt(0)
	v_pk_add_f32 v[30:31], v[40:41], v[30:31] neg_lo:[0,1] neg_hi:[0,1]
	scratch_store_dwordx2 off, v[30:31], off offset:88
	s_and_saveexec_b64 s[0:1], vcc
	s_cbranch_execz .LBB77_77
; %bb.76:
	scratch_load_dwordx2 v[30:31], off, off offset:80
	v_mov_b32_e32 v32, 0
	v_mov_b32_e32 v33, v32
	scratch_store_dwordx2 off, v[32:33], off offset:80
	s_waitcnt vmcnt(1)
	ds_write_b64 v1, v[30:31]
.LBB77_77:
	s_or_b64 exec, exec, s[0:1]
	s_waitcnt lgkmcnt(0)
	; wave barrier
	scratch_load_dwordx4 v[32:35], off, off offset:88
	scratch_load_dwordx2 v[40:41], off, off offset:104
	scratch_load_dwordx2 v[42:43], off, off offset:80
	v_mov_b32_e32 v30, 0
	ds_read2_b64 v[36:39], v30 offset0:25 offset1:26
	ds_read_b64 v[44:45], v30 offset:216
	v_cmp_lt_u32_e32 vcc, 9, v0
	s_waitcnt vmcnt(2) lgkmcnt(1)
	v_pk_mul_f32 v[46:47], v[36:37], v[32:33] op_sel:[1,1] op_sel_hi:[0,1]
	v_mov_b32_e32 v48, v35
	v_pk_fma_f32 v[52:53], v[36:37], v[32:33], v[46:47] neg_lo:[0,0,1] neg_hi:[0,0,1]
	v_pk_fma_f32 v[32:33], v[36:37], v[32:33], v[46:47] op_sel_hi:[1,0,1]
	v_pk_mul_f32 v[36:37], v[38:39], v[48:49] op_sel:[1,0] op_sel_hi:[0,0]
	s_waitcnt vmcnt(1) lgkmcnt(0)
	v_pk_mul_f32 v[50:51], v[44:45], v[40:41] op_sel:[1,1] op_sel_hi:[0,1]
	v_mov_b32_e32 v53, v33
	v_pk_fma_f32 v[32:33], v[38:39], v[34:35], v[36:37] neg_lo:[0,0,1] neg_hi:[0,0,1]
	v_pk_fma_f32 v[34:35], v[38:39], v[34:35], v[36:37] op_sel_hi:[1,0,1]
	v_pk_fma_f32 v[46:47], v[44:45], v[40:41], v[50:51] neg_lo:[0,0,1] neg_hi:[0,0,1]
	v_pk_fma_f32 v[40:41], v[44:45], v[40:41], v[50:51] op_sel_hi:[1,0,1]
	v_pk_add_f32 v[36:37], v[52:53], 0 op_sel_hi:[1,0]
	v_mov_b32_e32 v33, v35
	v_mov_b32_e32 v47, v41
	v_pk_add_f32 v[32:33], v[36:37], v[32:33]
	s_nop 0
	v_pk_add_f32 v[32:33], v[32:33], v[46:47]
	s_waitcnt vmcnt(0)
	v_pk_add_f32 v[32:33], v[42:43], v[32:33] neg_lo:[0,1] neg_hi:[0,1]
	scratch_store_dwordx2 off, v[32:33], off offset:80
	s_and_saveexec_b64 s[0:1], vcc
	s_cbranch_execz .LBB77_79
; %bb.78:
	scratch_load_dwordx2 v[32:33], off, off offset:72
	v_mov_b32_e32 v31, v30
	scratch_store_dwordx2 off, v[30:31], off offset:72
	s_waitcnt vmcnt(1)
	ds_write_b64 v1, v[32:33]
.LBB77_79:
	s_or_b64 exec, exec, s[0:1]
	s_waitcnt lgkmcnt(0)
	; wave barrier
	scratch_load_dwordx4 v[32:35], off, off offset:80
	scratch_load_dwordx4 v[36:39], off, off offset:96
	scratch_load_dwordx2 v[48:49], off, off offset:72
	ds_read_b128 v[40:43], v30 offset:192
	ds_read_b128 v[44:47], v30 offset:208
	v_cmp_lt_u32_e32 vcc, 8, v0
	s_waitcnt vmcnt(2) lgkmcnt(1)
	v_pk_mul_f32 v[30:31], v[40:41], v[32:33] op_sel:[1,1] op_sel_hi:[0,1]
	v_mov_b32_e32 v50, v35
	s_waitcnt vmcnt(1) lgkmcnt(0)
	v_pk_mul_f32 v[52:53], v[44:45], v[36:37] op_sel:[1,1] op_sel_hi:[0,1]
	v_mov_b32_e32 v54, v39
	v_pk_fma_f32 v[56:57], v[40:41], v[32:33], v[30:31] neg_lo:[0,0,1] neg_hi:[0,0,1]
	v_pk_fma_f32 v[30:31], v[40:41], v[32:33], v[30:31] op_sel_hi:[1,0,1]
	v_pk_mul_f32 v[32:33], v[42:43], v[50:51] op_sel:[1,0] op_sel_hi:[0,0]
	v_pk_fma_f32 v[40:41], v[44:45], v[36:37], v[52:53] neg_lo:[0,0,1] neg_hi:[0,0,1]
	v_pk_fma_f32 v[36:37], v[44:45], v[36:37], v[52:53] op_sel_hi:[1,0,1]
	v_pk_mul_f32 v[44:45], v[46:47], v[54:55] op_sel:[1,0] op_sel_hi:[0,0]
	v_mov_b32_e32 v57, v31
	v_pk_fma_f32 v[30:31], v[42:43], v[34:35], v[32:33] neg_lo:[0,0,1] neg_hi:[0,0,1]
	v_pk_fma_f32 v[32:33], v[42:43], v[34:35], v[32:33] op_sel_hi:[1,0,1]
	v_mov_b32_e32 v41, v37
	v_pk_fma_f32 v[34:35], v[46:47], v[38:39], v[44:45] neg_lo:[0,0,1] neg_hi:[0,0,1]
	v_pk_fma_f32 v[36:37], v[46:47], v[38:39], v[44:45] op_sel_hi:[1,0,1]
	v_pk_add_f32 v[38:39], v[56:57], 0 op_sel_hi:[1,0]
	v_mov_b32_e32 v31, v33
	v_pk_add_f32 v[30:31], v[38:39], v[30:31]
	v_mov_b32_e32 v35, v37
	v_pk_add_f32 v[30:31], v[30:31], v[40:41]
	s_nop 0
	v_pk_add_f32 v[30:31], v[30:31], v[34:35]
	s_waitcnt vmcnt(0)
	v_pk_add_f32 v[30:31], v[48:49], v[30:31] neg_lo:[0,1] neg_hi:[0,1]
	scratch_store_dwordx2 off, v[30:31], off offset:72
	s_and_saveexec_b64 s[0:1], vcc
	s_cbranch_execz .LBB77_81
; %bb.80:
	scratch_load_dwordx2 v[30:31], off, off offset:64
	v_mov_b32_e32 v32, 0
	v_mov_b32_e32 v33, v32
	scratch_store_dwordx2 off, v[32:33], off offset:64
	s_waitcnt vmcnt(1)
	ds_write_b64 v1, v[30:31]
.LBB77_81:
	s_or_b64 exec, exec, s[0:1]
	s_waitcnt lgkmcnt(0)
	; wave barrier
	scratch_load_dwordx4 v[32:35], off, off offset:72
	scratch_load_dwordx4 v[36:39], off, off offset:88
	scratch_load_dwordx2 v[48:49], off, off offset:104
	scratch_load_dwordx2 v[50:51], off, off offset:64
	v_mov_b32_e32 v30, 0
	ds_read2_b64 v[40:43], v30 offset0:23 offset1:24
	ds_read2_b64 v[44:47], v30 offset0:25 offset1:26
	ds_read_b64 v[52:53], v30 offset:216
	v_cmp_lt_u32_e32 vcc, 7, v0
	s_waitcnt vmcnt(3) lgkmcnt(2)
	v_pk_mul_f32 v[54:55], v[40:41], v[32:33] op_sel:[1,1] op_sel_hi:[0,1]
	v_mov_b32_e32 v56, v35
	v_pk_fma_f32 v[64:65], v[40:41], v[32:33], v[54:55] neg_lo:[0,0,1] neg_hi:[0,0,1]
	v_pk_fma_f32 v[32:33], v[40:41], v[32:33], v[54:55] op_sel_hi:[1,0,1]
	v_pk_mul_f32 v[40:41], v[42:43], v[56:57] op_sel:[1,0] op_sel_hi:[0,0]
	s_waitcnt vmcnt(2) lgkmcnt(1)
	v_pk_mul_f32 v[58:59], v[44:45], v[36:37] op_sel:[1,1] op_sel_hi:[0,1]
	v_mov_b32_e32 v60, v39
	v_mov_b32_e32 v65, v33
	v_pk_fma_f32 v[32:33], v[42:43], v[34:35], v[40:41] neg_lo:[0,0,1] neg_hi:[0,0,1]
	v_pk_fma_f32 v[34:35], v[42:43], v[34:35], v[40:41] op_sel_hi:[1,0,1]
	v_pk_fma_f32 v[54:55], v[44:45], v[36:37], v[58:59] neg_lo:[0,0,1] neg_hi:[0,0,1]
	v_pk_fma_f32 v[36:37], v[44:45], v[36:37], v[58:59] op_sel_hi:[1,0,1]
	v_pk_mul_f32 v[44:45], v[46:47], v[60:61] op_sel:[1,0] op_sel_hi:[0,0]
	v_pk_add_f32 v[40:41], v[64:65], 0 op_sel_hi:[1,0]
	v_mov_b32_e32 v33, v35
	s_waitcnt vmcnt(1) lgkmcnt(0)
	v_pk_mul_f32 v[62:63], v[52:53], v[48:49] op_sel:[1,1] op_sel_hi:[0,1]
	v_mov_b32_e32 v55, v37
	v_pk_fma_f32 v[36:37], v[46:47], v[38:39], v[44:45] neg_lo:[0,0,1] neg_hi:[0,0,1]
	v_pk_fma_f32 v[38:39], v[46:47], v[38:39], v[44:45] op_sel_hi:[1,0,1]
	v_pk_add_f32 v[32:33], v[40:41], v[32:33]
	v_pk_fma_f32 v[56:57], v[52:53], v[48:49], v[62:63] neg_lo:[0,0,1] neg_hi:[0,0,1]
	v_pk_fma_f32 v[48:49], v[52:53], v[48:49], v[62:63] op_sel_hi:[1,0,1]
	v_mov_b32_e32 v37, v39
	v_pk_add_f32 v[32:33], v[32:33], v[54:55]
	v_mov_b32_e32 v57, v49
	v_pk_add_f32 v[32:33], v[32:33], v[36:37]
	s_nop 0
	v_pk_add_f32 v[32:33], v[32:33], v[56:57]
	s_waitcnt vmcnt(0)
	v_pk_add_f32 v[32:33], v[50:51], v[32:33] neg_lo:[0,1] neg_hi:[0,1]
	scratch_store_dwordx2 off, v[32:33], off offset:64
	s_and_saveexec_b64 s[0:1], vcc
	s_cbranch_execz .LBB77_83
; %bb.82:
	scratch_load_dwordx2 v[32:33], off, off offset:56
	v_mov_b32_e32 v31, v30
	scratch_store_dwordx2 off, v[30:31], off offset:56
	s_waitcnt vmcnt(1)
	ds_write_b64 v1, v[32:33]
.LBB77_83:
	s_or_b64 exec, exec, s[0:1]
	s_waitcnt lgkmcnt(0)
	; wave barrier
	scratch_load_dwordx4 v[32:35], off, off offset:64
	scratch_load_dwordx4 v[36:39], off, off offset:80
	;; [unrolled: 1-line block ×3, first 2 shown]
	scratch_load_dwordx2 v[56:57], off, off offset:56
	ds_read_b128 v[44:47], v30 offset:176
	ds_read_b128 v[48:51], v30 offset:192
	;; [unrolled: 1-line block ×3, first 2 shown]
	v_cmp_lt_u32_e32 vcc, 6, v0
	s_waitcnt vmcnt(3) lgkmcnt(2)
	v_pk_mul_f32 v[30:31], v[44:45], v[32:33] op_sel:[1,1] op_sel_hi:[0,1]
	v_mov_b32_e32 v58, v35
	s_waitcnt vmcnt(2) lgkmcnt(1)
	v_pk_mul_f32 v[60:61], v[48:49], v[36:37] op_sel:[1,1] op_sel_hi:[0,1]
	v_mov_b32_e32 v62, v39
	s_waitcnt vmcnt(1) lgkmcnt(0)
	v_pk_mul_f32 v[64:65], v[52:53], v[40:41] op_sel:[1,1] op_sel_hi:[0,1]
	v_mov_b32_e32 v66, v43
	v_pk_fma_f32 v[68:69], v[44:45], v[32:33], v[30:31] neg_lo:[0,0,1] neg_hi:[0,0,1]
	v_pk_fma_f32 v[30:31], v[44:45], v[32:33], v[30:31] op_sel_hi:[1,0,1]
	v_pk_mul_f32 v[32:33], v[46:47], v[58:59] op_sel:[1,0] op_sel_hi:[0,0]
	v_pk_fma_f32 v[44:45], v[48:49], v[36:37], v[60:61] neg_lo:[0,0,1] neg_hi:[0,0,1]
	v_pk_fma_f32 v[36:37], v[48:49], v[36:37], v[60:61] op_sel_hi:[1,0,1]
	v_pk_mul_f32 v[48:49], v[50:51], v[62:63] op_sel:[1,0] op_sel_hi:[0,0]
	;; [unrolled: 3-line block ×3, first 2 shown]
	v_mov_b32_e32 v69, v31
	v_pk_fma_f32 v[30:31], v[46:47], v[34:35], v[32:33] neg_lo:[0,0,1] neg_hi:[0,0,1]
	v_pk_fma_f32 v[32:33], v[46:47], v[34:35], v[32:33] op_sel_hi:[1,0,1]
	v_mov_b32_e32 v45, v37
	v_pk_fma_f32 v[34:35], v[50:51], v[38:39], v[48:49] neg_lo:[0,0,1] neg_hi:[0,0,1]
	v_pk_fma_f32 v[36:37], v[50:51], v[38:39], v[48:49] op_sel_hi:[1,0,1]
	;; [unrolled: 3-line block ×3, first 2 shown]
	v_pk_add_f32 v[42:43], v[68:69], 0 op_sel_hi:[1,0]
	v_mov_b32_e32 v31, v33
	v_pk_add_f32 v[30:31], v[42:43], v[30:31]
	v_mov_b32_e32 v35, v37
	v_pk_add_f32 v[30:31], v[30:31], v[44:45]
	;; [unrolled: 2-line block ×3, first 2 shown]
	s_nop 0
	v_pk_add_f32 v[30:31], v[30:31], v[58:59]
	s_nop 0
	v_pk_add_f32 v[30:31], v[30:31], v[38:39]
	s_waitcnt vmcnt(0)
	v_pk_add_f32 v[30:31], v[56:57], v[30:31] neg_lo:[0,1] neg_hi:[0,1]
	scratch_store_dwordx2 off, v[30:31], off offset:56
	s_and_saveexec_b64 s[0:1], vcc
	s_cbranch_execz .LBB77_85
; %bb.84:
	scratch_load_dwordx2 v[30:31], off, off offset:48
	v_mov_b32_e32 v32, 0
	v_mov_b32_e32 v33, v32
	scratch_store_dwordx2 off, v[32:33], off offset:48
	s_waitcnt vmcnt(1)
	ds_write_b64 v1, v[30:31]
.LBB77_85:
	s_or_b64 exec, exec, s[0:1]
	s_waitcnt lgkmcnt(0)
	; wave barrier
	scratch_load_dwordx4 v[32:35], off, off offset:56
	scratch_load_dwordx4 v[36:39], off, off offset:72
	;; [unrolled: 1-line block ×3, first 2 shown]
	scratch_load_dwordx2 v[56:57], off, off offset:104
	scratch_load_dwordx2 v[58:59], off, off offset:48
	v_mov_b32_e32 v30, 0
	ds_read2_b64 v[44:47], v30 offset0:21 offset1:22
	ds_read2_b64 v[48:51], v30 offset0:23 offset1:24
	;; [unrolled: 1-line block ×3, first 2 shown]
	ds_read_b64 v[60:61], v30 offset:216
	v_cmp_lt_u32_e32 vcc, 5, v0
	s_waitcnt vmcnt(4) lgkmcnt(3)
	v_pk_mul_f32 v[62:63], v[44:45], v[32:33] op_sel:[1,1] op_sel_hi:[0,1]
	v_mov_b32_e32 v64, v35
	v_pk_fma_f32 v[76:77], v[44:45], v[32:33], v[62:63] neg_lo:[0,0,1] neg_hi:[0,0,1]
	v_pk_fma_f32 v[32:33], v[44:45], v[32:33], v[62:63] op_sel_hi:[1,0,1]
	v_pk_mul_f32 v[44:45], v[46:47], v[64:65] op_sel:[1,0] op_sel_hi:[0,0]
	s_waitcnt vmcnt(3) lgkmcnt(2)
	v_pk_mul_f32 v[66:67], v[48:49], v[36:37] op_sel:[1,1] op_sel_hi:[0,1]
	v_mov_b32_e32 v68, v39
	v_mov_b32_e32 v77, v33
	v_pk_fma_f32 v[32:33], v[46:47], v[34:35], v[44:45] neg_lo:[0,0,1] neg_hi:[0,0,1]
	v_pk_fma_f32 v[34:35], v[46:47], v[34:35], v[44:45] op_sel_hi:[1,0,1]
	v_pk_fma_f32 v[62:63], v[48:49], v[36:37], v[66:67] neg_lo:[0,0,1] neg_hi:[0,0,1]
	v_pk_fma_f32 v[36:37], v[48:49], v[36:37], v[66:67] op_sel_hi:[1,0,1]
	v_pk_mul_f32 v[48:49], v[50:51], v[68:69] op_sel:[1,0] op_sel_hi:[0,0]
	v_pk_add_f32 v[44:45], v[76:77], 0 op_sel_hi:[1,0]
	v_mov_b32_e32 v33, v35
	s_waitcnt vmcnt(2) lgkmcnt(1)
	v_pk_mul_f32 v[70:71], v[52:53], v[40:41] op_sel:[1,1] op_sel_hi:[0,1]
	v_mov_b32_e32 v72, v43
	v_mov_b32_e32 v63, v37
	v_pk_fma_f32 v[36:37], v[50:51], v[38:39], v[48:49] neg_lo:[0,0,1] neg_hi:[0,0,1]
	v_pk_fma_f32 v[38:39], v[50:51], v[38:39], v[48:49] op_sel_hi:[1,0,1]
	v_pk_add_f32 v[32:33], v[44:45], v[32:33]
	v_pk_fma_f32 v[64:65], v[52:53], v[40:41], v[70:71] neg_lo:[0,0,1] neg_hi:[0,0,1]
	v_pk_fma_f32 v[40:41], v[52:53], v[40:41], v[70:71] op_sel_hi:[1,0,1]
	v_pk_mul_f32 v[52:53], v[54:55], v[72:73] op_sel:[1,0] op_sel_hi:[0,0]
	v_mov_b32_e32 v37, v39
	v_pk_add_f32 v[32:33], v[32:33], v[62:63]
	s_waitcnt vmcnt(1) lgkmcnt(0)
	v_pk_mul_f32 v[74:75], v[60:61], v[56:57] op_sel:[1,1] op_sel_hi:[0,1]
	v_mov_b32_e32 v65, v41
	v_pk_fma_f32 v[40:41], v[54:55], v[42:43], v[52:53] neg_lo:[0,0,1] neg_hi:[0,0,1]
	v_pk_fma_f32 v[42:43], v[54:55], v[42:43], v[52:53] op_sel_hi:[1,0,1]
	v_pk_add_f32 v[32:33], v[32:33], v[36:37]
	v_pk_fma_f32 v[66:67], v[60:61], v[56:57], v[74:75] neg_lo:[0,0,1] neg_hi:[0,0,1]
	v_pk_fma_f32 v[56:57], v[60:61], v[56:57], v[74:75] op_sel_hi:[1,0,1]
	v_mov_b32_e32 v41, v43
	v_pk_add_f32 v[32:33], v[32:33], v[64:65]
	v_mov_b32_e32 v67, v57
	v_pk_add_f32 v[32:33], v[32:33], v[40:41]
	s_nop 0
	v_pk_add_f32 v[32:33], v[32:33], v[66:67]
	s_waitcnt vmcnt(0)
	v_pk_add_f32 v[32:33], v[58:59], v[32:33] neg_lo:[0,1] neg_hi:[0,1]
	scratch_store_dwordx2 off, v[32:33], off offset:48
	s_and_saveexec_b64 s[0:1], vcc
	s_cbranch_execz .LBB77_87
; %bb.86:
	scratch_load_dwordx2 v[32:33], off, off offset:40
	v_mov_b32_e32 v31, v30
	scratch_store_dwordx2 off, v[30:31], off offset:40
	s_waitcnt vmcnt(1)
	ds_write_b64 v1, v[32:33]
.LBB77_87:
	s_or_b64 exec, exec, s[0:1]
	s_waitcnt lgkmcnt(0)
	; wave barrier
	scratch_load_dwordx4 v[32:35], off, off offset:48
	scratch_load_dwordx4 v[36:39], off, off offset:64
	;; [unrolled: 1-line block ×4, first 2 shown]
	scratch_load_dwordx2 v[64:65], off, off offset:40
	ds_read_b128 v[48:51], v30 offset:160
	ds_read_b128 v[52:55], v30 offset:176
	;; [unrolled: 1-line block ×4, first 2 shown]
	v_cmp_lt_u32_e32 vcc, 4, v0
	s_waitcnt vmcnt(4) lgkmcnt(3)
	v_pk_mul_f32 v[30:31], v[48:49], v[32:33] op_sel:[1,1] op_sel_hi:[0,1]
	v_mov_b32_e32 v66, v35
	s_waitcnt vmcnt(3) lgkmcnt(2)
	v_pk_mul_f32 v[68:69], v[52:53], v[36:37] op_sel:[1,1] op_sel_hi:[0,1]
	v_mov_b32_e32 v70, v39
	;; [unrolled: 3-line block ×4, first 2 shown]
	v_pk_fma_f32 v[80:81], v[48:49], v[32:33], v[30:31] neg_lo:[0,0,1] neg_hi:[0,0,1]
	v_pk_fma_f32 v[30:31], v[48:49], v[32:33], v[30:31] op_sel_hi:[1,0,1]
	v_pk_mul_f32 v[32:33], v[50:51], v[66:67] op_sel:[1,0] op_sel_hi:[0,0]
	v_pk_fma_f32 v[48:49], v[52:53], v[36:37], v[68:69] neg_lo:[0,0,1] neg_hi:[0,0,1]
	v_pk_fma_f32 v[36:37], v[52:53], v[36:37], v[68:69] op_sel_hi:[1,0,1]
	v_pk_mul_f32 v[52:53], v[54:55], v[70:71] op_sel:[1,0] op_sel_hi:[0,0]
	;; [unrolled: 3-line block ×4, first 2 shown]
	v_mov_b32_e32 v81, v31
	v_pk_fma_f32 v[30:31], v[50:51], v[34:35], v[32:33] neg_lo:[0,0,1] neg_hi:[0,0,1]
	v_pk_fma_f32 v[32:33], v[50:51], v[34:35], v[32:33] op_sel_hi:[1,0,1]
	v_mov_b32_e32 v49, v37
	v_pk_fma_f32 v[34:35], v[54:55], v[38:39], v[52:53] neg_lo:[0,0,1] neg_hi:[0,0,1]
	v_pk_fma_f32 v[36:37], v[54:55], v[38:39], v[52:53] op_sel_hi:[1,0,1]
	;; [unrolled: 3-line block ×4, first 2 shown]
	v_pk_add_f32 v[46:47], v[80:81], 0 op_sel_hi:[1,0]
	v_mov_b32_e32 v31, v33
	v_pk_add_f32 v[30:31], v[46:47], v[30:31]
	v_mov_b32_e32 v35, v37
	v_pk_add_f32 v[30:31], v[30:31], v[48:49]
	;; [unrolled: 2-line block ×4, first 2 shown]
	s_nop 0
	v_pk_add_f32 v[30:31], v[30:31], v[38:39]
	s_nop 0
	v_pk_add_f32 v[30:31], v[30:31], v[68:69]
	;; [unrolled: 2-line block ×3, first 2 shown]
	s_waitcnt vmcnt(0)
	v_pk_add_f32 v[30:31], v[64:65], v[30:31] neg_lo:[0,1] neg_hi:[0,1]
	scratch_store_dwordx2 off, v[30:31], off offset:40
	s_and_saveexec_b64 s[0:1], vcc
	s_cbranch_execz .LBB77_89
; %bb.88:
	scratch_load_dwordx2 v[30:31], off, off offset:32
	v_mov_b32_e32 v32, 0
	v_mov_b32_e32 v33, v32
	scratch_store_dwordx2 off, v[32:33], off offset:32
	s_waitcnt vmcnt(1)
	ds_write_b64 v1, v[30:31]
.LBB77_89:
	s_or_b64 exec, exec, s[0:1]
	s_waitcnt lgkmcnt(0)
	; wave barrier
	scratch_load_dwordx4 v[32:35], off, off offset:40
	scratch_load_dwordx4 v[36:39], off, off offset:56
	;; [unrolled: 1-line block ×4, first 2 shown]
	scratch_load_dwordx2 v[64:65], off, off offset:104
	scratch_load_dwordx2 v[66:67], off, off offset:32
	v_mov_b32_e32 v30, 0
	ds_read2_b64 v[48:51], v30 offset0:19 offset1:20
	ds_read2_b64 v[52:55], v30 offset0:21 offset1:22
	;; [unrolled: 1-line block ×4, first 2 shown]
	ds_read_b64 v[68:69], v30 offset:216
	v_cmp_lt_u32_e32 vcc, 3, v0
	s_waitcnt vmcnt(5) lgkmcnt(4)
	v_mul_f32_e32 v71, v48, v33
	v_mul_f32_e32 v31, v49, v33
	v_mov_b32_e32 v72, v35
	s_waitcnt vmcnt(4) lgkmcnt(3)
	v_pk_mul_f32 v[74:75], v[52:53], v[36:37] op_sel:[1,1] op_sel_hi:[0,1]
	v_mov_b32_e32 v76, v39
	s_waitcnt vmcnt(1) lgkmcnt(0)
	v_pk_mul_f32 v[86:87], v[68:69], v[64:65] op_sel:[1,1] op_sel_hi:[0,1]
	v_fmac_f32_e32 v71, v49, v32
	v_fma_f32 v70, v48, v32, -v31
	v_pk_mul_f32 v[32:33], v[50:51], v[72:73] op_sel:[1,0] op_sel_hi:[0,0]
	v_pk_fma_f32 v[48:49], v[52:53], v[36:37], v[74:75] neg_lo:[0,0,1] neg_hi:[0,0,1]
	v_pk_fma_f32 v[36:37], v[52:53], v[36:37], v[74:75] op_sel_hi:[1,0,1]
	v_pk_mul_f32 v[52:53], v[54:55], v[76:77] op_sel:[1,0] op_sel_hi:[0,0]
	v_pk_fma_f32 v[76:77], v[68:69], v[64:65], v[86:87] neg_lo:[0,0,1] neg_hi:[0,0,1]
	v_pk_fma_f32 v[64:65], v[68:69], v[64:65], v[86:87] op_sel_hi:[1,0,1]
	v_pk_add_f32 v[68:69], v[70:71], 0 op_sel_hi:[1,0]
	v_pk_fma_f32 v[70:71], v[50:51], v[34:35], v[32:33] neg_lo:[0,0,1] neg_hi:[0,0,1]
	v_pk_fma_f32 v[32:33], v[50:51], v[34:35], v[32:33] op_sel_hi:[1,0,1]
	v_pk_mul_f32 v[78:79], v[56:57], v[40:41] op_sel:[1,1] op_sel_hi:[0,1]
	v_mov_b32_e32 v71, v33
	v_mov_b32_e32 v80, v43
	;; [unrolled: 1-line block ×3, first 2 shown]
	v_pk_fma_f32 v[34:35], v[54:55], v[38:39], v[52:53] neg_lo:[0,0,1] neg_hi:[0,0,1]
	v_pk_fma_f32 v[36:37], v[54:55], v[38:39], v[52:53] op_sel_hi:[1,0,1]
	v_pk_add_f32 v[32:33], v[68:69], v[70:71]
	v_pk_fma_f32 v[72:73], v[56:57], v[40:41], v[78:79] neg_lo:[0,0,1] neg_hi:[0,0,1]
	v_pk_fma_f32 v[40:41], v[56:57], v[40:41], v[78:79] op_sel_hi:[1,0,1]
	v_pk_mul_f32 v[56:57], v[58:59], v[80:81] op_sel:[1,0] op_sel_hi:[0,0]
	v_mov_b32_e32 v35, v37
	v_pk_add_f32 v[32:33], v[32:33], v[48:49]
	v_pk_mul_f32 v[82:83], v[60:61], v[44:45] op_sel:[1,1] op_sel_hi:[0,1]
	v_mov_b32_e32 v84, v47
	v_mov_b32_e32 v73, v41
	v_pk_fma_f32 v[38:39], v[58:59], v[42:43], v[56:57] neg_lo:[0,0,1] neg_hi:[0,0,1]
	v_pk_fma_f32 v[40:41], v[58:59], v[42:43], v[56:57] op_sel_hi:[1,0,1]
	v_pk_add_f32 v[32:33], v[32:33], v[34:35]
	v_pk_fma_f32 v[74:75], v[60:61], v[44:45], v[82:83] neg_lo:[0,0,1] neg_hi:[0,0,1]
	v_pk_fma_f32 v[44:45], v[60:61], v[44:45], v[82:83] op_sel_hi:[1,0,1]
	v_pk_mul_f32 v[60:61], v[62:63], v[84:85] op_sel:[1,0] op_sel_hi:[0,0]
	v_mov_b32_e32 v39, v41
	v_pk_add_f32 v[32:33], v[32:33], v[72:73]
	v_mov_b32_e32 v75, v45
	v_pk_fma_f32 v[42:43], v[62:63], v[46:47], v[60:61] neg_lo:[0,0,1] neg_hi:[0,0,1]
	v_pk_fma_f32 v[44:45], v[62:63], v[46:47], v[60:61] op_sel_hi:[1,0,1]
	v_pk_add_f32 v[32:33], v[32:33], v[38:39]
	v_mov_b32_e32 v43, v45
	v_pk_add_f32 v[32:33], v[32:33], v[74:75]
	v_mov_b32_e32 v77, v65
	v_pk_add_f32 v[32:33], v[32:33], v[42:43]
	s_nop 0
	v_pk_add_f32 v[32:33], v[32:33], v[76:77]
	s_waitcnt vmcnt(0)
	v_pk_add_f32 v[32:33], v[66:67], v[32:33] neg_lo:[0,1] neg_hi:[0,1]
	scratch_store_dwordx2 off, v[32:33], off offset:32
	s_and_saveexec_b64 s[0:1], vcc
	s_cbranch_execz .LBB77_91
; %bb.90:
	scratch_load_dwordx2 v[32:33], off, off offset:24
	v_mov_b32_e32 v31, v30
	scratch_store_dwordx2 off, v[30:31], off offset:24
	s_waitcnt vmcnt(1)
	ds_write_b64 v1, v[32:33]
.LBB77_91:
	s_or_b64 exec, exec, s[0:1]
	s_waitcnt lgkmcnt(0)
	; wave barrier
	scratch_load_dwordx4 v[32:35], off, off offset:32
	scratch_load_dwordx4 v[36:39], off, off offset:48
	;; [unrolled: 1-line block ×5, first 2 shown]
	scratch_load_dwordx2 v[72:73], off, off offset:24
	ds_read_b128 v[52:55], v30 offset:144
	ds_read_b128 v[56:59], v30 offset:160
	;; [unrolled: 1-line block ×5, first 2 shown]
	v_cmp_lt_u32_e32 vcc, 2, v0
	s_waitcnt vmcnt(5) lgkmcnt(4)
	v_mul_f32_e32 v31, v52, v33
	v_mul_f32_e32 v30, v53, v33
	;; [unrolled: 1-line block ×4, first 2 shown]
	s_waitcnt vmcnt(4) lgkmcnt(3)
	v_pk_mul_f32 v[76:77], v[56:57], v[36:37] op_sel:[1,1] op_sel_hi:[0,1]
	v_mov_b32_e32 v78, v39
	v_fmac_f32_e32 v31, v53, v32
	v_fma_f32 v30, v52, v32, -v30
	v_fmac_f32_e32 v75, v55, v34
	v_fma_f32 v74, v54, v34, -v33
	v_pk_fma_f32 v[32:33], v[56:57], v[36:37], v[76:77] neg_lo:[0,0,1] neg_hi:[0,0,1]
	v_pk_fma_f32 v[34:35], v[56:57], v[36:37], v[76:77] op_sel_hi:[1,0,1]
	v_pk_mul_f32 v[36:37], v[58:59], v[78:79] op_sel:[1,0] op_sel_hi:[0,0]
	v_pk_add_f32 v[30:31], v[30:31], 0 op_sel_hi:[1,0]
	s_waitcnt vmcnt(3) lgkmcnt(2)
	v_pk_mul_f32 v[80:81], v[60:61], v[40:41] op_sel:[1,1] op_sel_hi:[0,1]
	v_mov_b32_e32 v82, v43
	v_mov_b32_e32 v33, v35
	v_pk_fma_f32 v[34:35], v[58:59], v[38:39], v[36:37] neg_lo:[0,0,1] neg_hi:[0,0,1]
	v_pk_fma_f32 v[36:37], v[58:59], v[38:39], v[36:37] op_sel_hi:[1,0,1]
	v_pk_add_f32 v[30:31], v[30:31], v[74:75]
	v_pk_fma_f32 v[52:53], v[60:61], v[40:41], v[80:81] neg_lo:[0,0,1] neg_hi:[0,0,1]
	v_pk_fma_f32 v[40:41], v[60:61], v[40:41], v[80:81] op_sel_hi:[1,0,1]
	v_pk_mul_f32 v[54:55], v[62:63], v[82:83] op_sel:[1,0] op_sel_hi:[0,0]
	v_mov_b32_e32 v35, v37
	v_pk_add_f32 v[30:31], v[30:31], v[32:33]
	s_waitcnt vmcnt(2) lgkmcnt(1)
	v_pk_mul_f32 v[84:85], v[64:65], v[44:45] op_sel:[1,1] op_sel_hi:[0,1]
	v_mov_b32_e32 v86, v47
	v_mov_b32_e32 v53, v41
	v_pk_fma_f32 v[38:39], v[62:63], v[42:43], v[54:55] neg_lo:[0,0,1] neg_hi:[0,0,1]
	v_pk_fma_f32 v[40:41], v[62:63], v[42:43], v[54:55] op_sel_hi:[1,0,1]
	v_pk_add_f32 v[30:31], v[30:31], v[34:35]
	v_pk_fma_f32 v[56:57], v[64:65], v[44:45], v[84:85] neg_lo:[0,0,1] neg_hi:[0,0,1]
	v_pk_fma_f32 v[44:45], v[64:65], v[44:45], v[84:85] op_sel_hi:[1,0,1]
	v_pk_mul_f32 v[60:61], v[66:67], v[86:87] op_sel:[1,0] op_sel_hi:[0,0]
	v_mov_b32_e32 v39, v41
	v_pk_add_f32 v[30:31], v[30:31], v[52:53]
	;; [unrolled: 12-line block ×3, first 2 shown]
	v_mov_b32_e32 v65, v49
	v_pk_fma_f32 v[46:47], v[70:71], v[50:51], v[68:69] neg_lo:[0,0,1] neg_hi:[0,0,1]
	v_pk_fma_f32 v[48:49], v[70:71], v[50:51], v[68:69] op_sel_hi:[1,0,1]
	v_pk_add_f32 v[30:31], v[30:31], v[42:43]
	v_mov_b32_e32 v47, v49
	v_pk_add_f32 v[30:31], v[30:31], v[64:65]
	s_nop 0
	v_pk_add_f32 v[30:31], v[30:31], v[46:47]
	s_waitcnt vmcnt(0)
	v_pk_add_f32 v[30:31], v[72:73], v[30:31] neg_lo:[0,1] neg_hi:[0,1]
	scratch_store_dwordx2 off, v[30:31], off offset:24
	s_and_saveexec_b64 s[0:1], vcc
	s_cbranch_execz .LBB77_93
; %bb.92:
	scratch_load_dwordx2 v[30:31], off, off offset:16
	v_mov_b32_e32 v32, 0
	v_mov_b32_e32 v33, v32
	scratch_store_dwordx2 off, v[32:33], off offset:16
	s_waitcnt vmcnt(1)
	ds_write_b64 v1, v[30:31]
.LBB77_93:
	s_or_b64 exec, exec, s[0:1]
	s_waitcnt lgkmcnt(0)
	; wave barrier
	scratch_load_dwordx4 v[32:35], off, off offset:24
	scratch_load_dwordx4 v[36:39], off, off offset:40
	scratch_load_dwordx4 v[40:43], off, off offset:56
	scratch_load_dwordx4 v[44:47], off, off offset:72
	scratch_load_dwordx4 v[48:51], off, off offset:88
	scratch_load_dwordx2 v[72:73], off, off offset:104
	scratch_load_dwordx2 v[74:75], off, off offset:16
	v_mov_b32_e32 v30, 0
	ds_read2_b64 v[52:55], v30 offset0:17 offset1:18
	ds_read2_b64 v[56:59], v30 offset0:19 offset1:20
	;; [unrolled: 1-line block ×5, first 2 shown]
	ds_read_b64 v[76:77], v30 offset:216
	v_cmp_lt_u32_e32 vcc, 1, v0
	s_waitcnt vmcnt(6) lgkmcnt(5)
	v_mul_f32_e32 v31, v52, v33
	v_mul_f32_e32 v33, v53, v33
	v_mul_f32_e32 v79, v54, v35
	s_waitcnt vmcnt(5) lgkmcnt(4)
	v_mul_f32_e32 v81, v56, v37
	v_mul_f32_e32 v35, v55, v35
	;; [unrolled: 1-line block ×3, first 2 shown]
	v_mov_b32_e32 v82, v39
	s_waitcnt vmcnt(3) lgkmcnt(2)
	v_pk_mul_f32 v[88:89], v[64:65], v[44:45] op_sel:[1,1] op_sel_hi:[0,1]
	s_waitcnt vmcnt(2) lgkmcnt(1)
	v_pk_mul_f32 v[92:93], v[68:69], v[48:49] op_sel:[1,1] op_sel_hi:[0,1]
	;; [unrolled: 2-line block ×3, first 2 shown]
	v_fmac_f32_e32 v31, v53, v32
	v_fma_f32 v83, v52, v32, -v33
	v_fmac_f32_e32 v79, v55, v34
	v_fmac_f32_e32 v81, v57, v36
	v_fma_f32 v78, v54, v34, -v35
	v_fma_f32 v80, v56, v36, -v37
	v_pk_mul_f32 v[32:33], v[58:59], v[82:83] op_sel:[1,0] op_sel_hi:[0,0]
	v_pk_fma_f32 v[52:53], v[64:65], v[44:45], v[88:89] neg_lo:[0,0,1] neg_hi:[0,0,1]
	v_pk_fma_f32 v[44:45], v[64:65], v[44:45], v[88:89] op_sel_hi:[1,0,1]
	v_pk_fma_f32 v[56:57], v[68:69], v[48:49], v[92:93] neg_lo:[0,0,1] neg_hi:[0,0,1]
	v_pk_fma_f32 v[48:49], v[68:69], v[48:49], v[92:93] op_sel_hi:[1,0,1]
	;; [unrolled: 2-line block ×3, first 2 shown]
	v_add_f32_e32 v73, 0, v31
	v_add_f32_e32 v72, 0, v83
	v_pk_mul_f32 v[84:85], v[60:61], v[40:41] op_sel:[1,1] op_sel_hi:[0,1]
	v_mov_b32_e32 v86, v43
	v_pk_fma_f32 v[76:77], v[58:59], v[38:39], v[32:33] neg_lo:[0,0,1] neg_hi:[0,0,1]
	v_pk_fma_f32 v[32:33], v[58:59], v[38:39], v[32:33] op_sel_hi:[1,0,1]
	v_mov_b32_e32 v57, v49
	v_pk_add_f32 v[48:49], v[72:73], v[78:79]
	v_pk_fma_f32 v[34:35], v[60:61], v[40:41], v[84:85] neg_lo:[0,0,1] neg_hi:[0,0,1]
	v_pk_fma_f32 v[36:37], v[60:61], v[40:41], v[84:85] op_sel_hi:[1,0,1]
	v_pk_mul_f32 v[40:41], v[62:63], v[86:87] op_sel:[1,0] op_sel_hi:[0,0]
	v_mov_b32_e32 v77, v33
	v_pk_add_f32 v[32:33], v[48:49], v[80:81]
	v_mov_b32_e32 v90, v47
	v_mov_b32_e32 v35, v37
	v_pk_fma_f32 v[36:37], v[62:63], v[42:43], v[40:41] neg_lo:[0,0,1] neg_hi:[0,0,1]
	v_pk_fma_f32 v[38:39], v[62:63], v[42:43], v[40:41] op_sel_hi:[1,0,1]
	v_pk_add_f32 v[32:33], v[32:33], v[76:77]
	v_pk_mul_f32 v[54:55], v[66:67], v[90:91] op_sel:[1,0] op_sel_hi:[0,0]
	v_mov_b32_e32 v37, v39
	v_pk_add_f32 v[32:33], v[32:33], v[34:35]
	v_mov_b32_e32 v94, v51
	v_mov_b32_e32 v53, v45
	v_pk_fma_f32 v[40:41], v[66:67], v[46:47], v[54:55] neg_lo:[0,0,1] neg_hi:[0,0,1]
	v_pk_fma_f32 v[42:43], v[66:67], v[46:47], v[54:55] op_sel_hi:[1,0,1]
	v_pk_add_f32 v[32:33], v[32:33], v[36:37]
	v_pk_mul_f32 v[60:61], v[70:71], v[94:95] op_sel:[1,0] op_sel_hi:[0,0]
	v_mov_b32_e32 v41, v43
	v_pk_add_f32 v[32:33], v[32:33], v[52:53]
	v_pk_fma_f32 v[44:45], v[70:71], v[50:51], v[60:61] neg_lo:[0,0,1] neg_hi:[0,0,1]
	v_pk_fma_f32 v[46:47], v[70:71], v[50:51], v[60:61] op_sel_hi:[1,0,1]
	v_pk_add_f32 v[32:33], v[32:33], v[40:41]
	v_mov_b32_e32 v45, v47
	v_pk_add_f32 v[32:33], v[32:33], v[56:57]
	v_mov_b32_e32 v65, v69
	v_pk_add_f32 v[32:33], v[32:33], v[44:45]
	s_nop 0
	v_pk_add_f32 v[32:33], v[32:33], v[64:65]
	s_waitcnt vmcnt(0)
	v_pk_add_f32 v[32:33], v[74:75], v[32:33] neg_lo:[0,1] neg_hi:[0,1]
	scratch_store_dwordx2 off, v[32:33], off offset:16
	s_and_saveexec_b64 s[0:1], vcc
	s_cbranch_execz .LBB77_95
; %bb.94:
	scratch_load_dwordx2 v[32:33], off, off offset:8
	v_mov_b32_e32 v31, v30
	scratch_store_dwordx2 off, v[30:31], off offset:8
	s_waitcnt vmcnt(1)
	ds_write_b64 v1, v[32:33]
.LBB77_95:
	s_or_b64 exec, exec, s[0:1]
	s_waitcnt lgkmcnt(0)
	; wave barrier
	scratch_load_dwordx4 v[32:35], off, off offset:16
	scratch_load_dwordx4 v[36:39], off, off offset:32
	;; [unrolled: 1-line block ×6, first 2 shown]
	scratch_load_dwordx2 v[80:81], off, off offset:8
	ds_read_b128 v[56:59], v30 offset:128
	ds_read_b128 v[60:63], v30 offset:144
	;; [unrolled: 1-line block ×6, first 2 shown]
	v_cmp_ne_u32_e32 vcc, 0, v0
	s_waitcnt vmcnt(6) lgkmcnt(5)
	v_mul_f32_e32 v87, v56, v33
	v_mul_f32_e32 v91, v58, v35
	s_waitcnt vmcnt(5) lgkmcnt(4)
	v_mul_f32_e32 v31, v60, v37
	v_mul_f32_e32 v30, v57, v33
	;; [unrolled: 1-line block ×4, first 2 shown]
	s_waitcnt vmcnt(1) lgkmcnt(0)
	v_pk_mul_f32 v[96:97], v[76:77], v[52:53] op_sel:[1,1] op_sel_hi:[0,1]
	v_pk_mul_f32 v[84:85], v[64:65], v[40:41] op_sel:[1,1] op_sel_hi:[0,1]
	v_fmac_f32_e32 v87, v57, v32
	v_fmac_f32_e32 v31, v61, v36
	v_fma_f32 v95, v56, v32, -v30
	v_fma_f32 v30, v60, v36, -v35
	v_pk_fma_f32 v[60:61], v[76:77], v[52:53], v[96:97] neg_lo:[0,0,1] neg_hi:[0,0,1]
	v_pk_fma_f32 v[52:53], v[76:77], v[52:53], v[96:97] op_sel_hi:[1,0,1]
	v_fmac_f32_e32 v91, v59, v34
	v_fma_f32 v99, v58, v34, -v33
	v_pk_fma_f32 v[32:33], v[64:65], v[40:41], v[84:85] neg_lo:[0,0,1] neg_hi:[0,0,1]
	v_pk_fma_f32 v[34:35], v[64:65], v[40:41], v[84:85] op_sel_hi:[1,0,1]
	v_add_f32_e32 v52, 0, v87
	v_add_f32_e32 v64, 0, v95
	v_mul_f32_e32 v83, v62, v39
	v_mul_f32_e32 v37, v63, v39
	v_mov_b32_e32 v86, v43
	v_mov_b32_e32 v61, v53
	v_add_f32_e32 v53, v52, v91
	v_add_f32_e32 v52, v64, v99
	v_fmac_f32_e32 v83, v63, v38
	v_fma_f32 v82, v62, v38, -v37
	v_pk_mul_f32 v[36:37], v[66:67], v[86:87] op_sel:[1,0] op_sel_hi:[0,0]
	v_pk_add_f32 v[30:31], v[52:53], v[30:31]
	v_pk_mul_f32 v[88:89], v[68:69], v[44:45] op_sel:[1,1] op_sel_hi:[0,1]
	v_mov_b32_e32 v90, v47
	v_mov_b32_e32 v33, v35
	v_pk_fma_f32 v[34:35], v[66:67], v[42:43], v[36:37] neg_lo:[0,0,1] neg_hi:[0,0,1]
	v_pk_fma_f32 v[36:37], v[66:67], v[42:43], v[36:37] op_sel_hi:[1,0,1]
	v_pk_add_f32 v[30:31], v[30:31], v[82:83]
	v_pk_fma_f32 v[38:39], v[68:69], v[44:45], v[88:89] neg_lo:[0,0,1] neg_hi:[0,0,1]
	v_pk_fma_f32 v[40:41], v[68:69], v[44:45], v[88:89] op_sel_hi:[1,0,1]
	v_pk_mul_f32 v[44:45], v[70:71], v[90:91] op_sel:[1,0] op_sel_hi:[0,0]
	v_mov_b32_e32 v35, v37
	v_pk_add_f32 v[30:31], v[30:31], v[32:33]
	v_pk_mul_f32 v[92:93], v[72:73], v[48:49] op_sel:[1,1] op_sel_hi:[0,1]
	v_mov_b32_e32 v94, v51
	v_mov_b32_e32 v39, v41
	v_pk_fma_f32 v[40:41], v[70:71], v[46:47], v[44:45] neg_lo:[0,0,1] neg_hi:[0,0,1]
	v_pk_fma_f32 v[42:43], v[70:71], v[46:47], v[44:45] op_sel_hi:[1,0,1]
	v_pk_add_f32 v[30:31], v[30:31], v[34:35]
	v_pk_fma_f32 v[56:57], v[72:73], v[48:49], v[92:93] neg_lo:[0,0,1] neg_hi:[0,0,1]
	v_pk_fma_f32 v[48:49], v[72:73], v[48:49], v[92:93] op_sel_hi:[1,0,1]
	v_pk_mul_f32 v[58:59], v[74:75], v[94:95] op_sel:[1,0] op_sel_hi:[0,0]
	v_mov_b32_e32 v41, v43
	v_pk_add_f32 v[30:31], v[30:31], v[38:39]
	v_mov_b32_e32 v98, v55
	v_mov_b32_e32 v57, v49
	v_pk_fma_f32 v[44:45], v[74:75], v[50:51], v[58:59] neg_lo:[0,0,1] neg_hi:[0,0,1]
	v_pk_fma_f32 v[46:47], v[74:75], v[50:51], v[58:59] op_sel_hi:[1,0,1]
	v_pk_add_f32 v[30:31], v[30:31], v[40:41]
	v_pk_mul_f32 v[62:63], v[78:79], v[98:99] op_sel:[1,0] op_sel_hi:[0,0]
	v_mov_b32_e32 v45, v47
	v_pk_add_f32 v[30:31], v[30:31], v[56:57]
	v_pk_fma_f32 v[48:49], v[78:79], v[54:55], v[62:63] neg_lo:[0,0,1] neg_hi:[0,0,1]
	v_pk_fma_f32 v[50:51], v[78:79], v[54:55], v[62:63] op_sel_hi:[1,0,1]
	v_pk_add_f32 v[30:31], v[30:31], v[44:45]
	v_mov_b32_e32 v49, v51
	v_pk_add_f32 v[30:31], v[30:31], v[60:61]
	s_nop 0
	v_pk_add_f32 v[30:31], v[30:31], v[48:49]
	s_waitcnt vmcnt(0)
	v_pk_add_f32 v[30:31], v[80:81], v[30:31] neg_lo:[0,1] neg_hi:[0,1]
	scratch_store_dwordx2 off, v[30:31], off offset:8
	s_and_saveexec_b64 s[0:1], vcc
	s_cbranch_execz .LBB77_97
; %bb.96:
	scratch_load_dwordx2 v[30:31], off, off
	v_mov_b32_e32 v32, 0
	v_mov_b32_e32 v33, v32
	scratch_store_dwordx2 off, v[32:33], off
	s_waitcnt vmcnt(1)
	ds_write_b64 v1, v[30:31]
.LBB77_97:
	s_or_b64 exec, exec, s[0:1]
	s_waitcnt lgkmcnt(0)
	; wave barrier
	scratch_load_dwordx4 v[32:35], off, off offset:8
	scratch_load_dwordx4 v[36:39], off, off offset:24
	scratch_load_dwordx4 v[40:43], off, off offset:40
	scratch_load_dwordx4 v[44:47], off, off offset:56
	scratch_load_dwordx4 v[48:51], off, off offset:72
	scratch_load_dwordx4 v[52:55], off, off offset:88
	scratch_load_dwordx2 v[0:1], off, off offset:104
	scratch_load_dwordx2 v[80:81], off, off
	v_mov_b32_e32 v30, 0
	ds_read2_b64 v[56:59], v30 offset0:15 offset1:16
	ds_read2_b64 v[60:63], v30 offset0:17 offset1:18
	;; [unrolled: 1-line block ×6, first 2 shown]
	ds_read_b64 v[82:83], v30 offset:216
	s_and_b64 vcc, exec, s[10:11]
	s_waitcnt vmcnt(7) lgkmcnt(6)
	v_mul_f32_e32 v31, v56, v33
	s_waitcnt vmcnt(6) lgkmcnt(5)
	v_mul_f32_e32 v93, v60, v37
	v_mul_f32_e32 v85, v62, v39
	;; [unrolled: 1-line block ×5, first 2 shown]
	s_waitcnt vmcnt(1) lgkmcnt(0)
	v_pk_mul_f32 v[102:103], v[82:83], v[0:1] op_sel:[1,1] op_sel_hi:[0,1]
	v_mul_f32_e32 v87, v64, v41
	v_mul_f32_e32 v35, v59, v35
	v_mul_f32_e32 v39, v63, v39
	v_fmac_f32_e32 v31, v57, v32
	v_fmac_f32_e32 v93, v61, v36
	v_fmac_f32_e32 v85, v63, v38
	v_fma_f32 v63, v56, v32, -v33
	v_fma_f32 v97, v60, v36, -v37
	v_pk_fma_f32 v[60:61], v[82:83], v[0:1], v[102:103] neg_lo:[0,0,1] neg_hi:[0,0,1]
	v_pk_fma_f32 v[0:1], v[82:83], v[0:1], v[102:103] op_sel_hi:[1,0,1]
	v_mul_f32_e32 v41, v65, v41
	v_fmac_f32_e32 v89, v59, v34
	v_fmac_f32_e32 v87, v65, v40
	v_fma_f32 v65, v58, v34, -v35
	v_add_f32_e32 v0, 0, v31
	v_add_f32_e32 v31, 0, v63
	v_mov_b32_e32 v88, v43
	v_add_f32_e32 v0, v0, v89
	v_add_f32_e32 v31, v31, v65
	v_fma_f32 v84, v62, v38, -v39
	v_pk_mul_f32 v[32:33], v[66:67], v[88:89] op_sel:[1,0] op_sel_hi:[0,0]
	v_mov_b32_e32 v61, v1
	v_add_f32_e32 v1, v0, v93
	v_add_f32_e32 v0, v31, v97
	v_pk_mul_f32 v[90:91], v[68:69], v[44:45] op_sel:[1,1] op_sel_hi:[0,1]
	v_mov_b32_e32 v92, v47
	v_fma_f32 v86, v64, v40, -v41
	v_pk_fma_f32 v[62:63], v[66:67], v[42:43], v[32:33] neg_lo:[0,0,1] neg_hi:[0,0,1]
	v_pk_fma_f32 v[32:33], v[66:67], v[42:43], v[32:33] op_sel_hi:[1,0,1]
	v_pk_add_f32 v[0:1], v[0:1], v[84:85]
	v_pk_fma_f32 v[34:35], v[68:69], v[44:45], v[90:91] neg_lo:[0,0,1] neg_hi:[0,0,1]
	v_pk_fma_f32 v[36:37], v[68:69], v[44:45], v[90:91] op_sel_hi:[1,0,1]
	v_pk_mul_f32 v[38:39], v[70:71], v[92:93] op_sel:[1,0] op_sel_hi:[0,0]
	v_mov_b32_e32 v63, v33
	v_pk_add_f32 v[0:1], v[0:1], v[86:87]
	v_pk_mul_f32 v[94:95], v[72:73], v[48:49] op_sel:[1,1] op_sel_hi:[0,1]
	v_mov_b32_e32 v96, v51
	v_mov_b32_e32 v35, v37
	v_pk_fma_f32 v[36:37], v[70:71], v[46:47], v[38:39] neg_lo:[0,0,1] neg_hi:[0,0,1]
	v_pk_fma_f32 v[38:39], v[70:71], v[46:47], v[38:39] op_sel_hi:[1,0,1]
	v_pk_add_f32 v[0:1], v[0:1], v[62:63]
	v_pk_fma_f32 v[40:41], v[72:73], v[48:49], v[94:95] neg_lo:[0,0,1] neg_hi:[0,0,1]
	v_pk_fma_f32 v[44:45], v[72:73], v[48:49], v[94:95] op_sel_hi:[1,0,1]
	v_pk_mul_f32 v[48:49], v[74:75], v[96:97] op_sel:[1,0] op_sel_hi:[0,0]
	v_mov_b32_e32 v37, v39
	v_pk_add_f32 v[0:1], v[0:1], v[34:35]
	v_pk_mul_f32 v[98:99], v[76:77], v[52:53] op_sel:[1,1] op_sel_hi:[0,1]
	v_mov_b32_e32 v100, v55
	v_mov_b32_e32 v41, v45
	v_pk_fma_f32 v[42:43], v[74:75], v[50:51], v[48:49] neg_lo:[0,0,1] neg_hi:[0,0,1]
	v_pk_fma_f32 v[44:45], v[74:75], v[50:51], v[48:49] op_sel_hi:[1,0,1]
	v_pk_add_f32 v[0:1], v[0:1], v[36:37]
	v_pk_fma_f32 v[56:57], v[76:77], v[52:53], v[98:99] neg_lo:[0,0,1] neg_hi:[0,0,1]
	v_pk_fma_f32 v[52:53], v[76:77], v[52:53], v[98:99] op_sel_hi:[1,0,1]
	v_pk_mul_f32 v[58:59], v[78:79], v[100:101] op_sel:[1,0] op_sel_hi:[0,0]
	v_mov_b32_e32 v43, v45
	v_pk_add_f32 v[0:1], v[0:1], v[40:41]
	v_mov_b32_e32 v57, v53
	v_pk_fma_f32 v[46:47], v[78:79], v[54:55], v[58:59] neg_lo:[0,0,1] neg_hi:[0,0,1]
	v_pk_fma_f32 v[48:49], v[78:79], v[54:55], v[58:59] op_sel_hi:[1,0,1]
	v_pk_add_f32 v[0:1], v[0:1], v[42:43]
	v_mov_b32_e32 v47, v49
	v_pk_add_f32 v[0:1], v[0:1], v[56:57]
	s_nop 0
	v_pk_add_f32 v[0:1], v[0:1], v[46:47]
	s_nop 0
	v_pk_add_f32 v[0:1], v[0:1], v[60:61]
	s_waitcnt vmcnt(0)
	v_pk_add_f32 v[0:1], v[80:81], v[0:1] neg_lo:[0,1] neg_hi:[0,1]
	scratch_store_dwordx2 off, v[0:1], off
	s_cbranch_vccz .LBB77_124
; %bb.98:
	global_load_dword v0, v30, s[8:9] offset:48
	s_waitcnt vmcnt(0)
	v_readfirstlane_b32 s0, v0
	s_add_i32 s0, s0, -1
	s_cmp_lg_u32 s0, 12
	s_cbranch_scc0 .LBB77_100
; %bb.99:
	s_lshl_b32 s0, s0, 3
	s_nop 0
	scratch_load_dwordx2 v[0:1], off, s0
	scratch_load_dwordx2 v[30:31], off, off offset:96
	s_waitcnt vmcnt(1)
	scratch_store_dwordx2 off, v[0:1], off offset:96
	s_waitcnt vmcnt(1)
	scratch_store_dwordx2 off, v[30:31], s0
.LBB77_100:
	v_mov_b32_e32 v0, 0
	global_load_dword v1, v0, s[8:9] offset:44
	s_waitcnt vmcnt(0)
	v_readfirstlane_b32 s0, v1
	s_add_i32 s0, s0, -1
	s_cmp_eq_u32 s0, 11
	s_cbranch_scc1 .LBB77_102
; %bb.101:
	s_lshl_b32 s0, s0, 3
	s_nop 0
	scratch_load_dwordx2 v[30:31], off, s0
	scratch_load_dwordx2 v[32:33], off, off offset:88
	s_waitcnt vmcnt(1)
	scratch_store_dwordx2 off, v[30:31], off offset:88
	s_waitcnt vmcnt(1)
	scratch_store_dwordx2 off, v[32:33], s0
.LBB77_102:
	global_load_dword v0, v0, s[8:9] offset:40
	s_waitcnt vmcnt(0)
	v_readfirstlane_b32 s0, v0
	s_add_i32 s0, s0, -1
	s_cmp_eq_u32 s0, 10
	s_cbranch_scc1 .LBB77_104
; %bb.103:
	s_lshl_b32 s0, s0, 3
	s_nop 0
	scratch_load_dwordx2 v[0:1], off, s0
	scratch_load_dwordx2 v[30:31], off, off offset:80
	s_waitcnt vmcnt(1)
	scratch_store_dwordx2 off, v[0:1], off offset:80
	s_waitcnt vmcnt(1)
	scratch_store_dwordx2 off, v[30:31], s0
.LBB77_104:
	v_mov_b32_e32 v0, 0
	global_load_dword v1, v0, s[8:9] offset:36
	s_waitcnt vmcnt(0)
	v_readfirstlane_b32 s0, v1
	s_add_i32 s0, s0, -1
	s_cmp_eq_u32 s0, 9
	s_cbranch_scc1 .LBB77_106
; %bb.105:
	s_lshl_b32 s0, s0, 3
	s_nop 0
	scratch_load_dwordx2 v[30:31], off, s0
	scratch_load_dwordx2 v[32:33], off, off offset:72
	s_waitcnt vmcnt(1)
	scratch_store_dwordx2 off, v[30:31], off offset:72
	s_waitcnt vmcnt(1)
	scratch_store_dwordx2 off, v[32:33], s0
.LBB77_106:
	global_load_dword v0, v0, s[8:9] offset:32
	s_waitcnt vmcnt(0)
	v_readfirstlane_b32 s0, v0
	s_add_i32 s0, s0, -1
	s_cmp_eq_u32 s0, 8
	s_cbranch_scc1 .LBB77_108
; %bb.107:
	s_lshl_b32 s0, s0, 3
	s_nop 0
	scratch_load_dwordx2 v[0:1], off, s0
	scratch_load_dwordx2 v[30:31], off, off offset:64
	s_waitcnt vmcnt(1)
	scratch_store_dwordx2 off, v[0:1], off offset:64
	s_waitcnt vmcnt(1)
	scratch_store_dwordx2 off, v[30:31], s0
.LBB77_108:
	;; [unrolled: 33-line block ×5, first 2 shown]
	v_mov_b32_e32 v0, 0
	global_load_dword v1, v0, s[8:9] offset:4
	s_waitcnt vmcnt(0)
	v_readfirstlane_b32 s0, v1
	s_add_i32 s0, s0, -1
	s_cmp_eq_u32 s0, 1
	s_cbranch_scc1 .LBB77_122
; %bb.121:
	s_lshl_b32 s0, s0, 3
	s_nop 0
	scratch_load_dwordx2 v[30:31], off, s0
	scratch_load_dwordx2 v[32:33], off, off offset:8
	s_waitcnt vmcnt(1)
	scratch_store_dwordx2 off, v[30:31], off offset:8
	s_waitcnt vmcnt(1)
	scratch_store_dwordx2 off, v[32:33], s0
.LBB77_122:
	global_load_dword v30, v0, s[8:9]
	s_nop 0
	scratch_load_dwordx2 v[0:1], off, off
	s_waitcnt vmcnt(1)
	v_readfirstlane_b32 s0, v30
	s_add_i32 s0, s0, -1
	s_cmp_eq_u32 s0, 0
	s_cbranch_scc1 .LBB77_124
; %bb.123:
	s_lshl_b32 s0, s0, 3
	s_nop 0
	scratch_load_dwordx2 v[30:31], off, s0
	s_waitcnt vmcnt(0)
	scratch_store_dwordx2 off, v[30:31], off
	scratch_store_dwordx2 off, v[0:1], s0
	scratch_load_dwordx2 v[0:1], off, off
.LBB77_124:
	s_waitcnt vmcnt(0)
	flat_store_dwordx2 v[2:3], v[0:1]
	scratch_load_dwordx2 v[0:1], off, off offset:8
	s_waitcnt vmcnt(0)
	flat_store_dwordx2 v[4:5], v[0:1]
	scratch_load_dwordx2 v[0:1], off, off offset:16
	;; [unrolled: 3-line block ×13, first 2 shown]
	s_waitcnt vmcnt(0)
	flat_store_dwordx2 v[28:29], v[0:1]
	s_endpgm
	.section	.rodata,"a",@progbits
	.p2align	6, 0x0
	.amdhsa_kernel _ZN9rocsolver6v33100L18getri_kernel_smallILi14E19rocblas_complex_numIfEPKPS3_EEvT1_iilPiilS8_bb
		.amdhsa_group_segment_fixed_size 228
		.amdhsa_private_segment_fixed_size 128
		.amdhsa_kernarg_size 60
		.amdhsa_user_sgpr_count 2
		.amdhsa_user_sgpr_dispatch_ptr 0
		.amdhsa_user_sgpr_queue_ptr 0
		.amdhsa_user_sgpr_kernarg_segment_ptr 1
		.amdhsa_user_sgpr_dispatch_id 0
		.amdhsa_user_sgpr_kernarg_preload_length 0
		.amdhsa_user_sgpr_kernarg_preload_offset 0
		.amdhsa_user_sgpr_private_segment_size 0
		.amdhsa_uses_dynamic_stack 0
		.amdhsa_enable_private_segment 1
		.amdhsa_system_sgpr_workgroup_id_x 1
		.amdhsa_system_sgpr_workgroup_id_y 0
		.amdhsa_system_sgpr_workgroup_id_z 0
		.amdhsa_system_sgpr_workgroup_info 0
		.amdhsa_system_vgpr_workitem_id 0
		.amdhsa_next_free_vgpr 104
		.amdhsa_next_free_sgpr 17
		.amdhsa_accum_offset 104
		.amdhsa_reserve_vcc 1
		.amdhsa_float_round_mode_32 0
		.amdhsa_float_round_mode_16_64 0
		.amdhsa_float_denorm_mode_32 3
		.amdhsa_float_denorm_mode_16_64 3
		.amdhsa_dx10_clamp 1
		.amdhsa_ieee_mode 1
		.amdhsa_fp16_overflow 0
		.amdhsa_tg_split 0
		.amdhsa_exception_fp_ieee_invalid_op 0
		.amdhsa_exception_fp_denorm_src 0
		.amdhsa_exception_fp_ieee_div_zero 0
		.amdhsa_exception_fp_ieee_overflow 0
		.amdhsa_exception_fp_ieee_underflow 0
		.amdhsa_exception_fp_ieee_inexact 0
		.amdhsa_exception_int_div_zero 0
	.end_amdhsa_kernel
	.section	.text._ZN9rocsolver6v33100L18getri_kernel_smallILi14E19rocblas_complex_numIfEPKPS3_EEvT1_iilPiilS8_bb,"axG",@progbits,_ZN9rocsolver6v33100L18getri_kernel_smallILi14E19rocblas_complex_numIfEPKPS3_EEvT1_iilPiilS8_bb,comdat
.Lfunc_end77:
	.size	_ZN9rocsolver6v33100L18getri_kernel_smallILi14E19rocblas_complex_numIfEPKPS3_EEvT1_iilPiilS8_bb, .Lfunc_end77-_ZN9rocsolver6v33100L18getri_kernel_smallILi14E19rocblas_complex_numIfEPKPS3_EEvT1_iilPiilS8_bb
                                        ; -- End function
	.set _ZN9rocsolver6v33100L18getri_kernel_smallILi14E19rocblas_complex_numIfEPKPS3_EEvT1_iilPiilS8_bb.num_vgpr, 104
	.set _ZN9rocsolver6v33100L18getri_kernel_smallILi14E19rocblas_complex_numIfEPKPS3_EEvT1_iilPiilS8_bb.num_agpr, 0
	.set _ZN9rocsolver6v33100L18getri_kernel_smallILi14E19rocblas_complex_numIfEPKPS3_EEvT1_iilPiilS8_bb.numbered_sgpr, 17
	.set _ZN9rocsolver6v33100L18getri_kernel_smallILi14E19rocblas_complex_numIfEPKPS3_EEvT1_iilPiilS8_bb.num_named_barrier, 0
	.set _ZN9rocsolver6v33100L18getri_kernel_smallILi14E19rocblas_complex_numIfEPKPS3_EEvT1_iilPiilS8_bb.private_seg_size, 128
	.set _ZN9rocsolver6v33100L18getri_kernel_smallILi14E19rocblas_complex_numIfEPKPS3_EEvT1_iilPiilS8_bb.uses_vcc, 1
	.set _ZN9rocsolver6v33100L18getri_kernel_smallILi14E19rocblas_complex_numIfEPKPS3_EEvT1_iilPiilS8_bb.uses_flat_scratch, 0
	.set _ZN9rocsolver6v33100L18getri_kernel_smallILi14E19rocblas_complex_numIfEPKPS3_EEvT1_iilPiilS8_bb.has_dyn_sized_stack, 0
	.set _ZN9rocsolver6v33100L18getri_kernel_smallILi14E19rocblas_complex_numIfEPKPS3_EEvT1_iilPiilS8_bb.has_recursion, 0
	.set _ZN9rocsolver6v33100L18getri_kernel_smallILi14E19rocblas_complex_numIfEPKPS3_EEvT1_iilPiilS8_bb.has_indirect_call, 0
	.section	.AMDGPU.csdata,"",@progbits
; Kernel info:
; codeLenInByte = 10892
; TotalNumSgprs: 23
; NumVgprs: 104
; NumAgprs: 0
; TotalNumVgprs: 104
; ScratchSize: 128
; MemoryBound: 0
; FloatMode: 240
; IeeeMode: 1
; LDSByteSize: 228 bytes/workgroup (compile time only)
; SGPRBlocks: 2
; VGPRBlocks: 12
; NumSGPRsForWavesPerEU: 23
; NumVGPRsForWavesPerEU: 104
; AccumOffset: 104
; Occupancy: 4
; WaveLimiterHint : 1
; COMPUTE_PGM_RSRC2:SCRATCH_EN: 1
; COMPUTE_PGM_RSRC2:USER_SGPR: 2
; COMPUTE_PGM_RSRC2:TRAP_HANDLER: 0
; COMPUTE_PGM_RSRC2:TGID_X_EN: 1
; COMPUTE_PGM_RSRC2:TGID_Y_EN: 0
; COMPUTE_PGM_RSRC2:TGID_Z_EN: 0
; COMPUTE_PGM_RSRC2:TIDIG_COMP_CNT: 0
; COMPUTE_PGM_RSRC3_GFX90A:ACCUM_OFFSET: 25
; COMPUTE_PGM_RSRC3_GFX90A:TG_SPLIT: 0
	.section	.text._ZN9rocsolver6v33100L18getri_kernel_smallILi15E19rocblas_complex_numIfEPKPS3_EEvT1_iilPiilS8_bb,"axG",@progbits,_ZN9rocsolver6v33100L18getri_kernel_smallILi15E19rocblas_complex_numIfEPKPS3_EEvT1_iilPiilS8_bb,comdat
	.globl	_ZN9rocsolver6v33100L18getri_kernel_smallILi15E19rocblas_complex_numIfEPKPS3_EEvT1_iilPiilS8_bb ; -- Begin function _ZN9rocsolver6v33100L18getri_kernel_smallILi15E19rocblas_complex_numIfEPKPS3_EEvT1_iilPiilS8_bb
	.p2align	8
	.type	_ZN9rocsolver6v33100L18getri_kernel_smallILi15E19rocblas_complex_numIfEPKPS3_EEvT1_iilPiilS8_bb,@function
_ZN9rocsolver6v33100L18getri_kernel_smallILi15E19rocblas_complex_numIfEPKPS3_EEvT1_iilPiilS8_bb: ; @_ZN9rocsolver6v33100L18getri_kernel_smallILi15E19rocblas_complex_numIfEPKPS3_EEvT1_iilPiilS8_bb
; %bb.0:
	v_cmp_gt_u32_e32 vcc, 15, v0
	s_and_saveexec_b64 s[4:5], vcc
	s_cbranch_execz .LBB78_74
; %bb.1:
	s_load_dword s14, s[0:1], 0x38
	s_load_dwordx2 s[8:9], s[0:1], 0x0
	s_load_dwordx4 s[4:7], s[0:1], 0x28
	s_waitcnt lgkmcnt(0)
	s_bitcmp1_b32 s14, 8
	s_cselect_b64 s[10:11], -1, 0
	s_ashr_i32 s3, s2, 31
	s_lshl_b64 s[12:13], s[2:3], 3
	s_add_u32 s8, s8, s12
	s_addc_u32 s9, s9, s13
	s_load_dwordx2 s[12:13], s[8:9], 0x0
	s_bfe_u32 s8, s14, 0x10008
	s_cmp_eq_u32 s8, 0
                                        ; implicit-def: $sgpr8_sgpr9
	s_cbranch_scc1 .LBB78_3
; %bb.2:
	s_load_dword s8, s[0:1], 0x20
	s_load_dwordx2 s[14:15], s[0:1], 0x18
	s_mul_i32 s9, s4, s3
	s_mul_hi_u32 s16, s4, s2
	s_add_i32 s16, s16, s9
	s_mul_i32 s5, s5, s2
	s_add_i32 s5, s16, s5
	s_mul_i32 s4, s4, s2
	s_waitcnt lgkmcnt(0)
	s_ashr_i32 s9, s8, 31
	s_lshl_b64 s[4:5], s[4:5], 2
	s_add_u32 s14, s14, s4
	s_addc_u32 s15, s15, s5
	s_lshl_b64 s[4:5], s[8:9], 2
	s_add_u32 s8, s14, s4
	s_addc_u32 s9, s15, s5
.LBB78_3:
	s_load_dwordx2 s[4:5], s[0:1], 0x8
	s_load_dword s14, s[0:1], 0x38
	v_lshlrev_b32_e32 v32, 3, v0
	v_mov_b32_e32 v33, 0
	s_waitcnt lgkmcnt(0)
	s_ashr_i32 s1, s4, 31
	s_mov_b32 s0, s4
	s_lshl_b64 s[0:1], s[0:1], 3
	s_add_u32 s0, s12, s0
	s_addc_u32 s1, s13, s1
	v_lshl_add_u64 v[2:3], s[0:1], 0, v[32:33]
	flat_load_dwordx2 v[6:7], v[2:3]
	s_mov_b32 s12, s5
	s_ashr_i32 s13, s5, 31
	v_lshl_add_u64 v[4:5], s[12:13], 3, v[2:3]
	s_add_i32 s4, s5, s5
	v_add_u32_e32 v10, s4, v0
	v_ashrrev_i32_e32 v11, 31, v10
	s_bitcmp0_b32 s14, 0
	s_waitcnt vmcnt(0) lgkmcnt(0)
	scratch_store_dwordx2 off, v[6:7], off
	flat_load_dwordx2 v[8:9], v[4:5]
	v_lshl_add_u64 v[6:7], v[10:11], 3, s[0:1]
	v_add_u32_e32 v10, s5, v10
	v_ashrrev_i32_e32 v11, 31, v10
	v_add_u32_e32 v14, s5, v10
	v_ashrrev_i32_e32 v15, 31, v14
	s_waitcnt vmcnt(0) lgkmcnt(0)
	scratch_store_dwordx2 off, v[8:9], off offset:8
	flat_load_dwordx2 v[12:13], v[6:7]
	v_lshl_add_u64 v[8:9], v[10:11], 3, s[0:1]
	v_lshl_add_u64 v[10:11], v[14:15], 3, s[0:1]
	v_add_u32_e32 v14, s5, v14
	v_ashrrev_i32_e32 v15, 31, v14
	v_add_u32_e32 v18, s5, v14
	v_ashrrev_i32_e32 v19, 31, v18
	s_waitcnt vmcnt(0) lgkmcnt(0)
	scratch_store_dwordx2 off, v[12:13], off offset:16
	flat_load_dwordx2 v[12:13], v[8:9]
	s_waitcnt vmcnt(0) lgkmcnt(0)
	scratch_store_dwordx2 off, v[12:13], off offset:24
	flat_load_dwordx2 v[16:17], v[10:11]
	v_lshl_add_u64 v[12:13], v[14:15], 3, s[0:1]
	v_lshl_add_u64 v[14:15], v[18:19], 3, s[0:1]
	v_add_u32_e32 v18, s5, v18
	v_ashrrev_i32_e32 v19, 31, v18
	v_add_u32_e32 v22, s5, v18
	v_ashrrev_i32_e32 v23, 31, v22
	s_waitcnt vmcnt(0) lgkmcnt(0)
	scratch_store_dwordx2 off, v[16:17], off offset:32
	flat_load_dwordx2 v[16:17], v[12:13]
	;; [unrolled: 12-line block ×4, first 2 shown]
	s_waitcnt vmcnt(0) lgkmcnt(0)
	scratch_store_dwordx2 off, v[24:25], off offset:72
	flat_load_dwordx2 v[28:29], v[22:23]
	v_lshl_add_u64 v[24:25], v[26:27], 3, s[0:1]
	v_lshl_add_u64 v[26:27], v[30:31], 3, s[0:1]
	v_add_u32_e32 v30, s5, v30
	v_ashrrev_i32_e32 v31, 31, v30
	s_waitcnt vmcnt(0) lgkmcnt(0)
	scratch_store_dwordx2 off, v[28:29], off offset:80
	flat_load_dwordx2 v[28:29], v[24:25]
	s_waitcnt vmcnt(0) lgkmcnt(0)
	scratch_store_dwordx2 off, v[28:29], off offset:88
	flat_load_dwordx2 v[34:35], v[26:27]
	v_lshl_add_u64 v[28:29], v[30:31], 3, s[0:1]
	v_add_u32_e32 v30, s5, v30
	v_ashrrev_i32_e32 v31, 31, v30
	v_lshl_add_u64 v[30:31], v[30:31], 3, s[0:1]
	s_mov_b64 s[4:5], -1
	s_waitcnt vmcnt(0) lgkmcnt(0)
	scratch_store_dwordx2 off, v[34:35], off offset:96
	flat_load_dwordx2 v[34:35], v[28:29]
	s_waitcnt vmcnt(0) lgkmcnt(0)
	scratch_store_dwordx2 off, v[34:35], off offset:104
	flat_load_dwordx2 v[34:35], v[30:31]
	s_waitcnt vmcnt(0) lgkmcnt(0)
	scratch_store_dwordx2 off, v[34:35], off offset:112
	s_cbranch_scc1 .LBB78_72
; %bb.4:
	v_cmp_eq_u32_e64 s[0:1], 0, v0
	s_and_saveexec_b64 s[4:5], s[0:1]
; %bb.5:
	v_mov_b32_e32 v1, 0
	ds_write_b32 v1, v1 offset:120
; %bb.6:
	s_or_b64 exec, exec, s[4:5]
	s_waitcnt lgkmcnt(0)
	; wave barrier
	scratch_load_dwordx2 v[34:35], v32, off
	s_waitcnt vmcnt(0)
	v_cmp_eq_f32_e32 vcc, 0, v34
	v_cmp_eq_f32_e64 s[4:5], 0, v35
	s_and_b64 s[4:5], vcc, s[4:5]
	s_and_saveexec_b64 s[12:13], s[4:5]
	s_cbranch_execz .LBB78_10
; %bb.7:
	v_mov_b32_e32 v1, 0
	ds_read_b32 v34, v1 offset:120
	v_add_u32_e32 v33, 1, v0
	s_waitcnt lgkmcnt(0)
	v_readfirstlane_b32 s4, v34
	s_cmp_eq_u32 s4, 0
	s_cselect_b64 s[14:15], -1, 0
	v_cmp_gt_i32_e32 vcc, s4, v33
	s_or_b64 s[14:15], s[14:15], vcc
	s_and_b64 exec, exec, s[14:15]
	s_cbranch_execz .LBB78_10
; %bb.8:
	s_mov_b64 s[14:15], 0
	v_mov_b32_e32 v34, s4
.LBB78_9:                               ; =>This Inner Loop Header: Depth=1
	ds_cmpst_rtn_b32 v34, v1, v34, v33 offset:120
	s_waitcnt lgkmcnt(0)
	v_cmp_ne_u32_e32 vcc, 0, v34
	v_cmp_le_i32_e64 s[4:5], v34, v33
	s_and_b64 s[4:5], vcc, s[4:5]
	s_and_b64 s[4:5], exec, s[4:5]
	s_or_b64 s[14:15], s[4:5], s[14:15]
	s_andn2_b64 exec, exec, s[14:15]
	s_cbranch_execnz .LBB78_9
.LBB78_10:
	s_or_b64 exec, exec, s[12:13]
	v_mov_b32_e32 v33, 0
	; wave barrier
	ds_read_b32 v1, v33 offset:120
	s_and_saveexec_b64 s[4:5], s[0:1]
	s_cbranch_execz .LBB78_12
; %bb.11:
	s_lshl_b64 s[12:13], s[2:3], 2
	s_add_u32 s12, s6, s12
	s_addc_u32 s13, s7, s13
	s_waitcnt lgkmcnt(0)
	global_store_dword v33, v1, s[12:13]
.LBB78_12:
	s_or_b64 exec, exec, s[4:5]
	s_waitcnt lgkmcnt(0)
	v_cmp_ne_u32_e32 vcc, 0, v1
	s_mov_b64 s[4:5], 0
	s_cbranch_vccnz .LBB78_72
; %bb.13:
	v_mov_b32_e32 v33, v32
	scratch_load_dwordx2 v[34:35], v33, off
                                        ; implicit-def: $vgpr37
                                        ; implicit-def: $vgpr38
	s_waitcnt vmcnt(0)
	v_cmp_ngt_f32_e64 s[4:5], |v34|, |v35|
	s_and_saveexec_b64 s[12:13], s[4:5]
	s_xor_b64 s[4:5], exec, s[12:13]
	s_cbranch_execz .LBB78_15
; %bb.14:
	v_div_scale_f32 v1, s[12:13], v35, v35, v34
	v_rcp_f32_e32 v36, v1
	v_div_scale_f32 v37, vcc, v34, v35, v34
	v_fma_f32 v38, -v1, v36, 1.0
	v_fmac_f32_e32 v36, v38, v36
	v_mul_f32_e32 v38, v37, v36
	v_fma_f32 v39, -v1, v38, v37
	v_fmac_f32_e32 v38, v39, v36
	v_fma_f32 v1, -v1, v38, v37
	v_div_fmas_f32 v1, v1, v36, v38
	v_div_fixup_f32 v1, v1, v35, v34
	v_fmac_f32_e32 v35, v34, v1
	v_div_scale_f32 v34, s[12:13], v35, v35, -1.0
	v_rcp_f32_e32 v36, v34
	s_nop 0
	v_fma_f32 v37, -v34, v36, 1.0
	v_fmac_f32_e32 v36, v37, v36
	v_div_scale_f32 v37, vcc, -1.0, v35, -1.0
	v_mul_f32_e32 v38, v37, v36
	v_fma_f32 v39, -v34, v38, v37
	v_fmac_f32_e32 v38, v39, v36
	v_fma_f32 v34, -v34, v38, v37
	v_div_fmas_f32 v34, v34, v36, v38
	v_div_fixup_f32 v37, v34, v35, -1.0
	v_mul_f32_e32 v38, v1, v37
	v_xor_b32_e32 v36, 0x80000000, v38
                                        ; implicit-def: $vgpr34_vgpr35
.LBB78_15:
	s_andn2_saveexec_b64 s[4:5], s[4:5]
	s_cbranch_execz .LBB78_17
; %bb.16:
	v_div_scale_f32 v1, s[12:13], v34, v34, v35
	v_rcp_f32_e32 v36, v1
	v_div_scale_f32 v37, vcc, v35, v34, v35
	v_fma_f32 v38, -v1, v36, 1.0
	v_fmac_f32_e32 v36, v38, v36
	v_mul_f32_e32 v38, v37, v36
	v_fma_f32 v39, -v1, v38, v37
	v_fmac_f32_e32 v38, v39, v36
	v_fma_f32 v1, -v1, v38, v37
	v_div_fmas_f32 v1, v1, v36, v38
	v_div_fixup_f32 v1, v1, v34, v35
	v_fmac_f32_e32 v34, v35, v1
	v_div_scale_f32 v35, s[12:13], v34, v34, 1.0
	v_rcp_f32_e32 v36, v35
	s_nop 0
	v_fma_f32 v37, -v35, v36, 1.0
	v_fmac_f32_e32 v36, v37, v36
	v_div_scale_f32 v37, vcc, 1.0, v34, 1.0
	v_mul_f32_e32 v38, v37, v36
	v_fma_f32 v39, -v35, v38, v37
	v_fmac_f32_e32 v38, v39, v36
	v_fma_f32 v35, -v35, v38, v37
	v_div_fmas_f32 v35, v35, v36, v38
	v_div_fixup_f32 v36, v35, v34, 1.0
	v_xor_b32_e32 v38, 0x80000000, v36
	v_mul_f32_e64 v37, v1, -v36
.LBB78_17:
	s_or_b64 exec, exec, s[4:5]
	scratch_store_dwordx2 v33, v[36:37], off
	scratch_load_dwordx2 v[34:35], off, off offset:8
	v_xor_b32_e32 v39, 0x80000000, v37
	v_add_u32_e32 v1, 0x80, v32
	s_waitcnt vmcnt(0)
	ds_write2_b64 v32, v[38:39], v[34:35] offset1:16
	s_waitcnt lgkmcnt(0)
	; wave barrier
	s_and_saveexec_b64 s[4:5], s[0:1]
	s_cbranch_execz .LBB78_19
; %bb.18:
	scratch_load_dwordx2 v[34:35], v33, off
	ds_read_b64 v[36:37], v1
	v_mov_b32_e32 v38, 0
	ds_read_b64 v[38:39], v38 offset:8
	s_waitcnt vmcnt(0) lgkmcnt(1)
	v_pk_mul_f32 v[40:41], v[36:37], v[34:35] op_sel:[1,1] op_sel_hi:[0,1]
	v_pk_fma_f32 v[42:43], v[36:37], v[34:35], v[40:41] neg_lo:[0,0,1] neg_hi:[0,0,1]
	v_pk_fma_f32 v[34:35], v[36:37], v[34:35], v[40:41] op_sel_hi:[1,0,1]
	s_nop 0
	v_mov_b32_e32 v43, v35
	v_pk_add_f32 v[34:35], v[42:43], 0 op_sel_hi:[1,0]
	s_waitcnt lgkmcnt(0)
	v_pk_mul_f32 v[36:37], v[34:35], v[38:39] op_sel:[1,1] op_sel_hi:[0,1]
	v_pk_fma_f32 v[40:41], v[34:35], v[38:39], v[36:37] neg_lo:[0,0,1] neg_hi:[0,0,1]
	v_pk_fma_f32 v[34:35], v[34:35], v[38:39], v[36:37] op_sel_hi:[1,0,1]
	s_nop 0
	v_mov_b32_e32 v41, v35
	scratch_store_dwordx2 off, v[40:41], off offset:8
.LBB78_19:
	s_or_b64 exec, exec, s[4:5]
	; wave barrier
	scratch_load_dwordx2 v[34:35], off, off offset:16
	v_cmp_gt_u32_e32 vcc, 2, v0
	s_waitcnt vmcnt(0)
	ds_write_b64 v1, v[34:35]
	s_waitcnt lgkmcnt(0)
	; wave barrier
	s_and_saveexec_b64 s[4:5], vcc
	s_cbranch_execz .LBB78_23
; %bb.20:
	scratch_load_dwordx2 v[34:35], v33, off
	ds_read_b64 v[36:37], v1
	s_waitcnt vmcnt(0) lgkmcnt(0)
	v_pk_mul_f32 v[38:39], v[36:37], v[34:35] op_sel:[1,1] op_sel_hi:[0,1]
	v_pk_fma_f32 v[40:41], v[36:37], v[34:35], v[38:39] neg_lo:[0,0,1] neg_hi:[0,0,1]
	v_pk_fma_f32 v[34:35], v[36:37], v[34:35], v[38:39] op_sel_hi:[1,0,1]
	s_nop 0
	v_mov_b32_e32 v41, v35
	v_pk_add_f32 v[34:35], v[40:41], 0 op_sel_hi:[1,0]
	s_and_saveexec_b64 s[12:13], s[0:1]
	s_cbranch_execz .LBB78_22
; %bb.21:
	scratch_load_dwordx2 v[36:37], off, off offset:8
	v_mov_b32_e32 v33, 0
	ds_read_b64 v[38:39], v33 offset:136
	s_waitcnt vmcnt(0) lgkmcnt(0)
	v_pk_mul_f32 v[40:41], v[38:39], v[36:37] op_sel:[1,1] op_sel_hi:[0,1]
	v_pk_fma_f32 v[42:43], v[38:39], v[36:37], v[40:41] neg_lo:[0,0,1] neg_hi:[0,0,1]
	v_pk_fma_f32 v[36:37], v[38:39], v[36:37], v[40:41] op_sel_hi:[1,0,1]
	s_nop 0
	v_mov_b32_e32 v43, v37
	v_pk_add_f32 v[34:35], v[34:35], v[42:43]
.LBB78_22:
	s_or_b64 exec, exec, s[12:13]
	v_mov_b32_e32 v33, 0
	ds_read_b64 v[36:37], v33 offset:16
	s_waitcnt lgkmcnt(0)
	v_pk_mul_f32 v[38:39], v[34:35], v[36:37] op_sel:[1,1] op_sel_hi:[0,1]
	v_pk_fma_f32 v[40:41], v[34:35], v[36:37], v[38:39] neg_lo:[0,0,1] neg_hi:[0,0,1]
	v_pk_fma_f32 v[34:35], v[34:35], v[36:37], v[38:39] op_sel_hi:[1,0,1]
	s_nop 0
	v_mov_b32_e32 v41, v35
	scratch_store_dwordx2 off, v[40:41], off offset:16
.LBB78_23:
	s_or_b64 exec, exec, s[4:5]
	; wave barrier
	scratch_load_dwordx2 v[34:35], off, off offset:24
	v_cmp_gt_u32_e32 vcc, 3, v0
	v_add_u32_e32 v36, -1, v0
	s_waitcnt vmcnt(0)
	ds_write_b64 v1, v[34:35]
	s_waitcnt lgkmcnt(0)
	; wave barrier
	s_and_saveexec_b64 s[0:1], vcc
	s_cbranch_execz .LBB78_27
; %bb.24:
	v_mov_b32_e32 v34, 0
	v_add_u32_e32 v33, -1, v0
	v_add_u32_e32 v37, 0x80, v32
	v_mov_b32_e32 v38, v32
	s_mov_b64 s[4:5], 0
	v_mov_b32_e32 v35, v34
.LBB78_25:                              ; =>This Inner Loop Header: Depth=1
	scratch_load_dwordx2 v[40:41], v38, off
	ds_read_b64 v[42:43], v37
	v_add_u32_e32 v33, 1, v33
	v_cmp_lt_u32_e32 vcc, 1, v33
	v_add_u32_e32 v37, 8, v37
	v_add_u32_e32 v38, 8, v38
	s_or_b64 s[4:5], vcc, s[4:5]
	s_waitcnt vmcnt(0) lgkmcnt(0)
	v_pk_mul_f32 v[44:45], v[42:43], v[40:41] op_sel:[1,1] op_sel_hi:[0,1]
	v_pk_fma_f32 v[46:47], v[42:43], v[40:41], v[44:45] neg_lo:[0,0,1] neg_hi:[0,0,1]
	v_pk_fma_f32 v[40:41], v[42:43], v[40:41], v[44:45] op_sel_hi:[1,0,1]
	s_nop 0
	v_mov_b32_e32 v47, v41
	v_pk_add_f32 v[34:35], v[34:35], v[46:47]
	s_andn2_b64 exec, exec, s[4:5]
	s_cbranch_execnz .LBB78_25
; %bb.26:
	s_or_b64 exec, exec, s[4:5]
	v_mov_b32_e32 v33, 0
	ds_read_b64 v[38:39], v33 offset:24
	s_waitcnt lgkmcnt(0)
	v_pk_mul_f32 v[40:41], v[34:35], v[38:39] op_sel:[1,1] op_sel_hi:[0,1]
	v_pk_fma_f32 v[42:43], v[34:35], v[38:39], v[40:41] neg_lo:[0,0,1] neg_hi:[0,0,1]
	v_pk_fma_f32 v[34:35], v[34:35], v[38:39], v[40:41] op_sel_hi:[1,0,1]
	s_nop 0
	v_mov_b32_e32 v43, v35
	scratch_store_dwordx2 off, v[42:43], off offset:24
.LBB78_27:
	s_or_b64 exec, exec, s[0:1]
	; wave barrier
	scratch_load_dwordx2 v[34:35], off, off offset:32
	v_cmp_gt_u32_e32 vcc, 4, v0
	s_waitcnt vmcnt(0)
	ds_write_b64 v1, v[34:35]
	s_waitcnt lgkmcnt(0)
	; wave barrier
	s_and_saveexec_b64 s[0:1], vcc
	s_cbranch_execz .LBB78_31
; %bb.28:
	v_mov_b32_e32 v34, 0
	v_add_u32_e32 v33, -1, v0
	v_add_u32_e32 v37, 0x80, v32
	v_mov_b32_e32 v38, v32
	s_mov_b64 s[4:5], 0
	v_mov_b32_e32 v35, v34
.LBB78_29:                              ; =>This Inner Loop Header: Depth=1
	scratch_load_dwordx2 v[40:41], v38, off
	ds_read_b64 v[42:43], v37
	v_add_u32_e32 v33, 1, v33
	v_cmp_lt_u32_e32 vcc, 2, v33
	v_add_u32_e32 v37, 8, v37
	v_add_u32_e32 v38, 8, v38
	s_or_b64 s[4:5], vcc, s[4:5]
	s_waitcnt vmcnt(0) lgkmcnt(0)
	v_pk_mul_f32 v[44:45], v[42:43], v[40:41] op_sel:[1,1] op_sel_hi:[0,1]
	v_pk_fma_f32 v[46:47], v[42:43], v[40:41], v[44:45] neg_lo:[0,0,1] neg_hi:[0,0,1]
	v_pk_fma_f32 v[40:41], v[42:43], v[40:41], v[44:45] op_sel_hi:[1,0,1]
	s_nop 0
	v_mov_b32_e32 v47, v41
	v_pk_add_f32 v[34:35], v[34:35], v[46:47]
	s_andn2_b64 exec, exec, s[4:5]
	s_cbranch_execnz .LBB78_29
; %bb.30:
	s_or_b64 exec, exec, s[4:5]
	v_mov_b32_e32 v33, 0
	ds_read_b64 v[38:39], v33 offset:32
	s_waitcnt lgkmcnt(0)
	v_pk_mul_f32 v[40:41], v[34:35], v[38:39] op_sel:[1,1] op_sel_hi:[0,1]
	v_pk_fma_f32 v[42:43], v[34:35], v[38:39], v[40:41] neg_lo:[0,0,1] neg_hi:[0,0,1]
	v_pk_fma_f32 v[34:35], v[34:35], v[38:39], v[40:41] op_sel_hi:[1,0,1]
	s_nop 0
	v_mov_b32_e32 v43, v35
	scratch_store_dwordx2 off, v[42:43], off offset:32
.LBB78_31:
	s_or_b64 exec, exec, s[0:1]
	; wave barrier
	scratch_load_dwordx2 v[34:35], off, off offset:40
	v_cmp_gt_u32_e32 vcc, 5, v0
	;; [unrolled: 46-line block ×10, first 2 shown]
	s_waitcnt vmcnt(0)
	ds_write_b64 v1, v[34:35]
	s_waitcnt lgkmcnt(0)
	; wave barrier
	s_and_saveexec_b64 s[0:1], vcc
	s_cbranch_execz .LBB78_67
; %bb.64:
	v_mov_b32_e32 v34, 0
	v_add_u32_e32 v33, -1, v0
	v_add_u32_e32 v37, 0x80, v32
	v_mov_b32_e32 v38, v32
	s_mov_b64 s[4:5], 0
	v_mov_b32_e32 v35, v34
.LBB78_65:                              ; =>This Inner Loop Header: Depth=1
	scratch_load_dwordx2 v[40:41], v38, off
	ds_read_b64 v[42:43], v37
	v_add_u32_e32 v33, 1, v33
	v_cmp_lt_u32_e32 vcc, 11, v33
	v_add_u32_e32 v37, 8, v37
	v_add_u32_e32 v38, 8, v38
	s_or_b64 s[4:5], vcc, s[4:5]
	s_waitcnt vmcnt(0) lgkmcnt(0)
	v_pk_mul_f32 v[44:45], v[42:43], v[40:41] op_sel:[1,1] op_sel_hi:[0,1]
	v_pk_fma_f32 v[46:47], v[42:43], v[40:41], v[44:45] neg_lo:[0,0,1] neg_hi:[0,0,1]
	v_pk_fma_f32 v[40:41], v[42:43], v[40:41], v[44:45] op_sel_hi:[1,0,1]
	s_nop 0
	v_mov_b32_e32 v47, v41
	v_pk_add_f32 v[34:35], v[34:35], v[46:47]
	s_andn2_b64 exec, exec, s[4:5]
	s_cbranch_execnz .LBB78_65
; %bb.66:
	s_or_b64 exec, exec, s[4:5]
	v_mov_b32_e32 v33, 0
	ds_read_b64 v[38:39], v33 offset:104
	s_waitcnt lgkmcnt(0)
	v_pk_mul_f32 v[40:41], v[34:35], v[38:39] op_sel:[1,1] op_sel_hi:[0,1]
	v_pk_fma_f32 v[42:43], v[34:35], v[38:39], v[40:41] neg_lo:[0,0,1] neg_hi:[0,0,1]
	v_pk_fma_f32 v[34:35], v[34:35], v[38:39], v[40:41] op_sel_hi:[1,0,1]
	s_nop 0
	v_mov_b32_e32 v43, v35
	scratch_store_dwordx2 off, v[42:43], off offset:104
.LBB78_67:
	s_or_b64 exec, exec, s[0:1]
	; wave barrier
	scratch_load_dwordx2 v[34:35], off, off offset:112
	v_cmp_ne_u32_e32 vcc, 14, v0
	s_waitcnt vmcnt(0)
	ds_write_b64 v1, v[34:35]
	s_waitcnt lgkmcnt(0)
	; wave barrier
	s_and_saveexec_b64 s[0:1], vcc
	s_cbranch_execz .LBB78_71
; %bb.68:
	v_add_u32_e32 v1, 0x80, v32
	v_mov_b32_e32 v34, v32
	v_mov_b32_e32 v32, 0
	s_mov_b64 s[4:5], 0
	v_mov_b32_e32 v33, v32
.LBB78_69:                              ; =>This Inner Loop Header: Depth=1
	scratch_load_dwordx2 v[38:39], v34, off
	ds_read_b64 v[40:41], v1
	v_add_u32_e32 v36, 1, v36
	v_cmp_lt_u32_e32 vcc, 12, v36
	v_add_u32_e32 v1, 8, v1
	v_add_u32_e32 v34, 8, v34
	s_or_b64 s[4:5], vcc, s[4:5]
	s_waitcnt vmcnt(0) lgkmcnt(0)
	v_pk_mul_f32 v[42:43], v[40:41], v[38:39] op_sel:[1,1] op_sel_hi:[0,1]
	v_pk_fma_f32 v[44:45], v[40:41], v[38:39], v[42:43] neg_lo:[0,0,1] neg_hi:[0,0,1]
	v_pk_fma_f32 v[38:39], v[40:41], v[38:39], v[42:43] op_sel_hi:[1,0,1]
	s_nop 0
	v_mov_b32_e32 v45, v39
	v_pk_add_f32 v[32:33], v[32:33], v[44:45]
	s_andn2_b64 exec, exec, s[4:5]
	s_cbranch_execnz .LBB78_69
; %bb.70:
	s_or_b64 exec, exec, s[4:5]
	v_mov_b32_e32 v1, 0
	ds_read_b64 v[34:35], v1 offset:112
	s_waitcnt lgkmcnt(0)
	v_pk_mul_f32 v[36:37], v[32:33], v[34:35] op_sel:[1,1] op_sel_hi:[0,1]
	v_pk_fma_f32 v[38:39], v[32:33], v[34:35], v[36:37] neg_lo:[0,0,1] neg_hi:[0,0,1]
	v_pk_fma_f32 v[32:33], v[32:33], v[34:35], v[36:37] op_sel_hi:[1,0,1]
	s_nop 0
	v_mov_b32_e32 v39, v33
	scratch_store_dwordx2 off, v[38:39], off offset:112
.LBB78_71:
	s_or_b64 exec, exec, s[0:1]
	s_mov_b64 s[4:5], -1
	; wave barrier
.LBB78_72:
	s_and_b64 vcc, exec, s[4:5]
	s_cbranch_vccz .LBB78_74
; %bb.73:
	s_lshl_b64 s[0:1], s[2:3], 2
	s_add_u32 s0, s6, s0
	s_addc_u32 s1, s7, s1
	v_mov_b32_e32 v1, 0
	global_load_dword v1, v1, s[0:1]
	s_waitcnt vmcnt(0)
	v_cmp_ne_u32_e32 vcc, 0, v1
	s_cbranch_vccz .LBB78_75
.LBB78_74:
	s_endpgm
.LBB78_75:
	v_mov_b32_e32 v1, 0x80
	v_lshl_add_u32 v1, v0, 3, v1
	v_cmp_eq_u32_e32 vcc, 14, v0
	s_and_saveexec_b64 s[0:1], vcc
	s_cbranch_execz .LBB78_77
; %bb.76:
	scratch_load_dwordx2 v[32:33], off, off offset:104
	v_mov_b32_e32 v34, 0
	v_mov_b32_e32 v35, v34
	scratch_store_dwordx2 off, v[34:35], off offset:104
	s_waitcnt vmcnt(1)
	ds_write_b64 v1, v[32:33]
.LBB78_77:
	s_or_b64 exec, exec, s[0:1]
	s_waitcnt lgkmcnt(0)
	; wave barrier
	scratch_load_dwordx2 v[34:35], off, off offset:112
	scratch_load_dwordx2 v[36:37], off, off offset:104
	v_mov_b32_e32 v32, 0
	ds_read_b64 v[38:39], v32 offset:240
	v_cmp_lt_u32_e32 vcc, 12, v0
	s_waitcnt vmcnt(1) lgkmcnt(0)
	v_pk_mul_f32 v[40:41], v[38:39], v[34:35] op_sel:[1,1] op_sel_hi:[0,1]
	v_pk_fma_f32 v[42:43], v[38:39], v[34:35], v[40:41] neg_lo:[0,0,1] neg_hi:[0,0,1]
	v_pk_fma_f32 v[34:35], v[38:39], v[34:35], v[40:41] op_sel_hi:[1,0,1]
	s_nop 0
	v_mov_b32_e32 v43, v35
	v_pk_add_f32 v[34:35], v[42:43], 0 op_sel_hi:[1,0]
	s_waitcnt vmcnt(0)
	v_pk_add_f32 v[34:35], v[36:37], v[34:35] neg_lo:[0,1] neg_hi:[0,1]
	scratch_store_dwordx2 off, v[34:35], off offset:104
	s_and_saveexec_b64 s[0:1], vcc
	s_cbranch_execz .LBB78_79
; %bb.78:
	scratch_load_dwordx2 v[34:35], off, off offset:96
	v_mov_b32_e32 v33, v32
	scratch_store_dwordx2 off, v[32:33], off offset:96
	s_waitcnt vmcnt(1)
	ds_write_b64 v1, v[34:35]
.LBB78_79:
	s_or_b64 exec, exec, s[0:1]
	s_waitcnt lgkmcnt(0)
	; wave barrier
	scratch_load_dwordx4 v[34:37], off, off offset:104
	scratch_load_dwordx2 v[42:43], off, off offset:96
	ds_read2_b64 v[38:41], v32 offset0:29 offset1:30
	v_cmp_lt_u32_e32 vcc, 11, v0
	s_waitcnt vmcnt(1) lgkmcnt(0)
	v_pk_mul_f32 v[32:33], v[38:39], v[34:35] op_sel:[1,1] op_sel_hi:[0,1]
	v_mov_b32_e32 v44, v37
	v_pk_fma_f32 v[46:47], v[38:39], v[34:35], v[32:33] neg_lo:[0,0,1] neg_hi:[0,0,1]
	v_pk_fma_f32 v[32:33], v[38:39], v[34:35], v[32:33] op_sel_hi:[1,0,1]
	v_pk_mul_f32 v[34:35], v[40:41], v[44:45] op_sel:[1,0] op_sel_hi:[0,0]
	v_mov_b32_e32 v47, v33
	v_pk_fma_f32 v[32:33], v[40:41], v[36:37], v[34:35] neg_lo:[0,0,1] neg_hi:[0,0,1]
	v_pk_fma_f32 v[34:35], v[40:41], v[36:37], v[34:35] op_sel_hi:[1,0,1]
	v_pk_add_f32 v[36:37], v[46:47], 0 op_sel_hi:[1,0]
	v_mov_b32_e32 v33, v35
	v_pk_add_f32 v[32:33], v[36:37], v[32:33]
	s_waitcnt vmcnt(0)
	v_pk_add_f32 v[32:33], v[42:43], v[32:33] neg_lo:[0,1] neg_hi:[0,1]
	scratch_store_dwordx2 off, v[32:33], off offset:96
	s_and_saveexec_b64 s[0:1], vcc
	s_cbranch_execz .LBB78_81
; %bb.80:
	scratch_load_dwordx2 v[32:33], off, off offset:88
	v_mov_b32_e32 v34, 0
	v_mov_b32_e32 v35, v34
	scratch_store_dwordx2 off, v[34:35], off offset:88
	s_waitcnt vmcnt(1)
	ds_write_b64 v1, v[32:33]
.LBB78_81:
	s_or_b64 exec, exec, s[0:1]
	s_waitcnt lgkmcnt(0)
	; wave barrier
	scratch_load_dwordx4 v[34:37], off, off offset:96
	scratch_load_dwordx2 v[42:43], off, off offset:112
	scratch_load_dwordx2 v[44:45], off, off offset:88
	v_mov_b32_e32 v32, 0
	ds_read_b128 v[38:41], v32 offset:224
	ds_read_b64 v[46:47], v32 offset:240
	v_cmp_lt_u32_e32 vcc, 10, v0
	s_waitcnt vmcnt(2) lgkmcnt(1)
	v_pk_mul_f32 v[48:49], v[38:39], v[34:35] op_sel:[1,1] op_sel_hi:[0,1]
	v_mov_b32_e32 v50, v37
	v_pk_fma_f32 v[54:55], v[38:39], v[34:35], v[48:49] neg_lo:[0,0,1] neg_hi:[0,0,1]
	v_pk_fma_f32 v[34:35], v[38:39], v[34:35], v[48:49] op_sel_hi:[1,0,1]
	v_pk_mul_f32 v[38:39], v[40:41], v[50:51] op_sel:[1,0] op_sel_hi:[0,0]
	s_waitcnt vmcnt(1) lgkmcnt(0)
	v_pk_mul_f32 v[52:53], v[46:47], v[42:43] op_sel:[1,1] op_sel_hi:[0,1]
	v_mov_b32_e32 v55, v35
	v_pk_fma_f32 v[34:35], v[40:41], v[36:37], v[38:39] neg_lo:[0,0,1] neg_hi:[0,0,1]
	v_pk_fma_f32 v[36:37], v[40:41], v[36:37], v[38:39] op_sel_hi:[1,0,1]
	v_pk_fma_f32 v[48:49], v[46:47], v[42:43], v[52:53] neg_lo:[0,0,1] neg_hi:[0,0,1]
	v_pk_fma_f32 v[42:43], v[46:47], v[42:43], v[52:53] op_sel_hi:[1,0,1]
	v_pk_add_f32 v[38:39], v[54:55], 0 op_sel_hi:[1,0]
	v_mov_b32_e32 v35, v37
	v_mov_b32_e32 v49, v43
	v_pk_add_f32 v[34:35], v[38:39], v[34:35]
	s_nop 0
	v_pk_add_f32 v[34:35], v[34:35], v[48:49]
	s_waitcnt vmcnt(0)
	v_pk_add_f32 v[34:35], v[44:45], v[34:35] neg_lo:[0,1] neg_hi:[0,1]
	scratch_store_dwordx2 off, v[34:35], off offset:88
	s_and_saveexec_b64 s[0:1], vcc
	s_cbranch_execz .LBB78_83
; %bb.82:
	scratch_load_dwordx2 v[34:35], off, off offset:80
	v_mov_b32_e32 v33, v32
	scratch_store_dwordx2 off, v[32:33], off offset:80
	s_waitcnt vmcnt(1)
	ds_write_b64 v1, v[34:35]
.LBB78_83:
	s_or_b64 exec, exec, s[0:1]
	s_waitcnt lgkmcnt(0)
	; wave barrier
	scratch_load_dwordx4 v[34:37], off, off offset:88
	scratch_load_dwordx4 v[38:41], off, off offset:104
	scratch_load_dwordx2 v[50:51], off, off offset:80
	ds_read2_b64 v[42:45], v32 offset0:27 offset1:28
	ds_read2_b64 v[46:49], v32 offset0:29 offset1:30
	v_cmp_lt_u32_e32 vcc, 9, v0
	s_waitcnt vmcnt(2) lgkmcnt(1)
	v_pk_mul_f32 v[32:33], v[42:43], v[34:35] op_sel:[1,1] op_sel_hi:[0,1]
	v_mov_b32_e32 v52, v37
	s_waitcnt vmcnt(1) lgkmcnt(0)
	v_pk_mul_f32 v[54:55], v[46:47], v[38:39] op_sel:[1,1] op_sel_hi:[0,1]
	v_mov_b32_e32 v56, v41
	v_pk_fma_f32 v[58:59], v[42:43], v[34:35], v[32:33] neg_lo:[0,0,1] neg_hi:[0,0,1]
	v_pk_fma_f32 v[32:33], v[42:43], v[34:35], v[32:33] op_sel_hi:[1,0,1]
	v_pk_mul_f32 v[34:35], v[44:45], v[52:53] op_sel:[1,0] op_sel_hi:[0,0]
	v_pk_fma_f32 v[42:43], v[46:47], v[38:39], v[54:55] neg_lo:[0,0,1] neg_hi:[0,0,1]
	v_pk_fma_f32 v[38:39], v[46:47], v[38:39], v[54:55] op_sel_hi:[1,0,1]
	v_pk_mul_f32 v[46:47], v[48:49], v[56:57] op_sel:[1,0] op_sel_hi:[0,0]
	v_mov_b32_e32 v59, v33
	v_pk_fma_f32 v[32:33], v[44:45], v[36:37], v[34:35] neg_lo:[0,0,1] neg_hi:[0,0,1]
	v_pk_fma_f32 v[34:35], v[44:45], v[36:37], v[34:35] op_sel_hi:[1,0,1]
	v_mov_b32_e32 v43, v39
	v_pk_fma_f32 v[36:37], v[48:49], v[40:41], v[46:47] neg_lo:[0,0,1] neg_hi:[0,0,1]
	v_pk_fma_f32 v[38:39], v[48:49], v[40:41], v[46:47] op_sel_hi:[1,0,1]
	v_pk_add_f32 v[40:41], v[58:59], 0 op_sel_hi:[1,0]
	v_mov_b32_e32 v33, v35
	v_pk_add_f32 v[32:33], v[40:41], v[32:33]
	v_mov_b32_e32 v37, v39
	v_pk_add_f32 v[32:33], v[32:33], v[42:43]
	s_nop 0
	v_pk_add_f32 v[32:33], v[32:33], v[36:37]
	s_waitcnt vmcnt(0)
	v_pk_add_f32 v[32:33], v[50:51], v[32:33] neg_lo:[0,1] neg_hi:[0,1]
	scratch_store_dwordx2 off, v[32:33], off offset:80
	s_and_saveexec_b64 s[0:1], vcc
	s_cbranch_execz .LBB78_85
; %bb.84:
	scratch_load_dwordx2 v[32:33], off, off offset:72
	v_mov_b32_e32 v34, 0
	v_mov_b32_e32 v35, v34
	scratch_store_dwordx2 off, v[34:35], off offset:72
	s_waitcnt vmcnt(1)
	ds_write_b64 v1, v[32:33]
.LBB78_85:
	s_or_b64 exec, exec, s[0:1]
	s_waitcnt lgkmcnt(0)
	; wave barrier
	scratch_load_dwordx4 v[34:37], off, off offset:80
	scratch_load_dwordx4 v[38:41], off, off offset:96
	scratch_load_dwordx2 v[50:51], off, off offset:112
	scratch_load_dwordx2 v[52:53], off, off offset:72
	v_mov_b32_e32 v32, 0
	ds_read_b128 v[42:45], v32 offset:208
	ds_read_b128 v[46:49], v32 offset:224
	ds_read_b64 v[54:55], v32 offset:240
	v_cmp_lt_u32_e32 vcc, 8, v0
	s_waitcnt vmcnt(3) lgkmcnt(2)
	v_pk_mul_f32 v[56:57], v[42:43], v[34:35] op_sel:[1,1] op_sel_hi:[0,1]
	v_mov_b32_e32 v58, v37
	v_pk_fma_f32 v[66:67], v[42:43], v[34:35], v[56:57] neg_lo:[0,0,1] neg_hi:[0,0,1]
	v_pk_fma_f32 v[34:35], v[42:43], v[34:35], v[56:57] op_sel_hi:[1,0,1]
	v_pk_mul_f32 v[42:43], v[44:45], v[58:59] op_sel:[1,0] op_sel_hi:[0,0]
	s_waitcnt vmcnt(2) lgkmcnt(1)
	v_pk_mul_f32 v[60:61], v[46:47], v[38:39] op_sel:[1,1] op_sel_hi:[0,1]
	v_mov_b32_e32 v62, v41
	v_mov_b32_e32 v67, v35
	v_pk_fma_f32 v[34:35], v[44:45], v[36:37], v[42:43] neg_lo:[0,0,1] neg_hi:[0,0,1]
	v_pk_fma_f32 v[36:37], v[44:45], v[36:37], v[42:43] op_sel_hi:[1,0,1]
	v_pk_fma_f32 v[56:57], v[46:47], v[38:39], v[60:61] neg_lo:[0,0,1] neg_hi:[0,0,1]
	v_pk_fma_f32 v[38:39], v[46:47], v[38:39], v[60:61] op_sel_hi:[1,0,1]
	v_pk_mul_f32 v[46:47], v[48:49], v[62:63] op_sel:[1,0] op_sel_hi:[0,0]
	v_pk_add_f32 v[42:43], v[66:67], 0 op_sel_hi:[1,0]
	v_mov_b32_e32 v35, v37
	s_waitcnt vmcnt(1) lgkmcnt(0)
	v_pk_mul_f32 v[64:65], v[54:55], v[50:51] op_sel:[1,1] op_sel_hi:[0,1]
	v_mov_b32_e32 v57, v39
	v_pk_fma_f32 v[38:39], v[48:49], v[40:41], v[46:47] neg_lo:[0,0,1] neg_hi:[0,0,1]
	v_pk_fma_f32 v[40:41], v[48:49], v[40:41], v[46:47] op_sel_hi:[1,0,1]
	v_pk_add_f32 v[34:35], v[42:43], v[34:35]
	v_pk_fma_f32 v[58:59], v[54:55], v[50:51], v[64:65] neg_lo:[0,0,1] neg_hi:[0,0,1]
	v_pk_fma_f32 v[50:51], v[54:55], v[50:51], v[64:65] op_sel_hi:[1,0,1]
	v_mov_b32_e32 v39, v41
	v_pk_add_f32 v[34:35], v[34:35], v[56:57]
	v_mov_b32_e32 v59, v51
	v_pk_add_f32 v[34:35], v[34:35], v[38:39]
	s_nop 0
	v_pk_add_f32 v[34:35], v[34:35], v[58:59]
	s_waitcnt vmcnt(0)
	v_pk_add_f32 v[34:35], v[52:53], v[34:35] neg_lo:[0,1] neg_hi:[0,1]
	scratch_store_dwordx2 off, v[34:35], off offset:72
	s_and_saveexec_b64 s[0:1], vcc
	s_cbranch_execz .LBB78_87
; %bb.86:
	scratch_load_dwordx2 v[34:35], off, off offset:64
	v_mov_b32_e32 v33, v32
	scratch_store_dwordx2 off, v[32:33], off offset:64
	s_waitcnt vmcnt(1)
	ds_write_b64 v1, v[34:35]
.LBB78_87:
	s_or_b64 exec, exec, s[0:1]
	s_waitcnt lgkmcnt(0)
	; wave barrier
	scratch_load_dwordx4 v[34:37], off, off offset:72
	scratch_load_dwordx4 v[38:41], off, off offset:88
	;; [unrolled: 1-line block ×3, first 2 shown]
	scratch_load_dwordx2 v[58:59], off, off offset:64
	ds_read2_b64 v[46:49], v32 offset0:25 offset1:26
	ds_read2_b64 v[50:53], v32 offset0:27 offset1:28
	;; [unrolled: 1-line block ×3, first 2 shown]
	v_cmp_lt_u32_e32 vcc, 7, v0
	s_waitcnt vmcnt(3) lgkmcnt(2)
	v_pk_mul_f32 v[32:33], v[46:47], v[34:35] op_sel:[1,1] op_sel_hi:[0,1]
	v_mov_b32_e32 v60, v37
	s_waitcnt vmcnt(2) lgkmcnt(1)
	v_pk_mul_f32 v[62:63], v[50:51], v[38:39] op_sel:[1,1] op_sel_hi:[0,1]
	v_mov_b32_e32 v64, v41
	;; [unrolled: 3-line block ×3, first 2 shown]
	v_pk_fma_f32 v[70:71], v[46:47], v[34:35], v[32:33] neg_lo:[0,0,1] neg_hi:[0,0,1]
	v_pk_fma_f32 v[32:33], v[46:47], v[34:35], v[32:33] op_sel_hi:[1,0,1]
	v_pk_mul_f32 v[34:35], v[48:49], v[60:61] op_sel:[1,0] op_sel_hi:[0,0]
	v_pk_fma_f32 v[46:47], v[50:51], v[38:39], v[62:63] neg_lo:[0,0,1] neg_hi:[0,0,1]
	v_pk_fma_f32 v[38:39], v[50:51], v[38:39], v[62:63] op_sel_hi:[1,0,1]
	v_pk_mul_f32 v[50:51], v[52:53], v[64:65] op_sel:[1,0] op_sel_hi:[0,0]
	;; [unrolled: 3-line block ×3, first 2 shown]
	v_mov_b32_e32 v71, v33
	v_pk_fma_f32 v[32:33], v[48:49], v[36:37], v[34:35] neg_lo:[0,0,1] neg_hi:[0,0,1]
	v_pk_fma_f32 v[34:35], v[48:49], v[36:37], v[34:35] op_sel_hi:[1,0,1]
	v_mov_b32_e32 v47, v39
	v_pk_fma_f32 v[36:37], v[52:53], v[40:41], v[50:51] neg_lo:[0,0,1] neg_hi:[0,0,1]
	v_pk_fma_f32 v[38:39], v[52:53], v[40:41], v[50:51] op_sel_hi:[1,0,1]
	;; [unrolled: 3-line block ×3, first 2 shown]
	v_pk_add_f32 v[44:45], v[70:71], 0 op_sel_hi:[1,0]
	v_mov_b32_e32 v33, v35
	v_pk_add_f32 v[32:33], v[44:45], v[32:33]
	v_mov_b32_e32 v37, v39
	v_pk_add_f32 v[32:33], v[32:33], v[46:47]
	;; [unrolled: 2-line block ×3, first 2 shown]
	s_nop 0
	v_pk_add_f32 v[32:33], v[32:33], v[60:61]
	s_nop 0
	v_pk_add_f32 v[32:33], v[32:33], v[40:41]
	s_waitcnt vmcnt(0)
	v_pk_add_f32 v[32:33], v[58:59], v[32:33] neg_lo:[0,1] neg_hi:[0,1]
	scratch_store_dwordx2 off, v[32:33], off offset:64
	s_and_saveexec_b64 s[0:1], vcc
	s_cbranch_execz .LBB78_89
; %bb.88:
	scratch_load_dwordx2 v[32:33], off, off offset:56
	v_mov_b32_e32 v34, 0
	v_mov_b32_e32 v35, v34
	scratch_store_dwordx2 off, v[34:35], off offset:56
	s_waitcnt vmcnt(1)
	ds_write_b64 v1, v[32:33]
.LBB78_89:
	s_or_b64 exec, exec, s[0:1]
	s_waitcnt lgkmcnt(0)
	; wave barrier
	scratch_load_dwordx4 v[34:37], off, off offset:64
	scratch_load_dwordx4 v[38:41], off, off offset:80
	;; [unrolled: 1-line block ×3, first 2 shown]
	scratch_load_dwordx2 v[58:59], off, off offset:112
	scratch_load_dwordx2 v[60:61], off, off offset:56
	v_mov_b32_e32 v32, 0
	ds_read_b128 v[46:49], v32 offset:192
	ds_read_b128 v[50:53], v32 offset:208
	;; [unrolled: 1-line block ×3, first 2 shown]
	ds_read_b64 v[62:63], v32 offset:240
	v_cmp_lt_u32_e32 vcc, 6, v0
	s_waitcnt vmcnt(4) lgkmcnt(3)
	v_pk_mul_f32 v[64:65], v[46:47], v[34:35] op_sel:[1,1] op_sel_hi:[0,1]
	v_mov_b32_e32 v66, v37
	v_pk_fma_f32 v[78:79], v[46:47], v[34:35], v[64:65] neg_lo:[0,0,1] neg_hi:[0,0,1]
	v_pk_fma_f32 v[34:35], v[46:47], v[34:35], v[64:65] op_sel_hi:[1,0,1]
	v_pk_mul_f32 v[46:47], v[48:49], v[66:67] op_sel:[1,0] op_sel_hi:[0,0]
	s_waitcnt vmcnt(3) lgkmcnt(2)
	v_pk_mul_f32 v[68:69], v[50:51], v[38:39] op_sel:[1,1] op_sel_hi:[0,1]
	v_mov_b32_e32 v70, v41
	v_mov_b32_e32 v79, v35
	v_pk_fma_f32 v[34:35], v[48:49], v[36:37], v[46:47] neg_lo:[0,0,1] neg_hi:[0,0,1]
	v_pk_fma_f32 v[36:37], v[48:49], v[36:37], v[46:47] op_sel_hi:[1,0,1]
	v_pk_fma_f32 v[64:65], v[50:51], v[38:39], v[68:69] neg_lo:[0,0,1] neg_hi:[0,0,1]
	v_pk_fma_f32 v[38:39], v[50:51], v[38:39], v[68:69] op_sel_hi:[1,0,1]
	v_pk_mul_f32 v[50:51], v[52:53], v[70:71] op_sel:[1,0] op_sel_hi:[0,0]
	v_pk_add_f32 v[46:47], v[78:79], 0 op_sel_hi:[1,0]
	v_mov_b32_e32 v35, v37
	s_waitcnt vmcnt(2) lgkmcnt(1)
	v_pk_mul_f32 v[72:73], v[54:55], v[42:43] op_sel:[1,1] op_sel_hi:[0,1]
	v_mov_b32_e32 v74, v45
	v_mov_b32_e32 v65, v39
	v_pk_fma_f32 v[38:39], v[52:53], v[40:41], v[50:51] neg_lo:[0,0,1] neg_hi:[0,0,1]
	v_pk_fma_f32 v[40:41], v[52:53], v[40:41], v[50:51] op_sel_hi:[1,0,1]
	v_pk_add_f32 v[34:35], v[46:47], v[34:35]
	v_pk_fma_f32 v[66:67], v[54:55], v[42:43], v[72:73] neg_lo:[0,0,1] neg_hi:[0,0,1]
	v_pk_fma_f32 v[42:43], v[54:55], v[42:43], v[72:73] op_sel_hi:[1,0,1]
	v_pk_mul_f32 v[54:55], v[56:57], v[74:75] op_sel:[1,0] op_sel_hi:[0,0]
	v_mov_b32_e32 v39, v41
	v_pk_add_f32 v[34:35], v[34:35], v[64:65]
	s_waitcnt vmcnt(1) lgkmcnt(0)
	v_pk_mul_f32 v[76:77], v[62:63], v[58:59] op_sel:[1,1] op_sel_hi:[0,1]
	v_mov_b32_e32 v67, v43
	v_pk_fma_f32 v[42:43], v[56:57], v[44:45], v[54:55] neg_lo:[0,0,1] neg_hi:[0,0,1]
	v_pk_fma_f32 v[44:45], v[56:57], v[44:45], v[54:55] op_sel_hi:[1,0,1]
	v_pk_add_f32 v[34:35], v[34:35], v[38:39]
	v_pk_fma_f32 v[68:69], v[62:63], v[58:59], v[76:77] neg_lo:[0,0,1] neg_hi:[0,0,1]
	v_pk_fma_f32 v[58:59], v[62:63], v[58:59], v[76:77] op_sel_hi:[1,0,1]
	v_mov_b32_e32 v43, v45
	v_pk_add_f32 v[34:35], v[34:35], v[66:67]
	v_mov_b32_e32 v69, v59
	v_pk_add_f32 v[34:35], v[34:35], v[42:43]
	s_nop 0
	v_pk_add_f32 v[34:35], v[34:35], v[68:69]
	s_waitcnt vmcnt(0)
	v_pk_add_f32 v[34:35], v[60:61], v[34:35] neg_lo:[0,1] neg_hi:[0,1]
	scratch_store_dwordx2 off, v[34:35], off offset:56
	s_and_saveexec_b64 s[0:1], vcc
	s_cbranch_execz .LBB78_91
; %bb.90:
	scratch_load_dwordx2 v[34:35], off, off offset:48
	v_mov_b32_e32 v33, v32
	scratch_store_dwordx2 off, v[32:33], off offset:48
	s_waitcnt vmcnt(1)
	ds_write_b64 v1, v[34:35]
.LBB78_91:
	s_or_b64 exec, exec, s[0:1]
	s_waitcnt lgkmcnt(0)
	; wave barrier
	scratch_load_dwordx4 v[34:37], off, off offset:56
	scratch_load_dwordx4 v[38:41], off, off offset:72
	;; [unrolled: 1-line block ×4, first 2 shown]
	scratch_load_dwordx2 v[66:67], off, off offset:48
	ds_read2_b64 v[50:53], v32 offset0:23 offset1:24
	ds_read2_b64 v[54:57], v32 offset0:25 offset1:26
	;; [unrolled: 1-line block ×4, first 2 shown]
	v_cmp_lt_u32_e32 vcc, 5, v0
	s_waitcnt vmcnt(4) lgkmcnt(3)
	v_pk_mul_f32 v[32:33], v[50:51], v[34:35] op_sel:[1,1] op_sel_hi:[0,1]
	v_mov_b32_e32 v68, v37
	s_waitcnt vmcnt(3) lgkmcnt(2)
	v_pk_mul_f32 v[70:71], v[54:55], v[38:39] op_sel:[1,1] op_sel_hi:[0,1]
	v_mov_b32_e32 v72, v41
	;; [unrolled: 3-line block ×4, first 2 shown]
	v_pk_fma_f32 v[82:83], v[50:51], v[34:35], v[32:33] neg_lo:[0,0,1] neg_hi:[0,0,1]
	v_pk_fma_f32 v[32:33], v[50:51], v[34:35], v[32:33] op_sel_hi:[1,0,1]
	v_pk_mul_f32 v[34:35], v[52:53], v[68:69] op_sel:[1,0] op_sel_hi:[0,0]
	v_pk_fma_f32 v[50:51], v[54:55], v[38:39], v[70:71] neg_lo:[0,0,1] neg_hi:[0,0,1]
	v_pk_fma_f32 v[38:39], v[54:55], v[38:39], v[70:71] op_sel_hi:[1,0,1]
	v_pk_mul_f32 v[54:55], v[56:57], v[72:73] op_sel:[1,0] op_sel_hi:[0,0]
	;; [unrolled: 3-line block ×4, first 2 shown]
	v_mov_b32_e32 v83, v33
	v_pk_fma_f32 v[32:33], v[52:53], v[36:37], v[34:35] neg_lo:[0,0,1] neg_hi:[0,0,1]
	v_pk_fma_f32 v[34:35], v[52:53], v[36:37], v[34:35] op_sel_hi:[1,0,1]
	v_mov_b32_e32 v51, v39
	v_pk_fma_f32 v[36:37], v[56:57], v[40:41], v[54:55] neg_lo:[0,0,1] neg_hi:[0,0,1]
	v_pk_fma_f32 v[38:39], v[56:57], v[40:41], v[54:55] op_sel_hi:[1,0,1]
	;; [unrolled: 3-line block ×4, first 2 shown]
	v_pk_add_f32 v[48:49], v[82:83], 0 op_sel_hi:[1,0]
	v_mov_b32_e32 v33, v35
	v_pk_add_f32 v[32:33], v[48:49], v[32:33]
	v_mov_b32_e32 v37, v39
	v_pk_add_f32 v[32:33], v[32:33], v[50:51]
	;; [unrolled: 2-line block ×4, first 2 shown]
	s_nop 0
	v_pk_add_f32 v[32:33], v[32:33], v[40:41]
	s_nop 0
	v_pk_add_f32 v[32:33], v[32:33], v[70:71]
	s_nop 0
	v_pk_add_f32 v[32:33], v[32:33], v[44:45]
	s_waitcnt vmcnt(0)
	v_pk_add_f32 v[32:33], v[66:67], v[32:33] neg_lo:[0,1] neg_hi:[0,1]
	scratch_store_dwordx2 off, v[32:33], off offset:48
	s_and_saveexec_b64 s[0:1], vcc
	s_cbranch_execz .LBB78_93
; %bb.92:
	scratch_load_dwordx2 v[32:33], off, off offset:40
	v_mov_b32_e32 v34, 0
	v_mov_b32_e32 v35, v34
	scratch_store_dwordx2 off, v[34:35], off offset:40
	s_waitcnt vmcnt(1)
	ds_write_b64 v1, v[32:33]
.LBB78_93:
	s_or_b64 exec, exec, s[0:1]
	s_waitcnt lgkmcnt(0)
	; wave barrier
	scratch_load_dwordx4 v[34:37], off, off offset:48
	scratch_load_dwordx4 v[38:41], off, off offset:64
	;; [unrolled: 1-line block ×4, first 2 shown]
	scratch_load_dwordx2 v[66:67], off, off offset:112
	scratch_load_dwordx2 v[68:69], off, off offset:40
	v_mov_b32_e32 v32, 0
	ds_read_b128 v[50:53], v32 offset:176
	ds_read_b128 v[54:57], v32 offset:192
	;; [unrolled: 1-line block ×4, first 2 shown]
	ds_read_b64 v[70:71], v32 offset:240
	v_cmp_lt_u32_e32 vcc, 4, v0
	s_waitcnt vmcnt(5) lgkmcnt(4)
	v_mul_f32_e32 v73, v50, v35
	v_mul_f32_e32 v33, v51, v35
	v_mov_b32_e32 v74, v37
	s_waitcnt vmcnt(4) lgkmcnt(3)
	v_pk_mul_f32 v[76:77], v[54:55], v[38:39] op_sel:[1,1] op_sel_hi:[0,1]
	v_mov_b32_e32 v78, v41
	s_waitcnt vmcnt(1) lgkmcnt(0)
	v_pk_mul_f32 v[88:89], v[70:71], v[66:67] op_sel:[1,1] op_sel_hi:[0,1]
	v_fmac_f32_e32 v73, v51, v34
	v_fma_f32 v72, v50, v34, -v33
	v_pk_mul_f32 v[34:35], v[52:53], v[74:75] op_sel:[1,0] op_sel_hi:[0,0]
	v_pk_fma_f32 v[50:51], v[54:55], v[38:39], v[76:77] neg_lo:[0,0,1] neg_hi:[0,0,1]
	v_pk_fma_f32 v[38:39], v[54:55], v[38:39], v[76:77] op_sel_hi:[1,0,1]
	v_pk_mul_f32 v[54:55], v[56:57], v[78:79] op_sel:[1,0] op_sel_hi:[0,0]
	v_pk_fma_f32 v[78:79], v[70:71], v[66:67], v[88:89] neg_lo:[0,0,1] neg_hi:[0,0,1]
	v_pk_fma_f32 v[66:67], v[70:71], v[66:67], v[88:89] op_sel_hi:[1,0,1]
	v_pk_add_f32 v[70:71], v[72:73], 0 op_sel_hi:[1,0]
	v_pk_fma_f32 v[72:73], v[52:53], v[36:37], v[34:35] neg_lo:[0,0,1] neg_hi:[0,0,1]
	v_pk_fma_f32 v[34:35], v[52:53], v[36:37], v[34:35] op_sel_hi:[1,0,1]
	v_pk_mul_f32 v[80:81], v[58:59], v[42:43] op_sel:[1,1] op_sel_hi:[0,1]
	v_mov_b32_e32 v73, v35
	v_mov_b32_e32 v82, v45
	;; [unrolled: 1-line block ×3, first 2 shown]
	v_pk_fma_f32 v[36:37], v[56:57], v[40:41], v[54:55] neg_lo:[0,0,1] neg_hi:[0,0,1]
	v_pk_fma_f32 v[38:39], v[56:57], v[40:41], v[54:55] op_sel_hi:[1,0,1]
	v_pk_add_f32 v[34:35], v[70:71], v[72:73]
	v_pk_fma_f32 v[74:75], v[58:59], v[42:43], v[80:81] neg_lo:[0,0,1] neg_hi:[0,0,1]
	v_pk_fma_f32 v[42:43], v[58:59], v[42:43], v[80:81] op_sel_hi:[1,0,1]
	v_pk_mul_f32 v[58:59], v[60:61], v[82:83] op_sel:[1,0] op_sel_hi:[0,0]
	v_mov_b32_e32 v37, v39
	v_pk_add_f32 v[34:35], v[34:35], v[50:51]
	v_pk_mul_f32 v[84:85], v[62:63], v[46:47] op_sel:[1,1] op_sel_hi:[0,1]
	v_mov_b32_e32 v86, v49
	v_mov_b32_e32 v75, v43
	v_pk_fma_f32 v[40:41], v[60:61], v[44:45], v[58:59] neg_lo:[0,0,1] neg_hi:[0,0,1]
	v_pk_fma_f32 v[42:43], v[60:61], v[44:45], v[58:59] op_sel_hi:[1,0,1]
	v_pk_add_f32 v[34:35], v[34:35], v[36:37]
	v_pk_fma_f32 v[76:77], v[62:63], v[46:47], v[84:85] neg_lo:[0,0,1] neg_hi:[0,0,1]
	v_pk_fma_f32 v[46:47], v[62:63], v[46:47], v[84:85] op_sel_hi:[1,0,1]
	v_pk_mul_f32 v[62:63], v[64:65], v[86:87] op_sel:[1,0] op_sel_hi:[0,0]
	v_mov_b32_e32 v41, v43
	v_pk_add_f32 v[34:35], v[34:35], v[74:75]
	v_mov_b32_e32 v77, v47
	v_pk_fma_f32 v[44:45], v[64:65], v[48:49], v[62:63] neg_lo:[0,0,1] neg_hi:[0,0,1]
	v_pk_fma_f32 v[46:47], v[64:65], v[48:49], v[62:63] op_sel_hi:[1,0,1]
	v_pk_add_f32 v[34:35], v[34:35], v[40:41]
	v_mov_b32_e32 v45, v47
	v_pk_add_f32 v[34:35], v[34:35], v[76:77]
	v_mov_b32_e32 v79, v67
	v_pk_add_f32 v[34:35], v[34:35], v[44:45]
	s_nop 0
	v_pk_add_f32 v[34:35], v[34:35], v[78:79]
	s_waitcnt vmcnt(0)
	v_pk_add_f32 v[34:35], v[68:69], v[34:35] neg_lo:[0,1] neg_hi:[0,1]
	scratch_store_dwordx2 off, v[34:35], off offset:40
	s_and_saveexec_b64 s[0:1], vcc
	s_cbranch_execz .LBB78_95
; %bb.94:
	scratch_load_dwordx2 v[34:35], off, off offset:32
	v_mov_b32_e32 v33, v32
	scratch_store_dwordx2 off, v[32:33], off offset:32
	s_waitcnt vmcnt(1)
	ds_write_b64 v1, v[34:35]
.LBB78_95:
	s_or_b64 exec, exec, s[0:1]
	s_waitcnt lgkmcnt(0)
	; wave barrier
	scratch_load_dwordx4 v[34:37], off, off offset:40
	scratch_load_dwordx4 v[38:41], off, off offset:56
	;; [unrolled: 1-line block ×5, first 2 shown]
	scratch_load_dwordx2 v[74:75], off, off offset:32
	ds_read2_b64 v[54:57], v32 offset0:21 offset1:22
	ds_read2_b64 v[58:61], v32 offset0:23 offset1:24
	;; [unrolled: 1-line block ×5, first 2 shown]
	v_cmp_lt_u32_e32 vcc, 3, v0
	s_waitcnt vmcnt(5) lgkmcnt(4)
	v_mul_f32_e32 v33, v54, v35
	v_mul_f32_e32 v32, v55, v35
	;; [unrolled: 1-line block ×4, first 2 shown]
	s_waitcnt vmcnt(4) lgkmcnt(3)
	v_pk_mul_f32 v[78:79], v[58:59], v[38:39] op_sel:[1,1] op_sel_hi:[0,1]
	v_mov_b32_e32 v80, v41
	v_fmac_f32_e32 v33, v55, v34
	v_fma_f32 v32, v54, v34, -v32
	v_fmac_f32_e32 v77, v57, v36
	v_fma_f32 v76, v56, v36, -v35
	v_pk_fma_f32 v[34:35], v[58:59], v[38:39], v[78:79] neg_lo:[0,0,1] neg_hi:[0,0,1]
	v_pk_fma_f32 v[36:37], v[58:59], v[38:39], v[78:79] op_sel_hi:[1,0,1]
	v_pk_mul_f32 v[38:39], v[60:61], v[80:81] op_sel:[1,0] op_sel_hi:[0,0]
	v_pk_add_f32 v[32:33], v[32:33], 0 op_sel_hi:[1,0]
	s_waitcnt vmcnt(3) lgkmcnt(2)
	v_pk_mul_f32 v[82:83], v[62:63], v[42:43] op_sel:[1,1] op_sel_hi:[0,1]
	v_mov_b32_e32 v84, v45
	v_mov_b32_e32 v35, v37
	v_pk_fma_f32 v[36:37], v[60:61], v[40:41], v[38:39] neg_lo:[0,0,1] neg_hi:[0,0,1]
	v_pk_fma_f32 v[38:39], v[60:61], v[40:41], v[38:39] op_sel_hi:[1,0,1]
	v_pk_add_f32 v[32:33], v[32:33], v[76:77]
	v_pk_fma_f32 v[54:55], v[62:63], v[42:43], v[82:83] neg_lo:[0,0,1] neg_hi:[0,0,1]
	v_pk_fma_f32 v[42:43], v[62:63], v[42:43], v[82:83] op_sel_hi:[1,0,1]
	v_pk_mul_f32 v[56:57], v[64:65], v[84:85] op_sel:[1,0] op_sel_hi:[0,0]
	v_mov_b32_e32 v37, v39
	v_pk_add_f32 v[32:33], v[32:33], v[34:35]
	s_waitcnt vmcnt(2) lgkmcnt(1)
	v_pk_mul_f32 v[86:87], v[66:67], v[46:47] op_sel:[1,1] op_sel_hi:[0,1]
	v_mov_b32_e32 v88, v49
	v_mov_b32_e32 v55, v43
	v_pk_fma_f32 v[40:41], v[64:65], v[44:45], v[56:57] neg_lo:[0,0,1] neg_hi:[0,0,1]
	v_pk_fma_f32 v[42:43], v[64:65], v[44:45], v[56:57] op_sel_hi:[1,0,1]
	v_pk_add_f32 v[32:33], v[32:33], v[36:37]
	v_pk_fma_f32 v[58:59], v[66:67], v[46:47], v[86:87] neg_lo:[0,0,1] neg_hi:[0,0,1]
	v_pk_fma_f32 v[46:47], v[66:67], v[46:47], v[86:87] op_sel_hi:[1,0,1]
	v_pk_mul_f32 v[62:63], v[68:69], v[88:89] op_sel:[1,0] op_sel_hi:[0,0]
	v_mov_b32_e32 v41, v43
	v_pk_add_f32 v[32:33], v[32:33], v[54:55]
	;; [unrolled: 12-line block ×3, first 2 shown]
	v_mov_b32_e32 v67, v51
	v_pk_fma_f32 v[48:49], v[72:73], v[52:53], v[70:71] neg_lo:[0,0,1] neg_hi:[0,0,1]
	v_pk_fma_f32 v[50:51], v[72:73], v[52:53], v[70:71] op_sel_hi:[1,0,1]
	v_pk_add_f32 v[32:33], v[32:33], v[44:45]
	v_mov_b32_e32 v49, v51
	v_pk_add_f32 v[32:33], v[32:33], v[66:67]
	s_nop 0
	v_pk_add_f32 v[32:33], v[32:33], v[48:49]
	s_waitcnt vmcnt(0)
	v_pk_add_f32 v[32:33], v[74:75], v[32:33] neg_lo:[0,1] neg_hi:[0,1]
	scratch_store_dwordx2 off, v[32:33], off offset:32
	s_and_saveexec_b64 s[0:1], vcc
	s_cbranch_execz .LBB78_97
; %bb.96:
	scratch_load_dwordx2 v[32:33], off, off offset:24
	v_mov_b32_e32 v34, 0
	v_mov_b32_e32 v35, v34
	scratch_store_dwordx2 off, v[34:35], off offset:24
	s_waitcnt vmcnt(1)
	ds_write_b64 v1, v[32:33]
.LBB78_97:
	s_or_b64 exec, exec, s[0:1]
	s_waitcnt lgkmcnt(0)
	; wave barrier
	scratch_load_dwordx4 v[34:37], off, off offset:32
	scratch_load_dwordx4 v[38:41], off, off offset:48
	;; [unrolled: 1-line block ×5, first 2 shown]
	scratch_load_dwordx2 v[74:75], off, off offset:112
	scratch_load_dwordx2 v[76:77], off, off offset:24
	v_mov_b32_e32 v32, 0
	ds_read_b128 v[54:57], v32 offset:160
	ds_read_b128 v[58:61], v32 offset:176
	;; [unrolled: 1-line block ×5, first 2 shown]
	ds_read_b64 v[78:79], v32 offset:240
	v_cmp_lt_u32_e32 vcc, 2, v0
	s_waitcnt vmcnt(6) lgkmcnt(5)
	v_mul_f32_e32 v33, v54, v35
	v_mul_f32_e32 v35, v55, v35
	;; [unrolled: 1-line block ×3, first 2 shown]
	s_waitcnt vmcnt(5) lgkmcnt(4)
	v_mul_f32_e32 v83, v58, v39
	v_mul_f32_e32 v37, v57, v37
	;; [unrolled: 1-line block ×3, first 2 shown]
	v_mov_b32_e32 v84, v41
	s_waitcnt vmcnt(3) lgkmcnt(2)
	v_pk_mul_f32 v[90:91], v[66:67], v[46:47] op_sel:[1,1] op_sel_hi:[0,1]
	s_waitcnt vmcnt(2) lgkmcnt(1)
	v_pk_mul_f32 v[94:95], v[70:71], v[50:51] op_sel:[1,1] op_sel_hi:[0,1]
	;; [unrolled: 2-line block ×3, first 2 shown]
	v_fmac_f32_e32 v33, v55, v34
	v_fma_f32 v85, v54, v34, -v35
	v_fmac_f32_e32 v81, v57, v36
	v_fmac_f32_e32 v83, v59, v38
	v_fma_f32 v80, v56, v36, -v37
	v_fma_f32 v82, v58, v38, -v39
	v_pk_mul_f32 v[34:35], v[60:61], v[84:85] op_sel:[1,0] op_sel_hi:[0,0]
	v_pk_fma_f32 v[54:55], v[66:67], v[46:47], v[90:91] neg_lo:[0,0,1] neg_hi:[0,0,1]
	v_pk_fma_f32 v[46:47], v[66:67], v[46:47], v[90:91] op_sel_hi:[1,0,1]
	v_pk_fma_f32 v[58:59], v[70:71], v[50:51], v[94:95] neg_lo:[0,0,1] neg_hi:[0,0,1]
	v_pk_fma_f32 v[50:51], v[70:71], v[50:51], v[94:95] op_sel_hi:[1,0,1]
	;; [unrolled: 2-line block ×3, first 2 shown]
	v_add_f32_e32 v75, 0, v33
	v_add_f32_e32 v74, 0, v85
	v_pk_mul_f32 v[86:87], v[62:63], v[42:43] op_sel:[1,1] op_sel_hi:[0,1]
	v_mov_b32_e32 v88, v45
	v_pk_fma_f32 v[78:79], v[60:61], v[40:41], v[34:35] neg_lo:[0,0,1] neg_hi:[0,0,1]
	v_pk_fma_f32 v[34:35], v[60:61], v[40:41], v[34:35] op_sel_hi:[1,0,1]
	v_mov_b32_e32 v59, v51
	v_pk_add_f32 v[50:51], v[74:75], v[80:81]
	v_pk_fma_f32 v[36:37], v[62:63], v[42:43], v[86:87] neg_lo:[0,0,1] neg_hi:[0,0,1]
	v_pk_fma_f32 v[38:39], v[62:63], v[42:43], v[86:87] op_sel_hi:[1,0,1]
	v_pk_mul_f32 v[42:43], v[64:65], v[88:89] op_sel:[1,0] op_sel_hi:[0,0]
	v_mov_b32_e32 v79, v35
	v_pk_add_f32 v[34:35], v[50:51], v[82:83]
	v_mov_b32_e32 v92, v49
	v_mov_b32_e32 v37, v39
	v_pk_fma_f32 v[38:39], v[64:65], v[44:45], v[42:43] neg_lo:[0,0,1] neg_hi:[0,0,1]
	v_pk_fma_f32 v[40:41], v[64:65], v[44:45], v[42:43] op_sel_hi:[1,0,1]
	v_pk_add_f32 v[34:35], v[34:35], v[78:79]
	v_pk_mul_f32 v[56:57], v[68:69], v[92:93] op_sel:[1,0] op_sel_hi:[0,0]
	v_mov_b32_e32 v39, v41
	v_pk_add_f32 v[34:35], v[34:35], v[36:37]
	v_mov_b32_e32 v96, v53
	v_mov_b32_e32 v55, v47
	v_pk_fma_f32 v[42:43], v[68:69], v[48:49], v[56:57] neg_lo:[0,0,1] neg_hi:[0,0,1]
	v_pk_fma_f32 v[44:45], v[68:69], v[48:49], v[56:57] op_sel_hi:[1,0,1]
	v_pk_add_f32 v[34:35], v[34:35], v[38:39]
	v_pk_mul_f32 v[62:63], v[72:73], v[96:97] op_sel:[1,0] op_sel_hi:[0,0]
	v_mov_b32_e32 v43, v45
	v_pk_add_f32 v[34:35], v[34:35], v[54:55]
	v_pk_fma_f32 v[46:47], v[72:73], v[52:53], v[62:63] neg_lo:[0,0,1] neg_hi:[0,0,1]
	v_pk_fma_f32 v[48:49], v[72:73], v[52:53], v[62:63] op_sel_hi:[1,0,1]
	v_pk_add_f32 v[34:35], v[34:35], v[42:43]
	v_mov_b32_e32 v47, v49
	v_pk_add_f32 v[34:35], v[34:35], v[58:59]
	v_mov_b32_e32 v67, v71
	v_pk_add_f32 v[34:35], v[34:35], v[46:47]
	s_nop 0
	v_pk_add_f32 v[34:35], v[34:35], v[66:67]
	s_waitcnt vmcnt(0)
	v_pk_add_f32 v[34:35], v[76:77], v[34:35] neg_lo:[0,1] neg_hi:[0,1]
	scratch_store_dwordx2 off, v[34:35], off offset:24
	s_and_saveexec_b64 s[0:1], vcc
	s_cbranch_execz .LBB78_99
; %bb.98:
	scratch_load_dwordx2 v[34:35], off, off offset:16
	v_mov_b32_e32 v33, v32
	scratch_store_dwordx2 off, v[32:33], off offset:16
	s_waitcnt vmcnt(1)
	ds_write_b64 v1, v[34:35]
.LBB78_99:
	s_or_b64 exec, exec, s[0:1]
	s_waitcnt lgkmcnt(0)
	; wave barrier
	scratch_load_dwordx4 v[34:37], off, off offset:24
	scratch_load_dwordx4 v[38:41], off, off offset:40
	;; [unrolled: 1-line block ×6, first 2 shown]
	scratch_load_dwordx2 v[82:83], off, off offset:16
	ds_read2_b64 v[58:61], v32 offset0:19 offset1:20
	ds_read2_b64 v[62:65], v32 offset0:21 offset1:22
	ds_read2_b64 v[66:69], v32 offset0:23 offset1:24
	ds_read2_b64 v[70:73], v32 offset0:25 offset1:26
	ds_read2_b64 v[74:77], v32 offset0:27 offset1:28
	ds_read2_b64 v[78:81], v32 offset0:29 offset1:30
	v_cmp_lt_u32_e32 vcc, 1, v0
	s_waitcnt vmcnt(6) lgkmcnt(5)
	v_mul_f32_e32 v89, v58, v35
	v_mul_f32_e32 v93, v60, v37
	s_waitcnt vmcnt(5) lgkmcnt(4)
	v_mul_f32_e32 v33, v62, v39
	v_mul_f32_e32 v32, v59, v35
	;; [unrolled: 1-line block ×4, first 2 shown]
	s_waitcnt vmcnt(1) lgkmcnt(0)
	v_pk_mul_f32 v[98:99], v[78:79], v[54:55] op_sel:[1,1] op_sel_hi:[0,1]
	v_pk_mul_f32 v[86:87], v[66:67], v[42:43] op_sel:[1,1] op_sel_hi:[0,1]
	v_fmac_f32_e32 v89, v59, v34
	v_fmac_f32_e32 v33, v63, v38
	v_fma_f32 v97, v58, v34, -v32
	v_fma_f32 v32, v62, v38, -v37
	v_pk_fma_f32 v[62:63], v[78:79], v[54:55], v[98:99] neg_lo:[0,0,1] neg_hi:[0,0,1]
	v_pk_fma_f32 v[54:55], v[78:79], v[54:55], v[98:99] op_sel_hi:[1,0,1]
	v_fmac_f32_e32 v93, v61, v36
	v_fma_f32 v101, v60, v36, -v35
	v_pk_fma_f32 v[34:35], v[66:67], v[42:43], v[86:87] neg_lo:[0,0,1] neg_hi:[0,0,1]
	v_pk_fma_f32 v[36:37], v[66:67], v[42:43], v[86:87] op_sel_hi:[1,0,1]
	v_add_f32_e32 v54, 0, v89
	v_add_f32_e32 v66, 0, v97
	v_mul_f32_e32 v85, v64, v41
	v_mul_f32_e32 v39, v65, v41
	v_mov_b32_e32 v88, v45
	v_mov_b32_e32 v63, v55
	v_add_f32_e32 v55, v54, v93
	v_add_f32_e32 v54, v66, v101
	v_fmac_f32_e32 v85, v65, v40
	v_fma_f32 v84, v64, v40, -v39
	v_pk_mul_f32 v[38:39], v[68:69], v[88:89] op_sel:[1,0] op_sel_hi:[0,0]
	v_pk_add_f32 v[32:33], v[54:55], v[32:33]
	v_pk_mul_f32 v[90:91], v[70:71], v[46:47] op_sel:[1,1] op_sel_hi:[0,1]
	v_mov_b32_e32 v92, v49
	v_mov_b32_e32 v35, v37
	v_pk_fma_f32 v[36:37], v[68:69], v[44:45], v[38:39] neg_lo:[0,0,1] neg_hi:[0,0,1]
	v_pk_fma_f32 v[38:39], v[68:69], v[44:45], v[38:39] op_sel_hi:[1,0,1]
	v_pk_add_f32 v[32:33], v[32:33], v[84:85]
	v_pk_fma_f32 v[40:41], v[70:71], v[46:47], v[90:91] neg_lo:[0,0,1] neg_hi:[0,0,1]
	v_pk_fma_f32 v[42:43], v[70:71], v[46:47], v[90:91] op_sel_hi:[1,0,1]
	v_pk_mul_f32 v[46:47], v[72:73], v[92:93] op_sel:[1,0] op_sel_hi:[0,0]
	v_mov_b32_e32 v37, v39
	v_pk_add_f32 v[32:33], v[32:33], v[34:35]
	v_pk_mul_f32 v[94:95], v[74:75], v[50:51] op_sel:[1,1] op_sel_hi:[0,1]
	v_mov_b32_e32 v96, v53
	v_mov_b32_e32 v41, v43
	v_pk_fma_f32 v[42:43], v[72:73], v[48:49], v[46:47] neg_lo:[0,0,1] neg_hi:[0,0,1]
	v_pk_fma_f32 v[44:45], v[72:73], v[48:49], v[46:47] op_sel_hi:[1,0,1]
	v_pk_add_f32 v[32:33], v[32:33], v[36:37]
	v_pk_fma_f32 v[58:59], v[74:75], v[50:51], v[94:95] neg_lo:[0,0,1] neg_hi:[0,0,1]
	v_pk_fma_f32 v[50:51], v[74:75], v[50:51], v[94:95] op_sel_hi:[1,0,1]
	v_pk_mul_f32 v[60:61], v[76:77], v[96:97] op_sel:[1,0] op_sel_hi:[0,0]
	v_mov_b32_e32 v43, v45
	v_pk_add_f32 v[32:33], v[32:33], v[40:41]
	v_mov_b32_e32 v100, v57
	v_mov_b32_e32 v59, v51
	v_pk_fma_f32 v[46:47], v[76:77], v[52:53], v[60:61] neg_lo:[0,0,1] neg_hi:[0,0,1]
	v_pk_fma_f32 v[48:49], v[76:77], v[52:53], v[60:61] op_sel_hi:[1,0,1]
	v_pk_add_f32 v[32:33], v[32:33], v[42:43]
	v_pk_mul_f32 v[64:65], v[80:81], v[100:101] op_sel:[1,0] op_sel_hi:[0,0]
	v_mov_b32_e32 v47, v49
	v_pk_add_f32 v[32:33], v[32:33], v[58:59]
	v_pk_fma_f32 v[50:51], v[80:81], v[56:57], v[64:65] neg_lo:[0,0,1] neg_hi:[0,0,1]
	v_pk_fma_f32 v[52:53], v[80:81], v[56:57], v[64:65] op_sel_hi:[1,0,1]
	v_pk_add_f32 v[32:33], v[32:33], v[46:47]
	v_mov_b32_e32 v51, v53
	v_pk_add_f32 v[32:33], v[32:33], v[62:63]
	s_nop 0
	v_pk_add_f32 v[32:33], v[32:33], v[50:51]
	s_waitcnt vmcnt(0)
	v_pk_add_f32 v[32:33], v[82:83], v[32:33] neg_lo:[0,1] neg_hi:[0,1]
	scratch_store_dwordx2 off, v[32:33], off offset:16
	s_and_saveexec_b64 s[0:1], vcc
	s_cbranch_execz .LBB78_101
; %bb.100:
	scratch_load_dwordx2 v[32:33], off, off offset:8
	v_mov_b32_e32 v34, 0
	v_mov_b32_e32 v35, v34
	scratch_store_dwordx2 off, v[34:35], off offset:8
	s_waitcnt vmcnt(1)
	ds_write_b64 v1, v[32:33]
.LBB78_101:
	s_or_b64 exec, exec, s[0:1]
	s_waitcnt lgkmcnt(0)
	; wave barrier
	scratch_load_dwordx4 v[34:37], off, off offset:16
	scratch_load_dwordx4 v[38:41], off, off offset:32
	;; [unrolled: 1-line block ×6, first 2 shown]
	scratch_load_dwordx2 v[82:83], off, off offset:112
	scratch_load_dwordx2 v[84:85], off, off offset:8
	v_mov_b32_e32 v32, 0
	ds_read_b128 v[58:61], v32 offset:144
	ds_read_b128 v[62:65], v32 offset:160
	;; [unrolled: 1-line block ×6, first 2 shown]
	ds_read_b64 v[86:87], v32 offset:240
	v_cmp_ne_u32_e32 vcc, 0, v0
	s_waitcnt vmcnt(7) lgkmcnt(6)
	v_mul_f32_e32 v93, v60, v37
	v_mul_f32_e32 v33, v58, v35
	s_waitcnt vmcnt(5) lgkmcnt(4)
	v_mul_f32_e32 v91, v66, v43
	v_mul_f32_e32 v35, v59, v35
	v_mov_b32_e32 v92, v45
	s_waitcnt vmcnt(2) lgkmcnt(1)
	v_pk_mul_f32 v[102:103], v[78:79], v[54:55] op_sel:[1,1] op_sel_hi:[0,1]
	v_fmac_f32_e32 v93, v61, v36
	v_mul_f32_e32 v37, v61, v37
	v_mul_f32_e32 v43, v67, v43
	v_fmac_f32_e32 v33, v59, v34
	v_fmac_f32_e32 v91, v67, v42
	v_fma_f32 v67, v58, v34, -v35
	v_pk_mul_f32 v[34:35], v[68:69], v[92:93] op_sel:[1,0] op_sel_hi:[0,0]
	v_pk_fma_f32 v[58:59], v[78:79], v[54:55], v[102:103] neg_lo:[0,0,1] neg_hi:[0,0,1]
	v_pk_fma_f32 v[54:55], v[78:79], v[54:55], v[102:103] op_sel_hi:[1,0,1]
	v_mul_f32_e32 v97, v62, v39
	v_mul_f32_e32 v39, v63, v39
	v_fma_f32 v101, v60, v36, -v37
	v_fma_f32 v90, v66, v42, -v43
	v_add_f32_e32 v33, 0, v33
	v_add_f32_e32 v54, 0, v67
	v_pk_fma_f32 v[66:67], v[68:69], v[44:45], v[34:35] neg_lo:[0,0,1] neg_hi:[0,0,1]
	v_pk_fma_f32 v[34:35], v[68:69], v[44:45], v[34:35] op_sel_hi:[1,0,1]
	v_mul_f32_e32 v89, v64, v41
	v_mul_f32_e32 v41, v65, v41
	v_fmac_f32_e32 v97, v63, v38
	v_fma_f32 v105, v62, v38, -v39
	v_add_f32_e32 v33, v33, v93
	v_add_f32_e32 v34, v54, v101
	v_fmac_f32_e32 v89, v65, v40
	v_fma_f32 v88, v64, v40, -v41
	v_mov_b32_e32 v67, v35
	v_add_f32_e32 v35, v33, v97
	v_add_f32_e32 v34, v34, v105
	v_pk_mul_f32 v[94:95], v[70:71], v[46:47] op_sel:[1,1] op_sel_hi:[0,1]
	v_mov_b32_e32 v96, v49
	v_pk_add_f32 v[34:35], v[34:35], v[88:89]
	v_pk_fma_f32 v[36:37], v[70:71], v[46:47], v[94:95] neg_lo:[0,0,1] neg_hi:[0,0,1]
	v_pk_fma_f32 v[38:39], v[70:71], v[46:47], v[94:95] op_sel_hi:[1,0,1]
	v_pk_mul_f32 v[40:41], v[72:73], v[96:97] op_sel:[1,0] op_sel_hi:[0,0]
	v_pk_add_f32 v[34:35], v[34:35], v[90:91]
	v_pk_mul_f32 v[98:99], v[74:75], v[50:51] op_sel:[1,1] op_sel_hi:[0,1]
	v_mov_b32_e32 v100, v53
	v_mov_b32_e32 v37, v39
	v_pk_fma_f32 v[38:39], v[72:73], v[48:49], v[40:41] neg_lo:[0,0,1] neg_hi:[0,0,1]
	v_pk_fma_f32 v[40:41], v[72:73], v[48:49], v[40:41] op_sel_hi:[1,0,1]
	v_pk_add_f32 v[34:35], v[34:35], v[66:67]
	v_pk_fma_f32 v[42:43], v[74:75], v[50:51], v[98:99] neg_lo:[0,0,1] neg_hi:[0,0,1]
	v_pk_fma_f32 v[46:47], v[74:75], v[50:51], v[98:99] op_sel_hi:[1,0,1]
	v_pk_mul_f32 v[50:51], v[76:77], v[100:101] op_sel:[1,0] op_sel_hi:[0,0]
	v_mov_b32_e32 v39, v41
	v_pk_add_f32 v[34:35], v[34:35], v[36:37]
	v_mov_b32_e32 v104, v57
	v_mov_b32_e32 v43, v47
	v_pk_fma_f32 v[44:45], v[76:77], v[52:53], v[50:51] neg_lo:[0,0,1] neg_hi:[0,0,1]
	v_pk_fma_f32 v[46:47], v[76:77], v[52:53], v[50:51] op_sel_hi:[1,0,1]
	v_pk_add_f32 v[34:35], v[34:35], v[38:39]
	v_pk_mul_f32 v[60:61], v[80:81], v[104:105] op_sel:[1,0] op_sel_hi:[0,0]
	v_mov_b32_e32 v45, v47
	v_pk_add_f32 v[34:35], v[34:35], v[42:43]
	s_waitcnt vmcnt(1) lgkmcnt(0)
	v_pk_mul_f32 v[106:107], v[86:87], v[82:83] op_sel:[1,1] op_sel_hi:[0,1]
	v_mov_b32_e32 v59, v55
	v_pk_fma_f32 v[48:49], v[80:81], v[56:57], v[60:61] neg_lo:[0,0,1] neg_hi:[0,0,1]
	v_pk_fma_f32 v[50:51], v[80:81], v[56:57], v[60:61] op_sel_hi:[1,0,1]
	v_pk_add_f32 v[34:35], v[34:35], v[44:45]
	v_pk_fma_f32 v[62:63], v[86:87], v[82:83], v[106:107] neg_lo:[0,0,1] neg_hi:[0,0,1]
	v_pk_fma_f32 v[64:65], v[86:87], v[82:83], v[106:107] op_sel_hi:[1,0,1]
	v_mov_b32_e32 v49, v51
	v_pk_add_f32 v[34:35], v[34:35], v[58:59]
	v_mov_b32_e32 v63, v65
	v_pk_add_f32 v[34:35], v[34:35], v[48:49]
	s_nop 0
	v_pk_add_f32 v[34:35], v[34:35], v[62:63]
	s_waitcnt vmcnt(0)
	v_pk_add_f32 v[34:35], v[84:85], v[34:35] neg_lo:[0,1] neg_hi:[0,1]
	scratch_store_dwordx2 off, v[34:35], off offset:8
	s_and_saveexec_b64 s[0:1], vcc
	s_cbranch_execz .LBB78_103
; %bb.102:
	scratch_load_dwordx2 v[34:35], off, off
	v_mov_b32_e32 v33, v32
	scratch_store_dwordx2 off, v[32:33], off
	s_waitcnt vmcnt(1)
	ds_write_b64 v1, v[34:35]
.LBB78_103:
	s_or_b64 exec, exec, s[0:1]
	s_waitcnt lgkmcnt(0)
	; wave barrier
	scratch_load_dwordx4 v[34:37], off, off offset:8
	scratch_load_dwordx4 v[38:41], off, off offset:24
	;; [unrolled: 1-line block ×7, first 2 shown]
	ds_read2_b64 v[62:65], v32 offset0:17 offset1:18
	ds_read2_b64 v[66:69], v32 offset0:19 offset1:20
	;; [unrolled: 1-line block ×7, first 2 shown]
	scratch_load_dwordx2 v[0:1], off, off
	s_and_b64 vcc, exec, s[10:11]
	s_waitcnt vmcnt(7) lgkmcnt(6)
	v_mul_f32_e32 v95, v62, v35
	v_mul_f32_e32 v99, v64, v37
	s_waitcnt vmcnt(6) lgkmcnt(5)
	v_mul_f32_e32 v103, v66, v39
	v_mul_f32_e32 v107, v68, v41
	s_waitcnt vmcnt(5) lgkmcnt(4)
	v_mul_f32_e32 v33, v70, v43
	v_mul_f32_e32 v91, v72, v45
	v_mul_f32_e32 v32, v63, v35
	v_mul_f32_e32 v35, v65, v37
	;; [unrolled: 1-line block ×6, first 2 shown]
	s_waitcnt vmcnt(4) lgkmcnt(3)
	v_pk_mul_f32 v[92:93], v[74:75], v[46:47] op_sel:[1,1] op_sel_hi:[0,1]
	v_mov_b32_e32 v94, v49
	s_waitcnt vmcnt(3) lgkmcnt(2)
	v_pk_mul_f32 v[96:97], v[78:79], v[50:51] op_sel:[1,1] op_sel_hi:[0,1]
	v_mov_b32_e32 v98, v53
	s_waitcnt vmcnt(1) lgkmcnt(0)
	v_pk_mul_f32 v[104:105], v[86:87], v[58:59] op_sel:[1,1] op_sel_hi:[0,1]
	v_fmac_f32_e32 v95, v63, v34
	v_fmac_f32_e32 v99, v65, v36
	;; [unrolled: 1-line block ×6, first 2 shown]
	v_fma_f32 v67, v62, v34, -v32
	v_fma_f32 v69, v64, v36, -v35
	;; [unrolled: 1-line block ×6, first 2 shown]
	v_pk_fma_f32 v[34:35], v[74:75], v[46:47], v[92:93] neg_lo:[0,0,1] neg_hi:[0,0,1]
	v_pk_fma_f32 v[36:37], v[74:75], v[46:47], v[92:93] op_sel_hi:[1,0,1]
	v_pk_mul_f32 v[38:39], v[76:77], v[94:95] op_sel:[1,0] op_sel_hi:[0,0]
	v_pk_fma_f32 v[40:41], v[78:79], v[50:51], v[96:97] neg_lo:[0,0,1] neg_hi:[0,0,1]
	v_pk_fma_f32 v[42:43], v[78:79], v[50:51], v[96:97] op_sel_hi:[1,0,1]
	v_pk_mul_f32 v[44:45], v[80:81], v[98:99] op_sel:[1,0] op_sel_hi:[0,0]
	v_pk_fma_f32 v[62:63], v[86:87], v[58:59], v[104:105] neg_lo:[0,0,1] neg_hi:[0,0,1]
	v_pk_fma_f32 v[58:59], v[86:87], v[58:59], v[104:105] op_sel_hi:[1,0,1]
	v_add_f32_e32 v67, 0, v67
	v_add_f32_e32 v58, 0, v95
	v_mov_b32_e32 v35, v37
	v_pk_fma_f32 v[36:37], v[76:77], v[48:49], v[38:39] neg_lo:[0,0,1] neg_hi:[0,0,1]
	v_pk_fma_f32 v[38:39], v[76:77], v[48:49], v[38:39] op_sel_hi:[1,0,1]
	v_mov_b32_e32 v41, v43
	v_pk_fma_f32 v[42:43], v[80:81], v[52:53], v[44:45] neg_lo:[0,0,1] neg_hi:[0,0,1]
	v_pk_fma_f32 v[44:45], v[80:81], v[52:53], v[44:45] op_sel_hi:[1,0,1]
	v_add_f32_e32 v38, v58, v99
	v_add_f32_e32 v44, v67, v69
	;; [unrolled: 1-line block ×4, first 2 shown]
	v_mov_b32_e32 v37, v39
	v_add_f32_e32 v39, v38, v107
	v_add_f32_e32 v38, v44, v68
	v_pk_add_f32 v[32:33], v[38:39], v[32:33]
	v_pk_mul_f32 v[100:101], v[82:83], v[54:55] op_sel:[1,1] op_sel_hi:[0,1]
	v_pk_add_f32 v[32:33], v[32:33], v[90:91]
	v_mov_b32_e32 v102, v57
	v_pk_add_f32 v[32:33], v[32:33], v[34:35]
	v_pk_fma_f32 v[46:47], v[82:83], v[54:55], v[100:101] neg_lo:[0,0,1] neg_hi:[0,0,1]
	v_pk_add_f32 v[32:33], v[32:33], v[36:37]
	v_pk_fma_f32 v[50:51], v[82:83], v[54:55], v[100:101] op_sel_hi:[1,0,1]
	v_pk_mul_f32 v[54:55], v[84:85], v[102:103] op_sel:[1,0] op_sel_hi:[0,0]
	v_mov_b32_e32 v43, v45
	v_pk_add_f32 v[32:33], v[32:33], v[40:41]
	v_mov_b32_e32 v106, v61
	v_mov_b32_e32 v47, v51
	v_pk_fma_f32 v[48:49], v[84:85], v[56:57], v[54:55] neg_lo:[0,0,1] neg_hi:[0,0,1]
	v_pk_fma_f32 v[50:51], v[84:85], v[56:57], v[54:55] op_sel_hi:[1,0,1]
	v_pk_add_f32 v[32:33], v[32:33], v[42:43]
	v_pk_mul_f32 v[64:65], v[88:89], v[106:107] op_sel:[1,0] op_sel_hi:[0,0]
	v_mov_b32_e32 v49, v51
	v_pk_add_f32 v[32:33], v[32:33], v[46:47]
	v_mov_b32_e32 v63, v59
	v_pk_fma_f32 v[52:53], v[88:89], v[60:61], v[64:65] neg_lo:[0,0,1] neg_hi:[0,0,1]
	v_pk_fma_f32 v[54:55], v[88:89], v[60:61], v[64:65] op_sel_hi:[1,0,1]
	v_pk_add_f32 v[32:33], v[32:33], v[48:49]
	v_mov_b32_e32 v53, v55
	v_pk_add_f32 v[32:33], v[32:33], v[62:63]
	s_nop 0
	v_pk_add_f32 v[32:33], v[32:33], v[52:53]
	s_waitcnt vmcnt(0)
	v_pk_add_f32 v[0:1], v[0:1], v[32:33] neg_lo:[0,1] neg_hi:[0,1]
	scratch_store_dwordx2 off, v[0:1], off
	s_cbranch_vccz .LBB78_132
; %bb.104:
	v_mov_b32_e32 v0, 0
	global_load_dword v1, v0, s[8:9] offset:52
	s_waitcnt vmcnt(0)
	v_readfirstlane_b32 s0, v1
	s_add_i32 s0, s0, -1
	s_cmp_lg_u32 s0, 13
	s_cbranch_scc0 .LBB78_106
; %bb.105:
	s_lshl_b32 s0, s0, 3
	s_nop 0
	scratch_load_dwordx2 v[32:33], off, s0
	scratch_load_dwordx2 v[34:35], off, off offset:104
	s_waitcnt vmcnt(1)
	scratch_store_dwordx2 off, v[32:33], off offset:104
	s_waitcnt vmcnt(1)
	scratch_store_dwordx2 off, v[34:35], s0
.LBB78_106:
	global_load_dword v0, v0, s[8:9] offset:48
	s_waitcnt vmcnt(0)
	v_readfirstlane_b32 s0, v0
	s_add_i32 s0, s0, -1
	s_cmp_eq_u32 s0, 12
	s_cbranch_scc1 .LBB78_108
; %bb.107:
	s_lshl_b32 s0, s0, 3
	s_nop 0
	scratch_load_dwordx2 v[0:1], off, s0
	scratch_load_dwordx2 v[32:33], off, off offset:96
	s_waitcnt vmcnt(1)
	scratch_store_dwordx2 off, v[0:1], off offset:96
	s_waitcnt vmcnt(1)
	scratch_store_dwordx2 off, v[32:33], s0
.LBB78_108:
	v_mov_b32_e32 v0, 0
	global_load_dword v1, v0, s[8:9] offset:44
	s_waitcnt vmcnt(0)
	v_readfirstlane_b32 s0, v1
	s_add_i32 s0, s0, -1
	s_cmp_eq_u32 s0, 11
	s_cbranch_scc1 .LBB78_110
; %bb.109:
	s_lshl_b32 s0, s0, 3
	s_nop 0
	scratch_load_dwordx2 v[32:33], off, s0
	scratch_load_dwordx2 v[34:35], off, off offset:88
	s_waitcnt vmcnt(1)
	scratch_store_dwordx2 off, v[32:33], off offset:88
	s_waitcnt vmcnt(1)
	scratch_store_dwordx2 off, v[34:35], s0
.LBB78_110:
	global_load_dword v0, v0, s[8:9] offset:40
	s_waitcnt vmcnt(0)
	v_readfirstlane_b32 s0, v0
	s_add_i32 s0, s0, -1
	s_cmp_eq_u32 s0, 10
	s_cbranch_scc1 .LBB78_112
; %bb.111:
	s_lshl_b32 s0, s0, 3
	s_nop 0
	scratch_load_dwordx2 v[0:1], off, s0
	scratch_load_dwordx2 v[32:33], off, off offset:80
	s_waitcnt vmcnt(1)
	scratch_store_dwordx2 off, v[0:1], off offset:80
	s_waitcnt vmcnt(1)
	scratch_store_dwordx2 off, v[32:33], s0
.LBB78_112:
	v_mov_b32_e32 v0, 0
	global_load_dword v1, v0, s[8:9] offset:36
	s_waitcnt vmcnt(0)
	v_readfirstlane_b32 s0, v1
	s_add_i32 s0, s0, -1
	s_cmp_eq_u32 s0, 9
	s_cbranch_scc1 .LBB78_114
; %bb.113:
	s_lshl_b32 s0, s0, 3
	s_nop 0
	scratch_load_dwordx2 v[32:33], off, s0
	scratch_load_dwordx2 v[34:35], off, off offset:72
	s_waitcnt vmcnt(1)
	scratch_store_dwordx2 off, v[32:33], off offset:72
	s_waitcnt vmcnt(1)
	scratch_store_dwordx2 off, v[34:35], s0
.LBB78_114:
	;; [unrolled: 33-line block ×6, first 2 shown]
	global_load_dword v32, v0, s[8:9]
	s_nop 0
	scratch_load_dwordx2 v[0:1], off, off
	s_waitcnt vmcnt(1)
	v_readfirstlane_b32 s0, v32
	s_add_i32 s0, s0, -1
	s_cmp_eq_u32 s0, 0
	s_cbranch_scc1 .LBB78_132
; %bb.131:
	s_lshl_b32 s0, s0, 3
	s_nop 0
	scratch_load_dwordx2 v[32:33], off, s0
	s_waitcnt vmcnt(0)
	scratch_store_dwordx2 off, v[32:33], off
	scratch_store_dwordx2 off, v[0:1], s0
	scratch_load_dwordx2 v[0:1], off, off
.LBB78_132:
	s_waitcnt vmcnt(0)
	flat_store_dwordx2 v[2:3], v[0:1]
	scratch_load_dwordx2 v[0:1], off, off offset:8
	s_waitcnt vmcnt(0)
	flat_store_dwordx2 v[4:5], v[0:1]
	scratch_load_dwordx2 v[0:1], off, off offset:16
	;; [unrolled: 3-line block ×14, first 2 shown]
	s_waitcnt vmcnt(0)
	flat_store_dwordx2 v[30:31], v[0:1]
	s_endpgm
	.section	.rodata,"a",@progbits
	.p2align	6, 0x0
	.amdhsa_kernel _ZN9rocsolver6v33100L18getri_kernel_smallILi15E19rocblas_complex_numIfEPKPS3_EEvT1_iilPiilS8_bb
		.amdhsa_group_segment_fixed_size 248
		.amdhsa_private_segment_fixed_size 128
		.amdhsa_kernarg_size 60
		.amdhsa_user_sgpr_count 2
		.amdhsa_user_sgpr_dispatch_ptr 0
		.amdhsa_user_sgpr_queue_ptr 0
		.amdhsa_user_sgpr_kernarg_segment_ptr 1
		.amdhsa_user_sgpr_dispatch_id 0
		.amdhsa_user_sgpr_kernarg_preload_length 0
		.amdhsa_user_sgpr_kernarg_preload_offset 0
		.amdhsa_user_sgpr_private_segment_size 0
		.amdhsa_uses_dynamic_stack 0
		.amdhsa_enable_private_segment 1
		.amdhsa_system_sgpr_workgroup_id_x 1
		.amdhsa_system_sgpr_workgroup_id_y 0
		.amdhsa_system_sgpr_workgroup_id_z 0
		.amdhsa_system_sgpr_workgroup_info 0
		.amdhsa_system_vgpr_workitem_id 0
		.amdhsa_next_free_vgpr 108
		.amdhsa_next_free_sgpr 17
		.amdhsa_accum_offset 108
		.amdhsa_reserve_vcc 1
		.amdhsa_float_round_mode_32 0
		.amdhsa_float_round_mode_16_64 0
		.amdhsa_float_denorm_mode_32 3
		.amdhsa_float_denorm_mode_16_64 3
		.amdhsa_dx10_clamp 1
		.amdhsa_ieee_mode 1
		.amdhsa_fp16_overflow 0
		.amdhsa_tg_split 0
		.amdhsa_exception_fp_ieee_invalid_op 0
		.amdhsa_exception_fp_denorm_src 0
		.amdhsa_exception_fp_ieee_div_zero 0
		.amdhsa_exception_fp_ieee_overflow 0
		.amdhsa_exception_fp_ieee_underflow 0
		.amdhsa_exception_fp_ieee_inexact 0
		.amdhsa_exception_int_div_zero 0
	.end_amdhsa_kernel
	.section	.text._ZN9rocsolver6v33100L18getri_kernel_smallILi15E19rocblas_complex_numIfEPKPS3_EEvT1_iilPiilS8_bb,"axG",@progbits,_ZN9rocsolver6v33100L18getri_kernel_smallILi15E19rocblas_complex_numIfEPKPS3_EEvT1_iilPiilS8_bb,comdat
.Lfunc_end78:
	.size	_ZN9rocsolver6v33100L18getri_kernel_smallILi15E19rocblas_complex_numIfEPKPS3_EEvT1_iilPiilS8_bb, .Lfunc_end78-_ZN9rocsolver6v33100L18getri_kernel_smallILi15E19rocblas_complex_numIfEPKPS3_EEvT1_iilPiilS8_bb
                                        ; -- End function
	.set _ZN9rocsolver6v33100L18getri_kernel_smallILi15E19rocblas_complex_numIfEPKPS3_EEvT1_iilPiilS8_bb.num_vgpr, 108
	.set _ZN9rocsolver6v33100L18getri_kernel_smallILi15E19rocblas_complex_numIfEPKPS3_EEvT1_iilPiilS8_bb.num_agpr, 0
	.set _ZN9rocsolver6v33100L18getri_kernel_smallILi15E19rocblas_complex_numIfEPKPS3_EEvT1_iilPiilS8_bb.numbered_sgpr, 17
	.set _ZN9rocsolver6v33100L18getri_kernel_smallILi15E19rocblas_complex_numIfEPKPS3_EEvT1_iilPiilS8_bb.num_named_barrier, 0
	.set _ZN9rocsolver6v33100L18getri_kernel_smallILi15E19rocblas_complex_numIfEPKPS3_EEvT1_iilPiilS8_bb.private_seg_size, 128
	.set _ZN9rocsolver6v33100L18getri_kernel_smallILi15E19rocblas_complex_numIfEPKPS3_EEvT1_iilPiilS8_bb.uses_vcc, 1
	.set _ZN9rocsolver6v33100L18getri_kernel_smallILi15E19rocblas_complex_numIfEPKPS3_EEvT1_iilPiilS8_bb.uses_flat_scratch, 0
	.set _ZN9rocsolver6v33100L18getri_kernel_smallILi15E19rocblas_complex_numIfEPKPS3_EEvT1_iilPiilS8_bb.has_dyn_sized_stack, 0
	.set _ZN9rocsolver6v33100L18getri_kernel_smallILi15E19rocblas_complex_numIfEPKPS3_EEvT1_iilPiilS8_bb.has_recursion, 0
	.set _ZN9rocsolver6v33100L18getri_kernel_smallILi15E19rocblas_complex_numIfEPKPS3_EEvT1_iilPiilS8_bb.has_indirect_call, 0
	.section	.AMDGPU.csdata,"",@progbits
; Kernel info:
; codeLenInByte = 11936
; TotalNumSgprs: 23
; NumVgprs: 108
; NumAgprs: 0
; TotalNumVgprs: 108
; ScratchSize: 128
; MemoryBound: 0
; FloatMode: 240
; IeeeMode: 1
; LDSByteSize: 248 bytes/workgroup (compile time only)
; SGPRBlocks: 2
; VGPRBlocks: 13
; NumSGPRsForWavesPerEU: 23
; NumVGPRsForWavesPerEU: 108
; AccumOffset: 108
; Occupancy: 4
; WaveLimiterHint : 1
; COMPUTE_PGM_RSRC2:SCRATCH_EN: 1
; COMPUTE_PGM_RSRC2:USER_SGPR: 2
; COMPUTE_PGM_RSRC2:TRAP_HANDLER: 0
; COMPUTE_PGM_RSRC2:TGID_X_EN: 1
; COMPUTE_PGM_RSRC2:TGID_Y_EN: 0
; COMPUTE_PGM_RSRC2:TGID_Z_EN: 0
; COMPUTE_PGM_RSRC2:TIDIG_COMP_CNT: 0
; COMPUTE_PGM_RSRC3_GFX90A:ACCUM_OFFSET: 26
; COMPUTE_PGM_RSRC3_GFX90A:TG_SPLIT: 0
	.section	.text._ZN9rocsolver6v33100L18getri_kernel_smallILi16E19rocblas_complex_numIfEPKPS3_EEvT1_iilPiilS8_bb,"axG",@progbits,_ZN9rocsolver6v33100L18getri_kernel_smallILi16E19rocblas_complex_numIfEPKPS3_EEvT1_iilPiilS8_bb,comdat
	.globl	_ZN9rocsolver6v33100L18getri_kernel_smallILi16E19rocblas_complex_numIfEPKPS3_EEvT1_iilPiilS8_bb ; -- Begin function _ZN9rocsolver6v33100L18getri_kernel_smallILi16E19rocblas_complex_numIfEPKPS3_EEvT1_iilPiilS8_bb
	.p2align	8
	.type	_ZN9rocsolver6v33100L18getri_kernel_smallILi16E19rocblas_complex_numIfEPKPS3_EEvT1_iilPiilS8_bb,@function
_ZN9rocsolver6v33100L18getri_kernel_smallILi16E19rocblas_complex_numIfEPKPS3_EEvT1_iilPiilS8_bb: ; @_ZN9rocsolver6v33100L18getri_kernel_smallILi16E19rocblas_complex_numIfEPKPS3_EEvT1_iilPiilS8_bb
; %bb.0:
	v_cmp_gt_u32_e32 vcc, 16, v0
	s_and_saveexec_b64 s[4:5], vcc
	s_cbranch_execz .LBB79_78
; %bb.1:
	s_load_dword s14, s[0:1], 0x38
	s_load_dwordx2 s[8:9], s[0:1], 0x0
	s_load_dwordx4 s[4:7], s[0:1], 0x28
	s_waitcnt lgkmcnt(0)
	s_bitcmp1_b32 s14, 8
	s_cselect_b64 s[10:11], -1, 0
	s_ashr_i32 s3, s2, 31
	s_lshl_b64 s[12:13], s[2:3], 3
	s_add_u32 s8, s8, s12
	s_addc_u32 s9, s9, s13
	s_load_dwordx2 s[12:13], s[8:9], 0x0
	s_bfe_u32 s8, s14, 0x10008
	s_cmp_eq_u32 s8, 0
                                        ; implicit-def: $sgpr8_sgpr9
	s_cbranch_scc1 .LBB79_3
; %bb.2:
	s_load_dword s8, s[0:1], 0x20
	s_load_dwordx2 s[14:15], s[0:1], 0x18
	s_mul_i32 s9, s4, s3
	s_mul_hi_u32 s16, s4, s2
	s_add_i32 s16, s16, s9
	s_mul_i32 s5, s5, s2
	s_add_i32 s5, s16, s5
	s_mul_i32 s4, s4, s2
	s_waitcnt lgkmcnt(0)
	s_ashr_i32 s9, s8, 31
	s_lshl_b64 s[4:5], s[4:5], 2
	s_add_u32 s14, s14, s4
	s_addc_u32 s15, s15, s5
	s_lshl_b64 s[4:5], s[8:9], 2
	s_add_u32 s8, s14, s4
	s_addc_u32 s9, s15, s5
.LBB79_3:
	s_load_dwordx2 s[4:5], s[0:1], 0x8
	s_load_dword s14, s[0:1], 0x38
	v_lshlrev_b32_e32 v34, 3, v0
	v_mov_b32_e32 v35, 0
	s_waitcnt lgkmcnt(0)
	s_ashr_i32 s1, s4, 31
	s_mov_b32 s0, s4
	s_lshl_b64 s[0:1], s[0:1], 3
	s_add_u32 s0, s12, s0
	s_addc_u32 s1, s13, s1
	v_lshl_add_u64 v[2:3], s[0:1], 0, v[34:35]
	flat_load_dwordx2 v[6:7], v[2:3]
	s_mov_b32 s12, s5
	s_ashr_i32 s13, s5, 31
	v_lshl_add_u64 v[4:5], s[12:13], 3, v[2:3]
	s_add_i32 s4, s5, s5
	v_add_u32_e32 v10, s4, v0
	v_ashrrev_i32_e32 v11, 31, v10
	s_bitcmp0_b32 s14, 0
	s_waitcnt vmcnt(0) lgkmcnt(0)
	scratch_store_dwordx2 off, v[6:7], off
	flat_load_dwordx2 v[8:9], v[4:5]
	v_lshl_add_u64 v[6:7], v[10:11], 3, s[0:1]
	v_add_u32_e32 v10, s5, v10
	v_ashrrev_i32_e32 v11, 31, v10
	v_add_u32_e32 v14, s5, v10
	v_ashrrev_i32_e32 v15, 31, v14
	s_waitcnt vmcnt(0) lgkmcnt(0)
	scratch_store_dwordx2 off, v[8:9], off offset:8
	flat_load_dwordx2 v[12:13], v[6:7]
	v_lshl_add_u64 v[8:9], v[10:11], 3, s[0:1]
	v_lshl_add_u64 v[10:11], v[14:15], 3, s[0:1]
	v_add_u32_e32 v14, s5, v14
	v_ashrrev_i32_e32 v15, 31, v14
	v_add_u32_e32 v18, s5, v14
	v_ashrrev_i32_e32 v19, 31, v18
	s_waitcnt vmcnt(0) lgkmcnt(0)
	scratch_store_dwordx2 off, v[12:13], off offset:16
	flat_load_dwordx2 v[12:13], v[8:9]
	s_waitcnt vmcnt(0) lgkmcnt(0)
	scratch_store_dwordx2 off, v[12:13], off offset:24
	flat_load_dwordx2 v[16:17], v[10:11]
	v_lshl_add_u64 v[12:13], v[14:15], 3, s[0:1]
	v_lshl_add_u64 v[14:15], v[18:19], 3, s[0:1]
	v_add_u32_e32 v18, s5, v18
	v_ashrrev_i32_e32 v19, 31, v18
	v_add_u32_e32 v22, s5, v18
	v_ashrrev_i32_e32 v23, 31, v22
	s_waitcnt vmcnt(0) lgkmcnt(0)
	scratch_store_dwordx2 off, v[16:17], off offset:32
	flat_load_dwordx2 v[16:17], v[12:13]
	;; [unrolled: 12-line block ×5, first 2 shown]
	s_waitcnt vmcnt(0) lgkmcnt(0)
	scratch_store_dwordx2 off, v[28:29], off offset:88
	flat_load_dwordx2 v[32:33], v[26:27]
	v_lshl_add_u64 v[28:29], v[30:31], 3, s[0:1]
	v_lshl_add_u64 v[30:31], v[36:37], 3, s[0:1]
	s_waitcnt vmcnt(0) lgkmcnt(0)
	scratch_store_dwordx2 off, v[32:33], off offset:96
	flat_load_dwordx2 v[32:33], v[28:29]
	s_waitcnt vmcnt(0) lgkmcnt(0)
	scratch_store_dwordx2 off, v[32:33], off offset:104
	flat_load_dwordx2 v[38:39], v[30:31]
	v_add_u32_e32 v32, s5, v36
	v_ashrrev_i32_e32 v33, 31, v32
	v_lshl_add_u64 v[32:33], v[32:33], 3, s[0:1]
	s_mov_b64 s[4:5], -1
	s_waitcnt vmcnt(0) lgkmcnt(0)
	scratch_store_dwordx2 off, v[38:39], off offset:112
	flat_load_dwordx2 v[36:37], v[32:33]
	s_waitcnt vmcnt(0) lgkmcnt(0)
	scratch_store_dwordx2 off, v[36:37], off offset:120
	s_cbranch_scc1 .LBB79_76
; %bb.4:
	v_cmp_eq_u32_e64 s[0:1], 0, v0
	s_and_saveexec_b64 s[4:5], s[0:1]
; %bb.5:
	v_mov_b32_e32 v1, 0
	ds_write_b32 v1, v1 offset:256
; %bb.6:
	s_or_b64 exec, exec, s[4:5]
	s_waitcnt lgkmcnt(0)
	; wave barrier
	scratch_load_dwordx2 v[36:37], v34, off
	s_waitcnt vmcnt(0)
	v_cmp_eq_f32_e32 vcc, 0, v36
	v_cmp_eq_f32_e64 s[4:5], 0, v37
	s_and_b64 s[4:5], vcc, s[4:5]
	s_and_saveexec_b64 s[12:13], s[4:5]
	s_cbranch_execz .LBB79_10
; %bb.7:
	v_mov_b32_e32 v1, 0
	ds_read_b32 v36, v1 offset:256
	v_add_u32_e32 v35, 1, v0
	s_waitcnt lgkmcnt(0)
	v_readfirstlane_b32 s4, v36
	s_cmp_eq_u32 s4, 0
	s_cselect_b64 s[14:15], -1, 0
	v_cmp_gt_i32_e32 vcc, s4, v35
	s_or_b64 s[14:15], s[14:15], vcc
	s_and_b64 exec, exec, s[14:15]
	s_cbranch_execz .LBB79_10
; %bb.8:
	s_mov_b64 s[14:15], 0
	v_mov_b32_e32 v36, s4
.LBB79_9:                               ; =>This Inner Loop Header: Depth=1
	ds_cmpst_rtn_b32 v36, v1, v36, v35 offset:256
	s_waitcnt lgkmcnt(0)
	v_cmp_ne_u32_e32 vcc, 0, v36
	v_cmp_le_i32_e64 s[4:5], v36, v35
	s_and_b64 s[4:5], vcc, s[4:5]
	s_and_b64 s[4:5], exec, s[4:5]
	s_or_b64 s[14:15], s[4:5], s[14:15]
	s_andn2_b64 exec, exec, s[14:15]
	s_cbranch_execnz .LBB79_9
.LBB79_10:
	s_or_b64 exec, exec, s[12:13]
	v_mov_b32_e32 v35, 0
	; wave barrier
	ds_read_b32 v1, v35 offset:256
	s_and_saveexec_b64 s[4:5], s[0:1]
	s_cbranch_execz .LBB79_12
; %bb.11:
	s_lshl_b64 s[12:13], s[2:3], 2
	s_add_u32 s12, s6, s12
	s_addc_u32 s13, s7, s13
	s_waitcnt lgkmcnt(0)
	global_store_dword v35, v1, s[12:13]
.LBB79_12:
	s_or_b64 exec, exec, s[4:5]
	s_waitcnt lgkmcnt(0)
	v_cmp_ne_u32_e32 vcc, 0, v1
	s_mov_b64 s[4:5], 0
	s_cbranch_vccnz .LBB79_76
; %bb.13:
	v_mov_b32_e32 v35, v34
	scratch_load_dwordx2 v[36:37], v35, off
                                        ; implicit-def: $vgpr39
                                        ; implicit-def: $vgpr40
	s_waitcnt vmcnt(0)
	v_cmp_ngt_f32_e64 s[4:5], |v36|, |v37|
	s_and_saveexec_b64 s[12:13], s[4:5]
	s_xor_b64 s[4:5], exec, s[12:13]
	s_cbranch_execz .LBB79_15
; %bb.14:
	v_div_scale_f32 v1, s[12:13], v37, v37, v36
	v_rcp_f32_e32 v38, v1
	v_div_scale_f32 v39, vcc, v36, v37, v36
	v_fma_f32 v40, -v1, v38, 1.0
	v_fmac_f32_e32 v38, v40, v38
	v_mul_f32_e32 v40, v39, v38
	v_fma_f32 v41, -v1, v40, v39
	v_fmac_f32_e32 v40, v41, v38
	v_fma_f32 v1, -v1, v40, v39
	v_div_fmas_f32 v1, v1, v38, v40
	v_div_fixup_f32 v1, v1, v37, v36
	v_fmac_f32_e32 v37, v36, v1
	v_div_scale_f32 v36, s[12:13], v37, v37, -1.0
	v_rcp_f32_e32 v38, v36
	s_nop 0
	v_fma_f32 v39, -v36, v38, 1.0
	v_fmac_f32_e32 v38, v39, v38
	v_div_scale_f32 v39, vcc, -1.0, v37, -1.0
	v_mul_f32_e32 v40, v39, v38
	v_fma_f32 v41, -v36, v40, v39
	v_fmac_f32_e32 v40, v41, v38
	v_fma_f32 v36, -v36, v40, v39
	v_div_fmas_f32 v36, v36, v38, v40
	v_div_fixup_f32 v39, v36, v37, -1.0
	v_mul_f32_e32 v40, v1, v39
	v_xor_b32_e32 v38, 0x80000000, v40
                                        ; implicit-def: $vgpr36_vgpr37
.LBB79_15:
	s_andn2_saveexec_b64 s[4:5], s[4:5]
	s_cbranch_execz .LBB79_17
; %bb.16:
	v_div_scale_f32 v1, s[12:13], v36, v36, v37
	v_rcp_f32_e32 v38, v1
	v_div_scale_f32 v39, vcc, v37, v36, v37
	v_fma_f32 v40, -v1, v38, 1.0
	v_fmac_f32_e32 v38, v40, v38
	v_mul_f32_e32 v40, v39, v38
	v_fma_f32 v41, -v1, v40, v39
	v_fmac_f32_e32 v40, v41, v38
	v_fma_f32 v1, -v1, v40, v39
	v_div_fmas_f32 v1, v1, v38, v40
	v_div_fixup_f32 v1, v1, v36, v37
	v_fmac_f32_e32 v36, v37, v1
	v_div_scale_f32 v37, s[12:13], v36, v36, 1.0
	v_rcp_f32_e32 v38, v37
	s_nop 0
	v_fma_f32 v39, -v37, v38, 1.0
	v_fmac_f32_e32 v38, v39, v38
	v_div_scale_f32 v39, vcc, 1.0, v36, 1.0
	v_mul_f32_e32 v40, v39, v38
	v_fma_f32 v41, -v37, v40, v39
	v_fmac_f32_e32 v40, v41, v38
	v_fma_f32 v37, -v37, v40, v39
	v_div_fmas_f32 v37, v37, v38, v40
	v_div_fixup_f32 v38, v37, v36, 1.0
	v_xor_b32_e32 v40, 0x80000000, v38
	v_mul_f32_e64 v39, v1, -v38
.LBB79_17:
	s_or_b64 exec, exec, s[4:5]
	scratch_store_dwordx2 v35, v[38:39], off
	scratch_load_dwordx2 v[36:37], off, off offset:8
	v_xor_b32_e32 v41, 0x80000000, v39
	v_add_u32_e32 v1, 0x80, v34
	s_waitcnt vmcnt(0)
	ds_write2_b64 v34, v[40:41], v[36:37] offset1:16
	s_waitcnt lgkmcnt(0)
	; wave barrier
	s_and_saveexec_b64 s[4:5], s[0:1]
	s_cbranch_execz .LBB79_19
; %bb.18:
	scratch_load_dwordx2 v[36:37], v35, off
	ds_read_b64 v[38:39], v1
	v_mov_b32_e32 v40, 0
	ds_read_b64 v[40:41], v40 offset:8
	s_waitcnt vmcnt(0) lgkmcnt(1)
	v_pk_mul_f32 v[42:43], v[38:39], v[36:37] op_sel:[1,1] op_sel_hi:[0,1]
	v_pk_fma_f32 v[44:45], v[38:39], v[36:37], v[42:43] neg_lo:[0,0,1] neg_hi:[0,0,1]
	v_pk_fma_f32 v[36:37], v[38:39], v[36:37], v[42:43] op_sel_hi:[1,0,1]
	s_nop 0
	v_mov_b32_e32 v45, v37
	v_pk_add_f32 v[36:37], v[44:45], 0 op_sel_hi:[1,0]
	s_waitcnt lgkmcnt(0)
	v_pk_mul_f32 v[38:39], v[36:37], v[40:41] op_sel:[1,1] op_sel_hi:[0,1]
	v_pk_fma_f32 v[42:43], v[36:37], v[40:41], v[38:39] neg_lo:[0,0,1] neg_hi:[0,0,1]
	v_pk_fma_f32 v[36:37], v[36:37], v[40:41], v[38:39] op_sel_hi:[1,0,1]
	s_nop 0
	v_mov_b32_e32 v43, v37
	scratch_store_dwordx2 off, v[42:43], off offset:8
.LBB79_19:
	s_or_b64 exec, exec, s[4:5]
	; wave barrier
	scratch_load_dwordx2 v[36:37], off, off offset:16
	v_cmp_gt_u32_e32 vcc, 2, v0
	s_waitcnt vmcnt(0)
	ds_write_b64 v1, v[36:37]
	s_waitcnt lgkmcnt(0)
	; wave barrier
	s_and_saveexec_b64 s[4:5], vcc
	s_cbranch_execz .LBB79_23
; %bb.20:
	scratch_load_dwordx2 v[36:37], v35, off
	ds_read_b64 v[38:39], v1
	s_waitcnt vmcnt(0) lgkmcnt(0)
	v_pk_mul_f32 v[40:41], v[38:39], v[36:37] op_sel:[1,1] op_sel_hi:[0,1]
	v_pk_fma_f32 v[42:43], v[38:39], v[36:37], v[40:41] neg_lo:[0,0,1] neg_hi:[0,0,1]
	v_pk_fma_f32 v[36:37], v[38:39], v[36:37], v[40:41] op_sel_hi:[1,0,1]
	s_nop 0
	v_mov_b32_e32 v43, v37
	v_pk_add_f32 v[36:37], v[42:43], 0 op_sel_hi:[1,0]
	s_and_saveexec_b64 s[12:13], s[0:1]
	s_cbranch_execz .LBB79_22
; %bb.21:
	scratch_load_dwordx2 v[38:39], off, off offset:8
	v_mov_b32_e32 v35, 0
	ds_read_b64 v[40:41], v35 offset:136
	s_waitcnt vmcnt(0) lgkmcnt(0)
	v_pk_mul_f32 v[42:43], v[40:41], v[38:39] op_sel:[1,1] op_sel_hi:[0,1]
	v_pk_fma_f32 v[44:45], v[40:41], v[38:39], v[42:43] neg_lo:[0,0,1] neg_hi:[0,0,1]
	v_pk_fma_f32 v[38:39], v[40:41], v[38:39], v[42:43] op_sel_hi:[1,0,1]
	s_nop 0
	v_mov_b32_e32 v45, v39
	v_pk_add_f32 v[36:37], v[36:37], v[44:45]
.LBB79_22:
	s_or_b64 exec, exec, s[12:13]
	v_mov_b32_e32 v35, 0
	ds_read_b64 v[38:39], v35 offset:16
	s_waitcnt lgkmcnt(0)
	v_pk_mul_f32 v[40:41], v[36:37], v[38:39] op_sel:[1,1] op_sel_hi:[0,1]
	v_pk_fma_f32 v[42:43], v[36:37], v[38:39], v[40:41] neg_lo:[0,0,1] neg_hi:[0,0,1]
	v_pk_fma_f32 v[36:37], v[36:37], v[38:39], v[40:41] op_sel_hi:[1,0,1]
	s_nop 0
	v_mov_b32_e32 v43, v37
	scratch_store_dwordx2 off, v[42:43], off offset:16
.LBB79_23:
	s_or_b64 exec, exec, s[4:5]
	; wave barrier
	scratch_load_dwordx2 v[36:37], off, off offset:24
	v_cmp_gt_u32_e32 vcc, 3, v0
	v_add_u32_e32 v38, -1, v0
	s_waitcnt vmcnt(0)
	ds_write_b64 v1, v[36:37]
	s_waitcnt lgkmcnt(0)
	; wave barrier
	s_and_saveexec_b64 s[0:1], vcc
	s_cbranch_execz .LBB79_27
; %bb.24:
	v_mov_b32_e32 v36, 0
	v_add_u32_e32 v35, -1, v0
	v_add_u32_e32 v39, 0x80, v34
	v_mov_b32_e32 v40, v34
	s_mov_b64 s[4:5], 0
	v_mov_b32_e32 v37, v36
.LBB79_25:                              ; =>This Inner Loop Header: Depth=1
	scratch_load_dwordx2 v[42:43], v40, off
	ds_read_b64 v[44:45], v39
	v_add_u32_e32 v35, 1, v35
	v_cmp_lt_u32_e32 vcc, 1, v35
	v_add_u32_e32 v39, 8, v39
	v_add_u32_e32 v40, 8, v40
	s_or_b64 s[4:5], vcc, s[4:5]
	s_waitcnt vmcnt(0) lgkmcnt(0)
	v_pk_mul_f32 v[46:47], v[44:45], v[42:43] op_sel:[1,1] op_sel_hi:[0,1]
	v_pk_fma_f32 v[48:49], v[44:45], v[42:43], v[46:47] neg_lo:[0,0,1] neg_hi:[0,0,1]
	v_pk_fma_f32 v[42:43], v[44:45], v[42:43], v[46:47] op_sel_hi:[1,0,1]
	s_nop 0
	v_mov_b32_e32 v49, v43
	v_pk_add_f32 v[36:37], v[36:37], v[48:49]
	s_andn2_b64 exec, exec, s[4:5]
	s_cbranch_execnz .LBB79_25
; %bb.26:
	s_or_b64 exec, exec, s[4:5]
	v_mov_b32_e32 v35, 0
	ds_read_b64 v[40:41], v35 offset:24
	s_waitcnt lgkmcnt(0)
	v_pk_mul_f32 v[42:43], v[36:37], v[40:41] op_sel:[1,1] op_sel_hi:[0,1]
	v_pk_fma_f32 v[44:45], v[36:37], v[40:41], v[42:43] neg_lo:[0,0,1] neg_hi:[0,0,1]
	v_pk_fma_f32 v[36:37], v[36:37], v[40:41], v[42:43] op_sel_hi:[1,0,1]
	s_nop 0
	v_mov_b32_e32 v45, v37
	scratch_store_dwordx2 off, v[44:45], off offset:24
.LBB79_27:
	s_or_b64 exec, exec, s[0:1]
	; wave barrier
	scratch_load_dwordx2 v[36:37], off, off offset:32
	v_cmp_gt_u32_e32 vcc, 4, v0
	s_waitcnt vmcnt(0)
	ds_write_b64 v1, v[36:37]
	s_waitcnt lgkmcnt(0)
	; wave barrier
	s_and_saveexec_b64 s[0:1], vcc
	s_cbranch_execz .LBB79_31
; %bb.28:
	v_mov_b32_e32 v36, 0
	v_add_u32_e32 v35, -1, v0
	v_add_u32_e32 v39, 0x80, v34
	v_mov_b32_e32 v40, v34
	s_mov_b64 s[4:5], 0
	v_mov_b32_e32 v37, v36
.LBB79_29:                              ; =>This Inner Loop Header: Depth=1
	scratch_load_dwordx2 v[42:43], v40, off
	ds_read_b64 v[44:45], v39
	v_add_u32_e32 v35, 1, v35
	v_cmp_lt_u32_e32 vcc, 2, v35
	v_add_u32_e32 v39, 8, v39
	v_add_u32_e32 v40, 8, v40
	s_or_b64 s[4:5], vcc, s[4:5]
	s_waitcnt vmcnt(0) lgkmcnt(0)
	v_pk_mul_f32 v[46:47], v[44:45], v[42:43] op_sel:[1,1] op_sel_hi:[0,1]
	v_pk_fma_f32 v[48:49], v[44:45], v[42:43], v[46:47] neg_lo:[0,0,1] neg_hi:[0,0,1]
	v_pk_fma_f32 v[42:43], v[44:45], v[42:43], v[46:47] op_sel_hi:[1,0,1]
	s_nop 0
	v_mov_b32_e32 v49, v43
	v_pk_add_f32 v[36:37], v[36:37], v[48:49]
	s_andn2_b64 exec, exec, s[4:5]
	s_cbranch_execnz .LBB79_29
; %bb.30:
	s_or_b64 exec, exec, s[4:5]
	v_mov_b32_e32 v35, 0
	ds_read_b64 v[40:41], v35 offset:32
	s_waitcnt lgkmcnt(0)
	v_pk_mul_f32 v[42:43], v[36:37], v[40:41] op_sel:[1,1] op_sel_hi:[0,1]
	v_pk_fma_f32 v[44:45], v[36:37], v[40:41], v[42:43] neg_lo:[0,0,1] neg_hi:[0,0,1]
	v_pk_fma_f32 v[36:37], v[36:37], v[40:41], v[42:43] op_sel_hi:[1,0,1]
	s_nop 0
	v_mov_b32_e32 v45, v37
	scratch_store_dwordx2 off, v[44:45], off offset:32
.LBB79_31:
	s_or_b64 exec, exec, s[0:1]
	; wave barrier
	scratch_load_dwordx2 v[36:37], off, off offset:40
	v_cmp_gt_u32_e32 vcc, 5, v0
	s_waitcnt vmcnt(0)
	ds_write_b64 v1, v[36:37]
	s_waitcnt lgkmcnt(0)
	; wave barrier
	s_and_saveexec_b64 s[0:1], vcc
	s_cbranch_execz .LBB79_35
; %bb.32:
	v_mov_b32_e32 v36, 0
	v_add_u32_e32 v35, -1, v0
	v_add_u32_e32 v39, 0x80, v34
	v_mov_b32_e32 v40, v34
	s_mov_b64 s[4:5], 0
	v_mov_b32_e32 v37, v36
.LBB79_33:                              ; =>This Inner Loop Header: Depth=1
	scratch_load_dwordx2 v[42:43], v40, off
	ds_read_b64 v[44:45], v39
	v_add_u32_e32 v35, 1, v35
	v_cmp_lt_u32_e32 vcc, 3, v35
	v_add_u32_e32 v39, 8, v39
	v_add_u32_e32 v40, 8, v40
	s_or_b64 s[4:5], vcc, s[4:5]
	s_waitcnt vmcnt(0) lgkmcnt(0)
	v_pk_mul_f32 v[46:47], v[44:45], v[42:43] op_sel:[1,1] op_sel_hi:[0,1]
	v_pk_fma_f32 v[48:49], v[44:45], v[42:43], v[46:47] neg_lo:[0,0,1] neg_hi:[0,0,1]
	v_pk_fma_f32 v[42:43], v[44:45], v[42:43], v[46:47] op_sel_hi:[1,0,1]
	s_nop 0
	v_mov_b32_e32 v49, v43
	v_pk_add_f32 v[36:37], v[36:37], v[48:49]
	s_andn2_b64 exec, exec, s[4:5]
	s_cbranch_execnz .LBB79_33
; %bb.34:
	s_or_b64 exec, exec, s[4:5]
	v_mov_b32_e32 v35, 0
	ds_read_b64 v[40:41], v35 offset:40
	s_waitcnt lgkmcnt(0)
	v_pk_mul_f32 v[42:43], v[36:37], v[40:41] op_sel:[1,1] op_sel_hi:[0,1]
	v_pk_fma_f32 v[44:45], v[36:37], v[40:41], v[42:43] neg_lo:[0,0,1] neg_hi:[0,0,1]
	v_pk_fma_f32 v[36:37], v[36:37], v[40:41], v[42:43] op_sel_hi:[1,0,1]
	s_nop 0
	v_mov_b32_e32 v45, v37
	scratch_store_dwordx2 off, v[44:45], off offset:40
.LBB79_35:
	s_or_b64 exec, exec, s[0:1]
	; wave barrier
	scratch_load_dwordx2 v[36:37], off, off offset:48
	v_cmp_gt_u32_e32 vcc, 6, v0
	s_waitcnt vmcnt(0)
	ds_write_b64 v1, v[36:37]
	s_waitcnt lgkmcnt(0)
	; wave barrier
	s_and_saveexec_b64 s[0:1], vcc
	s_cbranch_execz .LBB79_39
; %bb.36:
	v_mov_b32_e32 v36, 0
	v_add_u32_e32 v35, -1, v0
	v_add_u32_e32 v39, 0x80, v34
	v_mov_b32_e32 v40, v34
	s_mov_b64 s[4:5], 0
	v_mov_b32_e32 v37, v36
.LBB79_37:                              ; =>This Inner Loop Header: Depth=1
	scratch_load_dwordx2 v[42:43], v40, off
	ds_read_b64 v[44:45], v39
	v_add_u32_e32 v35, 1, v35
	v_cmp_lt_u32_e32 vcc, 4, v35
	v_add_u32_e32 v39, 8, v39
	v_add_u32_e32 v40, 8, v40
	s_or_b64 s[4:5], vcc, s[4:5]
	s_waitcnt vmcnt(0) lgkmcnt(0)
	v_pk_mul_f32 v[46:47], v[44:45], v[42:43] op_sel:[1,1] op_sel_hi:[0,1]
	v_pk_fma_f32 v[48:49], v[44:45], v[42:43], v[46:47] neg_lo:[0,0,1] neg_hi:[0,0,1]
	v_pk_fma_f32 v[42:43], v[44:45], v[42:43], v[46:47] op_sel_hi:[1,0,1]
	s_nop 0
	v_mov_b32_e32 v49, v43
	v_pk_add_f32 v[36:37], v[36:37], v[48:49]
	s_andn2_b64 exec, exec, s[4:5]
	s_cbranch_execnz .LBB79_37
; %bb.38:
	s_or_b64 exec, exec, s[4:5]
	v_mov_b32_e32 v35, 0
	ds_read_b64 v[40:41], v35 offset:48
	s_waitcnt lgkmcnt(0)
	v_pk_mul_f32 v[42:43], v[36:37], v[40:41] op_sel:[1,1] op_sel_hi:[0,1]
	v_pk_fma_f32 v[44:45], v[36:37], v[40:41], v[42:43] neg_lo:[0,0,1] neg_hi:[0,0,1]
	v_pk_fma_f32 v[36:37], v[36:37], v[40:41], v[42:43] op_sel_hi:[1,0,1]
	s_nop 0
	v_mov_b32_e32 v45, v37
	scratch_store_dwordx2 off, v[44:45], off offset:48
.LBB79_39:
	s_or_b64 exec, exec, s[0:1]
	; wave barrier
	scratch_load_dwordx2 v[36:37], off, off offset:56
	v_cmp_gt_u32_e32 vcc, 7, v0
	s_waitcnt vmcnt(0)
	ds_write_b64 v1, v[36:37]
	s_waitcnt lgkmcnt(0)
	; wave barrier
	s_and_saveexec_b64 s[0:1], vcc
	s_cbranch_execz .LBB79_43
; %bb.40:
	v_mov_b32_e32 v36, 0
	v_add_u32_e32 v35, -1, v0
	v_add_u32_e32 v39, 0x80, v34
	v_mov_b32_e32 v40, v34
	s_mov_b64 s[4:5], 0
	v_mov_b32_e32 v37, v36
.LBB79_41:                              ; =>This Inner Loop Header: Depth=1
	scratch_load_dwordx2 v[42:43], v40, off
	ds_read_b64 v[44:45], v39
	v_add_u32_e32 v35, 1, v35
	v_cmp_lt_u32_e32 vcc, 5, v35
	v_add_u32_e32 v39, 8, v39
	v_add_u32_e32 v40, 8, v40
	s_or_b64 s[4:5], vcc, s[4:5]
	s_waitcnt vmcnt(0) lgkmcnt(0)
	v_pk_mul_f32 v[46:47], v[44:45], v[42:43] op_sel:[1,1] op_sel_hi:[0,1]
	v_pk_fma_f32 v[48:49], v[44:45], v[42:43], v[46:47] neg_lo:[0,0,1] neg_hi:[0,0,1]
	v_pk_fma_f32 v[42:43], v[44:45], v[42:43], v[46:47] op_sel_hi:[1,0,1]
	s_nop 0
	v_mov_b32_e32 v49, v43
	v_pk_add_f32 v[36:37], v[36:37], v[48:49]
	s_andn2_b64 exec, exec, s[4:5]
	s_cbranch_execnz .LBB79_41
; %bb.42:
	s_or_b64 exec, exec, s[4:5]
	v_mov_b32_e32 v35, 0
	ds_read_b64 v[40:41], v35 offset:56
	s_waitcnt lgkmcnt(0)
	v_pk_mul_f32 v[42:43], v[36:37], v[40:41] op_sel:[1,1] op_sel_hi:[0,1]
	v_pk_fma_f32 v[44:45], v[36:37], v[40:41], v[42:43] neg_lo:[0,0,1] neg_hi:[0,0,1]
	v_pk_fma_f32 v[36:37], v[36:37], v[40:41], v[42:43] op_sel_hi:[1,0,1]
	s_nop 0
	v_mov_b32_e32 v45, v37
	scratch_store_dwordx2 off, v[44:45], off offset:56
.LBB79_43:
	s_or_b64 exec, exec, s[0:1]
	; wave barrier
	scratch_load_dwordx2 v[36:37], off, off offset:64
	v_cmp_gt_u32_e32 vcc, 8, v0
	s_waitcnt vmcnt(0)
	ds_write_b64 v1, v[36:37]
	s_waitcnt lgkmcnt(0)
	; wave barrier
	s_and_saveexec_b64 s[0:1], vcc
	s_cbranch_execz .LBB79_47
; %bb.44:
	v_mov_b32_e32 v36, 0
	v_add_u32_e32 v35, -1, v0
	v_add_u32_e32 v39, 0x80, v34
	v_mov_b32_e32 v40, v34
	s_mov_b64 s[4:5], 0
	v_mov_b32_e32 v37, v36
.LBB79_45:                              ; =>This Inner Loop Header: Depth=1
	scratch_load_dwordx2 v[42:43], v40, off
	ds_read_b64 v[44:45], v39
	v_add_u32_e32 v35, 1, v35
	v_cmp_lt_u32_e32 vcc, 6, v35
	v_add_u32_e32 v39, 8, v39
	v_add_u32_e32 v40, 8, v40
	s_or_b64 s[4:5], vcc, s[4:5]
	s_waitcnt vmcnt(0) lgkmcnt(0)
	v_pk_mul_f32 v[46:47], v[44:45], v[42:43] op_sel:[1,1] op_sel_hi:[0,1]
	v_pk_fma_f32 v[48:49], v[44:45], v[42:43], v[46:47] neg_lo:[0,0,1] neg_hi:[0,0,1]
	v_pk_fma_f32 v[42:43], v[44:45], v[42:43], v[46:47] op_sel_hi:[1,0,1]
	s_nop 0
	v_mov_b32_e32 v49, v43
	v_pk_add_f32 v[36:37], v[36:37], v[48:49]
	s_andn2_b64 exec, exec, s[4:5]
	s_cbranch_execnz .LBB79_45
; %bb.46:
	s_or_b64 exec, exec, s[4:5]
	v_mov_b32_e32 v35, 0
	ds_read_b64 v[40:41], v35 offset:64
	s_waitcnt lgkmcnt(0)
	v_pk_mul_f32 v[42:43], v[36:37], v[40:41] op_sel:[1,1] op_sel_hi:[0,1]
	v_pk_fma_f32 v[44:45], v[36:37], v[40:41], v[42:43] neg_lo:[0,0,1] neg_hi:[0,0,1]
	v_pk_fma_f32 v[36:37], v[36:37], v[40:41], v[42:43] op_sel_hi:[1,0,1]
	s_nop 0
	v_mov_b32_e32 v45, v37
	scratch_store_dwordx2 off, v[44:45], off offset:64
.LBB79_47:
	s_or_b64 exec, exec, s[0:1]
	; wave barrier
	scratch_load_dwordx2 v[36:37], off, off offset:72
	v_cmp_gt_u32_e32 vcc, 9, v0
	s_waitcnt vmcnt(0)
	ds_write_b64 v1, v[36:37]
	s_waitcnt lgkmcnt(0)
	; wave barrier
	s_and_saveexec_b64 s[0:1], vcc
	s_cbranch_execz .LBB79_51
; %bb.48:
	v_mov_b32_e32 v36, 0
	v_add_u32_e32 v35, -1, v0
	v_add_u32_e32 v39, 0x80, v34
	v_mov_b32_e32 v40, v34
	s_mov_b64 s[4:5], 0
	v_mov_b32_e32 v37, v36
.LBB79_49:                              ; =>This Inner Loop Header: Depth=1
	scratch_load_dwordx2 v[42:43], v40, off
	ds_read_b64 v[44:45], v39
	v_add_u32_e32 v35, 1, v35
	v_cmp_lt_u32_e32 vcc, 7, v35
	v_add_u32_e32 v39, 8, v39
	v_add_u32_e32 v40, 8, v40
	s_or_b64 s[4:5], vcc, s[4:5]
	s_waitcnt vmcnt(0) lgkmcnt(0)
	v_pk_mul_f32 v[46:47], v[44:45], v[42:43] op_sel:[1,1] op_sel_hi:[0,1]
	v_pk_fma_f32 v[48:49], v[44:45], v[42:43], v[46:47] neg_lo:[0,0,1] neg_hi:[0,0,1]
	v_pk_fma_f32 v[42:43], v[44:45], v[42:43], v[46:47] op_sel_hi:[1,0,1]
	s_nop 0
	v_mov_b32_e32 v49, v43
	v_pk_add_f32 v[36:37], v[36:37], v[48:49]
	s_andn2_b64 exec, exec, s[4:5]
	s_cbranch_execnz .LBB79_49
; %bb.50:
	s_or_b64 exec, exec, s[4:5]
	v_mov_b32_e32 v35, 0
	ds_read_b64 v[40:41], v35 offset:72
	s_waitcnt lgkmcnt(0)
	v_pk_mul_f32 v[42:43], v[36:37], v[40:41] op_sel:[1,1] op_sel_hi:[0,1]
	v_pk_fma_f32 v[44:45], v[36:37], v[40:41], v[42:43] neg_lo:[0,0,1] neg_hi:[0,0,1]
	v_pk_fma_f32 v[36:37], v[36:37], v[40:41], v[42:43] op_sel_hi:[1,0,1]
	s_nop 0
	v_mov_b32_e32 v45, v37
	scratch_store_dwordx2 off, v[44:45], off offset:72
.LBB79_51:
	s_or_b64 exec, exec, s[0:1]
	; wave barrier
	scratch_load_dwordx2 v[36:37], off, off offset:80
	v_cmp_gt_u32_e32 vcc, 10, v0
	s_waitcnt vmcnt(0)
	ds_write_b64 v1, v[36:37]
	s_waitcnt lgkmcnt(0)
	; wave barrier
	s_and_saveexec_b64 s[0:1], vcc
	s_cbranch_execz .LBB79_55
; %bb.52:
	v_mov_b32_e32 v36, 0
	v_add_u32_e32 v35, -1, v0
	v_add_u32_e32 v39, 0x80, v34
	v_mov_b32_e32 v40, v34
	s_mov_b64 s[4:5], 0
	v_mov_b32_e32 v37, v36
.LBB79_53:                              ; =>This Inner Loop Header: Depth=1
	scratch_load_dwordx2 v[42:43], v40, off
	ds_read_b64 v[44:45], v39
	v_add_u32_e32 v35, 1, v35
	v_cmp_lt_u32_e32 vcc, 8, v35
	v_add_u32_e32 v39, 8, v39
	v_add_u32_e32 v40, 8, v40
	s_or_b64 s[4:5], vcc, s[4:5]
	s_waitcnt vmcnt(0) lgkmcnt(0)
	v_pk_mul_f32 v[46:47], v[44:45], v[42:43] op_sel:[1,1] op_sel_hi:[0,1]
	v_pk_fma_f32 v[48:49], v[44:45], v[42:43], v[46:47] neg_lo:[0,0,1] neg_hi:[0,0,1]
	v_pk_fma_f32 v[42:43], v[44:45], v[42:43], v[46:47] op_sel_hi:[1,0,1]
	s_nop 0
	v_mov_b32_e32 v49, v43
	v_pk_add_f32 v[36:37], v[36:37], v[48:49]
	s_andn2_b64 exec, exec, s[4:5]
	s_cbranch_execnz .LBB79_53
; %bb.54:
	s_or_b64 exec, exec, s[4:5]
	v_mov_b32_e32 v35, 0
	ds_read_b64 v[40:41], v35 offset:80
	s_waitcnt lgkmcnt(0)
	v_pk_mul_f32 v[42:43], v[36:37], v[40:41] op_sel:[1,1] op_sel_hi:[0,1]
	v_pk_fma_f32 v[44:45], v[36:37], v[40:41], v[42:43] neg_lo:[0,0,1] neg_hi:[0,0,1]
	v_pk_fma_f32 v[36:37], v[36:37], v[40:41], v[42:43] op_sel_hi:[1,0,1]
	s_nop 0
	v_mov_b32_e32 v45, v37
	scratch_store_dwordx2 off, v[44:45], off offset:80
.LBB79_55:
	s_or_b64 exec, exec, s[0:1]
	; wave barrier
	scratch_load_dwordx2 v[36:37], off, off offset:88
	v_cmp_gt_u32_e32 vcc, 11, v0
	s_waitcnt vmcnt(0)
	ds_write_b64 v1, v[36:37]
	s_waitcnt lgkmcnt(0)
	; wave barrier
	s_and_saveexec_b64 s[0:1], vcc
	s_cbranch_execz .LBB79_59
; %bb.56:
	v_mov_b32_e32 v36, 0
	v_add_u32_e32 v35, -1, v0
	v_add_u32_e32 v39, 0x80, v34
	v_mov_b32_e32 v40, v34
	s_mov_b64 s[4:5], 0
	v_mov_b32_e32 v37, v36
.LBB79_57:                              ; =>This Inner Loop Header: Depth=1
	scratch_load_dwordx2 v[42:43], v40, off
	ds_read_b64 v[44:45], v39
	v_add_u32_e32 v35, 1, v35
	v_cmp_lt_u32_e32 vcc, 9, v35
	v_add_u32_e32 v39, 8, v39
	v_add_u32_e32 v40, 8, v40
	s_or_b64 s[4:5], vcc, s[4:5]
	s_waitcnt vmcnt(0) lgkmcnt(0)
	v_pk_mul_f32 v[46:47], v[44:45], v[42:43] op_sel:[1,1] op_sel_hi:[0,1]
	v_pk_fma_f32 v[48:49], v[44:45], v[42:43], v[46:47] neg_lo:[0,0,1] neg_hi:[0,0,1]
	v_pk_fma_f32 v[42:43], v[44:45], v[42:43], v[46:47] op_sel_hi:[1,0,1]
	s_nop 0
	v_mov_b32_e32 v49, v43
	v_pk_add_f32 v[36:37], v[36:37], v[48:49]
	s_andn2_b64 exec, exec, s[4:5]
	s_cbranch_execnz .LBB79_57
; %bb.58:
	s_or_b64 exec, exec, s[4:5]
	v_mov_b32_e32 v35, 0
	ds_read_b64 v[40:41], v35 offset:88
	s_waitcnt lgkmcnt(0)
	v_pk_mul_f32 v[42:43], v[36:37], v[40:41] op_sel:[1,1] op_sel_hi:[0,1]
	v_pk_fma_f32 v[44:45], v[36:37], v[40:41], v[42:43] neg_lo:[0,0,1] neg_hi:[0,0,1]
	v_pk_fma_f32 v[36:37], v[36:37], v[40:41], v[42:43] op_sel_hi:[1,0,1]
	s_nop 0
	v_mov_b32_e32 v45, v37
	scratch_store_dwordx2 off, v[44:45], off offset:88
.LBB79_59:
	s_or_b64 exec, exec, s[0:1]
	; wave barrier
	scratch_load_dwordx2 v[36:37], off, off offset:96
	v_cmp_gt_u32_e32 vcc, 12, v0
	s_waitcnt vmcnt(0)
	ds_write_b64 v1, v[36:37]
	s_waitcnt lgkmcnt(0)
	; wave barrier
	s_and_saveexec_b64 s[0:1], vcc
	s_cbranch_execz .LBB79_63
; %bb.60:
	v_mov_b32_e32 v36, 0
	v_add_u32_e32 v35, -1, v0
	v_add_u32_e32 v39, 0x80, v34
	v_mov_b32_e32 v40, v34
	s_mov_b64 s[4:5], 0
	v_mov_b32_e32 v37, v36
.LBB79_61:                              ; =>This Inner Loop Header: Depth=1
	scratch_load_dwordx2 v[42:43], v40, off
	ds_read_b64 v[44:45], v39
	v_add_u32_e32 v35, 1, v35
	v_cmp_lt_u32_e32 vcc, 10, v35
	v_add_u32_e32 v39, 8, v39
	v_add_u32_e32 v40, 8, v40
	s_or_b64 s[4:5], vcc, s[4:5]
	s_waitcnt vmcnt(0) lgkmcnt(0)
	v_pk_mul_f32 v[46:47], v[44:45], v[42:43] op_sel:[1,1] op_sel_hi:[0,1]
	v_pk_fma_f32 v[48:49], v[44:45], v[42:43], v[46:47] neg_lo:[0,0,1] neg_hi:[0,0,1]
	v_pk_fma_f32 v[42:43], v[44:45], v[42:43], v[46:47] op_sel_hi:[1,0,1]
	s_nop 0
	v_mov_b32_e32 v49, v43
	v_pk_add_f32 v[36:37], v[36:37], v[48:49]
	s_andn2_b64 exec, exec, s[4:5]
	s_cbranch_execnz .LBB79_61
; %bb.62:
	s_or_b64 exec, exec, s[4:5]
	v_mov_b32_e32 v35, 0
	ds_read_b64 v[40:41], v35 offset:96
	s_waitcnt lgkmcnt(0)
	v_pk_mul_f32 v[42:43], v[36:37], v[40:41] op_sel:[1,1] op_sel_hi:[0,1]
	v_pk_fma_f32 v[44:45], v[36:37], v[40:41], v[42:43] neg_lo:[0,0,1] neg_hi:[0,0,1]
	v_pk_fma_f32 v[36:37], v[36:37], v[40:41], v[42:43] op_sel_hi:[1,0,1]
	s_nop 0
	v_mov_b32_e32 v45, v37
	scratch_store_dwordx2 off, v[44:45], off offset:96
.LBB79_63:
	s_or_b64 exec, exec, s[0:1]
	; wave barrier
	scratch_load_dwordx2 v[36:37], off, off offset:104
	v_cmp_gt_u32_e32 vcc, 13, v0
	s_waitcnt vmcnt(0)
	ds_write_b64 v1, v[36:37]
	s_waitcnt lgkmcnt(0)
	; wave barrier
	s_and_saveexec_b64 s[0:1], vcc
	s_cbranch_execz .LBB79_67
; %bb.64:
	v_mov_b32_e32 v36, 0
	v_add_u32_e32 v35, -1, v0
	v_add_u32_e32 v39, 0x80, v34
	v_mov_b32_e32 v40, v34
	s_mov_b64 s[4:5], 0
	v_mov_b32_e32 v37, v36
.LBB79_65:                              ; =>This Inner Loop Header: Depth=1
	scratch_load_dwordx2 v[42:43], v40, off
	ds_read_b64 v[44:45], v39
	v_add_u32_e32 v35, 1, v35
	v_cmp_lt_u32_e32 vcc, 11, v35
	v_add_u32_e32 v39, 8, v39
	v_add_u32_e32 v40, 8, v40
	s_or_b64 s[4:5], vcc, s[4:5]
	s_waitcnt vmcnt(0) lgkmcnt(0)
	v_pk_mul_f32 v[46:47], v[44:45], v[42:43] op_sel:[1,1] op_sel_hi:[0,1]
	v_pk_fma_f32 v[48:49], v[44:45], v[42:43], v[46:47] neg_lo:[0,0,1] neg_hi:[0,0,1]
	v_pk_fma_f32 v[42:43], v[44:45], v[42:43], v[46:47] op_sel_hi:[1,0,1]
	s_nop 0
	v_mov_b32_e32 v49, v43
	v_pk_add_f32 v[36:37], v[36:37], v[48:49]
	s_andn2_b64 exec, exec, s[4:5]
	s_cbranch_execnz .LBB79_65
; %bb.66:
	s_or_b64 exec, exec, s[4:5]
	v_mov_b32_e32 v35, 0
	ds_read_b64 v[40:41], v35 offset:104
	s_waitcnt lgkmcnt(0)
	v_pk_mul_f32 v[42:43], v[36:37], v[40:41] op_sel:[1,1] op_sel_hi:[0,1]
	v_pk_fma_f32 v[44:45], v[36:37], v[40:41], v[42:43] neg_lo:[0,0,1] neg_hi:[0,0,1]
	v_pk_fma_f32 v[36:37], v[36:37], v[40:41], v[42:43] op_sel_hi:[1,0,1]
	s_nop 0
	v_mov_b32_e32 v45, v37
	scratch_store_dwordx2 off, v[44:45], off offset:104
.LBB79_67:
	s_or_b64 exec, exec, s[0:1]
	; wave barrier
	scratch_load_dwordx2 v[36:37], off, off offset:112
	v_cmp_gt_u32_e32 vcc, 14, v0
	s_waitcnt vmcnt(0)
	ds_write_b64 v1, v[36:37]
	s_waitcnt lgkmcnt(0)
	; wave barrier
	s_and_saveexec_b64 s[0:1], vcc
	s_cbranch_execz .LBB79_71
; %bb.68:
	v_mov_b32_e32 v36, 0
	v_add_u32_e32 v35, -1, v0
	v_add_u32_e32 v39, 0x80, v34
	v_mov_b32_e32 v40, v34
	s_mov_b64 s[4:5], 0
	v_mov_b32_e32 v37, v36
.LBB79_69:                              ; =>This Inner Loop Header: Depth=1
	scratch_load_dwordx2 v[42:43], v40, off
	ds_read_b64 v[44:45], v39
	v_add_u32_e32 v35, 1, v35
	v_cmp_lt_u32_e32 vcc, 12, v35
	v_add_u32_e32 v39, 8, v39
	v_add_u32_e32 v40, 8, v40
	s_or_b64 s[4:5], vcc, s[4:5]
	s_waitcnt vmcnt(0) lgkmcnt(0)
	v_pk_mul_f32 v[46:47], v[44:45], v[42:43] op_sel:[1,1] op_sel_hi:[0,1]
	v_pk_fma_f32 v[48:49], v[44:45], v[42:43], v[46:47] neg_lo:[0,0,1] neg_hi:[0,0,1]
	v_pk_fma_f32 v[42:43], v[44:45], v[42:43], v[46:47] op_sel_hi:[1,0,1]
	s_nop 0
	v_mov_b32_e32 v49, v43
	v_pk_add_f32 v[36:37], v[36:37], v[48:49]
	s_andn2_b64 exec, exec, s[4:5]
	s_cbranch_execnz .LBB79_69
; %bb.70:
	s_or_b64 exec, exec, s[4:5]
	v_mov_b32_e32 v35, 0
	ds_read_b64 v[40:41], v35 offset:112
	s_waitcnt lgkmcnt(0)
	v_pk_mul_f32 v[42:43], v[36:37], v[40:41] op_sel:[1,1] op_sel_hi:[0,1]
	v_pk_fma_f32 v[44:45], v[36:37], v[40:41], v[42:43] neg_lo:[0,0,1] neg_hi:[0,0,1]
	v_pk_fma_f32 v[36:37], v[36:37], v[40:41], v[42:43] op_sel_hi:[1,0,1]
	s_nop 0
	v_mov_b32_e32 v45, v37
	scratch_store_dwordx2 off, v[44:45], off offset:112
.LBB79_71:
	s_or_b64 exec, exec, s[0:1]
	; wave barrier
	scratch_load_dwordx2 v[36:37], off, off offset:120
	v_cmp_ne_u32_e32 vcc, 15, v0
	s_waitcnt vmcnt(0)
	ds_write_b64 v1, v[36:37]
	s_waitcnt lgkmcnt(0)
	; wave barrier
	s_and_saveexec_b64 s[0:1], vcc
	s_cbranch_execz .LBB79_75
; %bb.72:
	v_add_u32_e32 v1, 0x80, v34
	v_mov_b32_e32 v36, v34
	v_mov_b32_e32 v34, 0
	s_mov_b64 s[4:5], 0
	v_mov_b32_e32 v35, v34
.LBB79_73:                              ; =>This Inner Loop Header: Depth=1
	scratch_load_dwordx2 v[40:41], v36, off
	ds_read_b64 v[42:43], v1
	v_add_u32_e32 v38, 1, v38
	v_cmp_lt_u32_e32 vcc, 13, v38
	v_add_u32_e32 v1, 8, v1
	v_add_u32_e32 v36, 8, v36
	s_or_b64 s[4:5], vcc, s[4:5]
	s_waitcnt vmcnt(0) lgkmcnt(0)
	v_pk_mul_f32 v[44:45], v[42:43], v[40:41] op_sel:[1,1] op_sel_hi:[0,1]
	v_pk_fma_f32 v[46:47], v[42:43], v[40:41], v[44:45] neg_lo:[0,0,1] neg_hi:[0,0,1]
	v_pk_fma_f32 v[40:41], v[42:43], v[40:41], v[44:45] op_sel_hi:[1,0,1]
	s_nop 0
	v_mov_b32_e32 v47, v41
	v_pk_add_f32 v[34:35], v[34:35], v[46:47]
	s_andn2_b64 exec, exec, s[4:5]
	s_cbranch_execnz .LBB79_73
; %bb.74:
	s_or_b64 exec, exec, s[4:5]
	v_mov_b32_e32 v1, 0
	ds_read_b64 v[36:37], v1 offset:120
	s_waitcnt lgkmcnt(0)
	v_pk_mul_f32 v[38:39], v[34:35], v[36:37] op_sel:[1,1] op_sel_hi:[0,1]
	v_pk_fma_f32 v[40:41], v[34:35], v[36:37], v[38:39] neg_lo:[0,0,1] neg_hi:[0,0,1]
	v_pk_fma_f32 v[34:35], v[34:35], v[36:37], v[38:39] op_sel_hi:[1,0,1]
	s_nop 0
	v_mov_b32_e32 v41, v35
	scratch_store_dwordx2 off, v[40:41], off offset:120
.LBB79_75:
	s_or_b64 exec, exec, s[0:1]
	s_mov_b64 s[4:5], -1
	; wave barrier
.LBB79_76:
	s_and_b64 vcc, exec, s[4:5]
	s_cbranch_vccz .LBB79_78
; %bb.77:
	s_lshl_b64 s[0:1], s[2:3], 2
	s_add_u32 s0, s6, s0
	s_addc_u32 s1, s7, s1
	v_mov_b32_e32 v1, 0
	global_load_dword v1, v1, s[0:1]
	s_waitcnt vmcnt(0)
	v_cmp_ne_u32_e32 vcc, 0, v1
	s_cbranch_vccz .LBB79_79
.LBB79_78:
	s_endpgm
.LBB79_79:
	v_mov_b32_e32 v1, 0x80
	v_lshl_add_u32 v1, v0, 3, v1
	v_cmp_eq_u32_e32 vcc, 15, v0
	s_and_saveexec_b64 s[0:1], vcc
	s_cbranch_execz .LBB79_81
; %bb.80:
	scratch_load_dwordx2 v[34:35], off, off offset:112
	v_mov_b32_e32 v36, 0
	v_mov_b32_e32 v37, v36
	scratch_store_dwordx2 off, v[36:37], off offset:112
	s_waitcnt vmcnt(1)
	ds_write_b64 v1, v[34:35]
.LBB79_81:
	s_or_b64 exec, exec, s[0:1]
	s_waitcnt lgkmcnt(0)
	; wave barrier
	scratch_load_dwordx2 v[36:37], off, off offset:120
	scratch_load_dwordx2 v[38:39], off, off offset:112
	v_mov_b32_e32 v34, 0
	ds_read_b64 v[40:41], v34 offset:248
	v_cmp_lt_u32_e32 vcc, 13, v0
	s_waitcnt vmcnt(1) lgkmcnt(0)
	v_pk_mul_f32 v[42:43], v[40:41], v[36:37] op_sel:[1,1] op_sel_hi:[0,1]
	v_pk_fma_f32 v[44:45], v[40:41], v[36:37], v[42:43] neg_lo:[0,0,1] neg_hi:[0,0,1]
	v_pk_fma_f32 v[36:37], v[40:41], v[36:37], v[42:43] op_sel_hi:[1,0,1]
	s_nop 0
	v_mov_b32_e32 v45, v37
	v_pk_add_f32 v[36:37], v[44:45], 0 op_sel_hi:[1,0]
	s_waitcnt vmcnt(0)
	v_pk_add_f32 v[36:37], v[38:39], v[36:37] neg_lo:[0,1] neg_hi:[0,1]
	scratch_store_dwordx2 off, v[36:37], off offset:112
	s_and_saveexec_b64 s[0:1], vcc
	s_cbranch_execz .LBB79_83
; %bb.82:
	scratch_load_dwordx2 v[36:37], off, off offset:104
	v_mov_b32_e32 v35, v34
	scratch_store_dwordx2 off, v[34:35], off offset:104
	s_waitcnt vmcnt(1)
	ds_write_b64 v1, v[36:37]
.LBB79_83:
	s_or_b64 exec, exec, s[0:1]
	s_waitcnt lgkmcnt(0)
	; wave barrier
	scratch_load_dwordx4 v[36:39], off, off offset:112
	scratch_load_dwordx2 v[44:45], off, off offset:104
	ds_read_b128 v[40:43], v34 offset:240
	v_cmp_lt_u32_e32 vcc, 12, v0
	s_waitcnt vmcnt(1) lgkmcnt(0)
	v_pk_mul_f32 v[34:35], v[40:41], v[36:37] op_sel:[1,1] op_sel_hi:[0,1]
	v_mov_b32_e32 v46, v39
	v_pk_fma_f32 v[48:49], v[40:41], v[36:37], v[34:35] neg_lo:[0,0,1] neg_hi:[0,0,1]
	v_pk_fma_f32 v[34:35], v[40:41], v[36:37], v[34:35] op_sel_hi:[1,0,1]
	v_pk_mul_f32 v[36:37], v[42:43], v[46:47] op_sel:[1,0] op_sel_hi:[0,0]
	v_mov_b32_e32 v49, v35
	v_pk_fma_f32 v[34:35], v[42:43], v[38:39], v[36:37] neg_lo:[0,0,1] neg_hi:[0,0,1]
	v_pk_fma_f32 v[36:37], v[42:43], v[38:39], v[36:37] op_sel_hi:[1,0,1]
	v_pk_add_f32 v[38:39], v[48:49], 0 op_sel_hi:[1,0]
	v_mov_b32_e32 v35, v37
	v_pk_add_f32 v[34:35], v[38:39], v[34:35]
	s_waitcnt vmcnt(0)
	v_pk_add_f32 v[34:35], v[44:45], v[34:35] neg_lo:[0,1] neg_hi:[0,1]
	scratch_store_dwordx2 off, v[34:35], off offset:104
	s_and_saveexec_b64 s[0:1], vcc
	s_cbranch_execz .LBB79_85
; %bb.84:
	scratch_load_dwordx2 v[34:35], off, off offset:96
	v_mov_b32_e32 v36, 0
	v_mov_b32_e32 v37, v36
	scratch_store_dwordx2 off, v[36:37], off offset:96
	s_waitcnt vmcnt(1)
	ds_write_b64 v1, v[34:35]
.LBB79_85:
	s_or_b64 exec, exec, s[0:1]
	s_waitcnt lgkmcnt(0)
	; wave barrier
	scratch_load_dwordx4 v[36:39], off, off offset:104
	scratch_load_dwordx2 v[44:45], off, off offset:120
	scratch_load_dwordx2 v[46:47], off, off offset:96
	v_mov_b32_e32 v34, 0
	ds_read2_b64 v[40:43], v34 offset0:29 offset1:30
	ds_read_b64 v[48:49], v34 offset:248
	v_cmp_lt_u32_e32 vcc, 11, v0
	s_waitcnt vmcnt(2) lgkmcnt(1)
	v_pk_mul_f32 v[50:51], v[40:41], v[36:37] op_sel:[1,1] op_sel_hi:[0,1]
	v_mov_b32_e32 v52, v39
	v_pk_fma_f32 v[56:57], v[40:41], v[36:37], v[50:51] neg_lo:[0,0,1] neg_hi:[0,0,1]
	v_pk_fma_f32 v[36:37], v[40:41], v[36:37], v[50:51] op_sel_hi:[1,0,1]
	v_pk_mul_f32 v[40:41], v[42:43], v[52:53] op_sel:[1,0] op_sel_hi:[0,0]
	s_waitcnt vmcnt(1) lgkmcnt(0)
	v_pk_mul_f32 v[54:55], v[48:49], v[44:45] op_sel:[1,1] op_sel_hi:[0,1]
	v_mov_b32_e32 v57, v37
	v_pk_fma_f32 v[36:37], v[42:43], v[38:39], v[40:41] neg_lo:[0,0,1] neg_hi:[0,0,1]
	v_pk_fma_f32 v[38:39], v[42:43], v[38:39], v[40:41] op_sel_hi:[1,0,1]
	v_pk_fma_f32 v[50:51], v[48:49], v[44:45], v[54:55] neg_lo:[0,0,1] neg_hi:[0,0,1]
	v_pk_fma_f32 v[44:45], v[48:49], v[44:45], v[54:55] op_sel_hi:[1,0,1]
	v_pk_add_f32 v[40:41], v[56:57], 0 op_sel_hi:[1,0]
	v_mov_b32_e32 v37, v39
	v_mov_b32_e32 v51, v45
	v_pk_add_f32 v[36:37], v[40:41], v[36:37]
	s_nop 0
	v_pk_add_f32 v[36:37], v[36:37], v[50:51]
	s_waitcnt vmcnt(0)
	v_pk_add_f32 v[36:37], v[46:47], v[36:37] neg_lo:[0,1] neg_hi:[0,1]
	scratch_store_dwordx2 off, v[36:37], off offset:96
	s_and_saveexec_b64 s[0:1], vcc
	s_cbranch_execz .LBB79_87
; %bb.86:
	scratch_load_dwordx2 v[36:37], off, off offset:88
	v_mov_b32_e32 v35, v34
	scratch_store_dwordx2 off, v[34:35], off offset:88
	s_waitcnt vmcnt(1)
	ds_write_b64 v1, v[36:37]
.LBB79_87:
	s_or_b64 exec, exec, s[0:1]
	s_waitcnt lgkmcnt(0)
	; wave barrier
	scratch_load_dwordx4 v[36:39], off, off offset:96
	scratch_load_dwordx4 v[40:43], off, off offset:112
	scratch_load_dwordx2 v[52:53], off, off offset:88
	ds_read_b128 v[44:47], v34 offset:224
	ds_read_b128 v[48:51], v34 offset:240
	v_cmp_lt_u32_e32 vcc, 10, v0
	s_waitcnt vmcnt(2) lgkmcnt(1)
	v_pk_mul_f32 v[34:35], v[44:45], v[36:37] op_sel:[1,1] op_sel_hi:[0,1]
	v_mov_b32_e32 v54, v39
	s_waitcnt vmcnt(1) lgkmcnt(0)
	v_pk_mul_f32 v[56:57], v[48:49], v[40:41] op_sel:[1,1] op_sel_hi:[0,1]
	v_mov_b32_e32 v58, v43
	v_pk_fma_f32 v[60:61], v[44:45], v[36:37], v[34:35] neg_lo:[0,0,1] neg_hi:[0,0,1]
	v_pk_fma_f32 v[34:35], v[44:45], v[36:37], v[34:35] op_sel_hi:[1,0,1]
	v_pk_mul_f32 v[36:37], v[46:47], v[54:55] op_sel:[1,0] op_sel_hi:[0,0]
	v_pk_fma_f32 v[44:45], v[48:49], v[40:41], v[56:57] neg_lo:[0,0,1] neg_hi:[0,0,1]
	v_pk_fma_f32 v[40:41], v[48:49], v[40:41], v[56:57] op_sel_hi:[1,0,1]
	v_pk_mul_f32 v[48:49], v[50:51], v[58:59] op_sel:[1,0] op_sel_hi:[0,0]
	v_mov_b32_e32 v61, v35
	v_pk_fma_f32 v[34:35], v[46:47], v[38:39], v[36:37] neg_lo:[0,0,1] neg_hi:[0,0,1]
	v_pk_fma_f32 v[36:37], v[46:47], v[38:39], v[36:37] op_sel_hi:[1,0,1]
	v_mov_b32_e32 v45, v41
	v_pk_fma_f32 v[38:39], v[50:51], v[42:43], v[48:49] neg_lo:[0,0,1] neg_hi:[0,0,1]
	v_pk_fma_f32 v[40:41], v[50:51], v[42:43], v[48:49] op_sel_hi:[1,0,1]
	v_pk_add_f32 v[42:43], v[60:61], 0 op_sel_hi:[1,0]
	v_mov_b32_e32 v35, v37
	v_pk_add_f32 v[34:35], v[42:43], v[34:35]
	v_mov_b32_e32 v39, v41
	v_pk_add_f32 v[34:35], v[34:35], v[44:45]
	s_nop 0
	v_pk_add_f32 v[34:35], v[34:35], v[38:39]
	s_waitcnt vmcnt(0)
	v_pk_add_f32 v[34:35], v[52:53], v[34:35] neg_lo:[0,1] neg_hi:[0,1]
	scratch_store_dwordx2 off, v[34:35], off offset:88
	s_and_saveexec_b64 s[0:1], vcc
	s_cbranch_execz .LBB79_89
; %bb.88:
	scratch_load_dwordx2 v[34:35], off, off offset:80
	v_mov_b32_e32 v36, 0
	v_mov_b32_e32 v37, v36
	scratch_store_dwordx2 off, v[36:37], off offset:80
	s_waitcnt vmcnt(1)
	ds_write_b64 v1, v[34:35]
.LBB79_89:
	s_or_b64 exec, exec, s[0:1]
	s_waitcnt lgkmcnt(0)
	; wave barrier
	scratch_load_dwordx4 v[36:39], off, off offset:88
	scratch_load_dwordx4 v[40:43], off, off offset:104
	scratch_load_dwordx2 v[52:53], off, off offset:120
	scratch_load_dwordx2 v[54:55], off, off offset:80
	v_mov_b32_e32 v34, 0
	ds_read2_b64 v[44:47], v34 offset0:27 offset1:28
	ds_read2_b64 v[48:51], v34 offset0:29 offset1:30
	ds_read_b64 v[56:57], v34 offset:248
	v_cmp_lt_u32_e32 vcc, 9, v0
	s_waitcnt vmcnt(3) lgkmcnt(2)
	v_pk_mul_f32 v[58:59], v[44:45], v[36:37] op_sel:[1,1] op_sel_hi:[0,1]
	v_mov_b32_e32 v60, v39
	v_pk_fma_f32 v[68:69], v[44:45], v[36:37], v[58:59] neg_lo:[0,0,1] neg_hi:[0,0,1]
	v_pk_fma_f32 v[36:37], v[44:45], v[36:37], v[58:59] op_sel_hi:[1,0,1]
	v_pk_mul_f32 v[44:45], v[46:47], v[60:61] op_sel:[1,0] op_sel_hi:[0,0]
	s_waitcnt vmcnt(2) lgkmcnt(1)
	v_pk_mul_f32 v[62:63], v[48:49], v[40:41] op_sel:[1,1] op_sel_hi:[0,1]
	v_mov_b32_e32 v64, v43
	v_mov_b32_e32 v69, v37
	v_pk_fma_f32 v[36:37], v[46:47], v[38:39], v[44:45] neg_lo:[0,0,1] neg_hi:[0,0,1]
	v_pk_fma_f32 v[38:39], v[46:47], v[38:39], v[44:45] op_sel_hi:[1,0,1]
	v_pk_fma_f32 v[58:59], v[48:49], v[40:41], v[62:63] neg_lo:[0,0,1] neg_hi:[0,0,1]
	v_pk_fma_f32 v[40:41], v[48:49], v[40:41], v[62:63] op_sel_hi:[1,0,1]
	v_pk_mul_f32 v[48:49], v[50:51], v[64:65] op_sel:[1,0] op_sel_hi:[0,0]
	v_pk_add_f32 v[44:45], v[68:69], 0 op_sel_hi:[1,0]
	v_mov_b32_e32 v37, v39
	s_waitcnt vmcnt(1) lgkmcnt(0)
	v_pk_mul_f32 v[66:67], v[56:57], v[52:53] op_sel:[1,1] op_sel_hi:[0,1]
	v_mov_b32_e32 v59, v41
	v_pk_fma_f32 v[40:41], v[50:51], v[42:43], v[48:49] neg_lo:[0,0,1] neg_hi:[0,0,1]
	v_pk_fma_f32 v[42:43], v[50:51], v[42:43], v[48:49] op_sel_hi:[1,0,1]
	v_pk_add_f32 v[36:37], v[44:45], v[36:37]
	v_pk_fma_f32 v[60:61], v[56:57], v[52:53], v[66:67] neg_lo:[0,0,1] neg_hi:[0,0,1]
	v_pk_fma_f32 v[52:53], v[56:57], v[52:53], v[66:67] op_sel_hi:[1,0,1]
	v_mov_b32_e32 v41, v43
	v_pk_add_f32 v[36:37], v[36:37], v[58:59]
	v_mov_b32_e32 v61, v53
	v_pk_add_f32 v[36:37], v[36:37], v[40:41]
	s_nop 0
	v_pk_add_f32 v[36:37], v[36:37], v[60:61]
	s_waitcnt vmcnt(0)
	v_pk_add_f32 v[36:37], v[54:55], v[36:37] neg_lo:[0,1] neg_hi:[0,1]
	scratch_store_dwordx2 off, v[36:37], off offset:80
	s_and_saveexec_b64 s[0:1], vcc
	s_cbranch_execz .LBB79_91
; %bb.90:
	scratch_load_dwordx2 v[36:37], off, off offset:72
	v_mov_b32_e32 v35, v34
	scratch_store_dwordx2 off, v[34:35], off offset:72
	s_waitcnt vmcnt(1)
	ds_write_b64 v1, v[36:37]
.LBB79_91:
	s_or_b64 exec, exec, s[0:1]
	s_waitcnt lgkmcnt(0)
	; wave barrier
	scratch_load_dwordx4 v[36:39], off, off offset:80
	scratch_load_dwordx4 v[40:43], off, off offset:96
	;; [unrolled: 1-line block ×3, first 2 shown]
	scratch_load_dwordx2 v[60:61], off, off offset:72
	ds_read_b128 v[48:51], v34 offset:208
	ds_read_b128 v[52:55], v34 offset:224
	ds_read_b128 v[56:59], v34 offset:240
	v_cmp_lt_u32_e32 vcc, 8, v0
	s_waitcnt vmcnt(3) lgkmcnt(2)
	v_pk_mul_f32 v[34:35], v[48:49], v[36:37] op_sel:[1,1] op_sel_hi:[0,1]
	v_mov_b32_e32 v62, v39
	s_waitcnt vmcnt(2) lgkmcnt(1)
	v_pk_mul_f32 v[64:65], v[52:53], v[40:41] op_sel:[1,1] op_sel_hi:[0,1]
	v_mov_b32_e32 v66, v43
	;; [unrolled: 3-line block ×3, first 2 shown]
	v_pk_fma_f32 v[72:73], v[48:49], v[36:37], v[34:35] neg_lo:[0,0,1] neg_hi:[0,0,1]
	v_pk_fma_f32 v[34:35], v[48:49], v[36:37], v[34:35] op_sel_hi:[1,0,1]
	v_pk_mul_f32 v[36:37], v[50:51], v[62:63] op_sel:[1,0] op_sel_hi:[0,0]
	v_pk_fma_f32 v[48:49], v[52:53], v[40:41], v[64:65] neg_lo:[0,0,1] neg_hi:[0,0,1]
	v_pk_fma_f32 v[40:41], v[52:53], v[40:41], v[64:65] op_sel_hi:[1,0,1]
	v_pk_mul_f32 v[52:53], v[54:55], v[66:67] op_sel:[1,0] op_sel_hi:[0,0]
	;; [unrolled: 3-line block ×3, first 2 shown]
	v_mov_b32_e32 v73, v35
	v_pk_fma_f32 v[34:35], v[50:51], v[38:39], v[36:37] neg_lo:[0,0,1] neg_hi:[0,0,1]
	v_pk_fma_f32 v[36:37], v[50:51], v[38:39], v[36:37] op_sel_hi:[1,0,1]
	v_mov_b32_e32 v49, v41
	v_pk_fma_f32 v[38:39], v[54:55], v[42:43], v[52:53] neg_lo:[0,0,1] neg_hi:[0,0,1]
	v_pk_fma_f32 v[40:41], v[54:55], v[42:43], v[52:53] op_sel_hi:[1,0,1]
	;; [unrolled: 3-line block ×3, first 2 shown]
	v_pk_add_f32 v[46:47], v[72:73], 0 op_sel_hi:[1,0]
	v_mov_b32_e32 v35, v37
	v_pk_add_f32 v[34:35], v[46:47], v[34:35]
	v_mov_b32_e32 v39, v41
	v_pk_add_f32 v[34:35], v[34:35], v[48:49]
	;; [unrolled: 2-line block ×3, first 2 shown]
	s_nop 0
	v_pk_add_f32 v[34:35], v[34:35], v[62:63]
	s_nop 0
	v_pk_add_f32 v[34:35], v[34:35], v[42:43]
	s_waitcnt vmcnt(0)
	v_pk_add_f32 v[34:35], v[60:61], v[34:35] neg_lo:[0,1] neg_hi:[0,1]
	scratch_store_dwordx2 off, v[34:35], off offset:72
	s_and_saveexec_b64 s[0:1], vcc
	s_cbranch_execz .LBB79_93
; %bb.92:
	scratch_load_dwordx2 v[34:35], off, off offset:64
	v_mov_b32_e32 v36, 0
	v_mov_b32_e32 v37, v36
	scratch_store_dwordx2 off, v[36:37], off offset:64
	s_waitcnt vmcnt(1)
	ds_write_b64 v1, v[34:35]
.LBB79_93:
	s_or_b64 exec, exec, s[0:1]
	s_waitcnt lgkmcnt(0)
	; wave barrier
	scratch_load_dwordx4 v[36:39], off, off offset:72
	scratch_load_dwordx4 v[40:43], off, off offset:88
	;; [unrolled: 1-line block ×3, first 2 shown]
	scratch_load_dwordx2 v[60:61], off, off offset:120
	scratch_load_dwordx2 v[62:63], off, off offset:64
	v_mov_b32_e32 v34, 0
	ds_read2_b64 v[48:51], v34 offset0:25 offset1:26
	ds_read2_b64 v[52:55], v34 offset0:27 offset1:28
	;; [unrolled: 1-line block ×3, first 2 shown]
	ds_read_b64 v[64:65], v34 offset:248
	v_cmp_lt_u32_e32 vcc, 7, v0
	s_waitcnt vmcnt(4) lgkmcnt(3)
	v_pk_mul_f32 v[66:67], v[48:49], v[36:37] op_sel:[1,1] op_sel_hi:[0,1]
	v_mov_b32_e32 v68, v39
	v_pk_fma_f32 v[80:81], v[48:49], v[36:37], v[66:67] neg_lo:[0,0,1] neg_hi:[0,0,1]
	v_pk_fma_f32 v[36:37], v[48:49], v[36:37], v[66:67] op_sel_hi:[1,0,1]
	v_pk_mul_f32 v[48:49], v[50:51], v[68:69] op_sel:[1,0] op_sel_hi:[0,0]
	s_waitcnt vmcnt(3) lgkmcnt(2)
	v_pk_mul_f32 v[70:71], v[52:53], v[40:41] op_sel:[1,1] op_sel_hi:[0,1]
	v_mov_b32_e32 v72, v43
	v_mov_b32_e32 v81, v37
	v_pk_fma_f32 v[36:37], v[50:51], v[38:39], v[48:49] neg_lo:[0,0,1] neg_hi:[0,0,1]
	v_pk_fma_f32 v[38:39], v[50:51], v[38:39], v[48:49] op_sel_hi:[1,0,1]
	v_pk_fma_f32 v[66:67], v[52:53], v[40:41], v[70:71] neg_lo:[0,0,1] neg_hi:[0,0,1]
	v_pk_fma_f32 v[40:41], v[52:53], v[40:41], v[70:71] op_sel_hi:[1,0,1]
	v_pk_mul_f32 v[52:53], v[54:55], v[72:73] op_sel:[1,0] op_sel_hi:[0,0]
	v_pk_add_f32 v[48:49], v[80:81], 0 op_sel_hi:[1,0]
	v_mov_b32_e32 v37, v39
	s_waitcnt vmcnt(2) lgkmcnt(1)
	v_pk_mul_f32 v[74:75], v[56:57], v[44:45] op_sel:[1,1] op_sel_hi:[0,1]
	v_mov_b32_e32 v76, v47
	v_mov_b32_e32 v67, v41
	v_pk_fma_f32 v[40:41], v[54:55], v[42:43], v[52:53] neg_lo:[0,0,1] neg_hi:[0,0,1]
	v_pk_fma_f32 v[42:43], v[54:55], v[42:43], v[52:53] op_sel_hi:[1,0,1]
	v_pk_add_f32 v[36:37], v[48:49], v[36:37]
	v_pk_fma_f32 v[68:69], v[56:57], v[44:45], v[74:75] neg_lo:[0,0,1] neg_hi:[0,0,1]
	v_pk_fma_f32 v[44:45], v[56:57], v[44:45], v[74:75] op_sel_hi:[1,0,1]
	v_pk_mul_f32 v[56:57], v[58:59], v[76:77] op_sel:[1,0] op_sel_hi:[0,0]
	v_mov_b32_e32 v41, v43
	v_pk_add_f32 v[36:37], v[36:37], v[66:67]
	s_waitcnt vmcnt(1) lgkmcnt(0)
	v_pk_mul_f32 v[78:79], v[64:65], v[60:61] op_sel:[1,1] op_sel_hi:[0,1]
	v_mov_b32_e32 v69, v45
	v_pk_fma_f32 v[44:45], v[58:59], v[46:47], v[56:57] neg_lo:[0,0,1] neg_hi:[0,0,1]
	v_pk_fma_f32 v[46:47], v[58:59], v[46:47], v[56:57] op_sel_hi:[1,0,1]
	v_pk_add_f32 v[36:37], v[36:37], v[40:41]
	v_pk_fma_f32 v[70:71], v[64:65], v[60:61], v[78:79] neg_lo:[0,0,1] neg_hi:[0,0,1]
	v_pk_fma_f32 v[60:61], v[64:65], v[60:61], v[78:79] op_sel_hi:[1,0,1]
	v_mov_b32_e32 v45, v47
	v_pk_add_f32 v[36:37], v[36:37], v[68:69]
	v_mov_b32_e32 v71, v61
	v_pk_add_f32 v[36:37], v[36:37], v[44:45]
	s_nop 0
	v_pk_add_f32 v[36:37], v[36:37], v[70:71]
	s_waitcnt vmcnt(0)
	v_pk_add_f32 v[36:37], v[62:63], v[36:37] neg_lo:[0,1] neg_hi:[0,1]
	scratch_store_dwordx2 off, v[36:37], off offset:64
	s_and_saveexec_b64 s[0:1], vcc
	s_cbranch_execz .LBB79_95
; %bb.94:
	scratch_load_dwordx2 v[36:37], off, off offset:56
	v_mov_b32_e32 v35, v34
	scratch_store_dwordx2 off, v[34:35], off offset:56
	s_waitcnt vmcnt(1)
	ds_write_b64 v1, v[36:37]
.LBB79_95:
	s_or_b64 exec, exec, s[0:1]
	s_waitcnt lgkmcnt(0)
	; wave barrier
	scratch_load_dwordx4 v[36:39], off, off offset:64
	scratch_load_dwordx4 v[40:43], off, off offset:80
	;; [unrolled: 1-line block ×4, first 2 shown]
	scratch_load_dwordx2 v[68:69], off, off offset:56
	ds_read_b128 v[52:55], v34 offset:192
	ds_read_b128 v[56:59], v34 offset:208
	;; [unrolled: 1-line block ×4, first 2 shown]
	v_cmp_lt_u32_e32 vcc, 6, v0
	s_waitcnt vmcnt(4) lgkmcnt(3)
	v_pk_mul_f32 v[34:35], v[52:53], v[36:37] op_sel:[1,1] op_sel_hi:[0,1]
	v_mov_b32_e32 v70, v39
	s_waitcnt vmcnt(3) lgkmcnt(2)
	v_pk_mul_f32 v[72:73], v[56:57], v[40:41] op_sel:[1,1] op_sel_hi:[0,1]
	v_mov_b32_e32 v74, v43
	;; [unrolled: 3-line block ×4, first 2 shown]
	v_pk_fma_f32 v[84:85], v[52:53], v[36:37], v[34:35] neg_lo:[0,0,1] neg_hi:[0,0,1]
	v_pk_fma_f32 v[34:35], v[52:53], v[36:37], v[34:35] op_sel_hi:[1,0,1]
	v_pk_mul_f32 v[36:37], v[54:55], v[70:71] op_sel:[1,0] op_sel_hi:[0,0]
	v_pk_fma_f32 v[52:53], v[56:57], v[40:41], v[72:73] neg_lo:[0,0,1] neg_hi:[0,0,1]
	v_pk_fma_f32 v[40:41], v[56:57], v[40:41], v[72:73] op_sel_hi:[1,0,1]
	v_pk_mul_f32 v[56:57], v[58:59], v[74:75] op_sel:[1,0] op_sel_hi:[0,0]
	;; [unrolled: 3-line block ×4, first 2 shown]
	v_mov_b32_e32 v85, v35
	v_pk_fma_f32 v[34:35], v[54:55], v[38:39], v[36:37] neg_lo:[0,0,1] neg_hi:[0,0,1]
	v_pk_fma_f32 v[36:37], v[54:55], v[38:39], v[36:37] op_sel_hi:[1,0,1]
	v_mov_b32_e32 v53, v41
	v_pk_fma_f32 v[38:39], v[58:59], v[42:43], v[56:57] neg_lo:[0,0,1] neg_hi:[0,0,1]
	v_pk_fma_f32 v[40:41], v[58:59], v[42:43], v[56:57] op_sel_hi:[1,0,1]
	;; [unrolled: 3-line block ×4, first 2 shown]
	v_pk_add_f32 v[50:51], v[84:85], 0 op_sel_hi:[1,0]
	v_mov_b32_e32 v35, v37
	v_pk_add_f32 v[34:35], v[50:51], v[34:35]
	v_mov_b32_e32 v39, v41
	v_pk_add_f32 v[34:35], v[34:35], v[52:53]
	;; [unrolled: 2-line block ×4, first 2 shown]
	s_nop 0
	v_pk_add_f32 v[34:35], v[34:35], v[42:43]
	s_nop 0
	v_pk_add_f32 v[34:35], v[34:35], v[72:73]
	;; [unrolled: 2-line block ×3, first 2 shown]
	s_waitcnt vmcnt(0)
	v_pk_add_f32 v[34:35], v[68:69], v[34:35] neg_lo:[0,1] neg_hi:[0,1]
	scratch_store_dwordx2 off, v[34:35], off offset:56
	s_and_saveexec_b64 s[0:1], vcc
	s_cbranch_execz .LBB79_97
; %bb.96:
	scratch_load_dwordx2 v[34:35], off, off offset:48
	v_mov_b32_e32 v36, 0
	v_mov_b32_e32 v37, v36
	scratch_store_dwordx2 off, v[36:37], off offset:48
	s_waitcnt vmcnt(1)
	ds_write_b64 v1, v[34:35]
.LBB79_97:
	s_or_b64 exec, exec, s[0:1]
	s_waitcnt lgkmcnt(0)
	; wave barrier
	scratch_load_dwordx4 v[36:39], off, off offset:56
	scratch_load_dwordx4 v[40:43], off, off offset:72
	;; [unrolled: 1-line block ×4, first 2 shown]
	scratch_load_dwordx2 v[68:69], off, off offset:120
	scratch_load_dwordx2 v[70:71], off, off offset:48
	v_mov_b32_e32 v34, 0
	ds_read2_b64 v[52:55], v34 offset0:23 offset1:24
	ds_read2_b64 v[56:59], v34 offset0:25 offset1:26
	;; [unrolled: 1-line block ×4, first 2 shown]
	ds_read_b64 v[72:73], v34 offset:248
	v_cmp_lt_u32_e32 vcc, 5, v0
	s_waitcnt vmcnt(5) lgkmcnt(4)
	v_mul_f32_e32 v75, v52, v37
	v_mul_f32_e32 v35, v53, v37
	v_mov_b32_e32 v76, v39
	s_waitcnt vmcnt(4) lgkmcnt(3)
	v_pk_mul_f32 v[78:79], v[56:57], v[40:41] op_sel:[1,1] op_sel_hi:[0,1]
	v_mov_b32_e32 v80, v43
	s_waitcnt vmcnt(1) lgkmcnt(0)
	v_pk_mul_f32 v[90:91], v[72:73], v[68:69] op_sel:[1,1] op_sel_hi:[0,1]
	v_fmac_f32_e32 v75, v53, v36
	v_fma_f32 v74, v52, v36, -v35
	v_pk_mul_f32 v[36:37], v[54:55], v[76:77] op_sel:[1,0] op_sel_hi:[0,0]
	v_pk_fma_f32 v[52:53], v[56:57], v[40:41], v[78:79] neg_lo:[0,0,1] neg_hi:[0,0,1]
	v_pk_fma_f32 v[40:41], v[56:57], v[40:41], v[78:79] op_sel_hi:[1,0,1]
	v_pk_mul_f32 v[56:57], v[58:59], v[80:81] op_sel:[1,0] op_sel_hi:[0,0]
	v_pk_fma_f32 v[80:81], v[72:73], v[68:69], v[90:91] neg_lo:[0,0,1] neg_hi:[0,0,1]
	v_pk_fma_f32 v[68:69], v[72:73], v[68:69], v[90:91] op_sel_hi:[1,0,1]
	v_pk_add_f32 v[72:73], v[74:75], 0 op_sel_hi:[1,0]
	v_pk_fma_f32 v[74:75], v[54:55], v[38:39], v[36:37] neg_lo:[0,0,1] neg_hi:[0,0,1]
	v_pk_fma_f32 v[36:37], v[54:55], v[38:39], v[36:37] op_sel_hi:[1,0,1]
	v_pk_mul_f32 v[82:83], v[60:61], v[44:45] op_sel:[1,1] op_sel_hi:[0,1]
	v_mov_b32_e32 v75, v37
	v_mov_b32_e32 v84, v47
	;; [unrolled: 1-line block ×3, first 2 shown]
	v_pk_fma_f32 v[38:39], v[58:59], v[42:43], v[56:57] neg_lo:[0,0,1] neg_hi:[0,0,1]
	v_pk_fma_f32 v[40:41], v[58:59], v[42:43], v[56:57] op_sel_hi:[1,0,1]
	v_pk_add_f32 v[36:37], v[72:73], v[74:75]
	v_pk_fma_f32 v[76:77], v[60:61], v[44:45], v[82:83] neg_lo:[0,0,1] neg_hi:[0,0,1]
	v_pk_fma_f32 v[44:45], v[60:61], v[44:45], v[82:83] op_sel_hi:[1,0,1]
	v_pk_mul_f32 v[60:61], v[62:63], v[84:85] op_sel:[1,0] op_sel_hi:[0,0]
	v_mov_b32_e32 v39, v41
	v_pk_add_f32 v[36:37], v[36:37], v[52:53]
	v_pk_mul_f32 v[86:87], v[64:65], v[48:49] op_sel:[1,1] op_sel_hi:[0,1]
	v_mov_b32_e32 v88, v51
	v_mov_b32_e32 v77, v45
	v_pk_fma_f32 v[42:43], v[62:63], v[46:47], v[60:61] neg_lo:[0,0,1] neg_hi:[0,0,1]
	v_pk_fma_f32 v[44:45], v[62:63], v[46:47], v[60:61] op_sel_hi:[1,0,1]
	v_pk_add_f32 v[36:37], v[36:37], v[38:39]
	v_pk_fma_f32 v[78:79], v[64:65], v[48:49], v[86:87] neg_lo:[0,0,1] neg_hi:[0,0,1]
	v_pk_fma_f32 v[48:49], v[64:65], v[48:49], v[86:87] op_sel_hi:[1,0,1]
	v_pk_mul_f32 v[64:65], v[66:67], v[88:89] op_sel:[1,0] op_sel_hi:[0,0]
	v_mov_b32_e32 v43, v45
	v_pk_add_f32 v[36:37], v[36:37], v[76:77]
	v_mov_b32_e32 v79, v49
	v_pk_fma_f32 v[46:47], v[66:67], v[50:51], v[64:65] neg_lo:[0,0,1] neg_hi:[0,0,1]
	v_pk_fma_f32 v[48:49], v[66:67], v[50:51], v[64:65] op_sel_hi:[1,0,1]
	v_pk_add_f32 v[36:37], v[36:37], v[42:43]
	v_mov_b32_e32 v47, v49
	v_pk_add_f32 v[36:37], v[36:37], v[78:79]
	v_mov_b32_e32 v81, v69
	v_pk_add_f32 v[36:37], v[36:37], v[46:47]
	s_nop 0
	v_pk_add_f32 v[36:37], v[36:37], v[80:81]
	s_waitcnt vmcnt(0)
	v_pk_add_f32 v[36:37], v[70:71], v[36:37] neg_lo:[0,1] neg_hi:[0,1]
	scratch_store_dwordx2 off, v[36:37], off offset:48
	s_and_saveexec_b64 s[0:1], vcc
	s_cbranch_execz .LBB79_99
; %bb.98:
	scratch_load_dwordx2 v[36:37], off, off offset:40
	v_mov_b32_e32 v35, v34
	scratch_store_dwordx2 off, v[34:35], off offset:40
	s_waitcnt vmcnt(1)
	ds_write_b64 v1, v[36:37]
.LBB79_99:
	s_or_b64 exec, exec, s[0:1]
	s_waitcnt lgkmcnt(0)
	; wave barrier
	scratch_load_dwordx4 v[36:39], off, off offset:48
	scratch_load_dwordx4 v[40:43], off, off offset:64
	;; [unrolled: 1-line block ×5, first 2 shown]
	scratch_load_dwordx2 v[76:77], off, off offset:40
	ds_read_b128 v[56:59], v34 offset:176
	ds_read_b128 v[60:63], v34 offset:192
	ds_read_b128 v[64:67], v34 offset:208
	ds_read_b128 v[68:71], v34 offset:224
	ds_read_b128 v[72:75], v34 offset:240
	v_cmp_lt_u32_e32 vcc, 4, v0
	s_waitcnt vmcnt(5) lgkmcnt(4)
	v_mul_f32_e32 v35, v56, v37
	v_mul_f32_e32 v34, v57, v37
	;; [unrolled: 1-line block ×4, first 2 shown]
	s_waitcnt vmcnt(4) lgkmcnt(3)
	v_pk_mul_f32 v[80:81], v[60:61], v[40:41] op_sel:[1,1] op_sel_hi:[0,1]
	v_mov_b32_e32 v82, v43
	v_fmac_f32_e32 v35, v57, v36
	v_fma_f32 v34, v56, v36, -v34
	v_fmac_f32_e32 v79, v59, v38
	v_fma_f32 v78, v58, v38, -v37
	v_pk_fma_f32 v[36:37], v[60:61], v[40:41], v[80:81] neg_lo:[0,0,1] neg_hi:[0,0,1]
	v_pk_fma_f32 v[38:39], v[60:61], v[40:41], v[80:81] op_sel_hi:[1,0,1]
	v_pk_mul_f32 v[40:41], v[62:63], v[82:83] op_sel:[1,0] op_sel_hi:[0,0]
	v_pk_add_f32 v[34:35], v[34:35], 0 op_sel_hi:[1,0]
	s_waitcnt vmcnt(3) lgkmcnt(2)
	v_pk_mul_f32 v[84:85], v[64:65], v[44:45] op_sel:[1,1] op_sel_hi:[0,1]
	v_mov_b32_e32 v86, v47
	v_mov_b32_e32 v37, v39
	v_pk_fma_f32 v[38:39], v[62:63], v[42:43], v[40:41] neg_lo:[0,0,1] neg_hi:[0,0,1]
	v_pk_fma_f32 v[40:41], v[62:63], v[42:43], v[40:41] op_sel_hi:[1,0,1]
	v_pk_add_f32 v[34:35], v[34:35], v[78:79]
	v_pk_fma_f32 v[56:57], v[64:65], v[44:45], v[84:85] neg_lo:[0,0,1] neg_hi:[0,0,1]
	v_pk_fma_f32 v[44:45], v[64:65], v[44:45], v[84:85] op_sel_hi:[1,0,1]
	v_pk_mul_f32 v[58:59], v[66:67], v[86:87] op_sel:[1,0] op_sel_hi:[0,0]
	v_mov_b32_e32 v39, v41
	v_pk_add_f32 v[34:35], v[34:35], v[36:37]
	s_waitcnt vmcnt(2) lgkmcnt(1)
	v_pk_mul_f32 v[88:89], v[68:69], v[48:49] op_sel:[1,1] op_sel_hi:[0,1]
	v_mov_b32_e32 v90, v51
	v_mov_b32_e32 v57, v45
	v_pk_fma_f32 v[42:43], v[66:67], v[46:47], v[58:59] neg_lo:[0,0,1] neg_hi:[0,0,1]
	v_pk_fma_f32 v[44:45], v[66:67], v[46:47], v[58:59] op_sel_hi:[1,0,1]
	v_pk_add_f32 v[34:35], v[34:35], v[38:39]
	v_pk_fma_f32 v[60:61], v[68:69], v[48:49], v[88:89] neg_lo:[0,0,1] neg_hi:[0,0,1]
	v_pk_fma_f32 v[48:49], v[68:69], v[48:49], v[88:89] op_sel_hi:[1,0,1]
	v_pk_mul_f32 v[64:65], v[70:71], v[90:91] op_sel:[1,0] op_sel_hi:[0,0]
	v_mov_b32_e32 v43, v45
	v_pk_add_f32 v[34:35], v[34:35], v[56:57]
	;; [unrolled: 12-line block ×3, first 2 shown]
	v_mov_b32_e32 v69, v53
	v_pk_fma_f32 v[50:51], v[74:75], v[54:55], v[72:73] neg_lo:[0,0,1] neg_hi:[0,0,1]
	v_pk_fma_f32 v[52:53], v[74:75], v[54:55], v[72:73] op_sel_hi:[1,0,1]
	v_pk_add_f32 v[34:35], v[34:35], v[46:47]
	v_mov_b32_e32 v51, v53
	v_pk_add_f32 v[34:35], v[34:35], v[68:69]
	s_nop 0
	v_pk_add_f32 v[34:35], v[34:35], v[50:51]
	s_waitcnt vmcnt(0)
	v_pk_add_f32 v[34:35], v[76:77], v[34:35] neg_lo:[0,1] neg_hi:[0,1]
	scratch_store_dwordx2 off, v[34:35], off offset:40
	s_and_saveexec_b64 s[0:1], vcc
	s_cbranch_execz .LBB79_101
; %bb.100:
	scratch_load_dwordx2 v[34:35], off, off offset:32
	v_mov_b32_e32 v36, 0
	v_mov_b32_e32 v37, v36
	scratch_store_dwordx2 off, v[36:37], off offset:32
	s_waitcnt vmcnt(1)
	ds_write_b64 v1, v[34:35]
.LBB79_101:
	s_or_b64 exec, exec, s[0:1]
	s_waitcnt lgkmcnt(0)
	; wave barrier
	scratch_load_dwordx4 v[36:39], off, off offset:40
	scratch_load_dwordx4 v[40:43], off, off offset:56
	;; [unrolled: 1-line block ×5, first 2 shown]
	scratch_load_dwordx2 v[76:77], off, off offset:120
	scratch_load_dwordx2 v[78:79], off, off offset:32
	v_mov_b32_e32 v34, 0
	ds_read2_b64 v[56:59], v34 offset0:21 offset1:22
	ds_read2_b64 v[60:63], v34 offset0:23 offset1:24
	ds_read2_b64 v[64:67], v34 offset0:25 offset1:26
	ds_read2_b64 v[68:71], v34 offset0:27 offset1:28
	ds_read2_b64 v[72:75], v34 offset0:29 offset1:30
	ds_read_b64 v[80:81], v34 offset:248
	v_cmp_lt_u32_e32 vcc, 3, v0
	s_waitcnt vmcnt(6) lgkmcnt(5)
	v_mul_f32_e32 v35, v56, v37
	v_mul_f32_e32 v37, v57, v37
	;; [unrolled: 1-line block ×3, first 2 shown]
	s_waitcnt vmcnt(5) lgkmcnt(4)
	v_mul_f32_e32 v85, v60, v41
	v_mul_f32_e32 v39, v59, v39
	;; [unrolled: 1-line block ×3, first 2 shown]
	v_mov_b32_e32 v86, v43
	s_waitcnt vmcnt(3) lgkmcnt(2)
	v_pk_mul_f32 v[92:93], v[68:69], v[48:49] op_sel:[1,1] op_sel_hi:[0,1]
	s_waitcnt vmcnt(2) lgkmcnt(1)
	v_pk_mul_f32 v[96:97], v[72:73], v[52:53] op_sel:[1,1] op_sel_hi:[0,1]
	;; [unrolled: 2-line block ×3, first 2 shown]
	v_fmac_f32_e32 v35, v57, v36
	v_fma_f32 v87, v56, v36, -v37
	v_fmac_f32_e32 v83, v59, v38
	v_fmac_f32_e32 v85, v61, v40
	v_fma_f32 v82, v58, v38, -v39
	v_fma_f32 v84, v60, v40, -v41
	v_pk_mul_f32 v[36:37], v[62:63], v[86:87] op_sel:[1,0] op_sel_hi:[0,0]
	v_pk_fma_f32 v[56:57], v[68:69], v[48:49], v[92:93] neg_lo:[0,0,1] neg_hi:[0,0,1]
	v_pk_fma_f32 v[48:49], v[68:69], v[48:49], v[92:93] op_sel_hi:[1,0,1]
	v_pk_fma_f32 v[60:61], v[72:73], v[52:53], v[96:97] neg_lo:[0,0,1] neg_hi:[0,0,1]
	v_pk_fma_f32 v[52:53], v[72:73], v[52:53], v[96:97] op_sel_hi:[1,0,1]
	v_pk_fma_f32 v[68:69], v[80:81], v[76:77], v[100:101] neg_lo:[0,0,1] neg_hi:[0,0,1]
	v_pk_fma_f32 v[72:73], v[80:81], v[76:77], v[100:101] op_sel_hi:[1,0,1]
	v_add_f32_e32 v77, 0, v35
	v_add_f32_e32 v76, 0, v87
	v_pk_mul_f32 v[88:89], v[64:65], v[44:45] op_sel:[1,1] op_sel_hi:[0,1]
	v_mov_b32_e32 v90, v47
	v_pk_fma_f32 v[80:81], v[62:63], v[42:43], v[36:37] neg_lo:[0,0,1] neg_hi:[0,0,1]
	v_pk_fma_f32 v[36:37], v[62:63], v[42:43], v[36:37] op_sel_hi:[1,0,1]
	v_mov_b32_e32 v61, v53
	v_pk_add_f32 v[52:53], v[76:77], v[82:83]
	v_pk_fma_f32 v[38:39], v[64:65], v[44:45], v[88:89] neg_lo:[0,0,1] neg_hi:[0,0,1]
	v_pk_fma_f32 v[40:41], v[64:65], v[44:45], v[88:89] op_sel_hi:[1,0,1]
	v_pk_mul_f32 v[44:45], v[66:67], v[90:91] op_sel:[1,0] op_sel_hi:[0,0]
	v_mov_b32_e32 v81, v37
	v_pk_add_f32 v[36:37], v[52:53], v[84:85]
	v_mov_b32_e32 v94, v51
	v_mov_b32_e32 v39, v41
	v_pk_fma_f32 v[40:41], v[66:67], v[46:47], v[44:45] neg_lo:[0,0,1] neg_hi:[0,0,1]
	v_pk_fma_f32 v[42:43], v[66:67], v[46:47], v[44:45] op_sel_hi:[1,0,1]
	v_pk_add_f32 v[36:37], v[36:37], v[80:81]
	v_pk_mul_f32 v[58:59], v[70:71], v[94:95] op_sel:[1,0] op_sel_hi:[0,0]
	v_mov_b32_e32 v41, v43
	v_pk_add_f32 v[36:37], v[36:37], v[38:39]
	v_mov_b32_e32 v98, v55
	v_mov_b32_e32 v57, v49
	v_pk_fma_f32 v[44:45], v[70:71], v[50:51], v[58:59] neg_lo:[0,0,1] neg_hi:[0,0,1]
	v_pk_fma_f32 v[46:47], v[70:71], v[50:51], v[58:59] op_sel_hi:[1,0,1]
	v_pk_add_f32 v[36:37], v[36:37], v[40:41]
	v_pk_mul_f32 v[64:65], v[74:75], v[98:99] op_sel:[1,0] op_sel_hi:[0,0]
	v_mov_b32_e32 v45, v47
	v_pk_add_f32 v[36:37], v[36:37], v[56:57]
	v_pk_fma_f32 v[48:49], v[74:75], v[54:55], v[64:65] neg_lo:[0,0,1] neg_hi:[0,0,1]
	v_pk_fma_f32 v[50:51], v[74:75], v[54:55], v[64:65] op_sel_hi:[1,0,1]
	v_pk_add_f32 v[36:37], v[36:37], v[44:45]
	v_mov_b32_e32 v49, v51
	v_pk_add_f32 v[36:37], v[36:37], v[60:61]
	v_mov_b32_e32 v69, v73
	v_pk_add_f32 v[36:37], v[36:37], v[48:49]
	s_nop 0
	v_pk_add_f32 v[36:37], v[36:37], v[68:69]
	s_waitcnt vmcnt(0)
	v_pk_add_f32 v[36:37], v[78:79], v[36:37] neg_lo:[0,1] neg_hi:[0,1]
	scratch_store_dwordx2 off, v[36:37], off offset:32
	s_and_saveexec_b64 s[0:1], vcc
	s_cbranch_execz .LBB79_103
; %bb.102:
	scratch_load_dwordx2 v[36:37], off, off offset:24
	v_mov_b32_e32 v35, v34
	scratch_store_dwordx2 off, v[34:35], off offset:24
	s_waitcnt vmcnt(1)
	ds_write_b64 v1, v[36:37]
.LBB79_103:
	s_or_b64 exec, exec, s[0:1]
	s_waitcnt lgkmcnt(0)
	; wave barrier
	scratch_load_dwordx4 v[36:39], off, off offset:32
	scratch_load_dwordx4 v[40:43], off, off offset:48
	;; [unrolled: 1-line block ×6, first 2 shown]
	scratch_load_dwordx2 v[84:85], off, off offset:24
	ds_read_b128 v[60:63], v34 offset:160
	ds_read_b128 v[64:67], v34 offset:176
	;; [unrolled: 1-line block ×6, first 2 shown]
	v_cmp_lt_u32_e32 vcc, 2, v0
	s_waitcnt vmcnt(6) lgkmcnt(5)
	v_mul_f32_e32 v91, v60, v37
	v_mul_f32_e32 v95, v62, v39
	s_waitcnt vmcnt(5) lgkmcnt(4)
	v_mul_f32_e32 v35, v64, v41
	v_mul_f32_e32 v34, v61, v37
	;; [unrolled: 1-line block ×4, first 2 shown]
	s_waitcnt vmcnt(1) lgkmcnt(0)
	v_pk_mul_f32 v[100:101], v[80:81], v[56:57] op_sel:[1,1] op_sel_hi:[0,1]
	v_pk_mul_f32 v[88:89], v[68:69], v[44:45] op_sel:[1,1] op_sel_hi:[0,1]
	v_fmac_f32_e32 v91, v61, v36
	v_fmac_f32_e32 v35, v65, v40
	v_fma_f32 v99, v60, v36, -v34
	v_fma_f32 v34, v64, v40, -v39
	v_pk_fma_f32 v[64:65], v[80:81], v[56:57], v[100:101] neg_lo:[0,0,1] neg_hi:[0,0,1]
	v_pk_fma_f32 v[56:57], v[80:81], v[56:57], v[100:101] op_sel_hi:[1,0,1]
	v_fmac_f32_e32 v95, v63, v38
	v_fma_f32 v103, v62, v38, -v37
	v_pk_fma_f32 v[36:37], v[68:69], v[44:45], v[88:89] neg_lo:[0,0,1] neg_hi:[0,0,1]
	v_pk_fma_f32 v[38:39], v[68:69], v[44:45], v[88:89] op_sel_hi:[1,0,1]
	v_add_f32_e32 v56, 0, v91
	v_add_f32_e32 v68, 0, v99
	v_mul_f32_e32 v87, v66, v43
	v_mul_f32_e32 v41, v67, v43
	v_mov_b32_e32 v90, v47
	v_mov_b32_e32 v65, v57
	v_add_f32_e32 v57, v56, v95
	v_add_f32_e32 v56, v68, v103
	v_fmac_f32_e32 v87, v67, v42
	v_fma_f32 v86, v66, v42, -v41
	v_pk_mul_f32 v[40:41], v[70:71], v[90:91] op_sel:[1,0] op_sel_hi:[0,0]
	v_pk_add_f32 v[34:35], v[56:57], v[34:35]
	v_pk_mul_f32 v[92:93], v[72:73], v[48:49] op_sel:[1,1] op_sel_hi:[0,1]
	v_mov_b32_e32 v94, v51
	v_mov_b32_e32 v37, v39
	v_pk_fma_f32 v[38:39], v[70:71], v[46:47], v[40:41] neg_lo:[0,0,1] neg_hi:[0,0,1]
	v_pk_fma_f32 v[40:41], v[70:71], v[46:47], v[40:41] op_sel_hi:[1,0,1]
	v_pk_add_f32 v[34:35], v[34:35], v[86:87]
	v_pk_fma_f32 v[42:43], v[72:73], v[48:49], v[92:93] neg_lo:[0,0,1] neg_hi:[0,0,1]
	v_pk_fma_f32 v[44:45], v[72:73], v[48:49], v[92:93] op_sel_hi:[1,0,1]
	v_pk_mul_f32 v[48:49], v[74:75], v[94:95] op_sel:[1,0] op_sel_hi:[0,0]
	v_mov_b32_e32 v39, v41
	v_pk_add_f32 v[34:35], v[34:35], v[36:37]
	v_pk_mul_f32 v[96:97], v[76:77], v[52:53] op_sel:[1,1] op_sel_hi:[0,1]
	v_mov_b32_e32 v98, v55
	v_mov_b32_e32 v43, v45
	v_pk_fma_f32 v[44:45], v[74:75], v[50:51], v[48:49] neg_lo:[0,0,1] neg_hi:[0,0,1]
	v_pk_fma_f32 v[46:47], v[74:75], v[50:51], v[48:49] op_sel_hi:[1,0,1]
	v_pk_add_f32 v[34:35], v[34:35], v[38:39]
	v_pk_fma_f32 v[60:61], v[76:77], v[52:53], v[96:97] neg_lo:[0,0,1] neg_hi:[0,0,1]
	v_pk_fma_f32 v[52:53], v[76:77], v[52:53], v[96:97] op_sel_hi:[1,0,1]
	v_pk_mul_f32 v[62:63], v[78:79], v[98:99] op_sel:[1,0] op_sel_hi:[0,0]
	v_mov_b32_e32 v45, v47
	v_pk_add_f32 v[34:35], v[34:35], v[42:43]
	v_mov_b32_e32 v102, v59
	v_mov_b32_e32 v61, v53
	v_pk_fma_f32 v[48:49], v[78:79], v[54:55], v[62:63] neg_lo:[0,0,1] neg_hi:[0,0,1]
	v_pk_fma_f32 v[50:51], v[78:79], v[54:55], v[62:63] op_sel_hi:[1,0,1]
	v_pk_add_f32 v[34:35], v[34:35], v[44:45]
	v_pk_mul_f32 v[66:67], v[82:83], v[102:103] op_sel:[1,0] op_sel_hi:[0,0]
	v_mov_b32_e32 v49, v51
	v_pk_add_f32 v[34:35], v[34:35], v[60:61]
	v_pk_fma_f32 v[52:53], v[82:83], v[58:59], v[66:67] neg_lo:[0,0,1] neg_hi:[0,0,1]
	v_pk_fma_f32 v[54:55], v[82:83], v[58:59], v[66:67] op_sel_hi:[1,0,1]
	v_pk_add_f32 v[34:35], v[34:35], v[48:49]
	v_mov_b32_e32 v53, v55
	v_pk_add_f32 v[34:35], v[34:35], v[64:65]
	s_nop 0
	v_pk_add_f32 v[34:35], v[34:35], v[52:53]
	s_waitcnt vmcnt(0)
	v_pk_add_f32 v[34:35], v[84:85], v[34:35] neg_lo:[0,1] neg_hi:[0,1]
	scratch_store_dwordx2 off, v[34:35], off offset:24
	s_and_saveexec_b64 s[0:1], vcc
	s_cbranch_execz .LBB79_105
; %bb.104:
	scratch_load_dwordx2 v[34:35], off, off offset:16
	v_mov_b32_e32 v36, 0
	v_mov_b32_e32 v37, v36
	scratch_store_dwordx2 off, v[36:37], off offset:16
	s_waitcnt vmcnt(1)
	ds_write_b64 v1, v[34:35]
.LBB79_105:
	s_or_b64 exec, exec, s[0:1]
	s_waitcnt lgkmcnt(0)
	; wave barrier
	scratch_load_dwordx4 v[36:39], off, off offset:24
	scratch_load_dwordx4 v[40:43], off, off offset:40
	;; [unrolled: 1-line block ×6, first 2 shown]
	scratch_load_dwordx2 v[84:85], off, off offset:120
	scratch_load_dwordx2 v[86:87], off, off offset:16
	v_mov_b32_e32 v34, 0
	ds_read2_b64 v[60:63], v34 offset0:19 offset1:20
	ds_read2_b64 v[64:67], v34 offset0:21 offset1:22
	;; [unrolled: 1-line block ×6, first 2 shown]
	ds_read_b64 v[88:89], v34 offset:248
	v_cmp_lt_u32_e32 vcc, 1, v0
	s_waitcnt vmcnt(7) lgkmcnt(6)
	v_mul_f32_e32 v95, v62, v39
	v_mul_f32_e32 v35, v60, v37
	s_waitcnt vmcnt(5) lgkmcnt(4)
	v_mul_f32_e32 v93, v68, v45
	v_mul_f32_e32 v37, v61, v37
	v_mov_b32_e32 v94, v47
	s_waitcnt vmcnt(2) lgkmcnt(1)
	v_pk_mul_f32 v[104:105], v[80:81], v[56:57] op_sel:[1,1] op_sel_hi:[0,1]
	v_fmac_f32_e32 v95, v63, v38
	v_mul_f32_e32 v39, v63, v39
	v_mul_f32_e32 v45, v69, v45
	v_fmac_f32_e32 v35, v61, v36
	v_fmac_f32_e32 v93, v69, v44
	v_fma_f32 v69, v60, v36, -v37
	v_pk_mul_f32 v[36:37], v[70:71], v[94:95] op_sel:[1,0] op_sel_hi:[0,0]
	v_pk_fma_f32 v[60:61], v[80:81], v[56:57], v[104:105] neg_lo:[0,0,1] neg_hi:[0,0,1]
	v_pk_fma_f32 v[56:57], v[80:81], v[56:57], v[104:105] op_sel_hi:[1,0,1]
	v_mul_f32_e32 v99, v64, v41
	v_mul_f32_e32 v41, v65, v41
	v_fma_f32 v103, v62, v38, -v39
	v_fma_f32 v92, v68, v44, -v45
	v_add_f32_e32 v35, 0, v35
	v_add_f32_e32 v56, 0, v69
	v_pk_fma_f32 v[68:69], v[70:71], v[46:47], v[36:37] neg_lo:[0,0,1] neg_hi:[0,0,1]
	v_pk_fma_f32 v[36:37], v[70:71], v[46:47], v[36:37] op_sel_hi:[1,0,1]
	v_mul_f32_e32 v91, v66, v43
	v_mul_f32_e32 v43, v67, v43
	v_fmac_f32_e32 v99, v65, v40
	v_fma_f32 v107, v64, v40, -v41
	v_add_f32_e32 v35, v35, v95
	v_add_f32_e32 v36, v56, v103
	v_fmac_f32_e32 v91, v67, v42
	v_fma_f32 v90, v66, v42, -v43
	v_mov_b32_e32 v69, v37
	v_add_f32_e32 v37, v35, v99
	v_add_f32_e32 v36, v36, v107
	v_pk_mul_f32 v[96:97], v[72:73], v[48:49] op_sel:[1,1] op_sel_hi:[0,1]
	v_mov_b32_e32 v98, v51
	v_pk_add_f32 v[36:37], v[36:37], v[90:91]
	v_pk_fma_f32 v[38:39], v[72:73], v[48:49], v[96:97] neg_lo:[0,0,1] neg_hi:[0,0,1]
	v_pk_fma_f32 v[40:41], v[72:73], v[48:49], v[96:97] op_sel_hi:[1,0,1]
	v_pk_mul_f32 v[42:43], v[74:75], v[98:99] op_sel:[1,0] op_sel_hi:[0,0]
	v_pk_add_f32 v[36:37], v[36:37], v[92:93]
	v_pk_mul_f32 v[100:101], v[76:77], v[52:53] op_sel:[1,1] op_sel_hi:[0,1]
	v_mov_b32_e32 v102, v55
	v_mov_b32_e32 v39, v41
	v_pk_fma_f32 v[40:41], v[74:75], v[50:51], v[42:43] neg_lo:[0,0,1] neg_hi:[0,0,1]
	v_pk_fma_f32 v[42:43], v[74:75], v[50:51], v[42:43] op_sel_hi:[1,0,1]
	v_pk_add_f32 v[36:37], v[36:37], v[68:69]
	v_pk_fma_f32 v[44:45], v[76:77], v[52:53], v[100:101] neg_lo:[0,0,1] neg_hi:[0,0,1]
	v_pk_fma_f32 v[48:49], v[76:77], v[52:53], v[100:101] op_sel_hi:[1,0,1]
	v_pk_mul_f32 v[52:53], v[78:79], v[102:103] op_sel:[1,0] op_sel_hi:[0,0]
	v_mov_b32_e32 v41, v43
	v_pk_add_f32 v[36:37], v[36:37], v[38:39]
	v_mov_b32_e32 v106, v59
	v_mov_b32_e32 v45, v49
	v_pk_fma_f32 v[46:47], v[78:79], v[54:55], v[52:53] neg_lo:[0,0,1] neg_hi:[0,0,1]
	v_pk_fma_f32 v[48:49], v[78:79], v[54:55], v[52:53] op_sel_hi:[1,0,1]
	v_pk_add_f32 v[36:37], v[36:37], v[40:41]
	v_pk_mul_f32 v[62:63], v[82:83], v[106:107] op_sel:[1,0] op_sel_hi:[0,0]
	v_mov_b32_e32 v47, v49
	v_pk_add_f32 v[36:37], v[36:37], v[44:45]
	s_waitcnt vmcnt(1) lgkmcnt(0)
	v_pk_mul_f32 v[108:109], v[88:89], v[84:85] op_sel:[1,1] op_sel_hi:[0,1]
	v_mov_b32_e32 v61, v57
	v_pk_fma_f32 v[50:51], v[82:83], v[58:59], v[62:63] neg_lo:[0,0,1] neg_hi:[0,0,1]
	v_pk_fma_f32 v[52:53], v[82:83], v[58:59], v[62:63] op_sel_hi:[1,0,1]
	v_pk_add_f32 v[36:37], v[36:37], v[46:47]
	v_pk_fma_f32 v[64:65], v[88:89], v[84:85], v[108:109] neg_lo:[0,0,1] neg_hi:[0,0,1]
	v_pk_fma_f32 v[66:67], v[88:89], v[84:85], v[108:109] op_sel_hi:[1,0,1]
	v_mov_b32_e32 v51, v53
	v_pk_add_f32 v[36:37], v[36:37], v[60:61]
	v_mov_b32_e32 v65, v67
	v_pk_add_f32 v[36:37], v[36:37], v[50:51]
	s_nop 0
	v_pk_add_f32 v[36:37], v[36:37], v[64:65]
	s_waitcnt vmcnt(0)
	v_pk_add_f32 v[36:37], v[86:87], v[36:37] neg_lo:[0,1] neg_hi:[0,1]
	scratch_store_dwordx2 off, v[36:37], off offset:16
	s_and_saveexec_b64 s[0:1], vcc
	s_cbranch_execz .LBB79_107
; %bb.106:
	scratch_load_dwordx2 v[36:37], off, off offset:8
	v_mov_b32_e32 v35, v34
	scratch_store_dwordx2 off, v[34:35], off offset:8
	s_waitcnt vmcnt(1)
	ds_write_b64 v1, v[36:37]
.LBB79_107:
	s_or_b64 exec, exec, s[0:1]
	s_waitcnt lgkmcnt(0)
	; wave barrier
	scratch_load_dwordx4 v[36:39], off, off offset:16
	scratch_load_dwordx4 v[40:43], off, off offset:32
	;; [unrolled: 1-line block ×7, first 2 shown]
	ds_read_b128 v[64:67], v34 offset:144
	ds_read_b128 v[68:71], v34 offset:160
	;; [unrolled: 1-line block ×6, first 2 shown]
	scratch_load_dwordx2 v[92:93], off, off offset:8
	ds_read_b128 v[88:91], v34 offset:240
	v_cmp_ne_u32_e32 vcc, 0, v0
	s_waitcnt vmcnt(7) lgkmcnt(6)
	v_mul_f32_e32 v99, v64, v37
	v_mul_f32_e32 v103, v66, v39
	s_waitcnt vmcnt(6) lgkmcnt(5)
	v_mul_f32_e32 v107, v68, v41
	v_mul_f32_e32 v111, v70, v43
	;; [unrolled: 3-line block ×3, first 2 shown]
	v_mul_f32_e32 v34, v65, v37
	v_mul_f32_e32 v37, v67, v39
	;; [unrolled: 1-line block ×6, first 2 shown]
	s_waitcnt vmcnt(4) lgkmcnt(3)
	v_pk_mul_f32 v[96:97], v[76:77], v[48:49] op_sel:[1,1] op_sel_hi:[0,1]
	v_mov_b32_e32 v98, v51
	s_waitcnt vmcnt(3) lgkmcnt(2)
	v_pk_mul_f32 v[100:101], v[80:81], v[52:53] op_sel:[1,1] op_sel_hi:[0,1]
	v_mov_b32_e32 v102, v55
	s_waitcnt vmcnt(1) lgkmcnt(0)
	v_pk_mul_f32 v[108:109], v[88:89], v[60:61] op_sel:[1,1] op_sel_hi:[0,1]
	v_fmac_f32_e32 v99, v65, v36
	v_fmac_f32_e32 v103, v67, v38
	;; [unrolled: 1-line block ×6, first 2 shown]
	v_fma_f32 v69, v64, v36, -v34
	v_fma_f32 v71, v66, v38, -v37
	;; [unrolled: 1-line block ×6, first 2 shown]
	v_pk_fma_f32 v[36:37], v[76:77], v[48:49], v[96:97] neg_lo:[0,0,1] neg_hi:[0,0,1]
	v_pk_fma_f32 v[38:39], v[76:77], v[48:49], v[96:97] op_sel_hi:[1,0,1]
	v_pk_mul_f32 v[40:41], v[78:79], v[98:99] op_sel:[1,0] op_sel_hi:[0,0]
	v_pk_fma_f32 v[42:43], v[80:81], v[52:53], v[100:101] neg_lo:[0,0,1] neg_hi:[0,0,1]
	v_pk_fma_f32 v[44:45], v[80:81], v[52:53], v[100:101] op_sel_hi:[1,0,1]
	v_pk_mul_f32 v[46:47], v[82:83], v[102:103] op_sel:[1,0] op_sel_hi:[0,0]
	v_pk_fma_f32 v[64:65], v[88:89], v[60:61], v[108:109] neg_lo:[0,0,1] neg_hi:[0,0,1]
	v_pk_fma_f32 v[60:61], v[88:89], v[60:61], v[108:109] op_sel_hi:[1,0,1]
	v_add_f32_e32 v69, 0, v69
	v_add_f32_e32 v60, 0, v99
	v_mov_b32_e32 v37, v39
	v_pk_fma_f32 v[38:39], v[78:79], v[50:51], v[40:41] neg_lo:[0,0,1] neg_hi:[0,0,1]
	v_pk_fma_f32 v[40:41], v[78:79], v[50:51], v[40:41] op_sel_hi:[1,0,1]
	v_mov_b32_e32 v43, v45
	v_pk_fma_f32 v[44:45], v[82:83], v[54:55], v[46:47] neg_lo:[0,0,1] neg_hi:[0,0,1]
	v_pk_fma_f32 v[46:47], v[82:83], v[54:55], v[46:47] op_sel_hi:[1,0,1]
	v_add_f32_e32 v40, v60, v103
	v_add_f32_e32 v46, v69, v71
	;; [unrolled: 1-line block ×4, first 2 shown]
	v_mov_b32_e32 v39, v41
	v_add_f32_e32 v41, v40, v111
	v_add_f32_e32 v40, v46, v70
	v_pk_add_f32 v[34:35], v[40:41], v[34:35]
	v_pk_mul_f32 v[104:105], v[84:85], v[56:57] op_sel:[1,1] op_sel_hi:[0,1]
	v_pk_add_f32 v[34:35], v[34:35], v[94:95]
	v_mov_b32_e32 v106, v59
	v_pk_add_f32 v[34:35], v[34:35], v[36:37]
	v_pk_fma_f32 v[48:49], v[84:85], v[56:57], v[104:105] neg_lo:[0,0,1] neg_hi:[0,0,1]
	v_pk_add_f32 v[34:35], v[34:35], v[38:39]
	v_pk_fma_f32 v[52:53], v[84:85], v[56:57], v[104:105] op_sel_hi:[1,0,1]
	v_pk_mul_f32 v[56:57], v[86:87], v[106:107] op_sel:[1,0] op_sel_hi:[0,0]
	v_mov_b32_e32 v45, v47
	v_pk_add_f32 v[34:35], v[34:35], v[42:43]
	v_mov_b32_e32 v110, v63
	v_mov_b32_e32 v49, v53
	v_pk_fma_f32 v[50:51], v[86:87], v[58:59], v[56:57] neg_lo:[0,0,1] neg_hi:[0,0,1]
	v_pk_fma_f32 v[52:53], v[86:87], v[58:59], v[56:57] op_sel_hi:[1,0,1]
	v_pk_add_f32 v[34:35], v[34:35], v[44:45]
	v_pk_mul_f32 v[66:67], v[90:91], v[110:111] op_sel:[1,0] op_sel_hi:[0,0]
	v_mov_b32_e32 v51, v53
	v_pk_add_f32 v[34:35], v[34:35], v[48:49]
	v_mov_b32_e32 v65, v61
	v_pk_fma_f32 v[54:55], v[90:91], v[62:63], v[66:67] neg_lo:[0,0,1] neg_hi:[0,0,1]
	v_pk_fma_f32 v[56:57], v[90:91], v[62:63], v[66:67] op_sel_hi:[1,0,1]
	v_pk_add_f32 v[34:35], v[34:35], v[50:51]
	v_mov_b32_e32 v55, v57
	v_pk_add_f32 v[34:35], v[34:35], v[64:65]
	s_nop 0
	v_pk_add_f32 v[34:35], v[34:35], v[54:55]
	s_waitcnt vmcnt(0)
	v_pk_add_f32 v[34:35], v[92:93], v[34:35] neg_lo:[0,1] neg_hi:[0,1]
	scratch_store_dwordx2 off, v[34:35], off offset:8
	s_and_saveexec_b64 s[0:1], vcc
	s_cbranch_execz .LBB79_109
; %bb.108:
	scratch_load_dwordx2 v[34:35], off, off
	v_mov_b32_e32 v36, 0
	v_mov_b32_e32 v37, v36
	scratch_store_dwordx2 off, v[36:37], off
	s_waitcnt vmcnt(1)
	ds_write_b64 v1, v[34:35]
.LBB79_109:
	s_or_b64 exec, exec, s[0:1]
	s_waitcnt lgkmcnt(0)
	; wave barrier
	scratch_load_dwordx4 v[36:39], off, off offset:8
	scratch_load_dwordx4 v[40:43], off, off offset:24
	;; [unrolled: 1-line block ×7, first 2 shown]
	scratch_load_dwordx2 v[0:1], off, off offset:120
	scratch_load_dwordx2 v[92:93], off, off
	v_mov_b32_e32 v34, 0
	ds_read2_b64 v[64:67], v34 offset0:17 offset1:18
	ds_read2_b64 v[68:71], v34 offset0:19 offset1:20
	;; [unrolled: 1-line block ×7, first 2 shown]
	ds_read_b64 v[94:95], v34 offset:248
	s_and_b64 vcc, exec, s[10:11]
	s_waitcnt vmcnt(8) lgkmcnt(7)
	v_mul_f32_e32 v101, v66, v39
	v_mul_f32_e32 v35, v64, v37
	s_waitcnt vmcnt(7) lgkmcnt(6)
	v_mul_f32_e32 v105, v68, v41
	s_waitcnt vmcnt(6) lgkmcnt(5)
	v_mul_f32_e32 v113, v72, v45
	v_mul_f32_e32 v97, v74, v47
	;; [unrolled: 1-line block ×5, first 2 shown]
	s_waitcnt vmcnt(5)
	v_mov_b32_e32 v100, v51
	s_waitcnt vmcnt(3) lgkmcnt(2)
	v_pk_mul_f32 v[106:107], v[84:85], v[56:57] op_sel:[1,1] op_sel_hi:[0,1]
	s_waitcnt vmcnt(2) lgkmcnt(1)
	v_pk_mul_f32 v[110:111], v[88:89], v[60:61] op_sel:[1,1] op_sel_hi:[0,1]
	v_fmac_f32_e32 v101, v67, v38
	v_mul_f32_e32 v39, v67, v39
	v_mul_f32_e32 v41, v69, v41
	v_fmac_f32_e32 v35, v65, v36
	v_fmac_f32_e32 v105, v69, v40
	;; [unrolled: 1-line block ×4, first 2 shown]
	v_fma_f32 v64, v64, v36, -v37
	v_fma_f32 v69, v72, v44, -v45
	;; [unrolled: 1-line block ×3, first 2 shown]
	v_pk_mul_f32 v[36:37], v[78:79], v[100:101] op_sel:[1,0] op_sel_hi:[0,0]
	v_pk_fma_f32 v[44:45], v[84:85], v[56:57], v[106:107] neg_lo:[0,0,1] neg_hi:[0,0,1]
	v_pk_fma_f32 v[46:47], v[84:85], v[56:57], v[106:107] op_sel_hi:[1,0,1]
	v_pk_fma_f32 v[56:57], v[88:89], v[60:61], v[110:111] op_sel_hi:[1,0,1]
	v_fma_f32 v66, v66, v38, -v39
	v_add_f32_e32 v35, 0, v35
	v_add_f32_e32 v56, 0, v64
	v_pk_fma_f32 v[64:65], v[78:79], v[50:51], v[36:37] neg_lo:[0,0,1] neg_hi:[0,0,1]
	v_pk_fma_f32 v[36:37], v[78:79], v[50:51], v[36:37] op_sel_hi:[1,0,1]
	v_mul_f32_e32 v109, v70, v43
	v_mul_f32_e32 v43, v71, v43
	v_fma_f32 v67, v68, v40, -v41
	v_add_f32_e32 v35, v35, v101
	v_add_f32_e32 v36, v56, v66
	v_fmac_f32_e32 v109, v71, v42
	v_fma_f32 v68, v70, v42, -v43
	v_add_f32_e32 v35, v35, v105
	v_add_f32_e32 v36, v36, v67
	;; [unrolled: 1-line block ×4, first 2 shown]
	v_mul_f32_e32 v99, v76, v49
	v_mul_f32_e32 v49, v77, v49
	v_mov_b32_e32 v65, v37
	v_add_f32_e32 v37, v35, v113
	v_add_f32_e32 v36, v36, v69
	v_pk_mul_f32 v[102:103], v[80:81], v[52:53] op_sel:[1,1] op_sel_hi:[0,1]
	v_mov_b32_e32 v104, v55
	v_fmac_f32_e32 v99, v77, v48
	v_fma_f32 v98, v76, v48, -v49
	v_pk_add_f32 v[36:37], v[36:37], v[96:97]
	v_pk_fma_f32 v[38:39], v[80:81], v[52:53], v[102:103] neg_lo:[0,0,1] neg_hi:[0,0,1]
	v_pk_fma_f32 v[40:41], v[80:81], v[52:53], v[102:103] op_sel_hi:[1,0,1]
	v_pk_mul_f32 v[42:43], v[82:83], v[104:105] op_sel:[1,0] op_sel_hi:[0,0]
	v_pk_add_f32 v[36:37], v[36:37], v[98:99]
	v_mov_b32_e32 v108, v59
	v_mov_b32_e32 v39, v41
	v_pk_fma_f32 v[40:41], v[82:83], v[54:55], v[42:43] neg_lo:[0,0,1] neg_hi:[0,0,1]
	v_pk_fma_f32 v[42:43], v[82:83], v[54:55], v[42:43] op_sel_hi:[1,0,1]
	v_pk_add_f32 v[36:37], v[36:37], v[64:65]
	v_pk_mul_f32 v[48:49], v[86:87], v[108:109] op_sel:[1,0] op_sel_hi:[0,0]
	v_mov_b32_e32 v41, v43
	v_pk_add_f32 v[36:37], v[36:37], v[38:39]
	v_mov_b32_e32 v112, v63
	v_mov_b32_e32 v45, v47
	v_pk_fma_f32 v[46:47], v[86:87], v[58:59], v[48:49] neg_lo:[0,0,1] neg_hi:[0,0,1]
	v_pk_fma_f32 v[48:49], v[86:87], v[58:59], v[48:49] op_sel_hi:[1,0,1]
	v_pk_add_f32 v[36:37], v[36:37], v[40:41]
	v_pk_fma_f32 v[52:53], v[88:89], v[60:61], v[110:111] neg_lo:[0,0,1] neg_hi:[0,0,1]
	v_pk_mul_f32 v[60:61], v[90:91], v[112:113] op_sel:[1,0] op_sel_hi:[0,0]
	v_mov_b32_e32 v47, v49
	v_pk_add_f32 v[36:37], v[36:37], v[44:45]
	v_mov_b32_e32 v53, v57
	v_pk_add_f32 v[36:37], v[36:37], v[46:47]
	v_pk_fma_f32 v[38:39], v[90:91], v[62:63], v[60:61] neg_lo:[0,0,1] neg_hi:[0,0,1]
	v_pk_fma_f32 v[40:41], v[90:91], v[62:63], v[60:61] op_sel_hi:[1,0,1]
	v_pk_add_f32 v[36:37], v[36:37], v[52:53]
	v_mov_b32_e32 v39, v41
	v_pk_add_f32 v[36:37], v[36:37], v[38:39]
	s_waitcnt vmcnt(1) lgkmcnt(0)
	v_pk_mul_f32 v[38:39], v[94:95], v[0:1] op_sel:[1,1] op_sel_hi:[0,1]
	v_pk_fma_f32 v[40:41], v[94:95], v[0:1], v[38:39] neg_lo:[0,0,1] neg_hi:[0,0,1]
	v_pk_fma_f32 v[0:1], v[94:95], v[0:1], v[38:39] op_sel_hi:[1,0,1]
	s_nop 0
	v_mov_b32_e32 v41, v1
	v_pk_add_f32 v[0:1], v[36:37], v[40:41]
	s_waitcnt vmcnt(0)
	v_pk_add_f32 v[0:1], v[92:93], v[0:1] neg_lo:[0,1] neg_hi:[0,1]
	scratch_store_dwordx2 off, v[0:1], off
	s_cbranch_vccz .LBB79_140
; %bb.110:
	global_load_dword v0, v34, s[8:9] offset:56
	s_waitcnt vmcnt(0)
	v_readfirstlane_b32 s0, v0
	s_add_i32 s0, s0, -1
	s_cmp_lg_u32 s0, 14
	s_cbranch_scc0 .LBB79_112
; %bb.111:
	s_lshl_b32 s0, s0, 3
	s_nop 0
	scratch_load_dwordx2 v[0:1], off, s0
	scratch_load_dwordx2 v[34:35], off, off offset:112
	s_waitcnt vmcnt(1)
	scratch_store_dwordx2 off, v[0:1], off offset:112
	s_waitcnt vmcnt(1)
	scratch_store_dwordx2 off, v[34:35], s0
.LBB79_112:
	v_mov_b32_e32 v0, 0
	global_load_dword v1, v0, s[8:9] offset:52
	s_waitcnt vmcnt(0)
	v_readfirstlane_b32 s0, v1
	s_add_i32 s0, s0, -1
	s_cmp_eq_u32 s0, 13
	s_cbranch_scc1 .LBB79_114
; %bb.113:
	s_lshl_b32 s0, s0, 3
	s_nop 0
	scratch_load_dwordx2 v[34:35], off, s0
	scratch_load_dwordx2 v[36:37], off, off offset:104
	s_waitcnt vmcnt(1)
	scratch_store_dwordx2 off, v[34:35], off offset:104
	s_waitcnt vmcnt(1)
	scratch_store_dwordx2 off, v[36:37], s0
.LBB79_114:
	global_load_dword v0, v0, s[8:9] offset:48
	s_waitcnt vmcnt(0)
	v_readfirstlane_b32 s0, v0
	s_add_i32 s0, s0, -1
	s_cmp_eq_u32 s0, 12
	s_cbranch_scc1 .LBB79_116
; %bb.115:
	s_lshl_b32 s0, s0, 3
	s_nop 0
	scratch_load_dwordx2 v[0:1], off, s0
	scratch_load_dwordx2 v[34:35], off, off offset:96
	s_waitcnt vmcnt(1)
	scratch_store_dwordx2 off, v[0:1], off offset:96
	s_waitcnt vmcnt(1)
	scratch_store_dwordx2 off, v[34:35], s0
.LBB79_116:
	v_mov_b32_e32 v0, 0
	global_load_dword v1, v0, s[8:9] offset:44
	s_waitcnt vmcnt(0)
	v_readfirstlane_b32 s0, v1
	s_add_i32 s0, s0, -1
	s_cmp_eq_u32 s0, 11
	s_cbranch_scc1 .LBB79_118
; %bb.117:
	s_lshl_b32 s0, s0, 3
	s_nop 0
	scratch_load_dwordx2 v[34:35], off, s0
	scratch_load_dwordx2 v[36:37], off, off offset:88
	s_waitcnt vmcnt(1)
	scratch_store_dwordx2 off, v[34:35], off offset:88
	s_waitcnt vmcnt(1)
	scratch_store_dwordx2 off, v[36:37], s0
.LBB79_118:
	global_load_dword v0, v0, s[8:9] offset:40
	s_waitcnt vmcnt(0)
	v_readfirstlane_b32 s0, v0
	s_add_i32 s0, s0, -1
	s_cmp_eq_u32 s0, 10
	s_cbranch_scc1 .LBB79_120
; %bb.119:
	s_lshl_b32 s0, s0, 3
	s_nop 0
	scratch_load_dwordx2 v[0:1], off, s0
	scratch_load_dwordx2 v[34:35], off, off offset:80
	s_waitcnt vmcnt(1)
	scratch_store_dwordx2 off, v[0:1], off offset:80
	s_waitcnt vmcnt(1)
	scratch_store_dwordx2 off, v[34:35], s0
.LBB79_120:
	;; [unrolled: 33-line block ×6, first 2 shown]
	v_mov_b32_e32 v0, 0
	global_load_dword v1, v0, s[8:9] offset:4
	s_waitcnt vmcnt(0)
	v_readfirstlane_b32 s0, v1
	s_add_i32 s0, s0, -1
	s_cmp_eq_u32 s0, 1
	s_cbranch_scc1 .LBB79_138
; %bb.137:
	s_lshl_b32 s0, s0, 3
	s_nop 0
	scratch_load_dwordx2 v[34:35], off, s0
	scratch_load_dwordx2 v[36:37], off, off offset:8
	s_waitcnt vmcnt(1)
	scratch_store_dwordx2 off, v[34:35], off offset:8
	s_waitcnt vmcnt(1)
	scratch_store_dwordx2 off, v[36:37], s0
.LBB79_138:
	global_load_dword v34, v0, s[8:9]
	s_nop 0
	scratch_load_dwordx2 v[0:1], off, off
	s_waitcnt vmcnt(1)
	v_readfirstlane_b32 s0, v34
	s_add_i32 s0, s0, -1
	s_cmp_eq_u32 s0, 0
	s_cbranch_scc1 .LBB79_140
; %bb.139:
	s_lshl_b32 s0, s0, 3
	s_nop 0
	scratch_load_dwordx2 v[34:35], off, s0
	s_waitcnt vmcnt(0)
	scratch_store_dwordx2 off, v[34:35], off
	scratch_store_dwordx2 off, v[0:1], s0
	scratch_load_dwordx2 v[0:1], off, off
.LBB79_140:
	s_waitcnt vmcnt(0)
	flat_store_dwordx2 v[2:3], v[0:1]
	scratch_load_dwordx2 v[0:1], off, off offset:8
	s_waitcnt vmcnt(0)
	flat_store_dwordx2 v[4:5], v[0:1]
	scratch_load_dwordx2 v[0:1], off, off offset:16
	;; [unrolled: 3-line block ×15, first 2 shown]
	s_waitcnt vmcnt(0)
	flat_store_dwordx2 v[32:33], v[0:1]
	s_endpgm
	.section	.rodata,"a",@progbits
	.p2align	6, 0x0
	.amdhsa_kernel _ZN9rocsolver6v33100L18getri_kernel_smallILi16E19rocblas_complex_numIfEPKPS3_EEvT1_iilPiilS8_bb
		.amdhsa_group_segment_fixed_size 260
		.amdhsa_private_segment_fixed_size 144
		.amdhsa_kernarg_size 60
		.amdhsa_user_sgpr_count 2
		.amdhsa_user_sgpr_dispatch_ptr 0
		.amdhsa_user_sgpr_queue_ptr 0
		.amdhsa_user_sgpr_kernarg_segment_ptr 1
		.amdhsa_user_sgpr_dispatch_id 0
		.amdhsa_user_sgpr_kernarg_preload_length 0
		.amdhsa_user_sgpr_kernarg_preload_offset 0
		.amdhsa_user_sgpr_private_segment_size 0
		.amdhsa_uses_dynamic_stack 0
		.amdhsa_enable_private_segment 1
		.amdhsa_system_sgpr_workgroup_id_x 1
		.amdhsa_system_sgpr_workgroup_id_y 0
		.amdhsa_system_sgpr_workgroup_id_z 0
		.amdhsa_system_sgpr_workgroup_info 0
		.amdhsa_system_vgpr_workitem_id 0
		.amdhsa_next_free_vgpr 114
		.amdhsa_next_free_sgpr 17
		.amdhsa_accum_offset 116
		.amdhsa_reserve_vcc 1
		.amdhsa_float_round_mode_32 0
		.amdhsa_float_round_mode_16_64 0
		.amdhsa_float_denorm_mode_32 3
		.amdhsa_float_denorm_mode_16_64 3
		.amdhsa_dx10_clamp 1
		.amdhsa_ieee_mode 1
		.amdhsa_fp16_overflow 0
		.amdhsa_tg_split 0
		.amdhsa_exception_fp_ieee_invalid_op 0
		.amdhsa_exception_fp_denorm_src 0
		.amdhsa_exception_fp_ieee_div_zero 0
		.amdhsa_exception_fp_ieee_overflow 0
		.amdhsa_exception_fp_ieee_underflow 0
		.amdhsa_exception_fp_ieee_inexact 0
		.amdhsa_exception_int_div_zero 0
	.end_amdhsa_kernel
	.section	.text._ZN9rocsolver6v33100L18getri_kernel_smallILi16E19rocblas_complex_numIfEPKPS3_EEvT1_iilPiilS8_bb,"axG",@progbits,_ZN9rocsolver6v33100L18getri_kernel_smallILi16E19rocblas_complex_numIfEPKPS3_EEvT1_iilPiilS8_bb,comdat
.Lfunc_end79:
	.size	_ZN9rocsolver6v33100L18getri_kernel_smallILi16E19rocblas_complex_numIfEPKPS3_EEvT1_iilPiilS8_bb, .Lfunc_end79-_ZN9rocsolver6v33100L18getri_kernel_smallILi16E19rocblas_complex_numIfEPKPS3_EEvT1_iilPiilS8_bb
                                        ; -- End function
	.set _ZN9rocsolver6v33100L18getri_kernel_smallILi16E19rocblas_complex_numIfEPKPS3_EEvT1_iilPiilS8_bb.num_vgpr, 114
	.set _ZN9rocsolver6v33100L18getri_kernel_smallILi16E19rocblas_complex_numIfEPKPS3_EEvT1_iilPiilS8_bb.num_agpr, 0
	.set _ZN9rocsolver6v33100L18getri_kernel_smallILi16E19rocblas_complex_numIfEPKPS3_EEvT1_iilPiilS8_bb.numbered_sgpr, 17
	.set _ZN9rocsolver6v33100L18getri_kernel_smallILi16E19rocblas_complex_numIfEPKPS3_EEvT1_iilPiilS8_bb.num_named_barrier, 0
	.set _ZN9rocsolver6v33100L18getri_kernel_smallILi16E19rocblas_complex_numIfEPKPS3_EEvT1_iilPiilS8_bb.private_seg_size, 144
	.set _ZN9rocsolver6v33100L18getri_kernel_smallILi16E19rocblas_complex_numIfEPKPS3_EEvT1_iilPiilS8_bb.uses_vcc, 1
	.set _ZN9rocsolver6v33100L18getri_kernel_smallILi16E19rocblas_complex_numIfEPKPS3_EEvT1_iilPiilS8_bb.uses_flat_scratch, 0
	.set _ZN9rocsolver6v33100L18getri_kernel_smallILi16E19rocblas_complex_numIfEPKPS3_EEvT1_iilPiilS8_bb.has_dyn_sized_stack, 0
	.set _ZN9rocsolver6v33100L18getri_kernel_smallILi16E19rocblas_complex_numIfEPKPS3_EEvT1_iilPiilS8_bb.has_recursion, 0
	.set _ZN9rocsolver6v33100L18getri_kernel_smallILi16E19rocblas_complex_numIfEPKPS3_EEvT1_iilPiilS8_bb.has_indirect_call, 0
	.section	.AMDGPU.csdata,"",@progbits
; Kernel info:
; codeLenInByte = 13032
; TotalNumSgprs: 23
; NumVgprs: 114
; NumAgprs: 0
; TotalNumVgprs: 114
; ScratchSize: 144
; MemoryBound: 0
; FloatMode: 240
; IeeeMode: 1
; LDSByteSize: 260 bytes/workgroup (compile time only)
; SGPRBlocks: 2
; VGPRBlocks: 14
; NumSGPRsForWavesPerEU: 23
; NumVGPRsForWavesPerEU: 114
; AccumOffset: 116
; Occupancy: 4
; WaveLimiterHint : 1
; COMPUTE_PGM_RSRC2:SCRATCH_EN: 1
; COMPUTE_PGM_RSRC2:USER_SGPR: 2
; COMPUTE_PGM_RSRC2:TRAP_HANDLER: 0
; COMPUTE_PGM_RSRC2:TGID_X_EN: 1
; COMPUTE_PGM_RSRC2:TGID_Y_EN: 0
; COMPUTE_PGM_RSRC2:TGID_Z_EN: 0
; COMPUTE_PGM_RSRC2:TIDIG_COMP_CNT: 0
; COMPUTE_PGM_RSRC3_GFX90A:ACCUM_OFFSET: 28
; COMPUTE_PGM_RSRC3_GFX90A:TG_SPLIT: 0
	.section	.text._ZN9rocsolver6v33100L18getri_kernel_smallILi17E19rocblas_complex_numIfEPKPS3_EEvT1_iilPiilS8_bb,"axG",@progbits,_ZN9rocsolver6v33100L18getri_kernel_smallILi17E19rocblas_complex_numIfEPKPS3_EEvT1_iilPiilS8_bb,comdat
	.globl	_ZN9rocsolver6v33100L18getri_kernel_smallILi17E19rocblas_complex_numIfEPKPS3_EEvT1_iilPiilS8_bb ; -- Begin function _ZN9rocsolver6v33100L18getri_kernel_smallILi17E19rocblas_complex_numIfEPKPS3_EEvT1_iilPiilS8_bb
	.p2align	8
	.type	_ZN9rocsolver6v33100L18getri_kernel_smallILi17E19rocblas_complex_numIfEPKPS3_EEvT1_iilPiilS8_bb,@function
_ZN9rocsolver6v33100L18getri_kernel_smallILi17E19rocblas_complex_numIfEPKPS3_EEvT1_iilPiilS8_bb: ; @_ZN9rocsolver6v33100L18getri_kernel_smallILi17E19rocblas_complex_numIfEPKPS3_EEvT1_iilPiilS8_bb
; %bb.0:
	v_cmp_gt_u32_e32 vcc, 17, v0
	s_and_saveexec_b64 s[4:5], vcc
	s_cbranch_execz .LBB80_82
; %bb.1:
	s_load_dword s14, s[0:1], 0x38
	s_load_dwordx2 s[8:9], s[0:1], 0x0
	s_load_dwordx4 s[4:7], s[0:1], 0x28
	s_waitcnt lgkmcnt(0)
	s_bitcmp1_b32 s14, 8
	s_cselect_b64 s[10:11], -1, 0
	s_ashr_i32 s3, s2, 31
	s_lshl_b64 s[12:13], s[2:3], 3
	s_add_u32 s8, s8, s12
	s_addc_u32 s9, s9, s13
	s_load_dwordx2 s[12:13], s[8:9], 0x0
	s_bfe_u32 s8, s14, 0x10008
	s_cmp_eq_u32 s8, 0
                                        ; implicit-def: $sgpr8_sgpr9
	s_cbranch_scc1 .LBB80_3
; %bb.2:
	s_load_dword s8, s[0:1], 0x20
	s_load_dwordx2 s[14:15], s[0:1], 0x18
	s_mul_i32 s9, s4, s3
	s_mul_hi_u32 s16, s4, s2
	s_add_i32 s16, s16, s9
	s_mul_i32 s5, s5, s2
	s_add_i32 s5, s16, s5
	s_mul_i32 s4, s4, s2
	s_waitcnt lgkmcnt(0)
	s_ashr_i32 s9, s8, 31
	s_lshl_b64 s[4:5], s[4:5], 2
	s_add_u32 s14, s14, s4
	s_addc_u32 s15, s15, s5
	s_lshl_b64 s[4:5], s[8:9], 2
	s_add_u32 s8, s14, s4
	s_addc_u32 s9, s15, s5
.LBB80_3:
	s_load_dwordx2 s[4:5], s[0:1], 0x8
	s_load_dword s14, s[0:1], 0x38
	v_lshlrev_b32_e32 v36, 3, v0
	v_mov_b32_e32 v37, 0
	s_waitcnt lgkmcnt(0)
	s_ashr_i32 s1, s4, 31
	s_mov_b32 s0, s4
	s_lshl_b64 s[0:1], s[0:1], 3
	s_add_u32 s0, s12, s0
	s_addc_u32 s1, s13, s1
	v_lshl_add_u64 v[2:3], s[0:1], 0, v[36:37]
	flat_load_dwordx2 v[6:7], v[2:3]
	s_mov_b32 s12, s5
	s_ashr_i32 s13, s5, 31
	v_lshl_add_u64 v[4:5], s[12:13], 3, v[2:3]
	s_add_i32 s4, s5, s5
	v_add_u32_e32 v10, s4, v0
	v_ashrrev_i32_e32 v11, 31, v10
	s_bitcmp0_b32 s14, 0
	s_waitcnt vmcnt(0) lgkmcnt(0)
	scratch_store_dwordx2 off, v[6:7], off
	flat_load_dwordx2 v[8:9], v[4:5]
	v_lshl_add_u64 v[6:7], v[10:11], 3, s[0:1]
	v_add_u32_e32 v10, s5, v10
	v_ashrrev_i32_e32 v11, 31, v10
	v_add_u32_e32 v14, s5, v10
	v_ashrrev_i32_e32 v15, 31, v14
	s_waitcnt vmcnt(0) lgkmcnt(0)
	scratch_store_dwordx2 off, v[8:9], off offset:8
	flat_load_dwordx2 v[12:13], v[6:7]
	v_lshl_add_u64 v[8:9], v[10:11], 3, s[0:1]
	v_lshl_add_u64 v[10:11], v[14:15], 3, s[0:1]
	v_add_u32_e32 v14, s5, v14
	v_ashrrev_i32_e32 v15, 31, v14
	v_add_u32_e32 v18, s5, v14
	v_ashrrev_i32_e32 v19, 31, v18
	s_waitcnt vmcnt(0) lgkmcnt(0)
	scratch_store_dwordx2 off, v[12:13], off offset:16
	flat_load_dwordx2 v[12:13], v[8:9]
	s_waitcnt vmcnt(0) lgkmcnt(0)
	scratch_store_dwordx2 off, v[12:13], off offset:24
	flat_load_dwordx2 v[16:17], v[10:11]
	v_lshl_add_u64 v[12:13], v[14:15], 3, s[0:1]
	v_lshl_add_u64 v[14:15], v[18:19], 3, s[0:1]
	v_add_u32_e32 v18, s5, v18
	v_ashrrev_i32_e32 v19, 31, v18
	v_add_u32_e32 v22, s5, v18
	v_ashrrev_i32_e32 v23, 31, v22
	s_waitcnt vmcnt(0) lgkmcnt(0)
	scratch_store_dwordx2 off, v[16:17], off offset:32
	flat_load_dwordx2 v[16:17], v[12:13]
	;; [unrolled: 12-line block ×5, first 2 shown]
	s_waitcnt vmcnt(0) lgkmcnt(0)
	scratch_store_dwordx2 off, v[28:29], off offset:88
	flat_load_dwordx2 v[32:33], v[26:27]
	v_lshl_add_u64 v[28:29], v[30:31], 3, s[0:1]
	v_lshl_add_u64 v[30:31], v[34:35], 3, s[0:1]
	v_add_u32_e32 v34, s5, v34
	v_ashrrev_i32_e32 v35, 31, v34
	s_waitcnt vmcnt(0) lgkmcnt(0)
	scratch_store_dwordx2 off, v[32:33], off offset:96
	flat_load_dwordx2 v[32:33], v[28:29]
	s_waitcnt vmcnt(0) lgkmcnt(0)
	scratch_store_dwordx2 off, v[32:33], off offset:104
	flat_load_dwordx2 v[38:39], v[30:31]
	v_lshl_add_u64 v[32:33], v[34:35], 3, s[0:1]
	v_add_u32_e32 v34, s5, v34
	v_ashrrev_i32_e32 v35, 31, v34
	v_lshl_add_u64 v[34:35], v[34:35], 3, s[0:1]
	s_mov_b64 s[4:5], -1
	s_waitcnt vmcnt(0) lgkmcnt(0)
	scratch_store_dwordx2 off, v[38:39], off offset:112
	flat_load_dwordx2 v[38:39], v[32:33]
	s_waitcnt vmcnt(0) lgkmcnt(0)
	scratch_store_dwordx2 off, v[38:39], off offset:120
	flat_load_dwordx2 v[38:39], v[34:35]
	s_waitcnt vmcnt(0) lgkmcnt(0)
	scratch_store_dwordx2 off, v[38:39], off offset:128
	s_cbranch_scc1 .LBB80_80
; %bb.4:
	v_cmp_eq_u32_e64 s[0:1], 0, v0
	s_and_saveexec_b64 s[4:5], s[0:1]
; %bb.5:
	v_mov_b32_e32 v1, 0
	ds_write_b32 v1, v1 offset:136
; %bb.6:
	s_or_b64 exec, exec, s[4:5]
	s_waitcnt lgkmcnt(0)
	; wave barrier
	scratch_load_dwordx2 v[38:39], v36, off
	s_waitcnt vmcnt(0)
	v_cmp_eq_f32_e32 vcc, 0, v38
	v_cmp_eq_f32_e64 s[4:5], 0, v39
	s_and_b64 s[4:5], vcc, s[4:5]
	s_and_saveexec_b64 s[12:13], s[4:5]
	s_cbranch_execz .LBB80_10
; %bb.7:
	v_mov_b32_e32 v1, 0
	ds_read_b32 v38, v1 offset:136
	v_add_u32_e32 v37, 1, v0
	s_waitcnt lgkmcnt(0)
	v_readfirstlane_b32 s4, v38
	s_cmp_eq_u32 s4, 0
	s_cselect_b64 s[14:15], -1, 0
	v_cmp_gt_i32_e32 vcc, s4, v37
	s_or_b64 s[14:15], s[14:15], vcc
	s_and_b64 exec, exec, s[14:15]
	s_cbranch_execz .LBB80_10
; %bb.8:
	s_mov_b64 s[14:15], 0
	v_mov_b32_e32 v38, s4
.LBB80_9:                               ; =>This Inner Loop Header: Depth=1
	ds_cmpst_rtn_b32 v38, v1, v38, v37 offset:136
	s_waitcnt lgkmcnt(0)
	v_cmp_ne_u32_e32 vcc, 0, v38
	v_cmp_le_i32_e64 s[4:5], v38, v37
	s_and_b64 s[4:5], vcc, s[4:5]
	s_and_b64 s[4:5], exec, s[4:5]
	s_or_b64 s[14:15], s[4:5], s[14:15]
	s_andn2_b64 exec, exec, s[14:15]
	s_cbranch_execnz .LBB80_9
.LBB80_10:
	s_or_b64 exec, exec, s[12:13]
	v_mov_b32_e32 v37, 0
	; wave barrier
	ds_read_b32 v1, v37 offset:136
	s_and_saveexec_b64 s[4:5], s[0:1]
	s_cbranch_execz .LBB80_12
; %bb.11:
	s_lshl_b64 s[12:13], s[2:3], 2
	s_add_u32 s12, s6, s12
	s_addc_u32 s13, s7, s13
	s_waitcnt lgkmcnt(0)
	global_store_dword v37, v1, s[12:13]
.LBB80_12:
	s_or_b64 exec, exec, s[4:5]
	s_waitcnt lgkmcnt(0)
	v_cmp_ne_u32_e32 vcc, 0, v1
	s_mov_b64 s[4:5], 0
	s_cbranch_vccnz .LBB80_80
; %bb.13:
	v_mov_b32_e32 v37, v36
	scratch_load_dwordx2 v[38:39], v37, off
                                        ; implicit-def: $vgpr41
                                        ; implicit-def: $vgpr42
	s_waitcnt vmcnt(0)
	v_cmp_ngt_f32_e64 s[4:5], |v38|, |v39|
	s_and_saveexec_b64 s[12:13], s[4:5]
	s_xor_b64 s[4:5], exec, s[12:13]
	s_cbranch_execz .LBB80_15
; %bb.14:
	v_div_scale_f32 v1, s[12:13], v39, v39, v38
	v_rcp_f32_e32 v40, v1
	v_div_scale_f32 v41, vcc, v38, v39, v38
	v_fma_f32 v42, -v1, v40, 1.0
	v_fmac_f32_e32 v40, v42, v40
	v_mul_f32_e32 v42, v41, v40
	v_fma_f32 v43, -v1, v42, v41
	v_fmac_f32_e32 v42, v43, v40
	v_fma_f32 v1, -v1, v42, v41
	v_div_fmas_f32 v1, v1, v40, v42
	v_div_fixup_f32 v1, v1, v39, v38
	v_fmac_f32_e32 v39, v38, v1
	v_div_scale_f32 v38, s[12:13], v39, v39, -1.0
	v_rcp_f32_e32 v40, v38
	s_nop 0
	v_fma_f32 v41, -v38, v40, 1.0
	v_fmac_f32_e32 v40, v41, v40
	v_div_scale_f32 v41, vcc, -1.0, v39, -1.0
	v_mul_f32_e32 v42, v41, v40
	v_fma_f32 v43, -v38, v42, v41
	v_fmac_f32_e32 v42, v43, v40
	v_fma_f32 v38, -v38, v42, v41
	v_div_fmas_f32 v38, v38, v40, v42
	v_div_fixup_f32 v41, v38, v39, -1.0
	v_mul_f32_e32 v42, v1, v41
	v_xor_b32_e32 v40, 0x80000000, v42
                                        ; implicit-def: $vgpr38_vgpr39
.LBB80_15:
	s_andn2_saveexec_b64 s[4:5], s[4:5]
	s_cbranch_execz .LBB80_17
; %bb.16:
	v_div_scale_f32 v1, s[12:13], v38, v38, v39
	v_rcp_f32_e32 v40, v1
	v_div_scale_f32 v41, vcc, v39, v38, v39
	v_fma_f32 v42, -v1, v40, 1.0
	v_fmac_f32_e32 v40, v42, v40
	v_mul_f32_e32 v42, v41, v40
	v_fma_f32 v43, -v1, v42, v41
	v_fmac_f32_e32 v42, v43, v40
	v_fma_f32 v1, -v1, v42, v41
	v_div_fmas_f32 v1, v1, v40, v42
	v_div_fixup_f32 v1, v1, v38, v39
	v_fmac_f32_e32 v38, v39, v1
	v_div_scale_f32 v39, s[12:13], v38, v38, 1.0
	v_rcp_f32_e32 v40, v39
	s_nop 0
	v_fma_f32 v41, -v39, v40, 1.0
	v_fmac_f32_e32 v40, v41, v40
	v_div_scale_f32 v41, vcc, 1.0, v38, 1.0
	v_mul_f32_e32 v42, v41, v40
	v_fma_f32 v43, -v39, v42, v41
	v_fmac_f32_e32 v42, v43, v40
	v_fma_f32 v39, -v39, v42, v41
	v_div_fmas_f32 v39, v39, v40, v42
	v_div_fixup_f32 v40, v39, v38, 1.0
	v_xor_b32_e32 v42, 0x80000000, v40
	v_mul_f32_e64 v41, v1, -v40
.LBB80_17:
	s_or_b64 exec, exec, s[4:5]
	scratch_store_dwordx2 v37, v[40:41], off
	scratch_load_dwordx2 v[38:39], off, off offset:8
	v_xor_b32_e32 v43, 0x80000000, v41
	v_add_u32_e32 v1, 0x90, v36
	s_waitcnt vmcnt(0)
	ds_write2_b64 v36, v[42:43], v[38:39] offset1:18
	s_waitcnt lgkmcnt(0)
	; wave barrier
	s_and_saveexec_b64 s[4:5], s[0:1]
	s_cbranch_execz .LBB80_19
; %bb.18:
	scratch_load_dwordx2 v[38:39], v37, off
	ds_read_b64 v[40:41], v1
	v_mov_b32_e32 v42, 0
	ds_read_b64 v[42:43], v42 offset:8
	s_waitcnt vmcnt(0) lgkmcnt(1)
	v_pk_mul_f32 v[44:45], v[40:41], v[38:39] op_sel:[1,1] op_sel_hi:[0,1]
	v_pk_fma_f32 v[46:47], v[40:41], v[38:39], v[44:45] neg_lo:[0,0,1] neg_hi:[0,0,1]
	v_pk_fma_f32 v[38:39], v[40:41], v[38:39], v[44:45] op_sel_hi:[1,0,1]
	s_nop 0
	v_mov_b32_e32 v47, v39
	v_pk_add_f32 v[38:39], v[46:47], 0 op_sel_hi:[1,0]
	s_waitcnt lgkmcnt(0)
	v_pk_mul_f32 v[40:41], v[38:39], v[42:43] op_sel:[1,1] op_sel_hi:[0,1]
	v_pk_fma_f32 v[44:45], v[38:39], v[42:43], v[40:41] neg_lo:[0,0,1] neg_hi:[0,0,1]
	v_pk_fma_f32 v[38:39], v[38:39], v[42:43], v[40:41] op_sel_hi:[1,0,1]
	s_nop 0
	v_mov_b32_e32 v45, v39
	scratch_store_dwordx2 off, v[44:45], off offset:8
.LBB80_19:
	s_or_b64 exec, exec, s[4:5]
	; wave barrier
	scratch_load_dwordx2 v[38:39], off, off offset:16
	v_cmp_gt_u32_e32 vcc, 2, v0
	s_waitcnt vmcnt(0)
	ds_write_b64 v1, v[38:39]
	s_waitcnt lgkmcnt(0)
	; wave barrier
	s_and_saveexec_b64 s[4:5], vcc
	s_cbranch_execz .LBB80_23
; %bb.20:
	scratch_load_dwordx2 v[38:39], v37, off
	ds_read_b64 v[40:41], v1
	s_waitcnt vmcnt(0) lgkmcnt(0)
	v_pk_mul_f32 v[42:43], v[40:41], v[38:39] op_sel:[1,1] op_sel_hi:[0,1]
	v_pk_fma_f32 v[44:45], v[40:41], v[38:39], v[42:43] neg_lo:[0,0,1] neg_hi:[0,0,1]
	v_pk_fma_f32 v[38:39], v[40:41], v[38:39], v[42:43] op_sel_hi:[1,0,1]
	s_nop 0
	v_mov_b32_e32 v45, v39
	v_pk_add_f32 v[38:39], v[44:45], 0 op_sel_hi:[1,0]
	s_and_saveexec_b64 s[12:13], s[0:1]
	s_cbranch_execz .LBB80_22
; %bb.21:
	scratch_load_dwordx2 v[40:41], off, off offset:8
	v_mov_b32_e32 v37, 0
	ds_read_b64 v[42:43], v37 offset:152
	s_waitcnt vmcnt(0) lgkmcnt(0)
	v_pk_mul_f32 v[44:45], v[42:43], v[40:41] op_sel:[1,1] op_sel_hi:[0,1]
	v_pk_fma_f32 v[46:47], v[42:43], v[40:41], v[44:45] neg_lo:[0,0,1] neg_hi:[0,0,1]
	v_pk_fma_f32 v[40:41], v[42:43], v[40:41], v[44:45] op_sel_hi:[1,0,1]
	s_nop 0
	v_mov_b32_e32 v47, v41
	v_pk_add_f32 v[38:39], v[38:39], v[46:47]
.LBB80_22:
	s_or_b64 exec, exec, s[12:13]
	v_mov_b32_e32 v37, 0
	ds_read_b64 v[40:41], v37 offset:16
	s_waitcnt lgkmcnt(0)
	v_pk_mul_f32 v[42:43], v[38:39], v[40:41] op_sel:[1,1] op_sel_hi:[0,1]
	v_pk_fma_f32 v[44:45], v[38:39], v[40:41], v[42:43] neg_lo:[0,0,1] neg_hi:[0,0,1]
	v_pk_fma_f32 v[38:39], v[38:39], v[40:41], v[42:43] op_sel_hi:[1,0,1]
	s_nop 0
	v_mov_b32_e32 v45, v39
	scratch_store_dwordx2 off, v[44:45], off offset:16
.LBB80_23:
	s_or_b64 exec, exec, s[4:5]
	; wave barrier
	scratch_load_dwordx2 v[38:39], off, off offset:24
	v_cmp_gt_u32_e32 vcc, 3, v0
	v_add_u32_e32 v40, -1, v0
	s_waitcnt vmcnt(0)
	ds_write_b64 v1, v[38:39]
	s_waitcnt lgkmcnt(0)
	; wave barrier
	s_and_saveexec_b64 s[0:1], vcc
	s_cbranch_execz .LBB80_27
; %bb.24:
	v_mov_b32_e32 v38, 0
	v_add_u32_e32 v37, -1, v0
	v_add_u32_e32 v41, 0x90, v36
	v_mov_b32_e32 v42, v36
	s_mov_b64 s[4:5], 0
	v_mov_b32_e32 v39, v38
.LBB80_25:                              ; =>This Inner Loop Header: Depth=1
	scratch_load_dwordx2 v[44:45], v42, off
	ds_read_b64 v[46:47], v41
	v_add_u32_e32 v37, 1, v37
	v_cmp_lt_u32_e32 vcc, 1, v37
	v_add_u32_e32 v41, 8, v41
	v_add_u32_e32 v42, 8, v42
	s_or_b64 s[4:5], vcc, s[4:5]
	s_waitcnt vmcnt(0) lgkmcnt(0)
	v_pk_mul_f32 v[48:49], v[46:47], v[44:45] op_sel:[1,1] op_sel_hi:[0,1]
	v_pk_fma_f32 v[50:51], v[46:47], v[44:45], v[48:49] neg_lo:[0,0,1] neg_hi:[0,0,1]
	v_pk_fma_f32 v[44:45], v[46:47], v[44:45], v[48:49] op_sel_hi:[1,0,1]
	s_nop 0
	v_mov_b32_e32 v51, v45
	v_pk_add_f32 v[38:39], v[38:39], v[50:51]
	s_andn2_b64 exec, exec, s[4:5]
	s_cbranch_execnz .LBB80_25
; %bb.26:
	s_or_b64 exec, exec, s[4:5]
	v_mov_b32_e32 v37, 0
	ds_read_b64 v[42:43], v37 offset:24
	s_waitcnt lgkmcnt(0)
	v_pk_mul_f32 v[44:45], v[38:39], v[42:43] op_sel:[1,1] op_sel_hi:[0,1]
	v_pk_fma_f32 v[46:47], v[38:39], v[42:43], v[44:45] neg_lo:[0,0,1] neg_hi:[0,0,1]
	v_pk_fma_f32 v[38:39], v[38:39], v[42:43], v[44:45] op_sel_hi:[1,0,1]
	s_nop 0
	v_mov_b32_e32 v47, v39
	scratch_store_dwordx2 off, v[46:47], off offset:24
.LBB80_27:
	s_or_b64 exec, exec, s[0:1]
	; wave barrier
	scratch_load_dwordx2 v[38:39], off, off offset:32
	v_cmp_gt_u32_e32 vcc, 4, v0
	s_waitcnt vmcnt(0)
	ds_write_b64 v1, v[38:39]
	s_waitcnt lgkmcnt(0)
	; wave barrier
	s_and_saveexec_b64 s[0:1], vcc
	s_cbranch_execz .LBB80_31
; %bb.28:
	v_mov_b32_e32 v38, 0
	v_add_u32_e32 v37, -1, v0
	v_add_u32_e32 v41, 0x90, v36
	v_mov_b32_e32 v42, v36
	s_mov_b64 s[4:5], 0
	v_mov_b32_e32 v39, v38
.LBB80_29:                              ; =>This Inner Loop Header: Depth=1
	scratch_load_dwordx2 v[44:45], v42, off
	ds_read_b64 v[46:47], v41
	v_add_u32_e32 v37, 1, v37
	v_cmp_lt_u32_e32 vcc, 2, v37
	v_add_u32_e32 v41, 8, v41
	v_add_u32_e32 v42, 8, v42
	s_or_b64 s[4:5], vcc, s[4:5]
	s_waitcnt vmcnt(0) lgkmcnt(0)
	v_pk_mul_f32 v[48:49], v[46:47], v[44:45] op_sel:[1,1] op_sel_hi:[0,1]
	v_pk_fma_f32 v[50:51], v[46:47], v[44:45], v[48:49] neg_lo:[0,0,1] neg_hi:[0,0,1]
	v_pk_fma_f32 v[44:45], v[46:47], v[44:45], v[48:49] op_sel_hi:[1,0,1]
	s_nop 0
	v_mov_b32_e32 v51, v45
	v_pk_add_f32 v[38:39], v[38:39], v[50:51]
	s_andn2_b64 exec, exec, s[4:5]
	s_cbranch_execnz .LBB80_29
; %bb.30:
	s_or_b64 exec, exec, s[4:5]
	v_mov_b32_e32 v37, 0
	ds_read_b64 v[42:43], v37 offset:32
	s_waitcnt lgkmcnt(0)
	v_pk_mul_f32 v[44:45], v[38:39], v[42:43] op_sel:[1,1] op_sel_hi:[0,1]
	v_pk_fma_f32 v[46:47], v[38:39], v[42:43], v[44:45] neg_lo:[0,0,1] neg_hi:[0,0,1]
	v_pk_fma_f32 v[38:39], v[38:39], v[42:43], v[44:45] op_sel_hi:[1,0,1]
	s_nop 0
	v_mov_b32_e32 v47, v39
	scratch_store_dwordx2 off, v[46:47], off offset:32
.LBB80_31:
	s_or_b64 exec, exec, s[0:1]
	; wave barrier
	scratch_load_dwordx2 v[38:39], off, off offset:40
	v_cmp_gt_u32_e32 vcc, 5, v0
	;; [unrolled: 46-line block ×12, first 2 shown]
	s_waitcnt vmcnt(0)
	ds_write_b64 v1, v[38:39]
	s_waitcnt lgkmcnt(0)
	; wave barrier
	s_and_saveexec_b64 s[0:1], vcc
	s_cbranch_execz .LBB80_75
; %bb.72:
	v_mov_b32_e32 v38, 0
	v_add_u32_e32 v37, -1, v0
	v_add_u32_e32 v41, 0x90, v36
	v_mov_b32_e32 v42, v36
	s_mov_b64 s[4:5], 0
	v_mov_b32_e32 v39, v38
.LBB80_73:                              ; =>This Inner Loop Header: Depth=1
	scratch_load_dwordx2 v[44:45], v42, off
	ds_read_b64 v[46:47], v41
	v_add_u32_e32 v37, 1, v37
	v_cmp_lt_u32_e32 vcc, 13, v37
	v_add_u32_e32 v41, 8, v41
	v_add_u32_e32 v42, 8, v42
	s_or_b64 s[4:5], vcc, s[4:5]
	s_waitcnt vmcnt(0) lgkmcnt(0)
	v_pk_mul_f32 v[48:49], v[46:47], v[44:45] op_sel:[1,1] op_sel_hi:[0,1]
	v_pk_fma_f32 v[50:51], v[46:47], v[44:45], v[48:49] neg_lo:[0,0,1] neg_hi:[0,0,1]
	v_pk_fma_f32 v[44:45], v[46:47], v[44:45], v[48:49] op_sel_hi:[1,0,1]
	s_nop 0
	v_mov_b32_e32 v51, v45
	v_pk_add_f32 v[38:39], v[38:39], v[50:51]
	s_andn2_b64 exec, exec, s[4:5]
	s_cbranch_execnz .LBB80_73
; %bb.74:
	s_or_b64 exec, exec, s[4:5]
	v_mov_b32_e32 v37, 0
	ds_read_b64 v[42:43], v37 offset:120
	s_waitcnt lgkmcnt(0)
	v_pk_mul_f32 v[44:45], v[38:39], v[42:43] op_sel:[1,1] op_sel_hi:[0,1]
	v_pk_fma_f32 v[46:47], v[38:39], v[42:43], v[44:45] neg_lo:[0,0,1] neg_hi:[0,0,1]
	v_pk_fma_f32 v[38:39], v[38:39], v[42:43], v[44:45] op_sel_hi:[1,0,1]
	s_nop 0
	v_mov_b32_e32 v47, v39
	scratch_store_dwordx2 off, v[46:47], off offset:120
.LBB80_75:
	s_or_b64 exec, exec, s[0:1]
	; wave barrier
	scratch_load_dwordx2 v[38:39], off, off offset:128
	v_cmp_ne_u32_e32 vcc, 16, v0
	s_waitcnt vmcnt(0)
	ds_write_b64 v1, v[38:39]
	s_waitcnt lgkmcnt(0)
	; wave barrier
	s_and_saveexec_b64 s[0:1], vcc
	s_cbranch_execz .LBB80_79
; %bb.76:
	v_add_u32_e32 v1, 0x90, v36
	v_mov_b32_e32 v38, v36
	v_mov_b32_e32 v36, 0
	s_mov_b64 s[4:5], 0
	v_mov_b32_e32 v37, v36
.LBB80_77:                              ; =>This Inner Loop Header: Depth=1
	scratch_load_dwordx2 v[42:43], v38, off
	ds_read_b64 v[44:45], v1
	v_add_u32_e32 v40, 1, v40
	v_cmp_lt_u32_e32 vcc, 14, v40
	v_add_u32_e32 v1, 8, v1
	v_add_u32_e32 v38, 8, v38
	s_or_b64 s[4:5], vcc, s[4:5]
	s_waitcnt vmcnt(0) lgkmcnt(0)
	v_pk_mul_f32 v[46:47], v[44:45], v[42:43] op_sel:[1,1] op_sel_hi:[0,1]
	v_pk_fma_f32 v[48:49], v[44:45], v[42:43], v[46:47] neg_lo:[0,0,1] neg_hi:[0,0,1]
	v_pk_fma_f32 v[42:43], v[44:45], v[42:43], v[46:47] op_sel_hi:[1,0,1]
	s_nop 0
	v_mov_b32_e32 v49, v43
	v_pk_add_f32 v[36:37], v[36:37], v[48:49]
	s_andn2_b64 exec, exec, s[4:5]
	s_cbranch_execnz .LBB80_77
; %bb.78:
	s_or_b64 exec, exec, s[4:5]
	v_mov_b32_e32 v1, 0
	ds_read_b64 v[38:39], v1 offset:128
	s_waitcnt lgkmcnt(0)
	v_pk_mul_f32 v[40:41], v[36:37], v[38:39] op_sel:[1,1] op_sel_hi:[0,1]
	v_pk_fma_f32 v[42:43], v[36:37], v[38:39], v[40:41] neg_lo:[0,0,1] neg_hi:[0,0,1]
	v_pk_fma_f32 v[36:37], v[36:37], v[38:39], v[40:41] op_sel_hi:[1,0,1]
	s_nop 0
	v_mov_b32_e32 v43, v37
	scratch_store_dwordx2 off, v[42:43], off offset:128
.LBB80_79:
	s_or_b64 exec, exec, s[0:1]
	s_mov_b64 s[4:5], -1
	; wave barrier
.LBB80_80:
	s_and_b64 vcc, exec, s[4:5]
	s_cbranch_vccz .LBB80_82
; %bb.81:
	s_lshl_b64 s[0:1], s[2:3], 2
	s_add_u32 s0, s6, s0
	s_addc_u32 s1, s7, s1
	v_mov_b32_e32 v1, 0
	global_load_dword v1, v1, s[0:1]
	s_waitcnt vmcnt(0)
	v_cmp_ne_u32_e32 vcc, 0, v1
	s_cbranch_vccz .LBB80_83
.LBB80_82:
	s_endpgm
.LBB80_83:
	v_mov_b32_e32 v1, 0x90
	v_lshl_add_u32 v1, v0, 3, v1
	v_cmp_eq_u32_e32 vcc, 16, v0
	s_and_saveexec_b64 s[0:1], vcc
	s_cbranch_execz .LBB80_85
; %bb.84:
	scratch_load_dwordx2 v[36:37], off, off offset:120
	v_mov_b32_e32 v38, 0
	v_mov_b32_e32 v39, v38
	scratch_store_dwordx2 off, v[38:39], off offset:120
	s_waitcnt vmcnt(1)
	ds_write_b64 v1, v[36:37]
.LBB80_85:
	s_or_b64 exec, exec, s[0:1]
	s_waitcnt lgkmcnt(0)
	; wave barrier
	scratch_load_dwordx2 v[38:39], off, off offset:128
	scratch_load_dwordx2 v[40:41], off, off offset:120
	v_mov_b32_e32 v36, 0
	ds_read_b64 v[42:43], v36 offset:272
	v_cmp_lt_u32_e32 vcc, 14, v0
	s_waitcnt vmcnt(1) lgkmcnt(0)
	v_pk_mul_f32 v[44:45], v[42:43], v[38:39] op_sel:[1,1] op_sel_hi:[0,1]
	v_pk_fma_f32 v[46:47], v[42:43], v[38:39], v[44:45] neg_lo:[0,0,1] neg_hi:[0,0,1]
	v_pk_fma_f32 v[38:39], v[42:43], v[38:39], v[44:45] op_sel_hi:[1,0,1]
	s_nop 0
	v_mov_b32_e32 v47, v39
	v_pk_add_f32 v[38:39], v[46:47], 0 op_sel_hi:[1,0]
	s_waitcnt vmcnt(0)
	v_pk_add_f32 v[38:39], v[40:41], v[38:39] neg_lo:[0,1] neg_hi:[0,1]
	scratch_store_dwordx2 off, v[38:39], off offset:120
	s_and_saveexec_b64 s[0:1], vcc
	s_cbranch_execz .LBB80_87
; %bb.86:
	scratch_load_dwordx2 v[38:39], off, off offset:112
	v_mov_b32_e32 v37, v36
	scratch_store_dwordx2 off, v[36:37], off offset:112
	s_waitcnt vmcnt(1)
	ds_write_b64 v1, v[38:39]
.LBB80_87:
	s_or_b64 exec, exec, s[0:1]
	s_waitcnt lgkmcnt(0)
	; wave barrier
	scratch_load_dwordx4 v[38:41], off, off offset:120
	scratch_load_dwordx2 v[46:47], off, off offset:112
	ds_read2_b64 v[42:45], v36 offset0:33 offset1:34
	v_cmp_lt_u32_e32 vcc, 13, v0
	s_waitcnt vmcnt(1) lgkmcnt(0)
	v_pk_mul_f32 v[36:37], v[42:43], v[38:39] op_sel:[1,1] op_sel_hi:[0,1]
	v_mov_b32_e32 v48, v41
	v_pk_fma_f32 v[50:51], v[42:43], v[38:39], v[36:37] neg_lo:[0,0,1] neg_hi:[0,0,1]
	v_pk_fma_f32 v[36:37], v[42:43], v[38:39], v[36:37] op_sel_hi:[1,0,1]
	v_pk_mul_f32 v[38:39], v[44:45], v[48:49] op_sel:[1,0] op_sel_hi:[0,0]
	v_mov_b32_e32 v51, v37
	v_pk_fma_f32 v[36:37], v[44:45], v[40:41], v[38:39] neg_lo:[0,0,1] neg_hi:[0,0,1]
	v_pk_fma_f32 v[38:39], v[44:45], v[40:41], v[38:39] op_sel_hi:[1,0,1]
	v_pk_add_f32 v[40:41], v[50:51], 0 op_sel_hi:[1,0]
	v_mov_b32_e32 v37, v39
	v_pk_add_f32 v[36:37], v[40:41], v[36:37]
	s_waitcnt vmcnt(0)
	v_pk_add_f32 v[36:37], v[46:47], v[36:37] neg_lo:[0,1] neg_hi:[0,1]
	scratch_store_dwordx2 off, v[36:37], off offset:112
	s_and_saveexec_b64 s[0:1], vcc
	s_cbranch_execz .LBB80_89
; %bb.88:
	scratch_load_dwordx2 v[36:37], off, off offset:104
	v_mov_b32_e32 v38, 0
	v_mov_b32_e32 v39, v38
	scratch_store_dwordx2 off, v[38:39], off offset:104
	s_waitcnt vmcnt(1)
	ds_write_b64 v1, v[36:37]
.LBB80_89:
	s_or_b64 exec, exec, s[0:1]
	s_waitcnt lgkmcnt(0)
	; wave barrier
	scratch_load_dwordx4 v[38:41], off, off offset:112
	scratch_load_dwordx2 v[46:47], off, off offset:128
	scratch_load_dwordx2 v[48:49], off, off offset:104
	v_mov_b32_e32 v36, 0
	ds_read_b128 v[42:45], v36 offset:256
	ds_read_b64 v[50:51], v36 offset:272
	v_cmp_lt_u32_e32 vcc, 12, v0
	s_waitcnt vmcnt(2) lgkmcnt(1)
	v_pk_mul_f32 v[52:53], v[42:43], v[38:39] op_sel:[1,1] op_sel_hi:[0,1]
	v_mov_b32_e32 v54, v41
	v_pk_fma_f32 v[58:59], v[42:43], v[38:39], v[52:53] neg_lo:[0,0,1] neg_hi:[0,0,1]
	v_pk_fma_f32 v[38:39], v[42:43], v[38:39], v[52:53] op_sel_hi:[1,0,1]
	v_pk_mul_f32 v[42:43], v[44:45], v[54:55] op_sel:[1,0] op_sel_hi:[0,0]
	s_waitcnt vmcnt(1) lgkmcnt(0)
	v_pk_mul_f32 v[56:57], v[50:51], v[46:47] op_sel:[1,1] op_sel_hi:[0,1]
	v_mov_b32_e32 v59, v39
	v_pk_fma_f32 v[38:39], v[44:45], v[40:41], v[42:43] neg_lo:[0,0,1] neg_hi:[0,0,1]
	v_pk_fma_f32 v[40:41], v[44:45], v[40:41], v[42:43] op_sel_hi:[1,0,1]
	v_pk_fma_f32 v[52:53], v[50:51], v[46:47], v[56:57] neg_lo:[0,0,1] neg_hi:[0,0,1]
	v_pk_fma_f32 v[46:47], v[50:51], v[46:47], v[56:57] op_sel_hi:[1,0,1]
	v_pk_add_f32 v[42:43], v[58:59], 0 op_sel_hi:[1,0]
	v_mov_b32_e32 v39, v41
	v_mov_b32_e32 v53, v47
	v_pk_add_f32 v[38:39], v[42:43], v[38:39]
	s_nop 0
	v_pk_add_f32 v[38:39], v[38:39], v[52:53]
	s_waitcnt vmcnt(0)
	v_pk_add_f32 v[38:39], v[48:49], v[38:39] neg_lo:[0,1] neg_hi:[0,1]
	scratch_store_dwordx2 off, v[38:39], off offset:104
	s_and_saveexec_b64 s[0:1], vcc
	s_cbranch_execz .LBB80_91
; %bb.90:
	scratch_load_dwordx2 v[38:39], off, off offset:96
	v_mov_b32_e32 v37, v36
	scratch_store_dwordx2 off, v[36:37], off offset:96
	s_waitcnt vmcnt(1)
	ds_write_b64 v1, v[38:39]
.LBB80_91:
	s_or_b64 exec, exec, s[0:1]
	s_waitcnt lgkmcnt(0)
	; wave barrier
	scratch_load_dwordx4 v[38:41], off, off offset:104
	scratch_load_dwordx4 v[42:45], off, off offset:120
	scratch_load_dwordx2 v[54:55], off, off offset:96
	ds_read2_b64 v[46:49], v36 offset0:31 offset1:32
	ds_read2_b64 v[50:53], v36 offset0:33 offset1:34
	v_cmp_lt_u32_e32 vcc, 11, v0
	s_waitcnt vmcnt(2) lgkmcnt(1)
	v_pk_mul_f32 v[36:37], v[46:47], v[38:39] op_sel:[1,1] op_sel_hi:[0,1]
	v_mov_b32_e32 v56, v41
	s_waitcnt vmcnt(1) lgkmcnt(0)
	v_pk_mul_f32 v[58:59], v[50:51], v[42:43] op_sel:[1,1] op_sel_hi:[0,1]
	v_mov_b32_e32 v60, v45
	v_pk_fma_f32 v[62:63], v[46:47], v[38:39], v[36:37] neg_lo:[0,0,1] neg_hi:[0,0,1]
	v_pk_fma_f32 v[36:37], v[46:47], v[38:39], v[36:37] op_sel_hi:[1,0,1]
	v_pk_mul_f32 v[38:39], v[48:49], v[56:57] op_sel:[1,0] op_sel_hi:[0,0]
	v_pk_fma_f32 v[46:47], v[50:51], v[42:43], v[58:59] neg_lo:[0,0,1] neg_hi:[0,0,1]
	v_pk_fma_f32 v[42:43], v[50:51], v[42:43], v[58:59] op_sel_hi:[1,0,1]
	v_pk_mul_f32 v[50:51], v[52:53], v[60:61] op_sel:[1,0] op_sel_hi:[0,0]
	v_mov_b32_e32 v63, v37
	v_pk_fma_f32 v[36:37], v[48:49], v[40:41], v[38:39] neg_lo:[0,0,1] neg_hi:[0,0,1]
	v_pk_fma_f32 v[38:39], v[48:49], v[40:41], v[38:39] op_sel_hi:[1,0,1]
	v_mov_b32_e32 v47, v43
	v_pk_fma_f32 v[40:41], v[52:53], v[44:45], v[50:51] neg_lo:[0,0,1] neg_hi:[0,0,1]
	v_pk_fma_f32 v[42:43], v[52:53], v[44:45], v[50:51] op_sel_hi:[1,0,1]
	v_pk_add_f32 v[44:45], v[62:63], 0 op_sel_hi:[1,0]
	v_mov_b32_e32 v37, v39
	v_pk_add_f32 v[36:37], v[44:45], v[36:37]
	v_mov_b32_e32 v41, v43
	v_pk_add_f32 v[36:37], v[36:37], v[46:47]
	s_nop 0
	v_pk_add_f32 v[36:37], v[36:37], v[40:41]
	s_waitcnt vmcnt(0)
	v_pk_add_f32 v[36:37], v[54:55], v[36:37] neg_lo:[0,1] neg_hi:[0,1]
	scratch_store_dwordx2 off, v[36:37], off offset:96
	s_and_saveexec_b64 s[0:1], vcc
	s_cbranch_execz .LBB80_93
; %bb.92:
	scratch_load_dwordx2 v[36:37], off, off offset:88
	v_mov_b32_e32 v38, 0
	v_mov_b32_e32 v39, v38
	scratch_store_dwordx2 off, v[38:39], off offset:88
	s_waitcnt vmcnt(1)
	ds_write_b64 v1, v[36:37]
.LBB80_93:
	s_or_b64 exec, exec, s[0:1]
	s_waitcnt lgkmcnt(0)
	; wave barrier
	scratch_load_dwordx4 v[38:41], off, off offset:96
	scratch_load_dwordx4 v[42:45], off, off offset:112
	scratch_load_dwordx2 v[54:55], off, off offset:128
	scratch_load_dwordx2 v[56:57], off, off offset:88
	v_mov_b32_e32 v36, 0
	ds_read_b128 v[46:49], v36 offset:240
	ds_read_b128 v[50:53], v36 offset:256
	ds_read_b64 v[58:59], v36 offset:272
	v_cmp_lt_u32_e32 vcc, 10, v0
	s_waitcnt vmcnt(3) lgkmcnt(2)
	v_pk_mul_f32 v[60:61], v[46:47], v[38:39] op_sel:[1,1] op_sel_hi:[0,1]
	v_mov_b32_e32 v62, v41
	v_pk_fma_f32 v[70:71], v[46:47], v[38:39], v[60:61] neg_lo:[0,0,1] neg_hi:[0,0,1]
	v_pk_fma_f32 v[38:39], v[46:47], v[38:39], v[60:61] op_sel_hi:[1,0,1]
	v_pk_mul_f32 v[46:47], v[48:49], v[62:63] op_sel:[1,0] op_sel_hi:[0,0]
	s_waitcnt vmcnt(2) lgkmcnt(1)
	v_pk_mul_f32 v[64:65], v[50:51], v[42:43] op_sel:[1,1] op_sel_hi:[0,1]
	v_mov_b32_e32 v66, v45
	v_mov_b32_e32 v71, v39
	v_pk_fma_f32 v[38:39], v[48:49], v[40:41], v[46:47] neg_lo:[0,0,1] neg_hi:[0,0,1]
	v_pk_fma_f32 v[40:41], v[48:49], v[40:41], v[46:47] op_sel_hi:[1,0,1]
	v_pk_fma_f32 v[60:61], v[50:51], v[42:43], v[64:65] neg_lo:[0,0,1] neg_hi:[0,0,1]
	v_pk_fma_f32 v[42:43], v[50:51], v[42:43], v[64:65] op_sel_hi:[1,0,1]
	v_pk_mul_f32 v[50:51], v[52:53], v[66:67] op_sel:[1,0] op_sel_hi:[0,0]
	v_pk_add_f32 v[46:47], v[70:71], 0 op_sel_hi:[1,0]
	v_mov_b32_e32 v39, v41
	s_waitcnt vmcnt(1) lgkmcnt(0)
	v_pk_mul_f32 v[68:69], v[58:59], v[54:55] op_sel:[1,1] op_sel_hi:[0,1]
	v_mov_b32_e32 v61, v43
	v_pk_fma_f32 v[42:43], v[52:53], v[44:45], v[50:51] neg_lo:[0,0,1] neg_hi:[0,0,1]
	v_pk_fma_f32 v[44:45], v[52:53], v[44:45], v[50:51] op_sel_hi:[1,0,1]
	v_pk_add_f32 v[38:39], v[46:47], v[38:39]
	v_pk_fma_f32 v[62:63], v[58:59], v[54:55], v[68:69] neg_lo:[0,0,1] neg_hi:[0,0,1]
	v_pk_fma_f32 v[54:55], v[58:59], v[54:55], v[68:69] op_sel_hi:[1,0,1]
	v_mov_b32_e32 v43, v45
	v_pk_add_f32 v[38:39], v[38:39], v[60:61]
	v_mov_b32_e32 v63, v55
	v_pk_add_f32 v[38:39], v[38:39], v[42:43]
	s_nop 0
	v_pk_add_f32 v[38:39], v[38:39], v[62:63]
	s_waitcnt vmcnt(0)
	v_pk_add_f32 v[38:39], v[56:57], v[38:39] neg_lo:[0,1] neg_hi:[0,1]
	scratch_store_dwordx2 off, v[38:39], off offset:88
	s_and_saveexec_b64 s[0:1], vcc
	s_cbranch_execz .LBB80_95
; %bb.94:
	scratch_load_dwordx2 v[38:39], off, off offset:80
	v_mov_b32_e32 v37, v36
	scratch_store_dwordx2 off, v[36:37], off offset:80
	s_waitcnt vmcnt(1)
	ds_write_b64 v1, v[38:39]
.LBB80_95:
	s_or_b64 exec, exec, s[0:1]
	s_waitcnt lgkmcnt(0)
	; wave barrier
	scratch_load_dwordx4 v[38:41], off, off offset:88
	scratch_load_dwordx4 v[42:45], off, off offset:104
	;; [unrolled: 1-line block ×3, first 2 shown]
	scratch_load_dwordx2 v[62:63], off, off offset:80
	ds_read2_b64 v[50:53], v36 offset0:29 offset1:30
	ds_read2_b64 v[54:57], v36 offset0:31 offset1:32
	;; [unrolled: 1-line block ×3, first 2 shown]
	v_cmp_lt_u32_e32 vcc, 9, v0
	s_waitcnt vmcnt(3) lgkmcnt(2)
	v_pk_mul_f32 v[36:37], v[50:51], v[38:39] op_sel:[1,1] op_sel_hi:[0,1]
	v_mov_b32_e32 v64, v41
	s_waitcnt vmcnt(2) lgkmcnt(1)
	v_pk_mul_f32 v[66:67], v[54:55], v[42:43] op_sel:[1,1] op_sel_hi:[0,1]
	v_mov_b32_e32 v68, v45
	s_waitcnt vmcnt(1) lgkmcnt(0)
	v_pk_mul_f32 v[70:71], v[58:59], v[46:47] op_sel:[1,1] op_sel_hi:[0,1]
	v_mov_b32_e32 v72, v49
	v_pk_fma_f32 v[74:75], v[50:51], v[38:39], v[36:37] neg_lo:[0,0,1] neg_hi:[0,0,1]
	v_pk_fma_f32 v[36:37], v[50:51], v[38:39], v[36:37] op_sel_hi:[1,0,1]
	v_pk_mul_f32 v[38:39], v[52:53], v[64:65] op_sel:[1,0] op_sel_hi:[0,0]
	v_pk_fma_f32 v[50:51], v[54:55], v[42:43], v[66:67] neg_lo:[0,0,1] neg_hi:[0,0,1]
	v_pk_fma_f32 v[42:43], v[54:55], v[42:43], v[66:67] op_sel_hi:[1,0,1]
	v_pk_mul_f32 v[54:55], v[56:57], v[68:69] op_sel:[1,0] op_sel_hi:[0,0]
	;; [unrolled: 3-line block ×3, first 2 shown]
	v_mov_b32_e32 v75, v37
	v_pk_fma_f32 v[36:37], v[52:53], v[40:41], v[38:39] neg_lo:[0,0,1] neg_hi:[0,0,1]
	v_pk_fma_f32 v[38:39], v[52:53], v[40:41], v[38:39] op_sel_hi:[1,0,1]
	v_mov_b32_e32 v51, v43
	v_pk_fma_f32 v[40:41], v[56:57], v[44:45], v[54:55] neg_lo:[0,0,1] neg_hi:[0,0,1]
	v_pk_fma_f32 v[42:43], v[56:57], v[44:45], v[54:55] op_sel_hi:[1,0,1]
	;; [unrolled: 3-line block ×3, first 2 shown]
	v_pk_add_f32 v[48:49], v[74:75], 0 op_sel_hi:[1,0]
	v_mov_b32_e32 v37, v39
	v_pk_add_f32 v[36:37], v[48:49], v[36:37]
	v_mov_b32_e32 v41, v43
	v_pk_add_f32 v[36:37], v[36:37], v[50:51]
	;; [unrolled: 2-line block ×3, first 2 shown]
	s_nop 0
	v_pk_add_f32 v[36:37], v[36:37], v[64:65]
	s_nop 0
	v_pk_add_f32 v[36:37], v[36:37], v[44:45]
	s_waitcnt vmcnt(0)
	v_pk_add_f32 v[36:37], v[62:63], v[36:37] neg_lo:[0,1] neg_hi:[0,1]
	scratch_store_dwordx2 off, v[36:37], off offset:80
	s_and_saveexec_b64 s[0:1], vcc
	s_cbranch_execz .LBB80_97
; %bb.96:
	scratch_load_dwordx2 v[36:37], off, off offset:72
	v_mov_b32_e32 v38, 0
	v_mov_b32_e32 v39, v38
	scratch_store_dwordx2 off, v[38:39], off offset:72
	s_waitcnt vmcnt(1)
	ds_write_b64 v1, v[36:37]
.LBB80_97:
	s_or_b64 exec, exec, s[0:1]
	s_waitcnt lgkmcnt(0)
	; wave barrier
	scratch_load_dwordx4 v[38:41], off, off offset:80
	scratch_load_dwordx4 v[42:45], off, off offset:96
	;; [unrolled: 1-line block ×3, first 2 shown]
	scratch_load_dwordx2 v[62:63], off, off offset:128
	scratch_load_dwordx2 v[64:65], off, off offset:72
	v_mov_b32_e32 v36, 0
	ds_read_b128 v[50:53], v36 offset:224
	ds_read_b128 v[54:57], v36 offset:240
	;; [unrolled: 1-line block ×3, first 2 shown]
	ds_read_b64 v[66:67], v36 offset:272
	v_cmp_lt_u32_e32 vcc, 8, v0
	s_waitcnt vmcnt(4) lgkmcnt(3)
	v_pk_mul_f32 v[68:69], v[50:51], v[38:39] op_sel:[1,1] op_sel_hi:[0,1]
	v_mov_b32_e32 v70, v41
	v_pk_fma_f32 v[82:83], v[50:51], v[38:39], v[68:69] neg_lo:[0,0,1] neg_hi:[0,0,1]
	v_pk_fma_f32 v[38:39], v[50:51], v[38:39], v[68:69] op_sel_hi:[1,0,1]
	v_pk_mul_f32 v[50:51], v[52:53], v[70:71] op_sel:[1,0] op_sel_hi:[0,0]
	s_waitcnt vmcnt(3) lgkmcnt(2)
	v_pk_mul_f32 v[72:73], v[54:55], v[42:43] op_sel:[1,1] op_sel_hi:[0,1]
	v_mov_b32_e32 v74, v45
	v_mov_b32_e32 v83, v39
	v_pk_fma_f32 v[38:39], v[52:53], v[40:41], v[50:51] neg_lo:[0,0,1] neg_hi:[0,0,1]
	v_pk_fma_f32 v[40:41], v[52:53], v[40:41], v[50:51] op_sel_hi:[1,0,1]
	v_pk_fma_f32 v[68:69], v[54:55], v[42:43], v[72:73] neg_lo:[0,0,1] neg_hi:[0,0,1]
	v_pk_fma_f32 v[42:43], v[54:55], v[42:43], v[72:73] op_sel_hi:[1,0,1]
	v_pk_mul_f32 v[54:55], v[56:57], v[74:75] op_sel:[1,0] op_sel_hi:[0,0]
	v_pk_add_f32 v[50:51], v[82:83], 0 op_sel_hi:[1,0]
	v_mov_b32_e32 v39, v41
	s_waitcnt vmcnt(2) lgkmcnt(1)
	v_pk_mul_f32 v[76:77], v[58:59], v[46:47] op_sel:[1,1] op_sel_hi:[0,1]
	v_mov_b32_e32 v78, v49
	v_mov_b32_e32 v69, v43
	v_pk_fma_f32 v[42:43], v[56:57], v[44:45], v[54:55] neg_lo:[0,0,1] neg_hi:[0,0,1]
	v_pk_fma_f32 v[44:45], v[56:57], v[44:45], v[54:55] op_sel_hi:[1,0,1]
	v_pk_add_f32 v[38:39], v[50:51], v[38:39]
	v_pk_fma_f32 v[70:71], v[58:59], v[46:47], v[76:77] neg_lo:[0,0,1] neg_hi:[0,0,1]
	v_pk_fma_f32 v[46:47], v[58:59], v[46:47], v[76:77] op_sel_hi:[1,0,1]
	v_pk_mul_f32 v[58:59], v[60:61], v[78:79] op_sel:[1,0] op_sel_hi:[0,0]
	v_mov_b32_e32 v43, v45
	v_pk_add_f32 v[38:39], v[38:39], v[68:69]
	s_waitcnt vmcnt(1) lgkmcnt(0)
	v_pk_mul_f32 v[80:81], v[66:67], v[62:63] op_sel:[1,1] op_sel_hi:[0,1]
	v_mov_b32_e32 v71, v47
	v_pk_fma_f32 v[46:47], v[60:61], v[48:49], v[58:59] neg_lo:[0,0,1] neg_hi:[0,0,1]
	v_pk_fma_f32 v[48:49], v[60:61], v[48:49], v[58:59] op_sel_hi:[1,0,1]
	v_pk_add_f32 v[38:39], v[38:39], v[42:43]
	v_pk_fma_f32 v[72:73], v[66:67], v[62:63], v[80:81] neg_lo:[0,0,1] neg_hi:[0,0,1]
	v_pk_fma_f32 v[62:63], v[66:67], v[62:63], v[80:81] op_sel_hi:[1,0,1]
	v_mov_b32_e32 v47, v49
	v_pk_add_f32 v[38:39], v[38:39], v[70:71]
	v_mov_b32_e32 v73, v63
	v_pk_add_f32 v[38:39], v[38:39], v[46:47]
	s_nop 0
	v_pk_add_f32 v[38:39], v[38:39], v[72:73]
	s_waitcnt vmcnt(0)
	v_pk_add_f32 v[38:39], v[64:65], v[38:39] neg_lo:[0,1] neg_hi:[0,1]
	scratch_store_dwordx2 off, v[38:39], off offset:72
	s_and_saveexec_b64 s[0:1], vcc
	s_cbranch_execz .LBB80_99
; %bb.98:
	scratch_load_dwordx2 v[38:39], off, off offset:64
	v_mov_b32_e32 v37, v36
	scratch_store_dwordx2 off, v[36:37], off offset:64
	s_waitcnt vmcnt(1)
	ds_write_b64 v1, v[38:39]
.LBB80_99:
	s_or_b64 exec, exec, s[0:1]
	s_waitcnt lgkmcnt(0)
	; wave barrier
	scratch_load_dwordx4 v[38:41], off, off offset:72
	scratch_load_dwordx4 v[42:45], off, off offset:88
	;; [unrolled: 1-line block ×4, first 2 shown]
	scratch_load_dwordx2 v[70:71], off, off offset:64
	ds_read2_b64 v[54:57], v36 offset0:27 offset1:28
	ds_read2_b64 v[58:61], v36 offset0:29 offset1:30
	;; [unrolled: 1-line block ×4, first 2 shown]
	v_cmp_lt_u32_e32 vcc, 7, v0
	s_waitcnt vmcnt(4) lgkmcnt(3)
	v_pk_mul_f32 v[36:37], v[54:55], v[38:39] op_sel:[1,1] op_sel_hi:[0,1]
	v_mov_b32_e32 v72, v41
	s_waitcnt vmcnt(3) lgkmcnt(2)
	v_pk_mul_f32 v[74:75], v[58:59], v[42:43] op_sel:[1,1] op_sel_hi:[0,1]
	v_mov_b32_e32 v76, v45
	;; [unrolled: 3-line block ×4, first 2 shown]
	v_pk_fma_f32 v[86:87], v[54:55], v[38:39], v[36:37] neg_lo:[0,0,1] neg_hi:[0,0,1]
	v_pk_fma_f32 v[36:37], v[54:55], v[38:39], v[36:37] op_sel_hi:[1,0,1]
	v_pk_mul_f32 v[38:39], v[56:57], v[72:73] op_sel:[1,0] op_sel_hi:[0,0]
	v_pk_fma_f32 v[54:55], v[58:59], v[42:43], v[74:75] neg_lo:[0,0,1] neg_hi:[0,0,1]
	v_pk_fma_f32 v[42:43], v[58:59], v[42:43], v[74:75] op_sel_hi:[1,0,1]
	v_pk_mul_f32 v[58:59], v[60:61], v[76:77] op_sel:[1,0] op_sel_hi:[0,0]
	;; [unrolled: 3-line block ×4, first 2 shown]
	v_mov_b32_e32 v87, v37
	v_pk_fma_f32 v[36:37], v[56:57], v[40:41], v[38:39] neg_lo:[0,0,1] neg_hi:[0,0,1]
	v_pk_fma_f32 v[38:39], v[56:57], v[40:41], v[38:39] op_sel_hi:[1,0,1]
	v_mov_b32_e32 v55, v43
	v_pk_fma_f32 v[40:41], v[60:61], v[44:45], v[58:59] neg_lo:[0,0,1] neg_hi:[0,0,1]
	v_pk_fma_f32 v[42:43], v[60:61], v[44:45], v[58:59] op_sel_hi:[1,0,1]
	;; [unrolled: 3-line block ×4, first 2 shown]
	v_pk_add_f32 v[52:53], v[86:87], 0 op_sel_hi:[1,0]
	v_mov_b32_e32 v37, v39
	v_pk_add_f32 v[36:37], v[52:53], v[36:37]
	v_mov_b32_e32 v41, v43
	v_pk_add_f32 v[36:37], v[36:37], v[54:55]
	;; [unrolled: 2-line block ×4, first 2 shown]
	s_nop 0
	v_pk_add_f32 v[36:37], v[36:37], v[44:45]
	s_nop 0
	v_pk_add_f32 v[36:37], v[36:37], v[74:75]
	;; [unrolled: 2-line block ×3, first 2 shown]
	s_waitcnt vmcnt(0)
	v_pk_add_f32 v[36:37], v[70:71], v[36:37] neg_lo:[0,1] neg_hi:[0,1]
	scratch_store_dwordx2 off, v[36:37], off offset:64
	s_and_saveexec_b64 s[0:1], vcc
	s_cbranch_execz .LBB80_101
; %bb.100:
	scratch_load_dwordx2 v[36:37], off, off offset:56
	v_mov_b32_e32 v38, 0
	v_mov_b32_e32 v39, v38
	scratch_store_dwordx2 off, v[38:39], off offset:56
	s_waitcnt vmcnt(1)
	ds_write_b64 v1, v[36:37]
.LBB80_101:
	s_or_b64 exec, exec, s[0:1]
	s_waitcnt lgkmcnt(0)
	; wave barrier
	scratch_load_dwordx4 v[38:41], off, off offset:64
	scratch_load_dwordx4 v[42:45], off, off offset:80
	;; [unrolled: 1-line block ×4, first 2 shown]
	scratch_load_dwordx2 v[70:71], off, off offset:128
	scratch_load_dwordx2 v[72:73], off, off offset:56
	v_mov_b32_e32 v36, 0
	ds_read_b128 v[54:57], v36 offset:208
	ds_read_b128 v[58:61], v36 offset:224
	;; [unrolled: 1-line block ×4, first 2 shown]
	ds_read_b64 v[74:75], v36 offset:272
	v_cmp_lt_u32_e32 vcc, 6, v0
	s_waitcnt vmcnt(5) lgkmcnt(4)
	v_mul_f32_e32 v77, v54, v39
	v_mul_f32_e32 v37, v55, v39
	v_mov_b32_e32 v78, v41
	s_waitcnt vmcnt(4) lgkmcnt(3)
	v_pk_mul_f32 v[80:81], v[58:59], v[42:43] op_sel:[1,1] op_sel_hi:[0,1]
	v_mov_b32_e32 v82, v45
	s_waitcnt vmcnt(1) lgkmcnt(0)
	v_pk_mul_f32 v[92:93], v[74:75], v[70:71] op_sel:[1,1] op_sel_hi:[0,1]
	v_fmac_f32_e32 v77, v55, v38
	v_fma_f32 v76, v54, v38, -v37
	v_pk_mul_f32 v[38:39], v[56:57], v[78:79] op_sel:[1,0] op_sel_hi:[0,0]
	v_pk_fma_f32 v[54:55], v[58:59], v[42:43], v[80:81] neg_lo:[0,0,1] neg_hi:[0,0,1]
	v_pk_fma_f32 v[42:43], v[58:59], v[42:43], v[80:81] op_sel_hi:[1,0,1]
	v_pk_mul_f32 v[58:59], v[60:61], v[82:83] op_sel:[1,0] op_sel_hi:[0,0]
	v_pk_fma_f32 v[82:83], v[74:75], v[70:71], v[92:93] neg_lo:[0,0,1] neg_hi:[0,0,1]
	v_pk_fma_f32 v[70:71], v[74:75], v[70:71], v[92:93] op_sel_hi:[1,0,1]
	v_pk_add_f32 v[74:75], v[76:77], 0 op_sel_hi:[1,0]
	v_pk_fma_f32 v[76:77], v[56:57], v[40:41], v[38:39] neg_lo:[0,0,1] neg_hi:[0,0,1]
	v_pk_fma_f32 v[38:39], v[56:57], v[40:41], v[38:39] op_sel_hi:[1,0,1]
	v_pk_mul_f32 v[84:85], v[62:63], v[46:47] op_sel:[1,1] op_sel_hi:[0,1]
	v_mov_b32_e32 v77, v39
	v_mov_b32_e32 v86, v49
	v_mov_b32_e32 v55, v43
	v_pk_fma_f32 v[40:41], v[60:61], v[44:45], v[58:59] neg_lo:[0,0,1] neg_hi:[0,0,1]
	v_pk_fma_f32 v[42:43], v[60:61], v[44:45], v[58:59] op_sel_hi:[1,0,1]
	v_pk_add_f32 v[38:39], v[74:75], v[76:77]
	v_pk_fma_f32 v[78:79], v[62:63], v[46:47], v[84:85] neg_lo:[0,0,1] neg_hi:[0,0,1]
	v_pk_fma_f32 v[46:47], v[62:63], v[46:47], v[84:85] op_sel_hi:[1,0,1]
	v_pk_mul_f32 v[62:63], v[64:65], v[86:87] op_sel:[1,0] op_sel_hi:[0,0]
	v_mov_b32_e32 v41, v43
	v_pk_add_f32 v[38:39], v[38:39], v[54:55]
	v_pk_mul_f32 v[88:89], v[66:67], v[50:51] op_sel:[1,1] op_sel_hi:[0,1]
	v_mov_b32_e32 v90, v53
	v_mov_b32_e32 v79, v47
	v_pk_fma_f32 v[44:45], v[64:65], v[48:49], v[62:63] neg_lo:[0,0,1] neg_hi:[0,0,1]
	v_pk_fma_f32 v[46:47], v[64:65], v[48:49], v[62:63] op_sel_hi:[1,0,1]
	v_pk_add_f32 v[38:39], v[38:39], v[40:41]
	v_pk_fma_f32 v[80:81], v[66:67], v[50:51], v[88:89] neg_lo:[0,0,1] neg_hi:[0,0,1]
	v_pk_fma_f32 v[50:51], v[66:67], v[50:51], v[88:89] op_sel_hi:[1,0,1]
	v_pk_mul_f32 v[66:67], v[68:69], v[90:91] op_sel:[1,0] op_sel_hi:[0,0]
	v_mov_b32_e32 v45, v47
	v_pk_add_f32 v[38:39], v[38:39], v[78:79]
	v_mov_b32_e32 v81, v51
	v_pk_fma_f32 v[48:49], v[68:69], v[52:53], v[66:67] neg_lo:[0,0,1] neg_hi:[0,0,1]
	v_pk_fma_f32 v[50:51], v[68:69], v[52:53], v[66:67] op_sel_hi:[1,0,1]
	v_pk_add_f32 v[38:39], v[38:39], v[44:45]
	v_mov_b32_e32 v49, v51
	v_pk_add_f32 v[38:39], v[38:39], v[80:81]
	v_mov_b32_e32 v83, v71
	v_pk_add_f32 v[38:39], v[38:39], v[48:49]
	s_nop 0
	v_pk_add_f32 v[38:39], v[38:39], v[82:83]
	s_waitcnt vmcnt(0)
	v_pk_add_f32 v[38:39], v[72:73], v[38:39] neg_lo:[0,1] neg_hi:[0,1]
	scratch_store_dwordx2 off, v[38:39], off offset:56
	s_and_saveexec_b64 s[0:1], vcc
	s_cbranch_execz .LBB80_103
; %bb.102:
	scratch_load_dwordx2 v[38:39], off, off offset:48
	v_mov_b32_e32 v37, v36
	scratch_store_dwordx2 off, v[36:37], off offset:48
	s_waitcnt vmcnt(1)
	ds_write_b64 v1, v[38:39]
.LBB80_103:
	s_or_b64 exec, exec, s[0:1]
	s_waitcnt lgkmcnt(0)
	; wave barrier
	scratch_load_dwordx4 v[38:41], off, off offset:56
	scratch_load_dwordx4 v[42:45], off, off offset:72
	;; [unrolled: 1-line block ×5, first 2 shown]
	scratch_load_dwordx2 v[78:79], off, off offset:48
	ds_read2_b64 v[58:61], v36 offset0:25 offset1:26
	ds_read2_b64 v[62:65], v36 offset0:27 offset1:28
	;; [unrolled: 1-line block ×5, first 2 shown]
	v_cmp_lt_u32_e32 vcc, 5, v0
	s_waitcnt vmcnt(5) lgkmcnt(4)
	v_mul_f32_e32 v37, v58, v39
	v_mul_f32_e32 v36, v59, v39
	;; [unrolled: 1-line block ×4, first 2 shown]
	s_waitcnt vmcnt(4) lgkmcnt(3)
	v_pk_mul_f32 v[82:83], v[62:63], v[42:43] op_sel:[1,1] op_sel_hi:[0,1]
	v_mov_b32_e32 v84, v45
	v_fmac_f32_e32 v37, v59, v38
	v_fma_f32 v36, v58, v38, -v36
	v_fmac_f32_e32 v81, v61, v40
	v_fma_f32 v80, v60, v40, -v39
	v_pk_fma_f32 v[38:39], v[62:63], v[42:43], v[82:83] neg_lo:[0,0,1] neg_hi:[0,0,1]
	v_pk_fma_f32 v[40:41], v[62:63], v[42:43], v[82:83] op_sel_hi:[1,0,1]
	v_pk_mul_f32 v[42:43], v[64:65], v[84:85] op_sel:[1,0] op_sel_hi:[0,0]
	v_pk_add_f32 v[36:37], v[36:37], 0 op_sel_hi:[1,0]
	s_waitcnt vmcnt(3) lgkmcnt(2)
	v_pk_mul_f32 v[86:87], v[66:67], v[46:47] op_sel:[1,1] op_sel_hi:[0,1]
	v_mov_b32_e32 v88, v49
	v_mov_b32_e32 v39, v41
	v_pk_fma_f32 v[40:41], v[64:65], v[44:45], v[42:43] neg_lo:[0,0,1] neg_hi:[0,0,1]
	v_pk_fma_f32 v[42:43], v[64:65], v[44:45], v[42:43] op_sel_hi:[1,0,1]
	v_pk_add_f32 v[36:37], v[36:37], v[80:81]
	v_pk_fma_f32 v[58:59], v[66:67], v[46:47], v[86:87] neg_lo:[0,0,1] neg_hi:[0,0,1]
	v_pk_fma_f32 v[46:47], v[66:67], v[46:47], v[86:87] op_sel_hi:[1,0,1]
	v_pk_mul_f32 v[60:61], v[68:69], v[88:89] op_sel:[1,0] op_sel_hi:[0,0]
	v_mov_b32_e32 v41, v43
	v_pk_add_f32 v[36:37], v[36:37], v[38:39]
	s_waitcnt vmcnt(2) lgkmcnt(1)
	v_pk_mul_f32 v[90:91], v[70:71], v[50:51] op_sel:[1,1] op_sel_hi:[0,1]
	v_mov_b32_e32 v92, v53
	v_mov_b32_e32 v59, v47
	v_pk_fma_f32 v[44:45], v[68:69], v[48:49], v[60:61] neg_lo:[0,0,1] neg_hi:[0,0,1]
	v_pk_fma_f32 v[46:47], v[68:69], v[48:49], v[60:61] op_sel_hi:[1,0,1]
	v_pk_add_f32 v[36:37], v[36:37], v[40:41]
	v_pk_fma_f32 v[62:63], v[70:71], v[50:51], v[90:91] neg_lo:[0,0,1] neg_hi:[0,0,1]
	v_pk_fma_f32 v[50:51], v[70:71], v[50:51], v[90:91] op_sel_hi:[1,0,1]
	v_pk_mul_f32 v[66:67], v[72:73], v[92:93] op_sel:[1,0] op_sel_hi:[0,0]
	v_mov_b32_e32 v45, v47
	v_pk_add_f32 v[36:37], v[36:37], v[58:59]
	;; [unrolled: 12-line block ×3, first 2 shown]
	v_mov_b32_e32 v71, v55
	v_pk_fma_f32 v[52:53], v[76:77], v[56:57], v[74:75] neg_lo:[0,0,1] neg_hi:[0,0,1]
	v_pk_fma_f32 v[54:55], v[76:77], v[56:57], v[74:75] op_sel_hi:[1,0,1]
	v_pk_add_f32 v[36:37], v[36:37], v[48:49]
	v_mov_b32_e32 v53, v55
	v_pk_add_f32 v[36:37], v[36:37], v[70:71]
	s_nop 0
	v_pk_add_f32 v[36:37], v[36:37], v[52:53]
	s_waitcnt vmcnt(0)
	v_pk_add_f32 v[36:37], v[78:79], v[36:37] neg_lo:[0,1] neg_hi:[0,1]
	scratch_store_dwordx2 off, v[36:37], off offset:48
	s_and_saveexec_b64 s[0:1], vcc
	s_cbranch_execz .LBB80_105
; %bb.104:
	scratch_load_dwordx2 v[36:37], off, off offset:40
	v_mov_b32_e32 v38, 0
	v_mov_b32_e32 v39, v38
	scratch_store_dwordx2 off, v[38:39], off offset:40
	s_waitcnt vmcnt(1)
	ds_write_b64 v1, v[36:37]
.LBB80_105:
	s_or_b64 exec, exec, s[0:1]
	s_waitcnt lgkmcnt(0)
	; wave barrier
	scratch_load_dwordx4 v[38:41], off, off offset:48
	scratch_load_dwordx4 v[42:45], off, off offset:64
	;; [unrolled: 1-line block ×5, first 2 shown]
	scratch_load_dwordx2 v[78:79], off, off offset:128
	scratch_load_dwordx2 v[80:81], off, off offset:40
	v_mov_b32_e32 v36, 0
	ds_read_b128 v[58:61], v36 offset:192
	ds_read_b128 v[62:65], v36 offset:208
	;; [unrolled: 1-line block ×5, first 2 shown]
	ds_read_b64 v[82:83], v36 offset:272
	v_cmp_lt_u32_e32 vcc, 4, v0
	s_waitcnt vmcnt(6) lgkmcnt(5)
	v_mul_f32_e32 v37, v58, v39
	v_mul_f32_e32 v39, v59, v39
	;; [unrolled: 1-line block ×3, first 2 shown]
	s_waitcnt vmcnt(5) lgkmcnt(4)
	v_mul_f32_e32 v87, v62, v43
	v_mul_f32_e32 v41, v61, v41
	;; [unrolled: 1-line block ×3, first 2 shown]
	v_mov_b32_e32 v88, v45
	s_waitcnt vmcnt(3) lgkmcnt(2)
	v_pk_mul_f32 v[94:95], v[70:71], v[50:51] op_sel:[1,1] op_sel_hi:[0,1]
	s_waitcnt vmcnt(2) lgkmcnt(1)
	v_pk_mul_f32 v[98:99], v[74:75], v[54:55] op_sel:[1,1] op_sel_hi:[0,1]
	;; [unrolled: 2-line block ×3, first 2 shown]
	v_fmac_f32_e32 v37, v59, v38
	v_fma_f32 v89, v58, v38, -v39
	v_fmac_f32_e32 v85, v61, v40
	v_fmac_f32_e32 v87, v63, v42
	v_fma_f32 v84, v60, v40, -v41
	v_fma_f32 v86, v62, v42, -v43
	v_pk_mul_f32 v[38:39], v[64:65], v[88:89] op_sel:[1,0] op_sel_hi:[0,0]
	v_pk_fma_f32 v[58:59], v[70:71], v[50:51], v[94:95] neg_lo:[0,0,1] neg_hi:[0,0,1]
	v_pk_fma_f32 v[50:51], v[70:71], v[50:51], v[94:95] op_sel_hi:[1,0,1]
	v_pk_fma_f32 v[62:63], v[74:75], v[54:55], v[98:99] neg_lo:[0,0,1] neg_hi:[0,0,1]
	v_pk_fma_f32 v[54:55], v[74:75], v[54:55], v[98:99] op_sel_hi:[1,0,1]
	;; [unrolled: 2-line block ×3, first 2 shown]
	v_add_f32_e32 v79, 0, v37
	v_add_f32_e32 v78, 0, v89
	v_pk_mul_f32 v[90:91], v[66:67], v[46:47] op_sel:[1,1] op_sel_hi:[0,1]
	v_mov_b32_e32 v92, v49
	v_pk_fma_f32 v[82:83], v[64:65], v[44:45], v[38:39] neg_lo:[0,0,1] neg_hi:[0,0,1]
	v_pk_fma_f32 v[38:39], v[64:65], v[44:45], v[38:39] op_sel_hi:[1,0,1]
	v_mov_b32_e32 v63, v55
	v_pk_add_f32 v[54:55], v[78:79], v[84:85]
	v_pk_fma_f32 v[40:41], v[66:67], v[46:47], v[90:91] neg_lo:[0,0,1] neg_hi:[0,0,1]
	v_pk_fma_f32 v[42:43], v[66:67], v[46:47], v[90:91] op_sel_hi:[1,0,1]
	v_pk_mul_f32 v[46:47], v[68:69], v[92:93] op_sel:[1,0] op_sel_hi:[0,0]
	v_mov_b32_e32 v83, v39
	v_pk_add_f32 v[38:39], v[54:55], v[86:87]
	v_mov_b32_e32 v96, v53
	v_mov_b32_e32 v41, v43
	v_pk_fma_f32 v[42:43], v[68:69], v[48:49], v[46:47] neg_lo:[0,0,1] neg_hi:[0,0,1]
	v_pk_fma_f32 v[44:45], v[68:69], v[48:49], v[46:47] op_sel_hi:[1,0,1]
	v_pk_add_f32 v[38:39], v[38:39], v[82:83]
	v_pk_mul_f32 v[60:61], v[72:73], v[96:97] op_sel:[1,0] op_sel_hi:[0,0]
	v_mov_b32_e32 v43, v45
	v_pk_add_f32 v[38:39], v[38:39], v[40:41]
	v_mov_b32_e32 v100, v57
	v_mov_b32_e32 v59, v51
	v_pk_fma_f32 v[46:47], v[72:73], v[52:53], v[60:61] neg_lo:[0,0,1] neg_hi:[0,0,1]
	v_pk_fma_f32 v[48:49], v[72:73], v[52:53], v[60:61] op_sel_hi:[1,0,1]
	v_pk_add_f32 v[38:39], v[38:39], v[42:43]
	v_pk_mul_f32 v[66:67], v[76:77], v[100:101] op_sel:[1,0] op_sel_hi:[0,0]
	v_mov_b32_e32 v47, v49
	v_pk_add_f32 v[38:39], v[38:39], v[58:59]
	v_pk_fma_f32 v[50:51], v[76:77], v[56:57], v[66:67] neg_lo:[0,0,1] neg_hi:[0,0,1]
	v_pk_fma_f32 v[52:53], v[76:77], v[56:57], v[66:67] op_sel_hi:[1,0,1]
	v_pk_add_f32 v[38:39], v[38:39], v[46:47]
	v_mov_b32_e32 v51, v53
	v_pk_add_f32 v[38:39], v[38:39], v[62:63]
	v_mov_b32_e32 v71, v75
	v_pk_add_f32 v[38:39], v[38:39], v[50:51]
	s_nop 0
	v_pk_add_f32 v[38:39], v[38:39], v[70:71]
	s_waitcnt vmcnt(0)
	v_pk_add_f32 v[38:39], v[80:81], v[38:39] neg_lo:[0,1] neg_hi:[0,1]
	scratch_store_dwordx2 off, v[38:39], off offset:40
	s_and_saveexec_b64 s[0:1], vcc
	s_cbranch_execz .LBB80_107
; %bb.106:
	scratch_load_dwordx2 v[38:39], off, off offset:32
	v_mov_b32_e32 v37, v36
	scratch_store_dwordx2 off, v[36:37], off offset:32
	s_waitcnt vmcnt(1)
	ds_write_b64 v1, v[38:39]
.LBB80_107:
	s_or_b64 exec, exec, s[0:1]
	s_waitcnt lgkmcnt(0)
	; wave barrier
	scratch_load_dwordx4 v[38:41], off, off offset:40
	scratch_load_dwordx4 v[42:45], off, off offset:56
	;; [unrolled: 1-line block ×6, first 2 shown]
	scratch_load_dwordx2 v[86:87], off, off offset:32
	ds_read2_b64 v[62:65], v36 offset0:23 offset1:24
	ds_read2_b64 v[66:69], v36 offset0:25 offset1:26
	;; [unrolled: 1-line block ×6, first 2 shown]
	v_cmp_lt_u32_e32 vcc, 3, v0
	s_waitcnt vmcnt(6) lgkmcnt(5)
	v_mul_f32_e32 v93, v62, v39
	v_mul_f32_e32 v97, v64, v41
	s_waitcnt vmcnt(5) lgkmcnt(4)
	v_mul_f32_e32 v37, v66, v43
	v_mul_f32_e32 v36, v63, v39
	;; [unrolled: 1-line block ×4, first 2 shown]
	s_waitcnt vmcnt(1) lgkmcnt(0)
	v_pk_mul_f32 v[102:103], v[82:83], v[58:59] op_sel:[1,1] op_sel_hi:[0,1]
	v_pk_mul_f32 v[90:91], v[70:71], v[46:47] op_sel:[1,1] op_sel_hi:[0,1]
	v_fmac_f32_e32 v93, v63, v38
	v_fmac_f32_e32 v37, v67, v42
	v_fma_f32 v101, v62, v38, -v36
	v_fma_f32 v36, v66, v42, -v41
	v_pk_fma_f32 v[66:67], v[82:83], v[58:59], v[102:103] neg_lo:[0,0,1] neg_hi:[0,0,1]
	v_pk_fma_f32 v[58:59], v[82:83], v[58:59], v[102:103] op_sel_hi:[1,0,1]
	v_fmac_f32_e32 v97, v65, v40
	v_fma_f32 v105, v64, v40, -v39
	v_pk_fma_f32 v[38:39], v[70:71], v[46:47], v[90:91] neg_lo:[0,0,1] neg_hi:[0,0,1]
	v_pk_fma_f32 v[40:41], v[70:71], v[46:47], v[90:91] op_sel_hi:[1,0,1]
	v_add_f32_e32 v58, 0, v93
	v_add_f32_e32 v70, 0, v101
	v_mul_f32_e32 v89, v68, v45
	v_mul_f32_e32 v43, v69, v45
	v_mov_b32_e32 v92, v49
	v_mov_b32_e32 v67, v59
	v_add_f32_e32 v59, v58, v97
	v_add_f32_e32 v58, v70, v105
	v_fmac_f32_e32 v89, v69, v44
	v_fma_f32 v88, v68, v44, -v43
	v_pk_mul_f32 v[42:43], v[72:73], v[92:93] op_sel:[1,0] op_sel_hi:[0,0]
	v_pk_add_f32 v[36:37], v[58:59], v[36:37]
	v_pk_mul_f32 v[94:95], v[74:75], v[50:51] op_sel:[1,1] op_sel_hi:[0,1]
	v_mov_b32_e32 v96, v53
	v_mov_b32_e32 v39, v41
	v_pk_fma_f32 v[40:41], v[72:73], v[48:49], v[42:43] neg_lo:[0,0,1] neg_hi:[0,0,1]
	v_pk_fma_f32 v[42:43], v[72:73], v[48:49], v[42:43] op_sel_hi:[1,0,1]
	v_pk_add_f32 v[36:37], v[36:37], v[88:89]
	v_pk_fma_f32 v[44:45], v[74:75], v[50:51], v[94:95] neg_lo:[0,0,1] neg_hi:[0,0,1]
	v_pk_fma_f32 v[46:47], v[74:75], v[50:51], v[94:95] op_sel_hi:[1,0,1]
	v_pk_mul_f32 v[50:51], v[76:77], v[96:97] op_sel:[1,0] op_sel_hi:[0,0]
	v_mov_b32_e32 v41, v43
	v_pk_add_f32 v[36:37], v[36:37], v[38:39]
	v_pk_mul_f32 v[98:99], v[78:79], v[54:55] op_sel:[1,1] op_sel_hi:[0,1]
	v_mov_b32_e32 v100, v57
	v_mov_b32_e32 v45, v47
	v_pk_fma_f32 v[46:47], v[76:77], v[52:53], v[50:51] neg_lo:[0,0,1] neg_hi:[0,0,1]
	v_pk_fma_f32 v[48:49], v[76:77], v[52:53], v[50:51] op_sel_hi:[1,0,1]
	v_pk_add_f32 v[36:37], v[36:37], v[40:41]
	v_pk_fma_f32 v[62:63], v[78:79], v[54:55], v[98:99] neg_lo:[0,0,1] neg_hi:[0,0,1]
	v_pk_fma_f32 v[54:55], v[78:79], v[54:55], v[98:99] op_sel_hi:[1,0,1]
	v_pk_mul_f32 v[64:65], v[80:81], v[100:101] op_sel:[1,0] op_sel_hi:[0,0]
	v_mov_b32_e32 v47, v49
	v_pk_add_f32 v[36:37], v[36:37], v[44:45]
	v_mov_b32_e32 v104, v61
	v_mov_b32_e32 v63, v55
	v_pk_fma_f32 v[50:51], v[80:81], v[56:57], v[64:65] neg_lo:[0,0,1] neg_hi:[0,0,1]
	v_pk_fma_f32 v[52:53], v[80:81], v[56:57], v[64:65] op_sel_hi:[1,0,1]
	v_pk_add_f32 v[36:37], v[36:37], v[46:47]
	v_pk_mul_f32 v[68:69], v[84:85], v[104:105] op_sel:[1,0] op_sel_hi:[0,0]
	v_mov_b32_e32 v51, v53
	v_pk_add_f32 v[36:37], v[36:37], v[62:63]
	v_pk_fma_f32 v[54:55], v[84:85], v[60:61], v[68:69] neg_lo:[0,0,1] neg_hi:[0,0,1]
	v_pk_fma_f32 v[56:57], v[84:85], v[60:61], v[68:69] op_sel_hi:[1,0,1]
	v_pk_add_f32 v[36:37], v[36:37], v[50:51]
	v_mov_b32_e32 v55, v57
	v_pk_add_f32 v[36:37], v[36:37], v[66:67]
	s_nop 0
	v_pk_add_f32 v[36:37], v[36:37], v[54:55]
	s_waitcnt vmcnt(0)
	v_pk_add_f32 v[36:37], v[86:87], v[36:37] neg_lo:[0,1] neg_hi:[0,1]
	scratch_store_dwordx2 off, v[36:37], off offset:32
	s_and_saveexec_b64 s[0:1], vcc
	s_cbranch_execz .LBB80_109
; %bb.108:
	scratch_load_dwordx2 v[36:37], off, off offset:24
	v_mov_b32_e32 v38, 0
	v_mov_b32_e32 v39, v38
	scratch_store_dwordx2 off, v[38:39], off offset:24
	s_waitcnt vmcnt(1)
	ds_write_b64 v1, v[36:37]
.LBB80_109:
	s_or_b64 exec, exec, s[0:1]
	s_waitcnt lgkmcnt(0)
	; wave barrier
	scratch_load_dwordx4 v[38:41], off, off offset:32
	scratch_load_dwordx4 v[42:45], off, off offset:48
	;; [unrolled: 1-line block ×6, first 2 shown]
	scratch_load_dwordx2 v[86:87], off, off offset:128
	scratch_load_dwordx2 v[88:89], off, off offset:24
	v_mov_b32_e32 v36, 0
	ds_read_b128 v[62:65], v36 offset:176
	ds_read_b128 v[66:69], v36 offset:192
	;; [unrolled: 1-line block ×6, first 2 shown]
	ds_read_b64 v[90:91], v36 offset:272
	v_cmp_lt_u32_e32 vcc, 2, v0
	s_waitcnt vmcnt(7) lgkmcnt(6)
	v_mul_f32_e32 v97, v64, v41
	v_mul_f32_e32 v37, v62, v39
	s_waitcnt vmcnt(5) lgkmcnt(4)
	v_mul_f32_e32 v95, v70, v47
	v_mul_f32_e32 v39, v63, v39
	v_mov_b32_e32 v96, v49
	s_waitcnt vmcnt(2) lgkmcnt(1)
	v_pk_mul_f32 v[106:107], v[82:83], v[58:59] op_sel:[1,1] op_sel_hi:[0,1]
	v_fmac_f32_e32 v97, v65, v40
	v_mul_f32_e32 v41, v65, v41
	v_mul_f32_e32 v47, v71, v47
	v_fmac_f32_e32 v37, v63, v38
	v_fmac_f32_e32 v95, v71, v46
	v_fma_f32 v71, v62, v38, -v39
	v_pk_mul_f32 v[38:39], v[72:73], v[96:97] op_sel:[1,0] op_sel_hi:[0,0]
	v_pk_fma_f32 v[62:63], v[82:83], v[58:59], v[106:107] neg_lo:[0,0,1] neg_hi:[0,0,1]
	v_pk_fma_f32 v[58:59], v[82:83], v[58:59], v[106:107] op_sel_hi:[1,0,1]
	v_mul_f32_e32 v101, v66, v43
	v_mul_f32_e32 v43, v67, v43
	v_fma_f32 v105, v64, v40, -v41
	v_fma_f32 v94, v70, v46, -v47
	v_add_f32_e32 v37, 0, v37
	v_add_f32_e32 v58, 0, v71
	v_pk_fma_f32 v[70:71], v[72:73], v[48:49], v[38:39] neg_lo:[0,0,1] neg_hi:[0,0,1]
	v_pk_fma_f32 v[38:39], v[72:73], v[48:49], v[38:39] op_sel_hi:[1,0,1]
	v_mul_f32_e32 v93, v68, v45
	v_mul_f32_e32 v45, v69, v45
	v_fmac_f32_e32 v101, v67, v42
	v_fma_f32 v109, v66, v42, -v43
	v_add_f32_e32 v37, v37, v97
	v_add_f32_e32 v38, v58, v105
	v_fmac_f32_e32 v93, v69, v44
	v_fma_f32 v92, v68, v44, -v45
	v_mov_b32_e32 v71, v39
	v_add_f32_e32 v39, v37, v101
	v_add_f32_e32 v38, v38, v109
	v_pk_mul_f32 v[98:99], v[74:75], v[50:51] op_sel:[1,1] op_sel_hi:[0,1]
	v_mov_b32_e32 v100, v53
	v_pk_add_f32 v[38:39], v[38:39], v[92:93]
	v_pk_fma_f32 v[40:41], v[74:75], v[50:51], v[98:99] neg_lo:[0,0,1] neg_hi:[0,0,1]
	v_pk_fma_f32 v[42:43], v[74:75], v[50:51], v[98:99] op_sel_hi:[1,0,1]
	v_pk_mul_f32 v[44:45], v[76:77], v[100:101] op_sel:[1,0] op_sel_hi:[0,0]
	v_pk_add_f32 v[38:39], v[38:39], v[94:95]
	v_pk_mul_f32 v[102:103], v[78:79], v[54:55] op_sel:[1,1] op_sel_hi:[0,1]
	v_mov_b32_e32 v104, v57
	v_mov_b32_e32 v41, v43
	v_pk_fma_f32 v[42:43], v[76:77], v[52:53], v[44:45] neg_lo:[0,0,1] neg_hi:[0,0,1]
	v_pk_fma_f32 v[44:45], v[76:77], v[52:53], v[44:45] op_sel_hi:[1,0,1]
	v_pk_add_f32 v[38:39], v[38:39], v[70:71]
	v_pk_fma_f32 v[46:47], v[78:79], v[54:55], v[102:103] neg_lo:[0,0,1] neg_hi:[0,0,1]
	v_pk_fma_f32 v[50:51], v[78:79], v[54:55], v[102:103] op_sel_hi:[1,0,1]
	v_pk_mul_f32 v[54:55], v[80:81], v[104:105] op_sel:[1,0] op_sel_hi:[0,0]
	v_mov_b32_e32 v43, v45
	v_pk_add_f32 v[38:39], v[38:39], v[40:41]
	v_mov_b32_e32 v108, v61
	v_mov_b32_e32 v47, v51
	v_pk_fma_f32 v[48:49], v[80:81], v[56:57], v[54:55] neg_lo:[0,0,1] neg_hi:[0,0,1]
	v_pk_fma_f32 v[50:51], v[80:81], v[56:57], v[54:55] op_sel_hi:[1,0,1]
	v_pk_add_f32 v[38:39], v[38:39], v[42:43]
	v_pk_mul_f32 v[64:65], v[84:85], v[108:109] op_sel:[1,0] op_sel_hi:[0,0]
	v_mov_b32_e32 v49, v51
	v_pk_add_f32 v[38:39], v[38:39], v[46:47]
	s_waitcnt vmcnt(1) lgkmcnt(0)
	v_pk_mul_f32 v[110:111], v[90:91], v[86:87] op_sel:[1,1] op_sel_hi:[0,1]
	v_mov_b32_e32 v63, v59
	v_pk_fma_f32 v[52:53], v[84:85], v[60:61], v[64:65] neg_lo:[0,0,1] neg_hi:[0,0,1]
	v_pk_fma_f32 v[54:55], v[84:85], v[60:61], v[64:65] op_sel_hi:[1,0,1]
	v_pk_add_f32 v[38:39], v[38:39], v[48:49]
	v_pk_fma_f32 v[66:67], v[90:91], v[86:87], v[110:111] neg_lo:[0,0,1] neg_hi:[0,0,1]
	v_pk_fma_f32 v[68:69], v[90:91], v[86:87], v[110:111] op_sel_hi:[1,0,1]
	v_mov_b32_e32 v53, v55
	v_pk_add_f32 v[38:39], v[38:39], v[62:63]
	v_mov_b32_e32 v67, v69
	v_pk_add_f32 v[38:39], v[38:39], v[52:53]
	s_nop 0
	v_pk_add_f32 v[38:39], v[38:39], v[66:67]
	s_waitcnt vmcnt(0)
	v_pk_add_f32 v[38:39], v[88:89], v[38:39] neg_lo:[0,1] neg_hi:[0,1]
	scratch_store_dwordx2 off, v[38:39], off offset:24
	s_and_saveexec_b64 s[0:1], vcc
	s_cbranch_execz .LBB80_111
; %bb.110:
	scratch_load_dwordx2 v[38:39], off, off offset:16
	v_mov_b32_e32 v37, v36
	scratch_store_dwordx2 off, v[36:37], off offset:16
	s_waitcnt vmcnt(1)
	ds_write_b64 v1, v[38:39]
.LBB80_111:
	s_or_b64 exec, exec, s[0:1]
	s_waitcnt lgkmcnt(0)
	; wave barrier
	scratch_load_dwordx4 v[38:41], off, off offset:24
	scratch_load_dwordx4 v[42:45], off, off offset:40
	;; [unrolled: 1-line block ×7, first 2 shown]
	ds_read2_b64 v[66:69], v36 offset0:21 offset1:22
	ds_read2_b64 v[70:73], v36 offset0:23 offset1:24
	;; [unrolled: 1-line block ×6, first 2 shown]
	scratch_load_dwordx2 v[94:95], off, off offset:16
	ds_read2_b64 v[90:93], v36 offset0:33 offset1:34
	v_cmp_lt_u32_e32 vcc, 1, v0
	s_waitcnt vmcnt(7) lgkmcnt(6)
	v_mul_f32_e32 v101, v66, v39
	v_mul_f32_e32 v105, v68, v41
	s_waitcnt vmcnt(6) lgkmcnt(5)
	v_mul_f32_e32 v109, v70, v43
	v_mul_f32_e32 v113, v72, v45
	;; [unrolled: 3-line block ×3, first 2 shown]
	v_mul_f32_e32 v36, v67, v39
	v_mul_f32_e32 v39, v69, v41
	;; [unrolled: 1-line block ×6, first 2 shown]
	s_waitcnt vmcnt(4) lgkmcnt(3)
	v_pk_mul_f32 v[98:99], v[78:79], v[50:51] op_sel:[1,1] op_sel_hi:[0,1]
	v_mov_b32_e32 v100, v53
	s_waitcnt vmcnt(3) lgkmcnt(2)
	v_pk_mul_f32 v[102:103], v[82:83], v[54:55] op_sel:[1,1] op_sel_hi:[0,1]
	v_mov_b32_e32 v104, v57
	s_waitcnt vmcnt(1) lgkmcnt(0)
	v_pk_mul_f32 v[110:111], v[90:91], v[62:63] op_sel:[1,1] op_sel_hi:[0,1]
	v_fmac_f32_e32 v101, v67, v38
	v_fmac_f32_e32 v105, v69, v40
	;; [unrolled: 1-line block ×6, first 2 shown]
	v_fma_f32 v71, v66, v38, -v36
	v_fma_f32 v73, v68, v40, -v39
	v_fma_f32 v70, v70, v42, -v41
	v_fma_f32 v72, v72, v44, -v43
	v_fma_f32 v36, v74, v46, -v45
	v_fma_f32 v96, v76, v48, -v47
	v_pk_fma_f32 v[38:39], v[78:79], v[50:51], v[98:99] neg_lo:[0,0,1] neg_hi:[0,0,1]
	v_pk_fma_f32 v[40:41], v[78:79], v[50:51], v[98:99] op_sel_hi:[1,0,1]
	v_pk_mul_f32 v[42:43], v[80:81], v[100:101] op_sel:[1,0] op_sel_hi:[0,0]
	v_pk_fma_f32 v[44:45], v[82:83], v[54:55], v[102:103] neg_lo:[0,0,1] neg_hi:[0,0,1]
	v_pk_fma_f32 v[46:47], v[82:83], v[54:55], v[102:103] op_sel_hi:[1,0,1]
	v_pk_mul_f32 v[48:49], v[84:85], v[104:105] op_sel:[1,0] op_sel_hi:[0,0]
	v_pk_fma_f32 v[66:67], v[90:91], v[62:63], v[110:111] neg_lo:[0,0,1] neg_hi:[0,0,1]
	v_pk_fma_f32 v[62:63], v[90:91], v[62:63], v[110:111] op_sel_hi:[1,0,1]
	v_add_f32_e32 v71, 0, v71
	v_add_f32_e32 v62, 0, v101
	v_mov_b32_e32 v39, v41
	v_pk_fma_f32 v[40:41], v[80:81], v[52:53], v[42:43] neg_lo:[0,0,1] neg_hi:[0,0,1]
	v_pk_fma_f32 v[42:43], v[80:81], v[52:53], v[42:43] op_sel_hi:[1,0,1]
	v_mov_b32_e32 v45, v47
	v_pk_fma_f32 v[46:47], v[84:85], v[56:57], v[48:49] neg_lo:[0,0,1] neg_hi:[0,0,1]
	v_pk_fma_f32 v[48:49], v[84:85], v[56:57], v[48:49] op_sel_hi:[1,0,1]
	v_add_f32_e32 v42, v62, v105
	v_add_f32_e32 v48, v71, v73
	;; [unrolled: 1-line block ×4, first 2 shown]
	v_mov_b32_e32 v41, v43
	v_add_f32_e32 v43, v42, v113
	v_add_f32_e32 v42, v48, v72
	v_pk_add_f32 v[36:37], v[42:43], v[36:37]
	v_pk_mul_f32 v[106:107], v[86:87], v[58:59] op_sel:[1,1] op_sel_hi:[0,1]
	v_pk_add_f32 v[36:37], v[36:37], v[96:97]
	v_mov_b32_e32 v108, v61
	v_pk_add_f32 v[36:37], v[36:37], v[38:39]
	v_pk_fma_f32 v[50:51], v[86:87], v[58:59], v[106:107] neg_lo:[0,0,1] neg_hi:[0,0,1]
	v_pk_add_f32 v[36:37], v[36:37], v[40:41]
	v_pk_fma_f32 v[54:55], v[86:87], v[58:59], v[106:107] op_sel_hi:[1,0,1]
	v_pk_mul_f32 v[58:59], v[88:89], v[108:109] op_sel:[1,0] op_sel_hi:[0,0]
	v_mov_b32_e32 v47, v49
	v_pk_add_f32 v[36:37], v[36:37], v[44:45]
	v_mov_b32_e32 v112, v65
	v_mov_b32_e32 v51, v55
	v_pk_fma_f32 v[52:53], v[88:89], v[60:61], v[58:59] neg_lo:[0,0,1] neg_hi:[0,0,1]
	v_pk_fma_f32 v[54:55], v[88:89], v[60:61], v[58:59] op_sel_hi:[1,0,1]
	v_pk_add_f32 v[36:37], v[36:37], v[46:47]
	v_pk_mul_f32 v[68:69], v[92:93], v[112:113] op_sel:[1,0] op_sel_hi:[0,0]
	v_mov_b32_e32 v53, v55
	v_pk_add_f32 v[36:37], v[36:37], v[50:51]
	v_mov_b32_e32 v67, v63
	v_pk_fma_f32 v[56:57], v[92:93], v[64:65], v[68:69] neg_lo:[0,0,1] neg_hi:[0,0,1]
	v_pk_fma_f32 v[58:59], v[92:93], v[64:65], v[68:69] op_sel_hi:[1,0,1]
	v_pk_add_f32 v[36:37], v[36:37], v[52:53]
	v_mov_b32_e32 v57, v59
	v_pk_add_f32 v[36:37], v[36:37], v[66:67]
	s_nop 0
	v_pk_add_f32 v[36:37], v[36:37], v[56:57]
	s_waitcnt vmcnt(0)
	v_pk_add_f32 v[36:37], v[94:95], v[36:37] neg_lo:[0,1] neg_hi:[0,1]
	scratch_store_dwordx2 off, v[36:37], off offset:16
	s_and_saveexec_b64 s[0:1], vcc
	s_cbranch_execz .LBB80_113
; %bb.112:
	scratch_load_dwordx2 v[36:37], off, off offset:8
	v_mov_b32_e32 v38, 0
	v_mov_b32_e32 v39, v38
	scratch_store_dwordx2 off, v[38:39], off offset:8
	s_waitcnt vmcnt(1)
	ds_write_b64 v1, v[36:37]
.LBB80_113:
	s_or_b64 exec, exec, s[0:1]
	s_waitcnt lgkmcnt(0)
	; wave barrier
	scratch_load_dwordx4 v[38:41], off, off offset:16
	scratch_load_dwordx4 v[42:45], off, off offset:32
	;; [unrolled: 1-line block ×7, first 2 shown]
	scratch_load_dwordx2 v[94:95], off, off offset:128
	scratch_load_dwordx2 v[96:97], off, off offset:8
	v_mov_b32_e32 v36, 0
	ds_read_b128 v[66:69], v36 offset:160
	ds_read_b128 v[70:73], v36 offset:176
	;; [unrolled: 1-line block ×7, first 2 shown]
	ds_read_b64 v[98:99], v36 offset:272
	v_cmp_ne_u32_e32 vcc, 0, v0
	s_waitcnt vmcnt(8) lgkmcnt(7)
	v_mul_f32_e32 v105, v68, v41
	v_mul_f32_e32 v37, v66, v39
	s_waitcnt vmcnt(7) lgkmcnt(6)
	v_mul_f32_e32 v109, v70, v43
	s_waitcnt vmcnt(6) lgkmcnt(5)
	v_mul_f32_e32 v117, v74, v47
	v_mul_f32_e32 v101, v76, v49
	;; [unrolled: 1-line block ×5, first 2 shown]
	s_waitcnt vmcnt(5)
	v_mov_b32_e32 v104, v53
	s_waitcnt vmcnt(3) lgkmcnt(2)
	v_pk_mul_f32 v[110:111], v[86:87], v[58:59] op_sel:[1,1] op_sel_hi:[0,1]
	s_waitcnt vmcnt(2) lgkmcnt(1)
	v_pk_mul_f32 v[114:115], v[90:91], v[62:63] op_sel:[1,1] op_sel_hi:[0,1]
	v_fmac_f32_e32 v105, v69, v40
	v_mul_f32_e32 v41, v69, v41
	v_mul_f32_e32 v43, v71, v43
	v_fmac_f32_e32 v37, v67, v38
	v_fmac_f32_e32 v109, v71, v42
	;; [unrolled: 1-line block ×4, first 2 shown]
	v_fma_f32 v66, v66, v38, -v39
	v_fma_f32 v71, v74, v46, -v47
	;; [unrolled: 1-line block ×3, first 2 shown]
	v_pk_mul_f32 v[38:39], v[80:81], v[104:105] op_sel:[1,0] op_sel_hi:[0,0]
	v_pk_fma_f32 v[46:47], v[86:87], v[58:59], v[110:111] neg_lo:[0,0,1] neg_hi:[0,0,1]
	v_pk_fma_f32 v[48:49], v[86:87], v[58:59], v[110:111] op_sel_hi:[1,0,1]
	v_pk_fma_f32 v[58:59], v[90:91], v[62:63], v[114:115] op_sel_hi:[1,0,1]
	v_fma_f32 v68, v68, v40, -v41
	v_add_f32_e32 v37, 0, v37
	v_add_f32_e32 v58, 0, v66
	v_pk_fma_f32 v[66:67], v[80:81], v[52:53], v[38:39] neg_lo:[0,0,1] neg_hi:[0,0,1]
	v_pk_fma_f32 v[38:39], v[80:81], v[52:53], v[38:39] op_sel_hi:[1,0,1]
	v_mul_f32_e32 v113, v72, v45
	v_mul_f32_e32 v45, v73, v45
	v_fma_f32 v69, v70, v42, -v43
	v_add_f32_e32 v37, v37, v105
	v_add_f32_e32 v38, v58, v68
	v_fmac_f32_e32 v113, v73, v44
	v_fma_f32 v70, v72, v44, -v45
	v_add_f32_e32 v37, v37, v109
	v_add_f32_e32 v38, v38, v69
	;; [unrolled: 1-line block ×4, first 2 shown]
	v_mul_f32_e32 v103, v78, v51
	v_mul_f32_e32 v51, v79, v51
	v_mov_b32_e32 v67, v39
	v_add_f32_e32 v39, v37, v117
	v_add_f32_e32 v38, v38, v71
	v_pk_mul_f32 v[106:107], v[82:83], v[54:55] op_sel:[1,1] op_sel_hi:[0,1]
	v_mov_b32_e32 v108, v57
	v_fmac_f32_e32 v103, v79, v50
	v_fma_f32 v102, v78, v50, -v51
	v_pk_add_f32 v[38:39], v[38:39], v[100:101]
	v_pk_fma_f32 v[40:41], v[82:83], v[54:55], v[106:107] neg_lo:[0,0,1] neg_hi:[0,0,1]
	v_pk_fma_f32 v[42:43], v[82:83], v[54:55], v[106:107] op_sel_hi:[1,0,1]
	v_pk_mul_f32 v[44:45], v[84:85], v[108:109] op_sel:[1,0] op_sel_hi:[0,0]
	v_pk_add_f32 v[38:39], v[38:39], v[102:103]
	v_mov_b32_e32 v112, v61
	v_mov_b32_e32 v41, v43
	v_pk_fma_f32 v[42:43], v[84:85], v[56:57], v[44:45] neg_lo:[0,0,1] neg_hi:[0,0,1]
	v_pk_fma_f32 v[44:45], v[84:85], v[56:57], v[44:45] op_sel_hi:[1,0,1]
	v_pk_add_f32 v[38:39], v[38:39], v[66:67]
	v_pk_mul_f32 v[50:51], v[88:89], v[112:113] op_sel:[1,0] op_sel_hi:[0,0]
	v_mov_b32_e32 v43, v45
	v_pk_add_f32 v[38:39], v[38:39], v[40:41]
	v_mov_b32_e32 v116, v65
	v_mov_b32_e32 v47, v49
	v_pk_fma_f32 v[48:49], v[88:89], v[60:61], v[50:51] neg_lo:[0,0,1] neg_hi:[0,0,1]
	v_pk_fma_f32 v[50:51], v[88:89], v[60:61], v[50:51] op_sel_hi:[1,0,1]
	v_pk_add_f32 v[38:39], v[38:39], v[42:43]
	v_pk_fma_f32 v[54:55], v[90:91], v[62:63], v[114:115] neg_lo:[0,0,1] neg_hi:[0,0,1]
	v_pk_mul_f32 v[62:63], v[92:93], v[116:117] op_sel:[1,0] op_sel_hi:[0,0]
	v_mov_b32_e32 v49, v51
	v_pk_add_f32 v[38:39], v[38:39], v[46:47]
	v_mov_b32_e32 v55, v59
	v_pk_add_f32 v[38:39], v[38:39], v[48:49]
	v_pk_fma_f32 v[40:41], v[92:93], v[64:65], v[62:63] neg_lo:[0,0,1] neg_hi:[0,0,1]
	v_pk_fma_f32 v[42:43], v[92:93], v[64:65], v[62:63] op_sel_hi:[1,0,1]
	v_pk_add_f32 v[38:39], v[38:39], v[54:55]
	v_mov_b32_e32 v41, v43
	v_pk_add_f32 v[38:39], v[38:39], v[40:41]
	s_waitcnt vmcnt(1) lgkmcnt(0)
	v_pk_mul_f32 v[40:41], v[98:99], v[94:95] op_sel:[1,1] op_sel_hi:[0,1]
	v_pk_fma_f32 v[42:43], v[98:99], v[94:95], v[40:41] neg_lo:[0,0,1] neg_hi:[0,0,1]
	v_pk_fma_f32 v[40:41], v[98:99], v[94:95], v[40:41] op_sel_hi:[1,0,1]
	s_nop 0
	v_mov_b32_e32 v43, v41
	v_pk_add_f32 v[38:39], v[38:39], v[42:43]
	s_waitcnt vmcnt(0)
	v_pk_add_f32 v[38:39], v[96:97], v[38:39] neg_lo:[0,1] neg_hi:[0,1]
	scratch_store_dwordx2 off, v[38:39], off offset:8
	s_and_saveexec_b64 s[0:1], vcc
	s_cbranch_execz .LBB80_115
; %bb.114:
	scratch_load_dwordx2 v[38:39], off, off
	v_mov_b32_e32 v37, v36
	scratch_store_dwordx2 off, v[36:37], off
	s_waitcnt vmcnt(1)
	ds_write_b64 v1, v[38:39]
.LBB80_115:
	s_or_b64 exec, exec, s[0:1]
	s_waitcnt lgkmcnt(0)
	; wave barrier
	scratch_load_dwordx4 v[38:41], off, off offset:8
	scratch_load_dwordx4 v[42:45], off, off offset:24
	;; [unrolled: 1-line block ×7, first 2 shown]
	ds_read2_b64 v[66:69], v36 offset0:19 offset1:20
	ds_read2_b64 v[70:73], v36 offset0:21 offset1:22
	;; [unrolled: 1-line block ×4, first 2 shown]
	scratch_load_dwordx4 v[82:85], off, off offset:120
	ds_read2_b64 v[86:89], v36 offset0:27 offset1:28
	ds_read2_b64 v[90:93], v36 offset0:29 offset1:30
	ds_read2_b64 v[94:97], v36 offset0:31 offset1:32
	ds_read2_b64 v[98:101], v36 offset0:33 offset1:34
	scratch_load_dwordx2 v[0:1], off, off
	s_and_b64 vcc, exec, s[10:11]
	s_waitcnt vmcnt(8) lgkmcnt(7)
	v_mul_f32_e32 v107, v66, v39
	v_mul_f32_e32 v111, v68, v41
	s_waitcnt vmcnt(7) lgkmcnt(6)
	v_mul_f32_e32 v115, v70, v43
	v_mul_f32_e32 v116, v72, v45
	s_waitcnt vmcnt(6) lgkmcnt(5)
	v_mul_f32_e32 v117, v74, v47
	v_mul_f32_e32 v118, v76, v49
	v_mul_f32_e32 v36, v67, v39
	v_mul_f32_e32 v39, v69, v41
	;; [unrolled: 1-line block ×6, first 2 shown]
	s_waitcnt vmcnt(5) lgkmcnt(4)
	v_mul_f32_e32 v49, v79, v51
	s_waitcnt vmcnt(4) lgkmcnt(3)
	v_pk_mul_f32 v[104:105], v[86:87], v[54:55] op_sel:[1,1] op_sel_hi:[0,1]
	v_mov_b32_e32 v106, v57
	s_waitcnt vmcnt(3) lgkmcnt(2)
	v_pk_mul_f32 v[108:109], v[90:91], v[58:59] op_sel:[1,1] op_sel_hi:[0,1]
	v_mov_b32_e32 v110, v61
	v_fmac_f32_e32 v107, v67, v38
	v_fmac_f32_e32 v111, v69, v40
	;; [unrolled: 1-line block ×6, first 2 shown]
	v_fma_f32 v66, v66, v38, -v36
	v_fma_f32 v67, v68, v40, -v39
	;; [unrolled: 1-line block ×7, first 2 shown]
	v_pk_fma_f32 v[38:39], v[86:87], v[54:55], v[104:105] neg_lo:[0,0,1] neg_hi:[0,0,1]
	v_pk_fma_f32 v[40:41], v[86:87], v[54:55], v[104:105] op_sel_hi:[1,0,1]
	v_pk_mul_f32 v[42:43], v[88:89], v[106:107] op_sel:[1,0] op_sel_hi:[0,0]
	v_pk_fma_f32 v[44:45], v[90:91], v[58:59], v[108:109] neg_lo:[0,0,1] neg_hi:[0,0,1]
	v_pk_fma_f32 v[46:47], v[90:91], v[58:59], v[108:109] op_sel_hi:[1,0,1]
	v_pk_mul_f32 v[48:49], v[92:93], v[110:111] op_sel:[1,0] op_sel_hi:[0,0]
	v_add_f32_e32 v58, 0, v107
	v_add_f32_e32 v59, 0, v66
	v_mov_b32_e32 v39, v41
	v_pk_fma_f32 v[40:41], v[88:89], v[56:57], v[42:43] neg_lo:[0,0,1] neg_hi:[0,0,1]
	v_pk_fma_f32 v[42:43], v[88:89], v[56:57], v[42:43] op_sel_hi:[1,0,1]
	v_mov_b32_e32 v45, v47
	v_pk_fma_f32 v[46:47], v[92:93], v[60:61], v[48:49] neg_lo:[0,0,1] neg_hi:[0,0,1]
	v_pk_fma_f32 v[48:49], v[92:93], v[60:61], v[48:49] op_sel_hi:[1,0,1]
	v_add_f32_e32 v42, v58, v111
	v_add_f32_e32 v48, v59, v67
	v_mov_b32_e32 v41, v43
	v_add_f32_e32 v42, v42, v115
	v_add_f32_e32 v43, v48, v68
	;; [unrolled: 1-line block ×4, first 2 shown]
	v_mul_f32_e32 v37, v78, v51
	v_add_f32_e32 v42, v42, v117
	v_add_f32_e32 v48, v43, v70
	v_mul_f32_e32 v103, v80, v53
	v_mul_f32_e32 v51, v81, v53
	v_fmac_f32_e32 v37, v79, v50
	v_add_f32_e32 v43, v42, v118
	v_add_f32_e32 v42, v48, v71
	v_fmac_f32_e32 v103, v81, v52
	v_fma_f32 v102, v80, v52, -v51
	v_pk_add_f32 v[36:37], v[42:43], v[36:37]
	s_waitcnt vmcnt(2) lgkmcnt(1)
	v_pk_mul_f32 v[112:113], v[94:95], v[62:63] op_sel:[1,1] op_sel_hi:[0,1]
	v_mov_b32_e32 v114, v65
	v_pk_add_f32 v[36:37], v[36:37], v[102:103]
	v_pk_fma_f32 v[50:51], v[94:95], v[62:63], v[112:113] neg_lo:[0,0,1] neg_hi:[0,0,1]
	v_pk_fma_f32 v[52:53], v[94:95], v[62:63], v[112:113] op_sel_hi:[1,0,1]
	v_pk_mul_f32 v[54:55], v[96:97], v[114:115] op_sel:[1,0] op_sel_hi:[0,0]
	v_pk_add_f32 v[36:37], v[36:37], v[38:39]
	v_mov_b32_e32 v51, v53
	v_pk_fma_f32 v[52:53], v[96:97], v[64:65], v[54:55] neg_lo:[0,0,1] neg_hi:[0,0,1]
	v_pk_add_f32 v[36:37], v[36:37], v[40:41]
	v_pk_fma_f32 v[38:39], v[96:97], v[64:65], v[54:55] op_sel_hi:[1,0,1]
	v_mov_b32_e32 v47, v49
	v_pk_add_f32 v[36:37], v[36:37], v[44:45]
	v_mov_b32_e32 v53, v39
	s_waitcnt vmcnt(1) lgkmcnt(0)
	v_pk_mul_f32 v[38:39], v[98:99], v[82:83] op_sel:[1,1] op_sel_hi:[0,1]
	v_pk_add_f32 v[36:37], v[36:37], v[46:47]
	v_pk_fma_f32 v[40:41], v[98:99], v[82:83], v[38:39] neg_lo:[0,0,1] neg_hi:[0,0,1]
	v_pk_fma_f32 v[38:39], v[98:99], v[82:83], v[38:39] op_sel_hi:[1,0,1]
	v_pk_add_f32 v[36:37], v[36:37], v[50:51]
	v_mov_b32_e32 v38, v85
	v_pk_add_f32 v[36:37], v[36:37], v[52:53]
	v_mov_b32_e32 v41, v39
	v_pk_mul_f32 v[38:39], v[100:101], v[38:39] op_sel:[1,0] op_sel_hi:[0,0]
	v_pk_add_f32 v[36:37], v[36:37], v[40:41]
	v_pk_fma_f32 v[40:41], v[100:101], v[84:85], v[38:39] neg_lo:[0,0,1] neg_hi:[0,0,1]
	v_pk_fma_f32 v[38:39], v[100:101], v[84:85], v[38:39] op_sel_hi:[1,0,1]
	s_nop 0
	v_mov_b32_e32 v41, v39
	v_pk_add_f32 v[36:37], v[36:37], v[40:41]
	s_waitcnt vmcnt(0)
	v_pk_add_f32 v[0:1], v[0:1], v[36:37] neg_lo:[0,1] neg_hi:[0,1]
	scratch_store_dwordx2 off, v[0:1], off
	s_cbranch_vccz .LBB80_148
; %bb.116:
	v_mov_b32_e32 v0, 0
	global_load_dword v1, v0, s[8:9] offset:60
	s_waitcnt vmcnt(0)
	v_readfirstlane_b32 s0, v1
	s_add_i32 s0, s0, -1
	s_cmp_lg_u32 s0, 15
	s_cbranch_scc0 .LBB80_118
; %bb.117:
	s_lshl_b32 s0, s0, 3
	s_nop 0
	scratch_load_dwordx2 v[36:37], off, s0
	scratch_load_dwordx2 v[38:39], off, off offset:120
	s_waitcnt vmcnt(1)
	scratch_store_dwordx2 off, v[36:37], off offset:120
	s_waitcnt vmcnt(1)
	scratch_store_dwordx2 off, v[38:39], s0
.LBB80_118:
	global_load_dword v0, v0, s[8:9] offset:56
	s_waitcnt vmcnt(0)
	v_readfirstlane_b32 s0, v0
	s_add_i32 s0, s0, -1
	s_cmp_eq_u32 s0, 14
	s_cbranch_scc1 .LBB80_120
; %bb.119:
	s_lshl_b32 s0, s0, 3
	s_nop 0
	scratch_load_dwordx2 v[0:1], off, s0
	scratch_load_dwordx2 v[36:37], off, off offset:112
	s_waitcnt vmcnt(1)
	scratch_store_dwordx2 off, v[0:1], off offset:112
	s_waitcnt vmcnt(1)
	scratch_store_dwordx2 off, v[36:37], s0
.LBB80_120:
	v_mov_b32_e32 v0, 0
	global_load_dword v1, v0, s[8:9] offset:52
	s_waitcnt vmcnt(0)
	v_readfirstlane_b32 s0, v1
	s_add_i32 s0, s0, -1
	s_cmp_eq_u32 s0, 13
	s_cbranch_scc1 .LBB80_122
; %bb.121:
	s_lshl_b32 s0, s0, 3
	s_nop 0
	scratch_load_dwordx2 v[36:37], off, s0
	scratch_load_dwordx2 v[38:39], off, off offset:104
	s_waitcnt vmcnt(1)
	scratch_store_dwordx2 off, v[36:37], off offset:104
	s_waitcnt vmcnt(1)
	scratch_store_dwordx2 off, v[38:39], s0
.LBB80_122:
	global_load_dword v0, v0, s[8:9] offset:48
	s_waitcnt vmcnt(0)
	v_readfirstlane_b32 s0, v0
	s_add_i32 s0, s0, -1
	s_cmp_eq_u32 s0, 12
	s_cbranch_scc1 .LBB80_124
; %bb.123:
	s_lshl_b32 s0, s0, 3
	s_nop 0
	scratch_load_dwordx2 v[0:1], off, s0
	scratch_load_dwordx2 v[36:37], off, off offset:96
	s_waitcnt vmcnt(1)
	scratch_store_dwordx2 off, v[0:1], off offset:96
	s_waitcnt vmcnt(1)
	scratch_store_dwordx2 off, v[36:37], s0
.LBB80_124:
	v_mov_b32_e32 v0, 0
	global_load_dword v1, v0, s[8:9] offset:44
	s_waitcnt vmcnt(0)
	v_readfirstlane_b32 s0, v1
	s_add_i32 s0, s0, -1
	s_cmp_eq_u32 s0, 11
	s_cbranch_scc1 .LBB80_126
; %bb.125:
	s_lshl_b32 s0, s0, 3
	s_nop 0
	scratch_load_dwordx2 v[36:37], off, s0
	scratch_load_dwordx2 v[38:39], off, off offset:88
	s_waitcnt vmcnt(1)
	scratch_store_dwordx2 off, v[36:37], off offset:88
	s_waitcnt vmcnt(1)
	scratch_store_dwordx2 off, v[38:39], s0
.LBB80_126:
	;; [unrolled: 33-line block ×7, first 2 shown]
	global_load_dword v36, v0, s[8:9]
	s_nop 0
	scratch_load_dwordx2 v[0:1], off, off
	s_waitcnt vmcnt(1)
	v_readfirstlane_b32 s0, v36
	s_add_i32 s0, s0, -1
	s_cmp_eq_u32 s0, 0
	s_cbranch_scc1 .LBB80_148
; %bb.147:
	s_lshl_b32 s0, s0, 3
	s_nop 0
	scratch_load_dwordx2 v[36:37], off, s0
	s_waitcnt vmcnt(0)
	scratch_store_dwordx2 off, v[36:37], off
	scratch_store_dwordx2 off, v[0:1], s0
	scratch_load_dwordx2 v[0:1], off, off
.LBB80_148:
	s_waitcnt vmcnt(0)
	flat_store_dwordx2 v[2:3], v[0:1]
	scratch_load_dwordx2 v[0:1], off, off offset:8
	s_waitcnt vmcnt(0)
	flat_store_dwordx2 v[4:5], v[0:1]
	scratch_load_dwordx2 v[0:1], off, off offset:16
	;; [unrolled: 3-line block ×16, first 2 shown]
	s_waitcnt vmcnt(0)
	flat_store_dwordx2 v[34:35], v[0:1]
	s_endpgm
	.section	.rodata,"a",@progbits
	.p2align	6, 0x0
	.amdhsa_kernel _ZN9rocsolver6v33100L18getri_kernel_smallILi17E19rocblas_complex_numIfEPKPS3_EEvT1_iilPiilS8_bb
		.amdhsa_group_segment_fixed_size 280
		.amdhsa_private_segment_fixed_size 144
		.amdhsa_kernarg_size 60
		.amdhsa_user_sgpr_count 2
		.amdhsa_user_sgpr_dispatch_ptr 0
		.amdhsa_user_sgpr_queue_ptr 0
		.amdhsa_user_sgpr_kernarg_segment_ptr 1
		.amdhsa_user_sgpr_dispatch_id 0
		.amdhsa_user_sgpr_kernarg_preload_length 0
		.amdhsa_user_sgpr_kernarg_preload_offset 0
		.amdhsa_user_sgpr_private_segment_size 0
		.amdhsa_uses_dynamic_stack 0
		.amdhsa_enable_private_segment 1
		.amdhsa_system_sgpr_workgroup_id_x 1
		.amdhsa_system_sgpr_workgroup_id_y 0
		.amdhsa_system_sgpr_workgroup_id_z 0
		.amdhsa_system_sgpr_workgroup_info 0
		.amdhsa_system_vgpr_workitem_id 0
		.amdhsa_next_free_vgpr 119
		.amdhsa_next_free_sgpr 17
		.amdhsa_accum_offset 120
		.amdhsa_reserve_vcc 1
		.amdhsa_float_round_mode_32 0
		.amdhsa_float_round_mode_16_64 0
		.amdhsa_float_denorm_mode_32 3
		.amdhsa_float_denorm_mode_16_64 3
		.amdhsa_dx10_clamp 1
		.amdhsa_ieee_mode 1
		.amdhsa_fp16_overflow 0
		.amdhsa_tg_split 0
		.amdhsa_exception_fp_ieee_invalid_op 0
		.amdhsa_exception_fp_denorm_src 0
		.amdhsa_exception_fp_ieee_div_zero 0
		.amdhsa_exception_fp_ieee_overflow 0
		.amdhsa_exception_fp_ieee_underflow 0
		.amdhsa_exception_fp_ieee_inexact 0
		.amdhsa_exception_int_div_zero 0
	.end_amdhsa_kernel
	.section	.text._ZN9rocsolver6v33100L18getri_kernel_smallILi17E19rocblas_complex_numIfEPKPS3_EEvT1_iilPiilS8_bb,"axG",@progbits,_ZN9rocsolver6v33100L18getri_kernel_smallILi17E19rocblas_complex_numIfEPKPS3_EEvT1_iilPiilS8_bb,comdat
.Lfunc_end80:
	.size	_ZN9rocsolver6v33100L18getri_kernel_smallILi17E19rocblas_complex_numIfEPKPS3_EEvT1_iilPiilS8_bb, .Lfunc_end80-_ZN9rocsolver6v33100L18getri_kernel_smallILi17E19rocblas_complex_numIfEPKPS3_EEvT1_iilPiilS8_bb
                                        ; -- End function
	.set _ZN9rocsolver6v33100L18getri_kernel_smallILi17E19rocblas_complex_numIfEPKPS3_EEvT1_iilPiilS8_bb.num_vgpr, 119
	.set _ZN9rocsolver6v33100L18getri_kernel_smallILi17E19rocblas_complex_numIfEPKPS3_EEvT1_iilPiilS8_bb.num_agpr, 0
	.set _ZN9rocsolver6v33100L18getri_kernel_smallILi17E19rocblas_complex_numIfEPKPS3_EEvT1_iilPiilS8_bb.numbered_sgpr, 17
	.set _ZN9rocsolver6v33100L18getri_kernel_smallILi17E19rocblas_complex_numIfEPKPS3_EEvT1_iilPiilS8_bb.num_named_barrier, 0
	.set _ZN9rocsolver6v33100L18getri_kernel_smallILi17E19rocblas_complex_numIfEPKPS3_EEvT1_iilPiilS8_bb.private_seg_size, 144
	.set _ZN9rocsolver6v33100L18getri_kernel_smallILi17E19rocblas_complex_numIfEPKPS3_EEvT1_iilPiilS8_bb.uses_vcc, 1
	.set _ZN9rocsolver6v33100L18getri_kernel_smallILi17E19rocblas_complex_numIfEPKPS3_EEvT1_iilPiilS8_bb.uses_flat_scratch, 0
	.set _ZN9rocsolver6v33100L18getri_kernel_smallILi17E19rocblas_complex_numIfEPKPS3_EEvT1_iilPiilS8_bb.has_dyn_sized_stack, 0
	.set _ZN9rocsolver6v33100L18getri_kernel_smallILi17E19rocblas_complex_numIfEPKPS3_EEvT1_iilPiilS8_bb.has_recursion, 0
	.set _ZN9rocsolver6v33100L18getri_kernel_smallILi17E19rocblas_complex_numIfEPKPS3_EEvT1_iilPiilS8_bb.has_indirect_call, 0
	.section	.AMDGPU.csdata,"",@progbits
; Kernel info:
; codeLenInByte = 14156
; TotalNumSgprs: 23
; NumVgprs: 119
; NumAgprs: 0
; TotalNumVgprs: 119
; ScratchSize: 144
; MemoryBound: 0
; FloatMode: 240
; IeeeMode: 1
; LDSByteSize: 280 bytes/workgroup (compile time only)
; SGPRBlocks: 2
; VGPRBlocks: 14
; NumSGPRsForWavesPerEU: 23
; NumVGPRsForWavesPerEU: 119
; AccumOffset: 120
; Occupancy: 4
; WaveLimiterHint : 1
; COMPUTE_PGM_RSRC2:SCRATCH_EN: 1
; COMPUTE_PGM_RSRC2:USER_SGPR: 2
; COMPUTE_PGM_RSRC2:TRAP_HANDLER: 0
; COMPUTE_PGM_RSRC2:TGID_X_EN: 1
; COMPUTE_PGM_RSRC2:TGID_Y_EN: 0
; COMPUTE_PGM_RSRC2:TGID_Z_EN: 0
; COMPUTE_PGM_RSRC2:TIDIG_COMP_CNT: 0
; COMPUTE_PGM_RSRC3_GFX90A:ACCUM_OFFSET: 29
; COMPUTE_PGM_RSRC3_GFX90A:TG_SPLIT: 0
	.section	.text._ZN9rocsolver6v33100L18getri_kernel_smallILi18E19rocblas_complex_numIfEPKPS3_EEvT1_iilPiilS8_bb,"axG",@progbits,_ZN9rocsolver6v33100L18getri_kernel_smallILi18E19rocblas_complex_numIfEPKPS3_EEvT1_iilPiilS8_bb,comdat
	.globl	_ZN9rocsolver6v33100L18getri_kernel_smallILi18E19rocblas_complex_numIfEPKPS3_EEvT1_iilPiilS8_bb ; -- Begin function _ZN9rocsolver6v33100L18getri_kernel_smallILi18E19rocblas_complex_numIfEPKPS3_EEvT1_iilPiilS8_bb
	.p2align	8
	.type	_ZN9rocsolver6v33100L18getri_kernel_smallILi18E19rocblas_complex_numIfEPKPS3_EEvT1_iilPiilS8_bb,@function
_ZN9rocsolver6v33100L18getri_kernel_smallILi18E19rocblas_complex_numIfEPKPS3_EEvT1_iilPiilS8_bb: ; @_ZN9rocsolver6v33100L18getri_kernel_smallILi18E19rocblas_complex_numIfEPKPS3_EEvT1_iilPiilS8_bb
; %bb.0:
	v_cmp_gt_u32_e32 vcc, 18, v0
	s_and_saveexec_b64 s[4:5], vcc
	s_cbranch_execz .LBB81_86
; %bb.1:
	s_load_dword s14, s[0:1], 0x38
	s_load_dwordx2 s[8:9], s[0:1], 0x0
	s_load_dwordx4 s[4:7], s[0:1], 0x28
	s_waitcnt lgkmcnt(0)
	s_bitcmp1_b32 s14, 8
	s_cselect_b64 s[10:11], -1, 0
	s_ashr_i32 s3, s2, 31
	s_lshl_b64 s[12:13], s[2:3], 3
	s_add_u32 s8, s8, s12
	s_addc_u32 s9, s9, s13
	s_load_dwordx2 s[12:13], s[8:9], 0x0
	s_bfe_u32 s8, s14, 0x10008
	s_cmp_eq_u32 s8, 0
                                        ; implicit-def: $sgpr8_sgpr9
	s_cbranch_scc1 .LBB81_3
; %bb.2:
	s_load_dword s8, s[0:1], 0x20
	s_load_dwordx2 s[14:15], s[0:1], 0x18
	s_mul_i32 s9, s4, s3
	s_mul_hi_u32 s16, s4, s2
	s_add_i32 s16, s16, s9
	s_mul_i32 s5, s5, s2
	s_add_i32 s5, s16, s5
	s_mul_i32 s4, s4, s2
	s_waitcnt lgkmcnt(0)
	s_ashr_i32 s9, s8, 31
	s_lshl_b64 s[4:5], s[4:5], 2
	s_add_u32 s14, s14, s4
	s_addc_u32 s15, s15, s5
	s_lshl_b64 s[4:5], s[8:9], 2
	s_add_u32 s8, s14, s4
	s_addc_u32 s9, s15, s5
.LBB81_3:
	s_load_dwordx2 s[4:5], s[0:1], 0x8
	s_load_dword s14, s[0:1], 0x38
	v_lshlrev_b32_e32 v38, 3, v0
	v_mov_b32_e32 v39, 0
	s_waitcnt lgkmcnt(0)
	s_ashr_i32 s1, s4, 31
	s_mov_b32 s0, s4
	s_lshl_b64 s[0:1], s[0:1], 3
	s_add_u32 s0, s12, s0
	s_addc_u32 s1, s13, s1
	v_lshl_add_u64 v[2:3], s[0:1], 0, v[38:39]
	flat_load_dwordx2 v[6:7], v[2:3]
	s_mov_b32 s12, s5
	s_ashr_i32 s13, s5, 31
	v_lshl_add_u64 v[4:5], s[12:13], 3, v[2:3]
	s_add_i32 s4, s5, s5
	v_add_u32_e32 v10, s4, v0
	v_ashrrev_i32_e32 v11, 31, v10
	s_bitcmp0_b32 s14, 0
	s_waitcnt vmcnt(0) lgkmcnt(0)
	scratch_store_dwordx2 off, v[6:7], off
	flat_load_dwordx2 v[8:9], v[4:5]
	v_lshl_add_u64 v[6:7], v[10:11], 3, s[0:1]
	v_add_u32_e32 v10, s5, v10
	v_ashrrev_i32_e32 v11, 31, v10
	v_add_u32_e32 v14, s5, v10
	v_ashrrev_i32_e32 v15, 31, v14
	s_waitcnt vmcnt(0) lgkmcnt(0)
	scratch_store_dwordx2 off, v[8:9], off offset:8
	flat_load_dwordx2 v[12:13], v[6:7]
	v_lshl_add_u64 v[8:9], v[10:11], 3, s[0:1]
	v_lshl_add_u64 v[10:11], v[14:15], 3, s[0:1]
	v_add_u32_e32 v14, s5, v14
	v_ashrrev_i32_e32 v15, 31, v14
	v_add_u32_e32 v18, s5, v14
	v_ashrrev_i32_e32 v19, 31, v18
	s_waitcnt vmcnt(0) lgkmcnt(0)
	scratch_store_dwordx2 off, v[12:13], off offset:16
	flat_load_dwordx2 v[12:13], v[8:9]
	s_waitcnt vmcnt(0) lgkmcnt(0)
	scratch_store_dwordx2 off, v[12:13], off offset:24
	flat_load_dwordx2 v[16:17], v[10:11]
	v_lshl_add_u64 v[12:13], v[14:15], 3, s[0:1]
	v_lshl_add_u64 v[14:15], v[18:19], 3, s[0:1]
	v_add_u32_e32 v18, s5, v18
	v_ashrrev_i32_e32 v19, 31, v18
	v_add_u32_e32 v22, s5, v18
	v_ashrrev_i32_e32 v23, 31, v22
	s_waitcnt vmcnt(0) lgkmcnt(0)
	scratch_store_dwordx2 off, v[16:17], off offset:32
	flat_load_dwordx2 v[16:17], v[12:13]
	;; [unrolled: 12-line block ×6, first 2 shown]
	s_waitcnt vmcnt(0) lgkmcnt(0)
	scratch_store_dwordx2 off, v[32:33], off offset:104
	flat_load_dwordx2 v[36:37], v[30:31]
	v_lshl_add_u64 v[32:33], v[34:35], 3, s[0:1]
	v_lshl_add_u64 v[34:35], v[40:41], 3, s[0:1]
	s_waitcnt vmcnt(0) lgkmcnt(0)
	scratch_store_dwordx2 off, v[36:37], off offset:112
	flat_load_dwordx2 v[36:37], v[32:33]
	s_waitcnt vmcnt(0) lgkmcnt(0)
	scratch_store_dwordx2 off, v[36:37], off offset:120
	flat_load_dwordx2 v[42:43], v[34:35]
	v_add_u32_e32 v36, s5, v40
	v_ashrrev_i32_e32 v37, 31, v36
	v_lshl_add_u64 v[36:37], v[36:37], 3, s[0:1]
	s_mov_b64 s[4:5], -1
	s_waitcnt vmcnt(0) lgkmcnt(0)
	scratch_store_dwordx2 off, v[42:43], off offset:128
	flat_load_dwordx2 v[40:41], v[36:37]
	s_waitcnt vmcnt(0) lgkmcnt(0)
	scratch_store_dwordx2 off, v[40:41], off offset:136
	s_cbranch_scc1 .LBB81_84
; %bb.4:
	v_cmp_eq_u32_e64 s[0:1], 0, v0
	s_and_saveexec_b64 s[4:5], s[0:1]
; %bb.5:
	v_mov_b32_e32 v1, 0
	ds_write_b32 v1, v1 offset:288
; %bb.6:
	s_or_b64 exec, exec, s[4:5]
	s_waitcnt lgkmcnt(0)
	; wave barrier
	scratch_load_dwordx2 v[40:41], v38, off
	s_waitcnt vmcnt(0)
	v_cmp_eq_f32_e32 vcc, 0, v40
	v_cmp_eq_f32_e64 s[4:5], 0, v41
	s_and_b64 s[4:5], vcc, s[4:5]
	s_and_saveexec_b64 s[12:13], s[4:5]
	s_cbranch_execz .LBB81_10
; %bb.7:
	v_mov_b32_e32 v1, 0
	ds_read_b32 v40, v1 offset:288
	v_add_u32_e32 v39, 1, v0
	s_waitcnt lgkmcnt(0)
	v_readfirstlane_b32 s4, v40
	s_cmp_eq_u32 s4, 0
	s_cselect_b64 s[14:15], -1, 0
	v_cmp_gt_i32_e32 vcc, s4, v39
	s_or_b64 s[14:15], s[14:15], vcc
	s_and_b64 exec, exec, s[14:15]
	s_cbranch_execz .LBB81_10
; %bb.8:
	s_mov_b64 s[14:15], 0
	v_mov_b32_e32 v40, s4
.LBB81_9:                               ; =>This Inner Loop Header: Depth=1
	ds_cmpst_rtn_b32 v40, v1, v40, v39 offset:288
	s_waitcnt lgkmcnt(0)
	v_cmp_ne_u32_e32 vcc, 0, v40
	v_cmp_le_i32_e64 s[4:5], v40, v39
	s_and_b64 s[4:5], vcc, s[4:5]
	s_and_b64 s[4:5], exec, s[4:5]
	s_or_b64 s[14:15], s[4:5], s[14:15]
	s_andn2_b64 exec, exec, s[14:15]
	s_cbranch_execnz .LBB81_9
.LBB81_10:
	s_or_b64 exec, exec, s[12:13]
	v_mov_b32_e32 v39, 0
	; wave barrier
	ds_read_b32 v1, v39 offset:288
	s_and_saveexec_b64 s[4:5], s[0:1]
	s_cbranch_execz .LBB81_12
; %bb.11:
	s_lshl_b64 s[12:13], s[2:3], 2
	s_add_u32 s12, s6, s12
	s_addc_u32 s13, s7, s13
	s_waitcnt lgkmcnt(0)
	global_store_dword v39, v1, s[12:13]
.LBB81_12:
	s_or_b64 exec, exec, s[4:5]
	s_waitcnt lgkmcnt(0)
	v_cmp_ne_u32_e32 vcc, 0, v1
	s_mov_b64 s[4:5], 0
	s_cbranch_vccnz .LBB81_84
; %bb.13:
	v_mov_b32_e32 v39, v38
	scratch_load_dwordx2 v[40:41], v39, off
                                        ; implicit-def: $vgpr43
                                        ; implicit-def: $vgpr44
	s_waitcnt vmcnt(0)
	v_cmp_ngt_f32_e64 s[4:5], |v40|, |v41|
	s_and_saveexec_b64 s[12:13], s[4:5]
	s_xor_b64 s[4:5], exec, s[12:13]
	s_cbranch_execz .LBB81_15
; %bb.14:
	v_div_scale_f32 v1, s[12:13], v41, v41, v40
	v_rcp_f32_e32 v42, v1
	v_div_scale_f32 v43, vcc, v40, v41, v40
	v_fma_f32 v44, -v1, v42, 1.0
	v_fmac_f32_e32 v42, v44, v42
	v_mul_f32_e32 v44, v43, v42
	v_fma_f32 v45, -v1, v44, v43
	v_fmac_f32_e32 v44, v45, v42
	v_fma_f32 v1, -v1, v44, v43
	v_div_fmas_f32 v1, v1, v42, v44
	v_div_fixup_f32 v1, v1, v41, v40
	v_fmac_f32_e32 v41, v40, v1
	v_div_scale_f32 v40, s[12:13], v41, v41, -1.0
	v_rcp_f32_e32 v42, v40
	s_nop 0
	v_fma_f32 v43, -v40, v42, 1.0
	v_fmac_f32_e32 v42, v43, v42
	v_div_scale_f32 v43, vcc, -1.0, v41, -1.0
	v_mul_f32_e32 v44, v43, v42
	v_fma_f32 v45, -v40, v44, v43
	v_fmac_f32_e32 v44, v45, v42
	v_fma_f32 v40, -v40, v44, v43
	v_div_fmas_f32 v40, v40, v42, v44
	v_div_fixup_f32 v43, v40, v41, -1.0
	v_mul_f32_e32 v44, v1, v43
	v_xor_b32_e32 v42, 0x80000000, v44
                                        ; implicit-def: $vgpr40_vgpr41
.LBB81_15:
	s_andn2_saveexec_b64 s[4:5], s[4:5]
	s_cbranch_execz .LBB81_17
; %bb.16:
	v_div_scale_f32 v1, s[12:13], v40, v40, v41
	v_rcp_f32_e32 v42, v1
	v_div_scale_f32 v43, vcc, v41, v40, v41
	v_fma_f32 v44, -v1, v42, 1.0
	v_fmac_f32_e32 v42, v44, v42
	v_mul_f32_e32 v44, v43, v42
	v_fma_f32 v45, -v1, v44, v43
	v_fmac_f32_e32 v44, v45, v42
	v_fma_f32 v1, -v1, v44, v43
	v_div_fmas_f32 v1, v1, v42, v44
	v_div_fixup_f32 v1, v1, v40, v41
	v_fmac_f32_e32 v40, v41, v1
	v_div_scale_f32 v41, s[12:13], v40, v40, 1.0
	v_rcp_f32_e32 v42, v41
	s_nop 0
	v_fma_f32 v43, -v41, v42, 1.0
	v_fmac_f32_e32 v42, v43, v42
	v_div_scale_f32 v43, vcc, 1.0, v40, 1.0
	v_mul_f32_e32 v44, v43, v42
	v_fma_f32 v45, -v41, v44, v43
	v_fmac_f32_e32 v44, v45, v42
	v_fma_f32 v41, -v41, v44, v43
	v_div_fmas_f32 v41, v41, v42, v44
	v_div_fixup_f32 v42, v41, v40, 1.0
	v_xor_b32_e32 v44, 0x80000000, v42
	v_mul_f32_e64 v43, v1, -v42
.LBB81_17:
	s_or_b64 exec, exec, s[4:5]
	scratch_store_dwordx2 v39, v[42:43], off
	scratch_load_dwordx2 v[40:41], off, off offset:8
	v_xor_b32_e32 v45, 0x80000000, v43
	v_add_u32_e32 v1, 0x90, v38
	s_waitcnt vmcnt(0)
	ds_write2_b64 v38, v[44:45], v[40:41] offset1:18
	s_waitcnt lgkmcnt(0)
	; wave barrier
	s_and_saveexec_b64 s[4:5], s[0:1]
	s_cbranch_execz .LBB81_19
; %bb.18:
	scratch_load_dwordx2 v[40:41], v39, off
	ds_read_b64 v[42:43], v1
	v_mov_b32_e32 v44, 0
	ds_read_b64 v[44:45], v44 offset:8
	s_waitcnt vmcnt(0) lgkmcnt(1)
	v_pk_mul_f32 v[46:47], v[42:43], v[40:41] op_sel:[1,1] op_sel_hi:[0,1]
	v_pk_fma_f32 v[48:49], v[42:43], v[40:41], v[46:47] neg_lo:[0,0,1] neg_hi:[0,0,1]
	v_pk_fma_f32 v[40:41], v[42:43], v[40:41], v[46:47] op_sel_hi:[1,0,1]
	s_nop 0
	v_mov_b32_e32 v49, v41
	v_pk_add_f32 v[40:41], v[48:49], 0 op_sel_hi:[1,0]
	s_waitcnt lgkmcnt(0)
	v_pk_mul_f32 v[42:43], v[40:41], v[44:45] op_sel:[1,1] op_sel_hi:[0,1]
	v_pk_fma_f32 v[46:47], v[40:41], v[44:45], v[42:43] neg_lo:[0,0,1] neg_hi:[0,0,1]
	v_pk_fma_f32 v[40:41], v[40:41], v[44:45], v[42:43] op_sel_hi:[1,0,1]
	s_nop 0
	v_mov_b32_e32 v47, v41
	scratch_store_dwordx2 off, v[46:47], off offset:8
.LBB81_19:
	s_or_b64 exec, exec, s[4:5]
	; wave barrier
	scratch_load_dwordx2 v[40:41], off, off offset:16
	v_cmp_gt_u32_e32 vcc, 2, v0
	s_waitcnt vmcnt(0)
	ds_write_b64 v1, v[40:41]
	s_waitcnt lgkmcnt(0)
	; wave barrier
	s_and_saveexec_b64 s[4:5], vcc
	s_cbranch_execz .LBB81_23
; %bb.20:
	scratch_load_dwordx2 v[40:41], v39, off
	ds_read_b64 v[42:43], v1
	s_waitcnt vmcnt(0) lgkmcnt(0)
	v_pk_mul_f32 v[44:45], v[42:43], v[40:41] op_sel:[1,1] op_sel_hi:[0,1]
	v_pk_fma_f32 v[46:47], v[42:43], v[40:41], v[44:45] neg_lo:[0,0,1] neg_hi:[0,0,1]
	v_pk_fma_f32 v[40:41], v[42:43], v[40:41], v[44:45] op_sel_hi:[1,0,1]
	s_nop 0
	v_mov_b32_e32 v47, v41
	v_pk_add_f32 v[40:41], v[46:47], 0 op_sel_hi:[1,0]
	s_and_saveexec_b64 s[12:13], s[0:1]
	s_cbranch_execz .LBB81_22
; %bb.21:
	scratch_load_dwordx2 v[42:43], off, off offset:8
	v_mov_b32_e32 v39, 0
	ds_read_b64 v[44:45], v39 offset:152
	s_waitcnt vmcnt(0) lgkmcnt(0)
	v_pk_mul_f32 v[46:47], v[44:45], v[42:43] op_sel:[1,1] op_sel_hi:[0,1]
	v_pk_fma_f32 v[48:49], v[44:45], v[42:43], v[46:47] neg_lo:[0,0,1] neg_hi:[0,0,1]
	v_pk_fma_f32 v[42:43], v[44:45], v[42:43], v[46:47] op_sel_hi:[1,0,1]
	s_nop 0
	v_mov_b32_e32 v49, v43
	v_pk_add_f32 v[40:41], v[40:41], v[48:49]
.LBB81_22:
	s_or_b64 exec, exec, s[12:13]
	v_mov_b32_e32 v39, 0
	ds_read_b64 v[42:43], v39 offset:16
	s_waitcnt lgkmcnt(0)
	v_pk_mul_f32 v[44:45], v[40:41], v[42:43] op_sel:[1,1] op_sel_hi:[0,1]
	v_pk_fma_f32 v[46:47], v[40:41], v[42:43], v[44:45] neg_lo:[0,0,1] neg_hi:[0,0,1]
	v_pk_fma_f32 v[40:41], v[40:41], v[42:43], v[44:45] op_sel_hi:[1,0,1]
	s_nop 0
	v_mov_b32_e32 v47, v41
	scratch_store_dwordx2 off, v[46:47], off offset:16
.LBB81_23:
	s_or_b64 exec, exec, s[4:5]
	; wave barrier
	scratch_load_dwordx2 v[40:41], off, off offset:24
	v_cmp_gt_u32_e32 vcc, 3, v0
	v_add_u32_e32 v42, -1, v0
	s_waitcnt vmcnt(0)
	ds_write_b64 v1, v[40:41]
	s_waitcnt lgkmcnt(0)
	; wave barrier
	s_and_saveexec_b64 s[0:1], vcc
	s_cbranch_execz .LBB81_27
; %bb.24:
	v_mov_b32_e32 v40, 0
	v_add_u32_e32 v39, -1, v0
	v_add_u32_e32 v43, 0x90, v38
	v_mov_b32_e32 v44, v38
	s_mov_b64 s[4:5], 0
	v_mov_b32_e32 v41, v40
.LBB81_25:                              ; =>This Inner Loop Header: Depth=1
	scratch_load_dwordx2 v[46:47], v44, off
	ds_read_b64 v[48:49], v43
	v_add_u32_e32 v39, 1, v39
	v_cmp_lt_u32_e32 vcc, 1, v39
	v_add_u32_e32 v43, 8, v43
	v_add_u32_e32 v44, 8, v44
	s_or_b64 s[4:5], vcc, s[4:5]
	s_waitcnt vmcnt(0) lgkmcnt(0)
	v_pk_mul_f32 v[50:51], v[48:49], v[46:47] op_sel:[1,1] op_sel_hi:[0,1]
	v_pk_fma_f32 v[52:53], v[48:49], v[46:47], v[50:51] neg_lo:[0,0,1] neg_hi:[0,0,1]
	v_pk_fma_f32 v[46:47], v[48:49], v[46:47], v[50:51] op_sel_hi:[1,0,1]
	s_nop 0
	v_mov_b32_e32 v53, v47
	v_pk_add_f32 v[40:41], v[40:41], v[52:53]
	s_andn2_b64 exec, exec, s[4:5]
	s_cbranch_execnz .LBB81_25
; %bb.26:
	s_or_b64 exec, exec, s[4:5]
	v_mov_b32_e32 v39, 0
	ds_read_b64 v[44:45], v39 offset:24
	s_waitcnt lgkmcnt(0)
	v_pk_mul_f32 v[46:47], v[40:41], v[44:45] op_sel:[1,1] op_sel_hi:[0,1]
	v_pk_fma_f32 v[48:49], v[40:41], v[44:45], v[46:47] neg_lo:[0,0,1] neg_hi:[0,0,1]
	v_pk_fma_f32 v[40:41], v[40:41], v[44:45], v[46:47] op_sel_hi:[1,0,1]
	s_nop 0
	v_mov_b32_e32 v49, v41
	scratch_store_dwordx2 off, v[48:49], off offset:24
.LBB81_27:
	s_or_b64 exec, exec, s[0:1]
	; wave barrier
	scratch_load_dwordx2 v[40:41], off, off offset:32
	v_cmp_gt_u32_e32 vcc, 4, v0
	s_waitcnt vmcnt(0)
	ds_write_b64 v1, v[40:41]
	s_waitcnt lgkmcnt(0)
	; wave barrier
	s_and_saveexec_b64 s[0:1], vcc
	s_cbranch_execz .LBB81_31
; %bb.28:
	v_mov_b32_e32 v40, 0
	v_add_u32_e32 v39, -1, v0
	v_add_u32_e32 v43, 0x90, v38
	v_mov_b32_e32 v44, v38
	s_mov_b64 s[4:5], 0
	v_mov_b32_e32 v41, v40
.LBB81_29:                              ; =>This Inner Loop Header: Depth=1
	scratch_load_dwordx2 v[46:47], v44, off
	ds_read_b64 v[48:49], v43
	v_add_u32_e32 v39, 1, v39
	v_cmp_lt_u32_e32 vcc, 2, v39
	v_add_u32_e32 v43, 8, v43
	v_add_u32_e32 v44, 8, v44
	s_or_b64 s[4:5], vcc, s[4:5]
	s_waitcnt vmcnt(0) lgkmcnt(0)
	v_pk_mul_f32 v[50:51], v[48:49], v[46:47] op_sel:[1,1] op_sel_hi:[0,1]
	v_pk_fma_f32 v[52:53], v[48:49], v[46:47], v[50:51] neg_lo:[0,0,1] neg_hi:[0,0,1]
	v_pk_fma_f32 v[46:47], v[48:49], v[46:47], v[50:51] op_sel_hi:[1,0,1]
	s_nop 0
	v_mov_b32_e32 v53, v47
	v_pk_add_f32 v[40:41], v[40:41], v[52:53]
	s_andn2_b64 exec, exec, s[4:5]
	s_cbranch_execnz .LBB81_29
; %bb.30:
	s_or_b64 exec, exec, s[4:5]
	v_mov_b32_e32 v39, 0
	ds_read_b64 v[44:45], v39 offset:32
	s_waitcnt lgkmcnt(0)
	v_pk_mul_f32 v[46:47], v[40:41], v[44:45] op_sel:[1,1] op_sel_hi:[0,1]
	v_pk_fma_f32 v[48:49], v[40:41], v[44:45], v[46:47] neg_lo:[0,0,1] neg_hi:[0,0,1]
	v_pk_fma_f32 v[40:41], v[40:41], v[44:45], v[46:47] op_sel_hi:[1,0,1]
	s_nop 0
	v_mov_b32_e32 v49, v41
	scratch_store_dwordx2 off, v[48:49], off offset:32
.LBB81_31:
	s_or_b64 exec, exec, s[0:1]
	; wave barrier
	scratch_load_dwordx2 v[40:41], off, off offset:40
	v_cmp_gt_u32_e32 vcc, 5, v0
	;; [unrolled: 46-line block ×13, first 2 shown]
	s_waitcnt vmcnt(0)
	ds_write_b64 v1, v[40:41]
	s_waitcnt lgkmcnt(0)
	; wave barrier
	s_and_saveexec_b64 s[0:1], vcc
	s_cbranch_execz .LBB81_79
; %bb.76:
	v_mov_b32_e32 v40, 0
	v_add_u32_e32 v39, -1, v0
	v_add_u32_e32 v43, 0x90, v38
	v_mov_b32_e32 v44, v38
	s_mov_b64 s[4:5], 0
	v_mov_b32_e32 v41, v40
.LBB81_77:                              ; =>This Inner Loop Header: Depth=1
	scratch_load_dwordx2 v[46:47], v44, off
	ds_read_b64 v[48:49], v43
	v_add_u32_e32 v39, 1, v39
	v_cmp_lt_u32_e32 vcc, 14, v39
	v_add_u32_e32 v43, 8, v43
	v_add_u32_e32 v44, 8, v44
	s_or_b64 s[4:5], vcc, s[4:5]
	s_waitcnt vmcnt(0) lgkmcnt(0)
	v_pk_mul_f32 v[50:51], v[48:49], v[46:47] op_sel:[1,1] op_sel_hi:[0,1]
	v_pk_fma_f32 v[52:53], v[48:49], v[46:47], v[50:51] neg_lo:[0,0,1] neg_hi:[0,0,1]
	v_pk_fma_f32 v[46:47], v[48:49], v[46:47], v[50:51] op_sel_hi:[1,0,1]
	s_nop 0
	v_mov_b32_e32 v53, v47
	v_pk_add_f32 v[40:41], v[40:41], v[52:53]
	s_andn2_b64 exec, exec, s[4:5]
	s_cbranch_execnz .LBB81_77
; %bb.78:
	s_or_b64 exec, exec, s[4:5]
	v_mov_b32_e32 v39, 0
	ds_read_b64 v[44:45], v39 offset:128
	s_waitcnt lgkmcnt(0)
	v_pk_mul_f32 v[46:47], v[40:41], v[44:45] op_sel:[1,1] op_sel_hi:[0,1]
	v_pk_fma_f32 v[48:49], v[40:41], v[44:45], v[46:47] neg_lo:[0,0,1] neg_hi:[0,0,1]
	v_pk_fma_f32 v[40:41], v[40:41], v[44:45], v[46:47] op_sel_hi:[1,0,1]
	s_nop 0
	v_mov_b32_e32 v49, v41
	scratch_store_dwordx2 off, v[48:49], off offset:128
.LBB81_79:
	s_or_b64 exec, exec, s[0:1]
	; wave barrier
	scratch_load_dwordx2 v[40:41], off, off offset:136
	v_cmp_ne_u32_e32 vcc, 17, v0
	s_waitcnt vmcnt(0)
	ds_write_b64 v1, v[40:41]
	s_waitcnt lgkmcnt(0)
	; wave barrier
	s_and_saveexec_b64 s[0:1], vcc
	s_cbranch_execz .LBB81_83
; %bb.80:
	v_add_u32_e32 v1, 0x90, v38
	v_mov_b32_e32 v40, v38
	v_mov_b32_e32 v38, 0
	s_mov_b64 s[4:5], 0
	v_mov_b32_e32 v39, v38
.LBB81_81:                              ; =>This Inner Loop Header: Depth=1
	scratch_load_dwordx2 v[44:45], v40, off
	ds_read_b64 v[46:47], v1
	v_add_u32_e32 v42, 1, v42
	v_cmp_lt_u32_e32 vcc, 15, v42
	v_add_u32_e32 v1, 8, v1
	v_add_u32_e32 v40, 8, v40
	s_or_b64 s[4:5], vcc, s[4:5]
	s_waitcnt vmcnt(0) lgkmcnt(0)
	v_pk_mul_f32 v[48:49], v[46:47], v[44:45] op_sel:[1,1] op_sel_hi:[0,1]
	v_pk_fma_f32 v[50:51], v[46:47], v[44:45], v[48:49] neg_lo:[0,0,1] neg_hi:[0,0,1]
	v_pk_fma_f32 v[44:45], v[46:47], v[44:45], v[48:49] op_sel_hi:[1,0,1]
	s_nop 0
	v_mov_b32_e32 v51, v45
	v_pk_add_f32 v[38:39], v[38:39], v[50:51]
	s_andn2_b64 exec, exec, s[4:5]
	s_cbranch_execnz .LBB81_81
; %bb.82:
	s_or_b64 exec, exec, s[4:5]
	v_mov_b32_e32 v1, 0
	ds_read_b64 v[40:41], v1 offset:136
	s_waitcnt lgkmcnt(0)
	v_pk_mul_f32 v[42:43], v[38:39], v[40:41] op_sel:[1,1] op_sel_hi:[0,1]
	v_pk_fma_f32 v[44:45], v[38:39], v[40:41], v[42:43] neg_lo:[0,0,1] neg_hi:[0,0,1]
	v_pk_fma_f32 v[38:39], v[38:39], v[40:41], v[42:43] op_sel_hi:[1,0,1]
	s_nop 0
	v_mov_b32_e32 v45, v39
	scratch_store_dwordx2 off, v[44:45], off offset:136
.LBB81_83:
	s_or_b64 exec, exec, s[0:1]
	s_mov_b64 s[4:5], -1
	; wave barrier
.LBB81_84:
	s_and_b64 vcc, exec, s[4:5]
	s_cbranch_vccz .LBB81_86
; %bb.85:
	s_lshl_b64 s[0:1], s[2:3], 2
	s_add_u32 s0, s6, s0
	s_addc_u32 s1, s7, s1
	v_mov_b32_e32 v1, 0
	global_load_dword v1, v1, s[0:1]
	s_waitcnt vmcnt(0)
	v_cmp_ne_u32_e32 vcc, 0, v1
	s_cbranch_vccz .LBB81_87
.LBB81_86:
	s_endpgm
.LBB81_87:
	v_mov_b32_e32 v1, 0x90
	v_lshl_add_u32 v1, v0, 3, v1
	v_cmp_eq_u32_e32 vcc, 17, v0
	s_and_saveexec_b64 s[0:1], vcc
	s_cbranch_execz .LBB81_89
; %bb.88:
	scratch_load_dwordx2 v[38:39], off, off offset:128
	v_mov_b32_e32 v40, 0
	v_mov_b32_e32 v41, v40
	scratch_store_dwordx2 off, v[40:41], off offset:128
	s_waitcnt vmcnt(1)
	ds_write_b64 v1, v[38:39]
.LBB81_89:
	s_or_b64 exec, exec, s[0:1]
	s_waitcnt lgkmcnt(0)
	; wave barrier
	scratch_load_dwordx2 v[40:41], off, off offset:136
	scratch_load_dwordx2 v[42:43], off, off offset:128
	v_mov_b32_e32 v38, 0
	ds_read_b64 v[44:45], v38 offset:280
	v_cmp_lt_u32_e32 vcc, 15, v0
	s_waitcnt vmcnt(1) lgkmcnt(0)
	v_pk_mul_f32 v[46:47], v[44:45], v[40:41] op_sel:[1,1] op_sel_hi:[0,1]
	v_pk_fma_f32 v[48:49], v[44:45], v[40:41], v[46:47] neg_lo:[0,0,1] neg_hi:[0,0,1]
	v_pk_fma_f32 v[40:41], v[44:45], v[40:41], v[46:47] op_sel_hi:[1,0,1]
	s_nop 0
	v_mov_b32_e32 v49, v41
	v_pk_add_f32 v[40:41], v[48:49], 0 op_sel_hi:[1,0]
	s_waitcnt vmcnt(0)
	v_pk_add_f32 v[40:41], v[42:43], v[40:41] neg_lo:[0,1] neg_hi:[0,1]
	scratch_store_dwordx2 off, v[40:41], off offset:128
	s_and_saveexec_b64 s[0:1], vcc
	s_cbranch_execz .LBB81_91
; %bb.90:
	scratch_load_dwordx2 v[40:41], off, off offset:120
	v_mov_b32_e32 v39, v38
	scratch_store_dwordx2 off, v[38:39], off offset:120
	s_waitcnt vmcnt(1)
	ds_write_b64 v1, v[40:41]
.LBB81_91:
	s_or_b64 exec, exec, s[0:1]
	s_waitcnt lgkmcnt(0)
	; wave barrier
	scratch_load_dwordx4 v[40:43], off, off offset:128
	scratch_load_dwordx2 v[48:49], off, off offset:120
	ds_read_b128 v[44:47], v38 offset:272
	v_cmp_lt_u32_e32 vcc, 14, v0
	s_waitcnt vmcnt(1) lgkmcnt(0)
	v_pk_mul_f32 v[38:39], v[44:45], v[40:41] op_sel:[1,1] op_sel_hi:[0,1]
	v_mov_b32_e32 v50, v43
	v_pk_fma_f32 v[52:53], v[44:45], v[40:41], v[38:39] neg_lo:[0,0,1] neg_hi:[0,0,1]
	v_pk_fma_f32 v[38:39], v[44:45], v[40:41], v[38:39] op_sel_hi:[1,0,1]
	v_pk_mul_f32 v[40:41], v[46:47], v[50:51] op_sel:[1,0] op_sel_hi:[0,0]
	v_mov_b32_e32 v53, v39
	v_pk_fma_f32 v[38:39], v[46:47], v[42:43], v[40:41] neg_lo:[0,0,1] neg_hi:[0,0,1]
	v_pk_fma_f32 v[40:41], v[46:47], v[42:43], v[40:41] op_sel_hi:[1,0,1]
	v_pk_add_f32 v[42:43], v[52:53], 0 op_sel_hi:[1,0]
	v_mov_b32_e32 v39, v41
	v_pk_add_f32 v[38:39], v[42:43], v[38:39]
	s_waitcnt vmcnt(0)
	v_pk_add_f32 v[38:39], v[48:49], v[38:39] neg_lo:[0,1] neg_hi:[0,1]
	scratch_store_dwordx2 off, v[38:39], off offset:120
	s_and_saveexec_b64 s[0:1], vcc
	s_cbranch_execz .LBB81_93
; %bb.92:
	scratch_load_dwordx2 v[38:39], off, off offset:112
	v_mov_b32_e32 v40, 0
	v_mov_b32_e32 v41, v40
	scratch_store_dwordx2 off, v[40:41], off offset:112
	s_waitcnt vmcnt(1)
	ds_write_b64 v1, v[38:39]
.LBB81_93:
	s_or_b64 exec, exec, s[0:1]
	s_waitcnt lgkmcnt(0)
	; wave barrier
	scratch_load_dwordx4 v[40:43], off, off offset:120
	scratch_load_dwordx2 v[48:49], off, off offset:136
	scratch_load_dwordx2 v[50:51], off, off offset:112
	v_mov_b32_e32 v38, 0
	ds_read2_b64 v[44:47], v38 offset0:33 offset1:34
	ds_read_b64 v[52:53], v38 offset:280
	v_cmp_lt_u32_e32 vcc, 13, v0
	s_waitcnt vmcnt(2) lgkmcnt(1)
	v_pk_mul_f32 v[54:55], v[44:45], v[40:41] op_sel:[1,1] op_sel_hi:[0,1]
	v_mov_b32_e32 v56, v43
	v_pk_fma_f32 v[60:61], v[44:45], v[40:41], v[54:55] neg_lo:[0,0,1] neg_hi:[0,0,1]
	v_pk_fma_f32 v[40:41], v[44:45], v[40:41], v[54:55] op_sel_hi:[1,0,1]
	v_pk_mul_f32 v[44:45], v[46:47], v[56:57] op_sel:[1,0] op_sel_hi:[0,0]
	s_waitcnt vmcnt(1) lgkmcnt(0)
	v_pk_mul_f32 v[58:59], v[52:53], v[48:49] op_sel:[1,1] op_sel_hi:[0,1]
	v_mov_b32_e32 v61, v41
	v_pk_fma_f32 v[40:41], v[46:47], v[42:43], v[44:45] neg_lo:[0,0,1] neg_hi:[0,0,1]
	v_pk_fma_f32 v[42:43], v[46:47], v[42:43], v[44:45] op_sel_hi:[1,0,1]
	v_pk_fma_f32 v[54:55], v[52:53], v[48:49], v[58:59] neg_lo:[0,0,1] neg_hi:[0,0,1]
	v_pk_fma_f32 v[48:49], v[52:53], v[48:49], v[58:59] op_sel_hi:[1,0,1]
	v_pk_add_f32 v[44:45], v[60:61], 0 op_sel_hi:[1,0]
	v_mov_b32_e32 v41, v43
	v_mov_b32_e32 v55, v49
	v_pk_add_f32 v[40:41], v[44:45], v[40:41]
	s_nop 0
	v_pk_add_f32 v[40:41], v[40:41], v[54:55]
	s_waitcnt vmcnt(0)
	v_pk_add_f32 v[40:41], v[50:51], v[40:41] neg_lo:[0,1] neg_hi:[0,1]
	scratch_store_dwordx2 off, v[40:41], off offset:112
	s_and_saveexec_b64 s[0:1], vcc
	s_cbranch_execz .LBB81_95
; %bb.94:
	scratch_load_dwordx2 v[40:41], off, off offset:104
	v_mov_b32_e32 v39, v38
	scratch_store_dwordx2 off, v[38:39], off offset:104
	s_waitcnt vmcnt(1)
	ds_write_b64 v1, v[40:41]
.LBB81_95:
	s_or_b64 exec, exec, s[0:1]
	s_waitcnt lgkmcnt(0)
	; wave barrier
	scratch_load_dwordx4 v[40:43], off, off offset:112
	scratch_load_dwordx4 v[44:47], off, off offset:128
	scratch_load_dwordx2 v[56:57], off, off offset:104
	ds_read_b128 v[48:51], v38 offset:256
	ds_read_b128 v[52:55], v38 offset:272
	v_cmp_lt_u32_e32 vcc, 12, v0
	s_waitcnt vmcnt(2) lgkmcnt(1)
	v_pk_mul_f32 v[38:39], v[48:49], v[40:41] op_sel:[1,1] op_sel_hi:[0,1]
	v_mov_b32_e32 v58, v43
	s_waitcnt vmcnt(1) lgkmcnt(0)
	v_pk_mul_f32 v[60:61], v[52:53], v[44:45] op_sel:[1,1] op_sel_hi:[0,1]
	v_mov_b32_e32 v62, v47
	v_pk_fma_f32 v[64:65], v[48:49], v[40:41], v[38:39] neg_lo:[0,0,1] neg_hi:[0,0,1]
	v_pk_fma_f32 v[38:39], v[48:49], v[40:41], v[38:39] op_sel_hi:[1,0,1]
	v_pk_mul_f32 v[40:41], v[50:51], v[58:59] op_sel:[1,0] op_sel_hi:[0,0]
	v_pk_fma_f32 v[48:49], v[52:53], v[44:45], v[60:61] neg_lo:[0,0,1] neg_hi:[0,0,1]
	v_pk_fma_f32 v[44:45], v[52:53], v[44:45], v[60:61] op_sel_hi:[1,0,1]
	v_pk_mul_f32 v[52:53], v[54:55], v[62:63] op_sel:[1,0] op_sel_hi:[0,0]
	v_mov_b32_e32 v65, v39
	v_pk_fma_f32 v[38:39], v[50:51], v[42:43], v[40:41] neg_lo:[0,0,1] neg_hi:[0,0,1]
	v_pk_fma_f32 v[40:41], v[50:51], v[42:43], v[40:41] op_sel_hi:[1,0,1]
	v_mov_b32_e32 v49, v45
	v_pk_fma_f32 v[42:43], v[54:55], v[46:47], v[52:53] neg_lo:[0,0,1] neg_hi:[0,0,1]
	v_pk_fma_f32 v[44:45], v[54:55], v[46:47], v[52:53] op_sel_hi:[1,0,1]
	v_pk_add_f32 v[46:47], v[64:65], 0 op_sel_hi:[1,0]
	v_mov_b32_e32 v39, v41
	v_pk_add_f32 v[38:39], v[46:47], v[38:39]
	v_mov_b32_e32 v43, v45
	v_pk_add_f32 v[38:39], v[38:39], v[48:49]
	s_nop 0
	v_pk_add_f32 v[38:39], v[38:39], v[42:43]
	s_waitcnt vmcnt(0)
	v_pk_add_f32 v[38:39], v[56:57], v[38:39] neg_lo:[0,1] neg_hi:[0,1]
	scratch_store_dwordx2 off, v[38:39], off offset:104
	s_and_saveexec_b64 s[0:1], vcc
	s_cbranch_execz .LBB81_97
; %bb.96:
	scratch_load_dwordx2 v[38:39], off, off offset:96
	v_mov_b32_e32 v40, 0
	v_mov_b32_e32 v41, v40
	scratch_store_dwordx2 off, v[40:41], off offset:96
	s_waitcnt vmcnt(1)
	ds_write_b64 v1, v[38:39]
.LBB81_97:
	s_or_b64 exec, exec, s[0:1]
	s_waitcnt lgkmcnt(0)
	; wave barrier
	scratch_load_dwordx4 v[40:43], off, off offset:104
	scratch_load_dwordx4 v[44:47], off, off offset:120
	scratch_load_dwordx2 v[56:57], off, off offset:136
	scratch_load_dwordx2 v[58:59], off, off offset:96
	v_mov_b32_e32 v38, 0
	ds_read2_b64 v[48:51], v38 offset0:31 offset1:32
	ds_read2_b64 v[52:55], v38 offset0:33 offset1:34
	ds_read_b64 v[60:61], v38 offset:280
	v_cmp_lt_u32_e32 vcc, 11, v0
	s_waitcnt vmcnt(3) lgkmcnt(2)
	v_pk_mul_f32 v[62:63], v[48:49], v[40:41] op_sel:[1,1] op_sel_hi:[0,1]
	v_mov_b32_e32 v64, v43
	v_pk_fma_f32 v[72:73], v[48:49], v[40:41], v[62:63] neg_lo:[0,0,1] neg_hi:[0,0,1]
	v_pk_fma_f32 v[40:41], v[48:49], v[40:41], v[62:63] op_sel_hi:[1,0,1]
	v_pk_mul_f32 v[48:49], v[50:51], v[64:65] op_sel:[1,0] op_sel_hi:[0,0]
	s_waitcnt vmcnt(2) lgkmcnt(1)
	v_pk_mul_f32 v[66:67], v[52:53], v[44:45] op_sel:[1,1] op_sel_hi:[0,1]
	v_mov_b32_e32 v68, v47
	v_mov_b32_e32 v73, v41
	v_pk_fma_f32 v[40:41], v[50:51], v[42:43], v[48:49] neg_lo:[0,0,1] neg_hi:[0,0,1]
	v_pk_fma_f32 v[42:43], v[50:51], v[42:43], v[48:49] op_sel_hi:[1,0,1]
	v_pk_fma_f32 v[62:63], v[52:53], v[44:45], v[66:67] neg_lo:[0,0,1] neg_hi:[0,0,1]
	v_pk_fma_f32 v[44:45], v[52:53], v[44:45], v[66:67] op_sel_hi:[1,0,1]
	v_pk_mul_f32 v[52:53], v[54:55], v[68:69] op_sel:[1,0] op_sel_hi:[0,0]
	v_pk_add_f32 v[48:49], v[72:73], 0 op_sel_hi:[1,0]
	v_mov_b32_e32 v41, v43
	s_waitcnt vmcnt(1) lgkmcnt(0)
	v_pk_mul_f32 v[70:71], v[60:61], v[56:57] op_sel:[1,1] op_sel_hi:[0,1]
	v_mov_b32_e32 v63, v45
	v_pk_fma_f32 v[44:45], v[54:55], v[46:47], v[52:53] neg_lo:[0,0,1] neg_hi:[0,0,1]
	v_pk_fma_f32 v[46:47], v[54:55], v[46:47], v[52:53] op_sel_hi:[1,0,1]
	v_pk_add_f32 v[40:41], v[48:49], v[40:41]
	v_pk_fma_f32 v[64:65], v[60:61], v[56:57], v[70:71] neg_lo:[0,0,1] neg_hi:[0,0,1]
	v_pk_fma_f32 v[56:57], v[60:61], v[56:57], v[70:71] op_sel_hi:[1,0,1]
	v_mov_b32_e32 v45, v47
	v_pk_add_f32 v[40:41], v[40:41], v[62:63]
	v_mov_b32_e32 v65, v57
	v_pk_add_f32 v[40:41], v[40:41], v[44:45]
	s_nop 0
	v_pk_add_f32 v[40:41], v[40:41], v[64:65]
	s_waitcnt vmcnt(0)
	v_pk_add_f32 v[40:41], v[58:59], v[40:41] neg_lo:[0,1] neg_hi:[0,1]
	scratch_store_dwordx2 off, v[40:41], off offset:96
	s_and_saveexec_b64 s[0:1], vcc
	s_cbranch_execz .LBB81_99
; %bb.98:
	scratch_load_dwordx2 v[40:41], off, off offset:88
	v_mov_b32_e32 v39, v38
	scratch_store_dwordx2 off, v[38:39], off offset:88
	s_waitcnt vmcnt(1)
	ds_write_b64 v1, v[40:41]
.LBB81_99:
	s_or_b64 exec, exec, s[0:1]
	s_waitcnt lgkmcnt(0)
	; wave barrier
	scratch_load_dwordx4 v[40:43], off, off offset:96
	scratch_load_dwordx4 v[44:47], off, off offset:112
	;; [unrolled: 1-line block ×3, first 2 shown]
	scratch_load_dwordx2 v[64:65], off, off offset:88
	ds_read_b128 v[52:55], v38 offset:240
	ds_read_b128 v[56:59], v38 offset:256
	;; [unrolled: 1-line block ×3, first 2 shown]
	v_cmp_lt_u32_e32 vcc, 10, v0
	s_waitcnt vmcnt(3) lgkmcnt(2)
	v_pk_mul_f32 v[38:39], v[52:53], v[40:41] op_sel:[1,1] op_sel_hi:[0,1]
	v_mov_b32_e32 v66, v43
	s_waitcnt vmcnt(2) lgkmcnt(1)
	v_pk_mul_f32 v[68:69], v[56:57], v[44:45] op_sel:[1,1] op_sel_hi:[0,1]
	v_mov_b32_e32 v70, v47
	s_waitcnt vmcnt(1) lgkmcnt(0)
	v_pk_mul_f32 v[72:73], v[60:61], v[48:49] op_sel:[1,1] op_sel_hi:[0,1]
	v_mov_b32_e32 v74, v51
	v_pk_fma_f32 v[76:77], v[52:53], v[40:41], v[38:39] neg_lo:[0,0,1] neg_hi:[0,0,1]
	v_pk_fma_f32 v[38:39], v[52:53], v[40:41], v[38:39] op_sel_hi:[1,0,1]
	v_pk_mul_f32 v[40:41], v[54:55], v[66:67] op_sel:[1,0] op_sel_hi:[0,0]
	v_pk_fma_f32 v[52:53], v[56:57], v[44:45], v[68:69] neg_lo:[0,0,1] neg_hi:[0,0,1]
	v_pk_fma_f32 v[44:45], v[56:57], v[44:45], v[68:69] op_sel_hi:[1,0,1]
	v_pk_mul_f32 v[56:57], v[58:59], v[70:71] op_sel:[1,0] op_sel_hi:[0,0]
	;; [unrolled: 3-line block ×3, first 2 shown]
	v_mov_b32_e32 v77, v39
	v_pk_fma_f32 v[38:39], v[54:55], v[42:43], v[40:41] neg_lo:[0,0,1] neg_hi:[0,0,1]
	v_pk_fma_f32 v[40:41], v[54:55], v[42:43], v[40:41] op_sel_hi:[1,0,1]
	v_mov_b32_e32 v53, v45
	v_pk_fma_f32 v[42:43], v[58:59], v[46:47], v[56:57] neg_lo:[0,0,1] neg_hi:[0,0,1]
	v_pk_fma_f32 v[44:45], v[58:59], v[46:47], v[56:57] op_sel_hi:[1,0,1]
	;; [unrolled: 3-line block ×3, first 2 shown]
	v_pk_add_f32 v[50:51], v[76:77], 0 op_sel_hi:[1,0]
	v_mov_b32_e32 v39, v41
	v_pk_add_f32 v[38:39], v[50:51], v[38:39]
	v_mov_b32_e32 v43, v45
	v_pk_add_f32 v[38:39], v[38:39], v[52:53]
	;; [unrolled: 2-line block ×3, first 2 shown]
	s_nop 0
	v_pk_add_f32 v[38:39], v[38:39], v[66:67]
	s_nop 0
	v_pk_add_f32 v[38:39], v[38:39], v[46:47]
	s_waitcnt vmcnt(0)
	v_pk_add_f32 v[38:39], v[64:65], v[38:39] neg_lo:[0,1] neg_hi:[0,1]
	scratch_store_dwordx2 off, v[38:39], off offset:88
	s_and_saveexec_b64 s[0:1], vcc
	s_cbranch_execz .LBB81_101
; %bb.100:
	scratch_load_dwordx2 v[38:39], off, off offset:80
	v_mov_b32_e32 v40, 0
	v_mov_b32_e32 v41, v40
	scratch_store_dwordx2 off, v[40:41], off offset:80
	s_waitcnt vmcnt(1)
	ds_write_b64 v1, v[38:39]
.LBB81_101:
	s_or_b64 exec, exec, s[0:1]
	s_waitcnt lgkmcnt(0)
	; wave barrier
	scratch_load_dwordx4 v[40:43], off, off offset:88
	scratch_load_dwordx4 v[44:47], off, off offset:104
	scratch_load_dwordx4 v[48:51], off, off offset:120
	scratch_load_dwordx2 v[64:65], off, off offset:136
	scratch_load_dwordx2 v[66:67], off, off offset:80
	v_mov_b32_e32 v38, 0
	ds_read2_b64 v[52:55], v38 offset0:29 offset1:30
	ds_read2_b64 v[56:59], v38 offset0:31 offset1:32
	;; [unrolled: 1-line block ×3, first 2 shown]
	ds_read_b64 v[68:69], v38 offset:280
	v_cmp_lt_u32_e32 vcc, 9, v0
	s_waitcnt vmcnt(4) lgkmcnt(3)
	v_pk_mul_f32 v[70:71], v[52:53], v[40:41] op_sel:[1,1] op_sel_hi:[0,1]
	v_mov_b32_e32 v72, v43
	v_pk_fma_f32 v[84:85], v[52:53], v[40:41], v[70:71] neg_lo:[0,0,1] neg_hi:[0,0,1]
	v_pk_fma_f32 v[40:41], v[52:53], v[40:41], v[70:71] op_sel_hi:[1,0,1]
	v_pk_mul_f32 v[52:53], v[54:55], v[72:73] op_sel:[1,0] op_sel_hi:[0,0]
	s_waitcnt vmcnt(3) lgkmcnt(2)
	v_pk_mul_f32 v[74:75], v[56:57], v[44:45] op_sel:[1,1] op_sel_hi:[0,1]
	v_mov_b32_e32 v76, v47
	v_mov_b32_e32 v85, v41
	v_pk_fma_f32 v[40:41], v[54:55], v[42:43], v[52:53] neg_lo:[0,0,1] neg_hi:[0,0,1]
	v_pk_fma_f32 v[42:43], v[54:55], v[42:43], v[52:53] op_sel_hi:[1,0,1]
	v_pk_fma_f32 v[70:71], v[56:57], v[44:45], v[74:75] neg_lo:[0,0,1] neg_hi:[0,0,1]
	v_pk_fma_f32 v[44:45], v[56:57], v[44:45], v[74:75] op_sel_hi:[1,0,1]
	v_pk_mul_f32 v[56:57], v[58:59], v[76:77] op_sel:[1,0] op_sel_hi:[0,0]
	v_pk_add_f32 v[52:53], v[84:85], 0 op_sel_hi:[1,0]
	v_mov_b32_e32 v41, v43
	s_waitcnt vmcnt(2) lgkmcnt(1)
	v_pk_mul_f32 v[78:79], v[60:61], v[48:49] op_sel:[1,1] op_sel_hi:[0,1]
	v_mov_b32_e32 v80, v51
	v_mov_b32_e32 v71, v45
	v_pk_fma_f32 v[44:45], v[58:59], v[46:47], v[56:57] neg_lo:[0,0,1] neg_hi:[0,0,1]
	v_pk_fma_f32 v[46:47], v[58:59], v[46:47], v[56:57] op_sel_hi:[1,0,1]
	v_pk_add_f32 v[40:41], v[52:53], v[40:41]
	v_pk_fma_f32 v[72:73], v[60:61], v[48:49], v[78:79] neg_lo:[0,0,1] neg_hi:[0,0,1]
	v_pk_fma_f32 v[48:49], v[60:61], v[48:49], v[78:79] op_sel_hi:[1,0,1]
	v_pk_mul_f32 v[60:61], v[62:63], v[80:81] op_sel:[1,0] op_sel_hi:[0,0]
	v_mov_b32_e32 v45, v47
	v_pk_add_f32 v[40:41], v[40:41], v[70:71]
	s_waitcnt vmcnt(1) lgkmcnt(0)
	v_pk_mul_f32 v[82:83], v[68:69], v[64:65] op_sel:[1,1] op_sel_hi:[0,1]
	v_mov_b32_e32 v73, v49
	v_pk_fma_f32 v[48:49], v[62:63], v[50:51], v[60:61] neg_lo:[0,0,1] neg_hi:[0,0,1]
	v_pk_fma_f32 v[50:51], v[62:63], v[50:51], v[60:61] op_sel_hi:[1,0,1]
	v_pk_add_f32 v[40:41], v[40:41], v[44:45]
	v_pk_fma_f32 v[74:75], v[68:69], v[64:65], v[82:83] neg_lo:[0,0,1] neg_hi:[0,0,1]
	v_pk_fma_f32 v[64:65], v[68:69], v[64:65], v[82:83] op_sel_hi:[1,0,1]
	v_mov_b32_e32 v49, v51
	v_pk_add_f32 v[40:41], v[40:41], v[72:73]
	v_mov_b32_e32 v75, v65
	v_pk_add_f32 v[40:41], v[40:41], v[48:49]
	s_nop 0
	v_pk_add_f32 v[40:41], v[40:41], v[74:75]
	s_waitcnt vmcnt(0)
	v_pk_add_f32 v[40:41], v[66:67], v[40:41] neg_lo:[0,1] neg_hi:[0,1]
	scratch_store_dwordx2 off, v[40:41], off offset:80
	s_and_saveexec_b64 s[0:1], vcc
	s_cbranch_execz .LBB81_103
; %bb.102:
	scratch_load_dwordx2 v[40:41], off, off offset:72
	v_mov_b32_e32 v39, v38
	scratch_store_dwordx2 off, v[38:39], off offset:72
	s_waitcnt vmcnt(1)
	ds_write_b64 v1, v[40:41]
.LBB81_103:
	s_or_b64 exec, exec, s[0:1]
	s_waitcnt lgkmcnt(0)
	; wave barrier
	scratch_load_dwordx4 v[40:43], off, off offset:80
	scratch_load_dwordx4 v[44:47], off, off offset:96
	;; [unrolled: 1-line block ×4, first 2 shown]
	scratch_load_dwordx2 v[72:73], off, off offset:72
	ds_read_b128 v[56:59], v38 offset:224
	ds_read_b128 v[60:63], v38 offset:240
	;; [unrolled: 1-line block ×4, first 2 shown]
	v_cmp_lt_u32_e32 vcc, 8, v0
	s_waitcnt vmcnt(4) lgkmcnt(3)
	v_pk_mul_f32 v[38:39], v[56:57], v[40:41] op_sel:[1,1] op_sel_hi:[0,1]
	v_mov_b32_e32 v74, v43
	s_waitcnt vmcnt(3) lgkmcnt(2)
	v_pk_mul_f32 v[76:77], v[60:61], v[44:45] op_sel:[1,1] op_sel_hi:[0,1]
	v_mov_b32_e32 v78, v47
	;; [unrolled: 3-line block ×4, first 2 shown]
	v_pk_fma_f32 v[88:89], v[56:57], v[40:41], v[38:39] neg_lo:[0,0,1] neg_hi:[0,0,1]
	v_pk_fma_f32 v[38:39], v[56:57], v[40:41], v[38:39] op_sel_hi:[1,0,1]
	v_pk_mul_f32 v[40:41], v[58:59], v[74:75] op_sel:[1,0] op_sel_hi:[0,0]
	v_pk_fma_f32 v[56:57], v[60:61], v[44:45], v[76:77] neg_lo:[0,0,1] neg_hi:[0,0,1]
	v_pk_fma_f32 v[44:45], v[60:61], v[44:45], v[76:77] op_sel_hi:[1,0,1]
	v_pk_mul_f32 v[60:61], v[62:63], v[78:79] op_sel:[1,0] op_sel_hi:[0,0]
	;; [unrolled: 3-line block ×4, first 2 shown]
	v_mov_b32_e32 v89, v39
	v_pk_fma_f32 v[38:39], v[58:59], v[42:43], v[40:41] neg_lo:[0,0,1] neg_hi:[0,0,1]
	v_pk_fma_f32 v[40:41], v[58:59], v[42:43], v[40:41] op_sel_hi:[1,0,1]
	v_mov_b32_e32 v57, v45
	v_pk_fma_f32 v[42:43], v[62:63], v[46:47], v[60:61] neg_lo:[0,0,1] neg_hi:[0,0,1]
	v_pk_fma_f32 v[44:45], v[62:63], v[46:47], v[60:61] op_sel_hi:[1,0,1]
	;; [unrolled: 3-line block ×4, first 2 shown]
	v_pk_add_f32 v[54:55], v[88:89], 0 op_sel_hi:[1,0]
	v_mov_b32_e32 v39, v41
	v_pk_add_f32 v[38:39], v[54:55], v[38:39]
	v_mov_b32_e32 v43, v45
	v_pk_add_f32 v[38:39], v[38:39], v[56:57]
	;; [unrolled: 2-line block ×4, first 2 shown]
	s_nop 0
	v_pk_add_f32 v[38:39], v[38:39], v[46:47]
	s_nop 0
	v_pk_add_f32 v[38:39], v[38:39], v[76:77]
	;; [unrolled: 2-line block ×3, first 2 shown]
	s_waitcnt vmcnt(0)
	v_pk_add_f32 v[38:39], v[72:73], v[38:39] neg_lo:[0,1] neg_hi:[0,1]
	scratch_store_dwordx2 off, v[38:39], off offset:72
	s_and_saveexec_b64 s[0:1], vcc
	s_cbranch_execz .LBB81_105
; %bb.104:
	scratch_load_dwordx2 v[38:39], off, off offset:64
	v_mov_b32_e32 v40, 0
	v_mov_b32_e32 v41, v40
	scratch_store_dwordx2 off, v[40:41], off offset:64
	s_waitcnt vmcnt(1)
	ds_write_b64 v1, v[38:39]
.LBB81_105:
	s_or_b64 exec, exec, s[0:1]
	s_waitcnt lgkmcnt(0)
	; wave barrier
	scratch_load_dwordx4 v[40:43], off, off offset:72
	scratch_load_dwordx4 v[44:47], off, off offset:88
	;; [unrolled: 1-line block ×4, first 2 shown]
	scratch_load_dwordx2 v[72:73], off, off offset:136
	scratch_load_dwordx2 v[74:75], off, off offset:64
	v_mov_b32_e32 v38, 0
	ds_read2_b64 v[56:59], v38 offset0:27 offset1:28
	ds_read2_b64 v[60:63], v38 offset0:29 offset1:30
	;; [unrolled: 1-line block ×4, first 2 shown]
	ds_read_b64 v[76:77], v38 offset:280
	v_cmp_lt_u32_e32 vcc, 7, v0
	s_waitcnt vmcnt(5) lgkmcnt(4)
	v_mul_f32_e32 v79, v56, v41
	v_mul_f32_e32 v39, v57, v41
	v_mov_b32_e32 v80, v43
	s_waitcnt vmcnt(4) lgkmcnt(3)
	v_pk_mul_f32 v[82:83], v[60:61], v[44:45] op_sel:[1,1] op_sel_hi:[0,1]
	v_mov_b32_e32 v84, v47
	s_waitcnt vmcnt(1) lgkmcnt(0)
	v_pk_mul_f32 v[94:95], v[76:77], v[72:73] op_sel:[1,1] op_sel_hi:[0,1]
	v_fmac_f32_e32 v79, v57, v40
	v_fma_f32 v78, v56, v40, -v39
	v_pk_mul_f32 v[40:41], v[58:59], v[80:81] op_sel:[1,0] op_sel_hi:[0,0]
	v_pk_fma_f32 v[56:57], v[60:61], v[44:45], v[82:83] neg_lo:[0,0,1] neg_hi:[0,0,1]
	v_pk_fma_f32 v[44:45], v[60:61], v[44:45], v[82:83] op_sel_hi:[1,0,1]
	v_pk_mul_f32 v[60:61], v[62:63], v[84:85] op_sel:[1,0] op_sel_hi:[0,0]
	v_pk_fma_f32 v[84:85], v[76:77], v[72:73], v[94:95] neg_lo:[0,0,1] neg_hi:[0,0,1]
	v_pk_fma_f32 v[72:73], v[76:77], v[72:73], v[94:95] op_sel_hi:[1,0,1]
	v_pk_add_f32 v[76:77], v[78:79], 0 op_sel_hi:[1,0]
	v_pk_fma_f32 v[78:79], v[58:59], v[42:43], v[40:41] neg_lo:[0,0,1] neg_hi:[0,0,1]
	v_pk_fma_f32 v[40:41], v[58:59], v[42:43], v[40:41] op_sel_hi:[1,0,1]
	v_pk_mul_f32 v[86:87], v[64:65], v[48:49] op_sel:[1,1] op_sel_hi:[0,1]
	v_mov_b32_e32 v79, v41
	v_mov_b32_e32 v88, v51
	;; [unrolled: 1-line block ×3, first 2 shown]
	v_pk_fma_f32 v[42:43], v[62:63], v[46:47], v[60:61] neg_lo:[0,0,1] neg_hi:[0,0,1]
	v_pk_fma_f32 v[44:45], v[62:63], v[46:47], v[60:61] op_sel_hi:[1,0,1]
	v_pk_add_f32 v[40:41], v[76:77], v[78:79]
	v_pk_fma_f32 v[80:81], v[64:65], v[48:49], v[86:87] neg_lo:[0,0,1] neg_hi:[0,0,1]
	v_pk_fma_f32 v[48:49], v[64:65], v[48:49], v[86:87] op_sel_hi:[1,0,1]
	v_pk_mul_f32 v[64:65], v[66:67], v[88:89] op_sel:[1,0] op_sel_hi:[0,0]
	v_mov_b32_e32 v43, v45
	v_pk_add_f32 v[40:41], v[40:41], v[56:57]
	v_pk_mul_f32 v[90:91], v[68:69], v[52:53] op_sel:[1,1] op_sel_hi:[0,1]
	v_mov_b32_e32 v92, v55
	v_mov_b32_e32 v81, v49
	v_pk_fma_f32 v[46:47], v[66:67], v[50:51], v[64:65] neg_lo:[0,0,1] neg_hi:[0,0,1]
	v_pk_fma_f32 v[48:49], v[66:67], v[50:51], v[64:65] op_sel_hi:[1,0,1]
	v_pk_add_f32 v[40:41], v[40:41], v[42:43]
	v_pk_fma_f32 v[82:83], v[68:69], v[52:53], v[90:91] neg_lo:[0,0,1] neg_hi:[0,0,1]
	v_pk_fma_f32 v[52:53], v[68:69], v[52:53], v[90:91] op_sel_hi:[1,0,1]
	v_pk_mul_f32 v[68:69], v[70:71], v[92:93] op_sel:[1,0] op_sel_hi:[0,0]
	v_mov_b32_e32 v47, v49
	v_pk_add_f32 v[40:41], v[40:41], v[80:81]
	v_mov_b32_e32 v83, v53
	v_pk_fma_f32 v[50:51], v[70:71], v[54:55], v[68:69] neg_lo:[0,0,1] neg_hi:[0,0,1]
	v_pk_fma_f32 v[52:53], v[70:71], v[54:55], v[68:69] op_sel_hi:[1,0,1]
	v_pk_add_f32 v[40:41], v[40:41], v[46:47]
	v_mov_b32_e32 v51, v53
	v_pk_add_f32 v[40:41], v[40:41], v[82:83]
	v_mov_b32_e32 v85, v73
	v_pk_add_f32 v[40:41], v[40:41], v[50:51]
	s_nop 0
	v_pk_add_f32 v[40:41], v[40:41], v[84:85]
	s_waitcnt vmcnt(0)
	v_pk_add_f32 v[40:41], v[74:75], v[40:41] neg_lo:[0,1] neg_hi:[0,1]
	scratch_store_dwordx2 off, v[40:41], off offset:64
	s_and_saveexec_b64 s[0:1], vcc
	s_cbranch_execz .LBB81_107
; %bb.106:
	scratch_load_dwordx2 v[40:41], off, off offset:56
	v_mov_b32_e32 v39, v38
	scratch_store_dwordx2 off, v[38:39], off offset:56
	s_waitcnt vmcnt(1)
	ds_write_b64 v1, v[40:41]
.LBB81_107:
	s_or_b64 exec, exec, s[0:1]
	s_waitcnt lgkmcnt(0)
	; wave barrier
	scratch_load_dwordx4 v[40:43], off, off offset:64
	scratch_load_dwordx4 v[44:47], off, off offset:80
	;; [unrolled: 1-line block ×5, first 2 shown]
	scratch_load_dwordx2 v[80:81], off, off offset:56
	ds_read_b128 v[60:63], v38 offset:208
	ds_read_b128 v[64:67], v38 offset:224
	;; [unrolled: 1-line block ×5, first 2 shown]
	v_cmp_lt_u32_e32 vcc, 6, v0
	s_waitcnt vmcnt(5) lgkmcnt(4)
	v_mul_f32_e32 v39, v60, v41
	v_mul_f32_e32 v38, v61, v41
	;; [unrolled: 1-line block ×4, first 2 shown]
	s_waitcnt vmcnt(4) lgkmcnt(3)
	v_pk_mul_f32 v[84:85], v[64:65], v[44:45] op_sel:[1,1] op_sel_hi:[0,1]
	v_mov_b32_e32 v86, v47
	v_fmac_f32_e32 v39, v61, v40
	v_fma_f32 v38, v60, v40, -v38
	v_fmac_f32_e32 v83, v63, v42
	v_fma_f32 v82, v62, v42, -v41
	v_pk_fma_f32 v[40:41], v[64:65], v[44:45], v[84:85] neg_lo:[0,0,1] neg_hi:[0,0,1]
	v_pk_fma_f32 v[42:43], v[64:65], v[44:45], v[84:85] op_sel_hi:[1,0,1]
	v_pk_mul_f32 v[44:45], v[66:67], v[86:87] op_sel:[1,0] op_sel_hi:[0,0]
	v_pk_add_f32 v[38:39], v[38:39], 0 op_sel_hi:[1,0]
	s_waitcnt vmcnt(3) lgkmcnt(2)
	v_pk_mul_f32 v[88:89], v[68:69], v[48:49] op_sel:[1,1] op_sel_hi:[0,1]
	v_mov_b32_e32 v90, v51
	v_mov_b32_e32 v41, v43
	v_pk_fma_f32 v[42:43], v[66:67], v[46:47], v[44:45] neg_lo:[0,0,1] neg_hi:[0,0,1]
	v_pk_fma_f32 v[44:45], v[66:67], v[46:47], v[44:45] op_sel_hi:[1,0,1]
	v_pk_add_f32 v[38:39], v[38:39], v[82:83]
	v_pk_fma_f32 v[60:61], v[68:69], v[48:49], v[88:89] neg_lo:[0,0,1] neg_hi:[0,0,1]
	v_pk_fma_f32 v[48:49], v[68:69], v[48:49], v[88:89] op_sel_hi:[1,0,1]
	v_pk_mul_f32 v[62:63], v[70:71], v[90:91] op_sel:[1,0] op_sel_hi:[0,0]
	v_mov_b32_e32 v43, v45
	v_pk_add_f32 v[38:39], v[38:39], v[40:41]
	s_waitcnt vmcnt(2) lgkmcnt(1)
	v_pk_mul_f32 v[92:93], v[72:73], v[52:53] op_sel:[1,1] op_sel_hi:[0,1]
	v_mov_b32_e32 v94, v55
	v_mov_b32_e32 v61, v49
	v_pk_fma_f32 v[46:47], v[70:71], v[50:51], v[62:63] neg_lo:[0,0,1] neg_hi:[0,0,1]
	v_pk_fma_f32 v[48:49], v[70:71], v[50:51], v[62:63] op_sel_hi:[1,0,1]
	v_pk_add_f32 v[38:39], v[38:39], v[42:43]
	v_pk_fma_f32 v[64:65], v[72:73], v[52:53], v[92:93] neg_lo:[0,0,1] neg_hi:[0,0,1]
	v_pk_fma_f32 v[52:53], v[72:73], v[52:53], v[92:93] op_sel_hi:[1,0,1]
	v_pk_mul_f32 v[68:69], v[74:75], v[94:95] op_sel:[1,0] op_sel_hi:[0,0]
	v_mov_b32_e32 v47, v49
	v_pk_add_f32 v[38:39], v[38:39], v[60:61]
	;; [unrolled: 12-line block ×3, first 2 shown]
	v_mov_b32_e32 v73, v57
	v_pk_fma_f32 v[54:55], v[78:79], v[58:59], v[76:77] neg_lo:[0,0,1] neg_hi:[0,0,1]
	v_pk_fma_f32 v[56:57], v[78:79], v[58:59], v[76:77] op_sel_hi:[1,0,1]
	v_pk_add_f32 v[38:39], v[38:39], v[50:51]
	v_mov_b32_e32 v55, v57
	v_pk_add_f32 v[38:39], v[38:39], v[72:73]
	s_nop 0
	v_pk_add_f32 v[38:39], v[38:39], v[54:55]
	s_waitcnt vmcnt(0)
	v_pk_add_f32 v[38:39], v[80:81], v[38:39] neg_lo:[0,1] neg_hi:[0,1]
	scratch_store_dwordx2 off, v[38:39], off offset:56
	s_and_saveexec_b64 s[0:1], vcc
	s_cbranch_execz .LBB81_109
; %bb.108:
	scratch_load_dwordx2 v[38:39], off, off offset:48
	v_mov_b32_e32 v40, 0
	v_mov_b32_e32 v41, v40
	scratch_store_dwordx2 off, v[40:41], off offset:48
	s_waitcnt vmcnt(1)
	ds_write_b64 v1, v[38:39]
.LBB81_109:
	s_or_b64 exec, exec, s[0:1]
	s_waitcnt lgkmcnt(0)
	; wave barrier
	scratch_load_dwordx4 v[40:43], off, off offset:56
	scratch_load_dwordx4 v[44:47], off, off offset:72
	scratch_load_dwordx4 v[48:51], off, off offset:88
	scratch_load_dwordx4 v[52:55], off, off offset:104
	scratch_load_dwordx4 v[56:59], off, off offset:120
	scratch_load_dwordx2 v[80:81], off, off offset:136
	scratch_load_dwordx2 v[82:83], off, off offset:48
	v_mov_b32_e32 v38, 0
	ds_read2_b64 v[60:63], v38 offset0:25 offset1:26
	ds_read2_b64 v[64:67], v38 offset0:27 offset1:28
	;; [unrolled: 1-line block ×5, first 2 shown]
	ds_read_b64 v[84:85], v38 offset:280
	v_cmp_lt_u32_e32 vcc, 5, v0
	s_waitcnt vmcnt(6) lgkmcnt(5)
	v_mul_f32_e32 v39, v60, v41
	v_mul_f32_e32 v41, v61, v41
	;; [unrolled: 1-line block ×3, first 2 shown]
	s_waitcnt vmcnt(5) lgkmcnt(4)
	v_mul_f32_e32 v89, v64, v45
	v_mul_f32_e32 v43, v63, v43
	;; [unrolled: 1-line block ×3, first 2 shown]
	v_mov_b32_e32 v90, v47
	s_waitcnt vmcnt(3) lgkmcnt(2)
	v_pk_mul_f32 v[96:97], v[72:73], v[52:53] op_sel:[1,1] op_sel_hi:[0,1]
	s_waitcnt vmcnt(2) lgkmcnt(1)
	v_pk_mul_f32 v[100:101], v[76:77], v[56:57] op_sel:[1,1] op_sel_hi:[0,1]
	;; [unrolled: 2-line block ×3, first 2 shown]
	v_fmac_f32_e32 v39, v61, v40
	v_fma_f32 v91, v60, v40, -v41
	v_fmac_f32_e32 v87, v63, v42
	v_fmac_f32_e32 v89, v65, v44
	v_fma_f32 v86, v62, v42, -v43
	v_fma_f32 v88, v64, v44, -v45
	v_pk_mul_f32 v[40:41], v[66:67], v[90:91] op_sel:[1,0] op_sel_hi:[0,0]
	v_pk_fma_f32 v[60:61], v[72:73], v[52:53], v[96:97] neg_lo:[0,0,1] neg_hi:[0,0,1]
	v_pk_fma_f32 v[52:53], v[72:73], v[52:53], v[96:97] op_sel_hi:[1,0,1]
	v_pk_fma_f32 v[64:65], v[76:77], v[56:57], v[100:101] neg_lo:[0,0,1] neg_hi:[0,0,1]
	v_pk_fma_f32 v[56:57], v[76:77], v[56:57], v[100:101] op_sel_hi:[1,0,1]
	;; [unrolled: 2-line block ×3, first 2 shown]
	v_add_f32_e32 v81, 0, v39
	v_add_f32_e32 v80, 0, v91
	v_pk_mul_f32 v[92:93], v[68:69], v[48:49] op_sel:[1,1] op_sel_hi:[0,1]
	v_mov_b32_e32 v94, v51
	v_pk_fma_f32 v[84:85], v[66:67], v[46:47], v[40:41] neg_lo:[0,0,1] neg_hi:[0,0,1]
	v_pk_fma_f32 v[40:41], v[66:67], v[46:47], v[40:41] op_sel_hi:[1,0,1]
	v_mov_b32_e32 v65, v57
	v_pk_add_f32 v[56:57], v[80:81], v[86:87]
	v_pk_fma_f32 v[42:43], v[68:69], v[48:49], v[92:93] neg_lo:[0,0,1] neg_hi:[0,0,1]
	v_pk_fma_f32 v[44:45], v[68:69], v[48:49], v[92:93] op_sel_hi:[1,0,1]
	v_pk_mul_f32 v[48:49], v[70:71], v[94:95] op_sel:[1,0] op_sel_hi:[0,0]
	v_mov_b32_e32 v85, v41
	v_pk_add_f32 v[40:41], v[56:57], v[88:89]
	v_mov_b32_e32 v98, v55
	v_mov_b32_e32 v43, v45
	v_pk_fma_f32 v[44:45], v[70:71], v[50:51], v[48:49] neg_lo:[0,0,1] neg_hi:[0,0,1]
	v_pk_fma_f32 v[46:47], v[70:71], v[50:51], v[48:49] op_sel_hi:[1,0,1]
	v_pk_add_f32 v[40:41], v[40:41], v[84:85]
	v_pk_mul_f32 v[62:63], v[74:75], v[98:99] op_sel:[1,0] op_sel_hi:[0,0]
	v_mov_b32_e32 v45, v47
	v_pk_add_f32 v[40:41], v[40:41], v[42:43]
	v_mov_b32_e32 v102, v59
	v_mov_b32_e32 v61, v53
	v_pk_fma_f32 v[48:49], v[74:75], v[54:55], v[62:63] neg_lo:[0,0,1] neg_hi:[0,0,1]
	v_pk_fma_f32 v[50:51], v[74:75], v[54:55], v[62:63] op_sel_hi:[1,0,1]
	v_pk_add_f32 v[40:41], v[40:41], v[44:45]
	v_pk_mul_f32 v[68:69], v[78:79], v[102:103] op_sel:[1,0] op_sel_hi:[0,0]
	v_mov_b32_e32 v49, v51
	v_pk_add_f32 v[40:41], v[40:41], v[60:61]
	v_pk_fma_f32 v[52:53], v[78:79], v[58:59], v[68:69] neg_lo:[0,0,1] neg_hi:[0,0,1]
	v_pk_fma_f32 v[54:55], v[78:79], v[58:59], v[68:69] op_sel_hi:[1,0,1]
	v_pk_add_f32 v[40:41], v[40:41], v[48:49]
	v_mov_b32_e32 v53, v55
	v_pk_add_f32 v[40:41], v[40:41], v[64:65]
	v_mov_b32_e32 v73, v77
	v_pk_add_f32 v[40:41], v[40:41], v[52:53]
	s_nop 0
	v_pk_add_f32 v[40:41], v[40:41], v[72:73]
	s_waitcnt vmcnt(0)
	v_pk_add_f32 v[40:41], v[82:83], v[40:41] neg_lo:[0,1] neg_hi:[0,1]
	scratch_store_dwordx2 off, v[40:41], off offset:48
	s_and_saveexec_b64 s[0:1], vcc
	s_cbranch_execz .LBB81_111
; %bb.110:
	scratch_load_dwordx2 v[40:41], off, off offset:40
	v_mov_b32_e32 v39, v38
	scratch_store_dwordx2 off, v[38:39], off offset:40
	s_waitcnt vmcnt(1)
	ds_write_b64 v1, v[40:41]
.LBB81_111:
	s_or_b64 exec, exec, s[0:1]
	s_waitcnt lgkmcnt(0)
	; wave barrier
	scratch_load_dwordx4 v[40:43], off, off offset:48
	scratch_load_dwordx4 v[44:47], off, off offset:64
	scratch_load_dwordx4 v[48:51], off, off offset:80
	scratch_load_dwordx4 v[52:55], off, off offset:96
	scratch_load_dwordx4 v[56:59], off, off offset:112
	scratch_load_dwordx4 v[60:63], off, off offset:128
	scratch_load_dwordx2 v[88:89], off, off offset:40
	ds_read_b128 v[64:67], v38 offset:192
	ds_read_b128 v[68:71], v38 offset:208
	;; [unrolled: 1-line block ×6, first 2 shown]
	v_cmp_lt_u32_e32 vcc, 4, v0
	s_waitcnt vmcnt(6) lgkmcnt(5)
	v_mul_f32_e32 v95, v64, v41
	v_mul_f32_e32 v99, v66, v43
	s_waitcnt vmcnt(5) lgkmcnt(4)
	v_mul_f32_e32 v39, v68, v45
	v_mul_f32_e32 v38, v65, v41
	;; [unrolled: 1-line block ×4, first 2 shown]
	s_waitcnt vmcnt(1) lgkmcnt(0)
	v_pk_mul_f32 v[104:105], v[84:85], v[60:61] op_sel:[1,1] op_sel_hi:[0,1]
	v_pk_mul_f32 v[92:93], v[72:73], v[48:49] op_sel:[1,1] op_sel_hi:[0,1]
	v_fmac_f32_e32 v95, v65, v40
	v_fmac_f32_e32 v39, v69, v44
	v_fma_f32 v103, v64, v40, -v38
	v_fma_f32 v38, v68, v44, -v43
	v_pk_fma_f32 v[68:69], v[84:85], v[60:61], v[104:105] neg_lo:[0,0,1] neg_hi:[0,0,1]
	v_pk_fma_f32 v[60:61], v[84:85], v[60:61], v[104:105] op_sel_hi:[1,0,1]
	v_fmac_f32_e32 v99, v67, v42
	v_fma_f32 v107, v66, v42, -v41
	v_pk_fma_f32 v[40:41], v[72:73], v[48:49], v[92:93] neg_lo:[0,0,1] neg_hi:[0,0,1]
	v_pk_fma_f32 v[42:43], v[72:73], v[48:49], v[92:93] op_sel_hi:[1,0,1]
	v_add_f32_e32 v60, 0, v95
	v_add_f32_e32 v72, 0, v103
	v_mul_f32_e32 v91, v70, v47
	v_mul_f32_e32 v45, v71, v47
	v_mov_b32_e32 v94, v51
	v_mov_b32_e32 v69, v61
	v_add_f32_e32 v61, v60, v99
	v_add_f32_e32 v60, v72, v107
	v_fmac_f32_e32 v91, v71, v46
	v_fma_f32 v90, v70, v46, -v45
	v_pk_mul_f32 v[44:45], v[74:75], v[94:95] op_sel:[1,0] op_sel_hi:[0,0]
	v_pk_add_f32 v[38:39], v[60:61], v[38:39]
	v_pk_mul_f32 v[96:97], v[76:77], v[52:53] op_sel:[1,1] op_sel_hi:[0,1]
	v_mov_b32_e32 v98, v55
	v_mov_b32_e32 v41, v43
	v_pk_fma_f32 v[42:43], v[74:75], v[50:51], v[44:45] neg_lo:[0,0,1] neg_hi:[0,0,1]
	v_pk_fma_f32 v[44:45], v[74:75], v[50:51], v[44:45] op_sel_hi:[1,0,1]
	v_pk_add_f32 v[38:39], v[38:39], v[90:91]
	v_pk_fma_f32 v[46:47], v[76:77], v[52:53], v[96:97] neg_lo:[0,0,1] neg_hi:[0,0,1]
	v_pk_fma_f32 v[48:49], v[76:77], v[52:53], v[96:97] op_sel_hi:[1,0,1]
	v_pk_mul_f32 v[52:53], v[78:79], v[98:99] op_sel:[1,0] op_sel_hi:[0,0]
	v_mov_b32_e32 v43, v45
	v_pk_add_f32 v[38:39], v[38:39], v[40:41]
	v_pk_mul_f32 v[100:101], v[80:81], v[56:57] op_sel:[1,1] op_sel_hi:[0,1]
	v_mov_b32_e32 v102, v59
	v_mov_b32_e32 v47, v49
	v_pk_fma_f32 v[48:49], v[78:79], v[54:55], v[52:53] neg_lo:[0,0,1] neg_hi:[0,0,1]
	v_pk_fma_f32 v[50:51], v[78:79], v[54:55], v[52:53] op_sel_hi:[1,0,1]
	v_pk_add_f32 v[38:39], v[38:39], v[42:43]
	v_pk_fma_f32 v[64:65], v[80:81], v[56:57], v[100:101] neg_lo:[0,0,1] neg_hi:[0,0,1]
	v_pk_fma_f32 v[56:57], v[80:81], v[56:57], v[100:101] op_sel_hi:[1,0,1]
	v_pk_mul_f32 v[66:67], v[82:83], v[102:103] op_sel:[1,0] op_sel_hi:[0,0]
	v_mov_b32_e32 v49, v51
	v_pk_add_f32 v[38:39], v[38:39], v[46:47]
	v_mov_b32_e32 v106, v63
	v_mov_b32_e32 v65, v57
	v_pk_fma_f32 v[52:53], v[82:83], v[58:59], v[66:67] neg_lo:[0,0,1] neg_hi:[0,0,1]
	v_pk_fma_f32 v[54:55], v[82:83], v[58:59], v[66:67] op_sel_hi:[1,0,1]
	v_pk_add_f32 v[38:39], v[38:39], v[48:49]
	v_pk_mul_f32 v[70:71], v[86:87], v[106:107] op_sel:[1,0] op_sel_hi:[0,0]
	v_mov_b32_e32 v53, v55
	v_pk_add_f32 v[38:39], v[38:39], v[64:65]
	v_pk_fma_f32 v[56:57], v[86:87], v[62:63], v[70:71] neg_lo:[0,0,1] neg_hi:[0,0,1]
	v_pk_fma_f32 v[58:59], v[86:87], v[62:63], v[70:71] op_sel_hi:[1,0,1]
	v_pk_add_f32 v[38:39], v[38:39], v[52:53]
	v_mov_b32_e32 v57, v59
	v_pk_add_f32 v[38:39], v[38:39], v[68:69]
	s_nop 0
	v_pk_add_f32 v[38:39], v[38:39], v[56:57]
	s_waitcnt vmcnt(0)
	v_pk_add_f32 v[38:39], v[88:89], v[38:39] neg_lo:[0,1] neg_hi:[0,1]
	scratch_store_dwordx2 off, v[38:39], off offset:40
	s_and_saveexec_b64 s[0:1], vcc
	s_cbranch_execz .LBB81_113
; %bb.112:
	scratch_load_dwordx2 v[38:39], off, off offset:32
	v_mov_b32_e32 v40, 0
	v_mov_b32_e32 v41, v40
	scratch_store_dwordx2 off, v[40:41], off offset:32
	s_waitcnt vmcnt(1)
	ds_write_b64 v1, v[38:39]
.LBB81_113:
	s_or_b64 exec, exec, s[0:1]
	s_waitcnt lgkmcnt(0)
	; wave barrier
	scratch_load_dwordx4 v[40:43], off, off offset:40
	scratch_load_dwordx4 v[44:47], off, off offset:56
	;; [unrolled: 1-line block ×6, first 2 shown]
	scratch_load_dwordx2 v[88:89], off, off offset:136
	scratch_load_dwordx2 v[90:91], off, off offset:32
	v_mov_b32_e32 v38, 0
	ds_read2_b64 v[64:67], v38 offset0:23 offset1:24
	ds_read2_b64 v[68:71], v38 offset0:25 offset1:26
	;; [unrolled: 1-line block ×6, first 2 shown]
	ds_read_b64 v[92:93], v38 offset:280
	v_cmp_lt_u32_e32 vcc, 3, v0
	s_waitcnt vmcnt(7) lgkmcnt(6)
	v_mul_f32_e32 v99, v66, v43
	v_mul_f32_e32 v39, v64, v41
	s_waitcnt vmcnt(5) lgkmcnt(4)
	v_mul_f32_e32 v97, v72, v49
	v_mul_f32_e32 v41, v65, v41
	v_mov_b32_e32 v98, v51
	s_waitcnt vmcnt(2) lgkmcnt(1)
	v_pk_mul_f32 v[108:109], v[84:85], v[60:61] op_sel:[1,1] op_sel_hi:[0,1]
	v_fmac_f32_e32 v99, v67, v42
	v_mul_f32_e32 v43, v67, v43
	v_mul_f32_e32 v49, v73, v49
	v_fmac_f32_e32 v39, v65, v40
	v_fmac_f32_e32 v97, v73, v48
	v_fma_f32 v73, v64, v40, -v41
	v_pk_mul_f32 v[40:41], v[74:75], v[98:99] op_sel:[1,0] op_sel_hi:[0,0]
	v_pk_fma_f32 v[64:65], v[84:85], v[60:61], v[108:109] neg_lo:[0,0,1] neg_hi:[0,0,1]
	v_pk_fma_f32 v[60:61], v[84:85], v[60:61], v[108:109] op_sel_hi:[1,0,1]
	v_mul_f32_e32 v103, v68, v45
	v_mul_f32_e32 v45, v69, v45
	v_fma_f32 v107, v66, v42, -v43
	v_fma_f32 v96, v72, v48, -v49
	v_add_f32_e32 v39, 0, v39
	v_add_f32_e32 v60, 0, v73
	v_pk_fma_f32 v[72:73], v[74:75], v[50:51], v[40:41] neg_lo:[0,0,1] neg_hi:[0,0,1]
	v_pk_fma_f32 v[40:41], v[74:75], v[50:51], v[40:41] op_sel_hi:[1,0,1]
	v_mul_f32_e32 v95, v70, v47
	v_mul_f32_e32 v47, v71, v47
	v_fmac_f32_e32 v103, v69, v44
	v_fma_f32 v111, v68, v44, -v45
	v_add_f32_e32 v39, v39, v99
	v_add_f32_e32 v40, v60, v107
	v_fmac_f32_e32 v95, v71, v46
	v_fma_f32 v94, v70, v46, -v47
	v_mov_b32_e32 v73, v41
	v_add_f32_e32 v41, v39, v103
	v_add_f32_e32 v40, v40, v111
	v_pk_mul_f32 v[100:101], v[76:77], v[52:53] op_sel:[1,1] op_sel_hi:[0,1]
	v_mov_b32_e32 v102, v55
	v_pk_add_f32 v[40:41], v[40:41], v[94:95]
	v_pk_fma_f32 v[42:43], v[76:77], v[52:53], v[100:101] neg_lo:[0,0,1] neg_hi:[0,0,1]
	v_pk_fma_f32 v[44:45], v[76:77], v[52:53], v[100:101] op_sel_hi:[1,0,1]
	v_pk_mul_f32 v[46:47], v[78:79], v[102:103] op_sel:[1,0] op_sel_hi:[0,0]
	v_pk_add_f32 v[40:41], v[40:41], v[96:97]
	v_pk_mul_f32 v[104:105], v[80:81], v[56:57] op_sel:[1,1] op_sel_hi:[0,1]
	v_mov_b32_e32 v106, v59
	v_mov_b32_e32 v43, v45
	v_pk_fma_f32 v[44:45], v[78:79], v[54:55], v[46:47] neg_lo:[0,0,1] neg_hi:[0,0,1]
	v_pk_fma_f32 v[46:47], v[78:79], v[54:55], v[46:47] op_sel_hi:[1,0,1]
	v_pk_add_f32 v[40:41], v[40:41], v[72:73]
	v_pk_fma_f32 v[48:49], v[80:81], v[56:57], v[104:105] neg_lo:[0,0,1] neg_hi:[0,0,1]
	v_pk_fma_f32 v[52:53], v[80:81], v[56:57], v[104:105] op_sel_hi:[1,0,1]
	v_pk_mul_f32 v[56:57], v[82:83], v[106:107] op_sel:[1,0] op_sel_hi:[0,0]
	v_mov_b32_e32 v45, v47
	v_pk_add_f32 v[40:41], v[40:41], v[42:43]
	v_mov_b32_e32 v110, v63
	v_mov_b32_e32 v49, v53
	v_pk_fma_f32 v[50:51], v[82:83], v[58:59], v[56:57] neg_lo:[0,0,1] neg_hi:[0,0,1]
	v_pk_fma_f32 v[52:53], v[82:83], v[58:59], v[56:57] op_sel_hi:[1,0,1]
	v_pk_add_f32 v[40:41], v[40:41], v[44:45]
	v_pk_mul_f32 v[66:67], v[86:87], v[110:111] op_sel:[1,0] op_sel_hi:[0,0]
	v_mov_b32_e32 v51, v53
	v_pk_add_f32 v[40:41], v[40:41], v[48:49]
	s_waitcnt vmcnt(1) lgkmcnt(0)
	v_pk_mul_f32 v[112:113], v[92:93], v[88:89] op_sel:[1,1] op_sel_hi:[0,1]
	v_mov_b32_e32 v65, v61
	v_pk_fma_f32 v[54:55], v[86:87], v[62:63], v[66:67] neg_lo:[0,0,1] neg_hi:[0,0,1]
	v_pk_fma_f32 v[56:57], v[86:87], v[62:63], v[66:67] op_sel_hi:[1,0,1]
	v_pk_add_f32 v[40:41], v[40:41], v[50:51]
	v_pk_fma_f32 v[68:69], v[92:93], v[88:89], v[112:113] neg_lo:[0,0,1] neg_hi:[0,0,1]
	v_pk_fma_f32 v[70:71], v[92:93], v[88:89], v[112:113] op_sel_hi:[1,0,1]
	v_mov_b32_e32 v55, v57
	v_pk_add_f32 v[40:41], v[40:41], v[64:65]
	v_mov_b32_e32 v69, v71
	v_pk_add_f32 v[40:41], v[40:41], v[54:55]
	s_nop 0
	v_pk_add_f32 v[40:41], v[40:41], v[68:69]
	s_waitcnt vmcnt(0)
	v_pk_add_f32 v[40:41], v[90:91], v[40:41] neg_lo:[0,1] neg_hi:[0,1]
	scratch_store_dwordx2 off, v[40:41], off offset:32
	s_and_saveexec_b64 s[0:1], vcc
	s_cbranch_execz .LBB81_115
; %bb.114:
	scratch_load_dwordx2 v[40:41], off, off offset:24
	v_mov_b32_e32 v39, v38
	scratch_store_dwordx2 off, v[38:39], off offset:24
	s_waitcnt vmcnt(1)
	ds_write_b64 v1, v[40:41]
.LBB81_115:
	s_or_b64 exec, exec, s[0:1]
	s_waitcnt lgkmcnt(0)
	; wave barrier
	scratch_load_dwordx4 v[40:43], off, off offset:32
	scratch_load_dwordx4 v[44:47], off, off offset:48
	;; [unrolled: 1-line block ×7, first 2 shown]
	ds_read_b128 v[68:71], v38 offset:176
	ds_read_b128 v[72:75], v38 offset:192
	;; [unrolled: 1-line block ×6, first 2 shown]
	scratch_load_dwordx2 v[96:97], off, off offset:24
	ds_read_b128 v[92:95], v38 offset:272
	v_cmp_lt_u32_e32 vcc, 2, v0
	s_waitcnt vmcnt(7) lgkmcnt(6)
	v_mul_f32_e32 v103, v68, v41
	v_mul_f32_e32 v107, v70, v43
	s_waitcnt vmcnt(6) lgkmcnt(5)
	v_mul_f32_e32 v111, v72, v45
	v_mul_f32_e32 v115, v74, v47
	;; [unrolled: 3-line block ×3, first 2 shown]
	v_mul_f32_e32 v38, v69, v41
	v_mul_f32_e32 v41, v71, v43
	;; [unrolled: 1-line block ×6, first 2 shown]
	s_waitcnt vmcnt(4) lgkmcnt(3)
	v_pk_mul_f32 v[100:101], v[80:81], v[52:53] op_sel:[1,1] op_sel_hi:[0,1]
	v_mov_b32_e32 v102, v55
	s_waitcnt vmcnt(3) lgkmcnt(2)
	v_pk_mul_f32 v[104:105], v[84:85], v[56:57] op_sel:[1,1] op_sel_hi:[0,1]
	v_mov_b32_e32 v106, v59
	s_waitcnt vmcnt(1) lgkmcnt(0)
	v_pk_mul_f32 v[112:113], v[92:93], v[64:65] op_sel:[1,1] op_sel_hi:[0,1]
	v_fmac_f32_e32 v103, v69, v40
	v_fmac_f32_e32 v107, v71, v42
	;; [unrolled: 1-line block ×6, first 2 shown]
	v_fma_f32 v73, v68, v40, -v38
	v_fma_f32 v75, v70, v42, -v41
	;; [unrolled: 1-line block ×6, first 2 shown]
	v_pk_fma_f32 v[40:41], v[80:81], v[52:53], v[100:101] neg_lo:[0,0,1] neg_hi:[0,0,1]
	v_pk_fma_f32 v[42:43], v[80:81], v[52:53], v[100:101] op_sel_hi:[1,0,1]
	v_pk_mul_f32 v[44:45], v[82:83], v[102:103] op_sel:[1,0] op_sel_hi:[0,0]
	v_pk_fma_f32 v[46:47], v[84:85], v[56:57], v[104:105] neg_lo:[0,0,1] neg_hi:[0,0,1]
	v_pk_fma_f32 v[48:49], v[84:85], v[56:57], v[104:105] op_sel_hi:[1,0,1]
	v_pk_mul_f32 v[50:51], v[86:87], v[106:107] op_sel:[1,0] op_sel_hi:[0,0]
	v_pk_fma_f32 v[68:69], v[92:93], v[64:65], v[112:113] neg_lo:[0,0,1] neg_hi:[0,0,1]
	v_pk_fma_f32 v[64:65], v[92:93], v[64:65], v[112:113] op_sel_hi:[1,0,1]
	v_add_f32_e32 v73, 0, v73
	v_add_f32_e32 v64, 0, v103
	v_mov_b32_e32 v41, v43
	v_pk_fma_f32 v[42:43], v[82:83], v[54:55], v[44:45] neg_lo:[0,0,1] neg_hi:[0,0,1]
	v_pk_fma_f32 v[44:45], v[82:83], v[54:55], v[44:45] op_sel_hi:[1,0,1]
	v_mov_b32_e32 v47, v49
	v_pk_fma_f32 v[48:49], v[86:87], v[58:59], v[50:51] neg_lo:[0,0,1] neg_hi:[0,0,1]
	v_pk_fma_f32 v[50:51], v[86:87], v[58:59], v[50:51] op_sel_hi:[1,0,1]
	v_add_f32_e32 v44, v64, v107
	v_add_f32_e32 v50, v73, v75
	;; [unrolled: 1-line block ×4, first 2 shown]
	v_mov_b32_e32 v43, v45
	v_add_f32_e32 v45, v44, v115
	v_add_f32_e32 v44, v50, v74
	v_pk_add_f32 v[38:39], v[44:45], v[38:39]
	v_pk_mul_f32 v[108:109], v[88:89], v[60:61] op_sel:[1,1] op_sel_hi:[0,1]
	v_pk_add_f32 v[38:39], v[38:39], v[98:99]
	v_mov_b32_e32 v110, v63
	v_pk_add_f32 v[38:39], v[38:39], v[40:41]
	v_pk_fma_f32 v[52:53], v[88:89], v[60:61], v[108:109] neg_lo:[0,0,1] neg_hi:[0,0,1]
	v_pk_add_f32 v[38:39], v[38:39], v[42:43]
	v_pk_fma_f32 v[56:57], v[88:89], v[60:61], v[108:109] op_sel_hi:[1,0,1]
	v_pk_mul_f32 v[60:61], v[90:91], v[110:111] op_sel:[1,0] op_sel_hi:[0,0]
	v_mov_b32_e32 v49, v51
	v_pk_add_f32 v[38:39], v[38:39], v[46:47]
	v_mov_b32_e32 v114, v67
	v_mov_b32_e32 v53, v57
	v_pk_fma_f32 v[54:55], v[90:91], v[62:63], v[60:61] neg_lo:[0,0,1] neg_hi:[0,0,1]
	v_pk_fma_f32 v[56:57], v[90:91], v[62:63], v[60:61] op_sel_hi:[1,0,1]
	v_pk_add_f32 v[38:39], v[38:39], v[48:49]
	v_pk_mul_f32 v[70:71], v[94:95], v[114:115] op_sel:[1,0] op_sel_hi:[0,0]
	v_mov_b32_e32 v55, v57
	v_pk_add_f32 v[38:39], v[38:39], v[52:53]
	v_mov_b32_e32 v69, v65
	v_pk_fma_f32 v[58:59], v[94:95], v[66:67], v[70:71] neg_lo:[0,0,1] neg_hi:[0,0,1]
	v_pk_fma_f32 v[60:61], v[94:95], v[66:67], v[70:71] op_sel_hi:[1,0,1]
	v_pk_add_f32 v[38:39], v[38:39], v[54:55]
	v_mov_b32_e32 v59, v61
	v_pk_add_f32 v[38:39], v[38:39], v[68:69]
	s_nop 0
	v_pk_add_f32 v[38:39], v[38:39], v[58:59]
	s_waitcnt vmcnt(0)
	v_pk_add_f32 v[38:39], v[96:97], v[38:39] neg_lo:[0,1] neg_hi:[0,1]
	scratch_store_dwordx2 off, v[38:39], off offset:24
	s_and_saveexec_b64 s[0:1], vcc
	s_cbranch_execz .LBB81_117
; %bb.116:
	scratch_load_dwordx2 v[38:39], off, off offset:16
	v_mov_b32_e32 v40, 0
	v_mov_b32_e32 v41, v40
	scratch_store_dwordx2 off, v[40:41], off offset:16
	s_waitcnt vmcnt(1)
	ds_write_b64 v1, v[38:39]
.LBB81_117:
	s_or_b64 exec, exec, s[0:1]
	s_waitcnt lgkmcnt(0)
	; wave barrier
	scratch_load_dwordx4 v[40:43], off, off offset:24
	scratch_load_dwordx4 v[44:47], off, off offset:40
	;; [unrolled: 1-line block ×7, first 2 shown]
	scratch_load_dwordx2 v[96:97], off, off offset:136
	scratch_load_dwordx2 v[98:99], off, off offset:16
	v_mov_b32_e32 v38, 0
	ds_read2_b64 v[68:71], v38 offset0:21 offset1:22
	ds_read2_b64 v[72:75], v38 offset0:23 offset1:24
	;; [unrolled: 1-line block ×7, first 2 shown]
	ds_read_b64 v[100:101], v38 offset:280
	v_cmp_lt_u32_e32 vcc, 1, v0
	s_waitcnt vmcnt(8) lgkmcnt(7)
	v_mul_f32_e32 v107, v70, v43
	v_mul_f32_e32 v39, v68, v41
	s_waitcnt vmcnt(7) lgkmcnt(6)
	v_mul_f32_e32 v111, v72, v45
	s_waitcnt vmcnt(6) lgkmcnt(5)
	v_mul_f32_e32 v119, v76, v49
	v_mul_f32_e32 v103, v78, v51
	;; [unrolled: 1-line block ×5, first 2 shown]
	s_waitcnt vmcnt(5)
	v_mov_b32_e32 v106, v55
	s_waitcnt vmcnt(3) lgkmcnt(2)
	v_pk_mul_f32 v[112:113], v[88:89], v[60:61] op_sel:[1,1] op_sel_hi:[0,1]
	s_waitcnt vmcnt(2) lgkmcnt(1)
	v_pk_mul_f32 v[116:117], v[92:93], v[64:65] op_sel:[1,1] op_sel_hi:[0,1]
	v_fmac_f32_e32 v107, v71, v42
	v_mul_f32_e32 v43, v71, v43
	v_mul_f32_e32 v45, v73, v45
	v_fmac_f32_e32 v39, v69, v40
	v_fmac_f32_e32 v111, v73, v44
	v_fmac_f32_e32 v119, v77, v48
	v_fmac_f32_e32 v103, v79, v50
	v_fma_f32 v68, v68, v40, -v41
	v_fma_f32 v73, v76, v48, -v49
	;; [unrolled: 1-line block ×3, first 2 shown]
	v_pk_mul_f32 v[40:41], v[82:83], v[106:107] op_sel:[1,0] op_sel_hi:[0,0]
	v_pk_fma_f32 v[48:49], v[88:89], v[60:61], v[112:113] neg_lo:[0,0,1] neg_hi:[0,0,1]
	v_pk_fma_f32 v[50:51], v[88:89], v[60:61], v[112:113] op_sel_hi:[1,0,1]
	v_pk_fma_f32 v[60:61], v[92:93], v[64:65], v[116:117] op_sel_hi:[1,0,1]
	v_fma_f32 v70, v70, v42, -v43
	v_add_f32_e32 v39, 0, v39
	v_add_f32_e32 v60, 0, v68
	v_pk_fma_f32 v[68:69], v[82:83], v[54:55], v[40:41] neg_lo:[0,0,1] neg_hi:[0,0,1]
	v_pk_fma_f32 v[40:41], v[82:83], v[54:55], v[40:41] op_sel_hi:[1,0,1]
	v_mul_f32_e32 v115, v74, v47
	v_mul_f32_e32 v47, v75, v47
	v_fma_f32 v71, v72, v44, -v45
	v_add_f32_e32 v39, v39, v107
	v_add_f32_e32 v40, v60, v70
	v_fmac_f32_e32 v115, v75, v46
	v_fma_f32 v72, v74, v46, -v47
	v_add_f32_e32 v39, v39, v111
	v_add_f32_e32 v40, v40, v71
	;; [unrolled: 1-line block ×4, first 2 shown]
	v_mul_f32_e32 v105, v80, v53
	v_mul_f32_e32 v53, v81, v53
	v_mov_b32_e32 v69, v41
	v_add_f32_e32 v41, v39, v119
	v_add_f32_e32 v40, v40, v73
	v_pk_mul_f32 v[108:109], v[84:85], v[56:57] op_sel:[1,1] op_sel_hi:[0,1]
	v_mov_b32_e32 v110, v59
	v_fmac_f32_e32 v105, v81, v52
	v_fma_f32 v104, v80, v52, -v53
	v_pk_add_f32 v[40:41], v[40:41], v[102:103]
	v_pk_fma_f32 v[42:43], v[84:85], v[56:57], v[108:109] neg_lo:[0,0,1] neg_hi:[0,0,1]
	v_pk_fma_f32 v[44:45], v[84:85], v[56:57], v[108:109] op_sel_hi:[1,0,1]
	v_pk_mul_f32 v[46:47], v[86:87], v[110:111] op_sel:[1,0] op_sel_hi:[0,0]
	v_pk_add_f32 v[40:41], v[40:41], v[104:105]
	v_mov_b32_e32 v114, v63
	v_mov_b32_e32 v43, v45
	v_pk_fma_f32 v[44:45], v[86:87], v[58:59], v[46:47] neg_lo:[0,0,1] neg_hi:[0,0,1]
	v_pk_fma_f32 v[46:47], v[86:87], v[58:59], v[46:47] op_sel_hi:[1,0,1]
	v_pk_add_f32 v[40:41], v[40:41], v[68:69]
	v_pk_mul_f32 v[52:53], v[90:91], v[114:115] op_sel:[1,0] op_sel_hi:[0,0]
	v_mov_b32_e32 v45, v47
	v_pk_add_f32 v[40:41], v[40:41], v[42:43]
	v_mov_b32_e32 v118, v67
	v_mov_b32_e32 v49, v51
	v_pk_fma_f32 v[50:51], v[90:91], v[62:63], v[52:53] neg_lo:[0,0,1] neg_hi:[0,0,1]
	v_pk_fma_f32 v[52:53], v[90:91], v[62:63], v[52:53] op_sel_hi:[1,0,1]
	v_pk_add_f32 v[40:41], v[40:41], v[44:45]
	v_pk_fma_f32 v[56:57], v[92:93], v[64:65], v[116:117] neg_lo:[0,0,1] neg_hi:[0,0,1]
	v_pk_mul_f32 v[64:65], v[94:95], v[118:119] op_sel:[1,0] op_sel_hi:[0,0]
	v_mov_b32_e32 v51, v53
	v_pk_add_f32 v[40:41], v[40:41], v[48:49]
	v_mov_b32_e32 v57, v61
	v_pk_add_f32 v[40:41], v[40:41], v[50:51]
	v_pk_fma_f32 v[42:43], v[94:95], v[66:67], v[64:65] neg_lo:[0,0,1] neg_hi:[0,0,1]
	v_pk_fma_f32 v[44:45], v[94:95], v[66:67], v[64:65] op_sel_hi:[1,0,1]
	v_pk_add_f32 v[40:41], v[40:41], v[56:57]
	v_mov_b32_e32 v43, v45
	v_pk_add_f32 v[40:41], v[40:41], v[42:43]
	s_waitcnt vmcnt(1) lgkmcnt(0)
	v_pk_mul_f32 v[42:43], v[100:101], v[96:97] op_sel:[1,1] op_sel_hi:[0,1]
	v_pk_fma_f32 v[44:45], v[100:101], v[96:97], v[42:43] neg_lo:[0,0,1] neg_hi:[0,0,1]
	v_pk_fma_f32 v[42:43], v[100:101], v[96:97], v[42:43] op_sel_hi:[1,0,1]
	s_nop 0
	v_mov_b32_e32 v45, v43
	v_pk_add_f32 v[40:41], v[40:41], v[44:45]
	s_waitcnt vmcnt(0)
	v_pk_add_f32 v[40:41], v[98:99], v[40:41] neg_lo:[0,1] neg_hi:[0,1]
	scratch_store_dwordx2 off, v[40:41], off offset:16
	s_and_saveexec_b64 s[0:1], vcc
	s_cbranch_execz .LBB81_119
; %bb.118:
	scratch_load_dwordx2 v[40:41], off, off offset:8
	v_mov_b32_e32 v39, v38
	scratch_store_dwordx2 off, v[38:39], off offset:8
	s_waitcnt vmcnt(1)
	ds_write_b64 v1, v[40:41]
.LBB81_119:
	s_or_b64 exec, exec, s[0:1]
	s_waitcnt lgkmcnt(0)
	; wave barrier
	scratch_load_dwordx4 v[40:43], off, off offset:16
	scratch_load_dwordx4 v[44:47], off, off offset:32
	;; [unrolled: 1-line block ×7, first 2 shown]
	ds_read_b128 v[68:71], v38 offset:160
	ds_read_b128 v[72:75], v38 offset:176
	;; [unrolled: 1-line block ×4, first 2 shown]
	scratch_load_dwordx4 v[84:87], off, off offset:128
	ds_read_b128 v[88:91], v38 offset:224
	ds_read_b128 v[92:95], v38 offset:240
	;; [unrolled: 1-line block ×4, first 2 shown]
	scratch_load_dwordx2 v[38:39], off, off offset:8
	v_cmp_ne_u32_e32 vcc, 0, v0
	s_waitcnt vmcnt(8) lgkmcnt(7)
	v_mul_f32_e32 v111, v68, v41
	v_mul_f32_e32 v115, v70, v43
	s_waitcnt vmcnt(7) lgkmcnt(6)
	v_mul_f32_e32 v119, v72, v45
	v_mul_f32_e32 v120, v74, v47
	;; [unrolled: 3-line block ×3, first 2 shown]
	v_mul_f32_e32 v41, v69, v41
	v_mul_f32_e32 v43, v71, v43
	;; [unrolled: 1-line block ×6, first 2 shown]
	s_waitcnt vmcnt(4) lgkmcnt(3)
	v_pk_mul_f32 v[108:109], v[88:89], v[56:57] op_sel:[1,1] op_sel_hi:[0,1]
	v_mov_b32_e32 v110, v59
	s_waitcnt vmcnt(3) lgkmcnt(2)
	v_pk_mul_f32 v[112:113], v[92:93], v[60:61] op_sel:[1,1] op_sel_hi:[0,1]
	v_mov_b32_e32 v114, v63
	v_fmac_f32_e32 v111, v69, v40
	v_fmac_f32_e32 v115, v71, v42
	;; [unrolled: 1-line block ×6, first 2 shown]
	v_fma_f32 v68, v68, v40, -v41
	v_fma_f32 v69, v70, v42, -v43
	v_fma_f32 v70, v72, v44, -v45
	v_fma_f32 v71, v74, v46, -v47
	v_fma_f32 v72, v76, v48, -v49
	v_fma_f32 v73, v78, v50, -v51
	v_pk_fma_f32 v[40:41], v[88:89], v[56:57], v[108:109] neg_lo:[0,0,1] neg_hi:[0,0,1]
	v_pk_fma_f32 v[42:43], v[88:89], v[56:57], v[108:109] op_sel_hi:[1,0,1]
	v_pk_mul_f32 v[44:45], v[90:91], v[110:111] op_sel:[1,0] op_sel_hi:[0,0]
	v_pk_fma_f32 v[46:47], v[92:93], v[60:61], v[112:113] neg_lo:[0,0,1] neg_hi:[0,0,1]
	v_pk_fma_f32 v[48:49], v[92:93], v[60:61], v[112:113] op_sel_hi:[1,0,1]
	v_pk_mul_f32 v[50:51], v[94:95], v[114:115] op_sel:[1,0] op_sel_hi:[0,0]
	v_add_f32_e32 v60, 0, v111
	v_add_f32_e32 v61, 0, v68
	v_mov_b32_e32 v41, v43
	v_pk_fma_f32 v[42:43], v[90:91], v[58:59], v[44:45] neg_lo:[0,0,1] neg_hi:[0,0,1]
	v_pk_fma_f32 v[44:45], v[90:91], v[58:59], v[44:45] op_sel_hi:[1,0,1]
	v_mov_b32_e32 v47, v49
	v_pk_fma_f32 v[48:49], v[94:95], v[62:63], v[50:51] neg_lo:[0,0,1] neg_hi:[0,0,1]
	v_pk_fma_f32 v[50:51], v[94:95], v[62:63], v[50:51] op_sel_hi:[1,0,1]
	v_add_f32_e32 v44, v60, v115
	v_add_f32_e32 v50, v61, v69
	v_mov_b32_e32 v43, v45
	v_add_f32_e32 v44, v44, v119
	v_add_f32_e32 v45, v50, v70
	;; [unrolled: 1-line block ×4, first 2 shown]
	v_mul_f32_e32 v105, v80, v53
	v_mul_f32_e32 v53, v81, v53
	v_add_f32_e32 v44, v44, v121
	v_add_f32_e32 v50, v45, v72
	v_mul_f32_e32 v107, v82, v55
	v_mul_f32_e32 v55, v83, v55
	v_fmac_f32_e32 v105, v81, v52
	v_fma_f32 v104, v80, v52, -v53
	v_add_f32_e32 v45, v44, v122
	v_add_f32_e32 v44, v50, v73
	v_fmac_f32_e32 v107, v83, v54
	v_fma_f32 v106, v82, v54, -v55
	v_pk_add_f32 v[44:45], v[44:45], v[104:105]
	s_waitcnt vmcnt(2) lgkmcnt(1)
	v_pk_mul_f32 v[116:117], v[96:97], v[64:65] op_sel:[1,1] op_sel_hi:[0,1]
	v_mov_b32_e32 v118, v67
	v_pk_add_f32 v[44:45], v[44:45], v[106:107]
	v_pk_fma_f32 v[52:53], v[96:97], v[64:65], v[116:117] neg_lo:[0,0,1] neg_hi:[0,0,1]
	v_pk_fma_f32 v[54:55], v[96:97], v[64:65], v[116:117] op_sel_hi:[1,0,1]
	v_pk_mul_f32 v[56:57], v[98:99], v[118:119] op_sel:[1,0] op_sel_hi:[0,0]
	v_pk_add_f32 v[40:41], v[44:45], v[40:41]
	v_mov_b32_e32 v53, v55
	v_pk_fma_f32 v[54:55], v[98:99], v[66:67], v[56:57] neg_lo:[0,0,1] neg_hi:[0,0,1]
	v_pk_add_f32 v[40:41], v[40:41], v[42:43]
	v_pk_fma_f32 v[42:43], v[98:99], v[66:67], v[56:57] op_sel_hi:[1,0,1]
	v_mov_b32_e32 v49, v51
	v_pk_add_f32 v[40:41], v[40:41], v[46:47]
	v_mov_b32_e32 v55, v43
	s_waitcnt vmcnt(1) lgkmcnt(0)
	v_pk_mul_f32 v[42:43], v[100:101], v[84:85] op_sel:[1,1] op_sel_hi:[0,1]
	v_pk_add_f32 v[40:41], v[40:41], v[48:49]
	v_pk_fma_f32 v[44:45], v[100:101], v[84:85], v[42:43] neg_lo:[0,0,1] neg_hi:[0,0,1]
	v_pk_fma_f32 v[42:43], v[100:101], v[84:85], v[42:43] op_sel_hi:[1,0,1]
	v_pk_add_f32 v[40:41], v[40:41], v[52:53]
	v_mov_b32_e32 v42, v87
	v_pk_add_f32 v[40:41], v[40:41], v[54:55]
	v_mov_b32_e32 v45, v43
	v_pk_mul_f32 v[42:43], v[102:103], v[42:43] op_sel:[1,0] op_sel_hi:[0,0]
	v_pk_add_f32 v[40:41], v[40:41], v[44:45]
	v_pk_fma_f32 v[44:45], v[102:103], v[86:87], v[42:43] neg_lo:[0,0,1] neg_hi:[0,0,1]
	v_pk_fma_f32 v[42:43], v[102:103], v[86:87], v[42:43] op_sel_hi:[1,0,1]
	s_nop 0
	v_mov_b32_e32 v45, v43
	v_pk_add_f32 v[40:41], v[40:41], v[44:45]
	s_waitcnt vmcnt(0)
	v_pk_add_f32 v[38:39], v[38:39], v[40:41] neg_lo:[0,1] neg_hi:[0,1]
	scratch_store_dwordx2 off, v[38:39], off offset:8
	s_and_saveexec_b64 s[0:1], vcc
	s_cbranch_execz .LBB81_121
; %bb.120:
	scratch_load_dwordx2 v[38:39], off, off
	v_mov_b32_e32 v40, 0
	v_mov_b32_e32 v41, v40
	scratch_store_dwordx2 off, v[40:41], off
	s_waitcnt vmcnt(1)
	ds_write_b64 v1, v[38:39]
.LBB81_121:
	s_or_b64 exec, exec, s[0:1]
	s_waitcnt lgkmcnt(0)
	; wave barrier
	scratch_load_dwordx4 v[40:43], off, off offset:8
	scratch_load_dwordx4 v[44:47], off, off offset:24
	;; [unrolled: 1-line block ×8, first 2 shown]
	scratch_load_dwordx2 v[0:1], off, off offset:136
	scratch_load_dwordx2 v[104:105], off, off
	v_mov_b32_e32 v38, 0
	ds_read2_b64 v[72:75], v38 offset0:19 offset1:20
	ds_read2_b64 v[76:79], v38 offset0:21 offset1:22
	;; [unrolled: 1-line block ×8, first 2 shown]
	ds_read_b64 v[106:107], v38 offset:280
	s_and_b64 vcc, exec, s[10:11]
	s_waitcnt vmcnt(9) lgkmcnt(8)
	v_mul_f32_e32 v113, v74, v43
	v_mul_f32_e32 v39, v72, v41
	s_waitcnt vmcnt(8) lgkmcnt(7)
	v_mul_f32_e32 v117, v76, v45
	s_waitcnt vmcnt(7) lgkmcnt(6)
	v_mul_f32_e32 v121, v80, v49
	v_mul_f32_e32 v41, v73, v41
	;; [unrolled: 1-line block ×5, first 2 shown]
	s_waitcnt vmcnt(5)
	v_mov_b32_e32 v112, v59
	s_waitcnt vmcnt(3) lgkmcnt(2)
	v_pk_mul_f32 v[118:119], v[96:97], v[64:65] op_sel:[1,1] op_sel_hi:[0,1]
	v_fmac_f32_e32 v113, v75, v42
	v_mul_f32_e32 v120, v78, v47
	v_mul_f32_e32 v123, v84, v53
	;; [unrolled: 1-line block ×4, first 2 shown]
	v_fmac_f32_e32 v39, v73, v40
	v_fmac_f32_e32 v121, v81, v48
	v_fma_f32 v72, v72, v40, -v41
	v_fma_f32 v73, v74, v42, -v43
	;; [unrolled: 1-line block ×4, first 2 shown]
	v_pk_mul_f32 v[40:41], v[90:91], v[112:113] op_sel:[1,0] op_sel_hi:[0,0]
	v_pk_fma_f32 v[48:49], v[96:97], v[64:65], v[118:119] neg_lo:[0,0,1] neg_hi:[0,0,1]
	v_fmac_f32_e32 v123, v85, v52
	v_fma_f32 v75, v78, v46, -v47
	v_fma_f32 v78, v84, v52, -v53
	v_add_f32_e32 v39, 0, v39
	v_add_f32_e32 v49, 0, v72
	v_pk_fma_f32 v[52:53], v[90:91], v[58:59], v[40:41] neg_lo:[0,0,1] neg_hi:[0,0,1]
	v_pk_fma_f32 v[40:41], v[90:91], v[58:59], v[40:41] op_sel_hi:[1,0,1]
	v_fmac_f32_e32 v117, v77, v44
	v_add_f32_e32 v39, v39, v113
	v_add_f32_e32 v40, v49, v73
	v_fmac_f32_e32 v120, v79, v46
	v_add_f32_e32 v39, v39, v117
	v_add_f32_e32 v40, v40, v74
	v_mul_f32_e32 v122, v82, v51
	v_mul_f32_e32 v51, v83, v51
	v_add_f32_e32 v39, v39, v120
	v_add_f32_e32 v40, v40, v75
	v_fmac_f32_e32 v122, v83, v50
	v_fma_f32 v77, v82, v50, -v51
	v_add_f32_e32 v39, v39, v121
	v_add_f32_e32 v40, v40, v76
	v_mul_f32_e32 v109, v86, v55
	v_mul_f32_e32 v55, v87, v55
	v_add_f32_e32 v39, v39, v122
	v_add_f32_e32 v40, v40, v77
	v_mul_f32_e32 v111, v88, v57
	v_mul_f32_e32 v57, v89, v57
	v_fmac_f32_e32 v109, v87, v54
	v_fma_f32 v108, v86, v54, -v55
	v_mov_b32_e32 v53, v41
	v_add_f32_e32 v41, v39, v123
	v_add_f32_e32 v40, v40, v78
	v_pk_mul_f32 v[114:115], v[92:93], v[60:61] op_sel:[1,1] op_sel_hi:[0,1]
	v_fmac_f32_e32 v111, v89, v56
	v_fma_f32 v110, v88, v56, -v57
	v_pk_add_f32 v[40:41], v[40:41], v[108:109]
	v_mov_b32_e32 v116, v63
	v_pk_fma_f32 v[42:43], v[92:93], v[60:61], v[114:115] neg_lo:[0,0,1] neg_hi:[0,0,1]
	v_pk_fma_f32 v[44:45], v[92:93], v[60:61], v[114:115] op_sel_hi:[1,0,1]
	v_pk_add_f32 v[40:41], v[40:41], v[110:111]
	v_pk_mul_f32 v[46:47], v[94:95], v[116:117] op_sel:[1,0] op_sel_hi:[0,0]
	v_mov_b32_e32 v43, v45
	v_pk_add_f32 v[40:41], v[40:41], v[52:53]
	v_pk_fma_f32 v[44:45], v[94:95], v[62:63], v[46:47] neg_lo:[0,0,1] neg_hi:[0,0,1]
	v_pk_fma_f32 v[46:47], v[94:95], v[62:63], v[46:47] op_sel_hi:[1,0,1]
	v_pk_add_f32 v[40:41], v[40:41], v[42:43]
	v_mov_b32_e32 v42, v67
	v_pk_fma_f32 v[50:51], v[96:97], v[64:65], v[118:119] op_sel_hi:[1,0,1]
	v_mov_b32_e32 v45, v47
	v_pk_mul_f32 v[42:43], v[98:99], v[42:43] op_sel:[1,0] op_sel_hi:[0,0]
	v_pk_add_f32 v[40:41], v[40:41], v[44:45]
	v_mov_b32_e32 v49, v51
	v_pk_fma_f32 v[44:45], v[98:99], v[66:67], v[42:43] neg_lo:[0,0,1] neg_hi:[0,0,1]
	v_pk_fma_f32 v[42:43], v[98:99], v[66:67], v[42:43] op_sel_hi:[1,0,1]
	v_pk_add_f32 v[40:41], v[40:41], v[48:49]
	v_mov_b32_e32 v45, v43
	s_waitcnt vmcnt(2) lgkmcnt(1)
	v_pk_mul_f32 v[42:43], v[100:101], v[68:69] op_sel:[1,1] op_sel_hi:[0,1]
	v_pk_add_f32 v[40:41], v[40:41], v[44:45]
	v_pk_fma_f32 v[44:45], v[100:101], v[68:69], v[42:43] neg_lo:[0,0,1] neg_hi:[0,0,1]
	v_pk_fma_f32 v[42:43], v[100:101], v[68:69], v[42:43] op_sel_hi:[1,0,1]
	s_nop 0
	v_mov_b32_e32 v42, v71
	v_mov_b32_e32 v45, v43
	v_pk_mul_f32 v[42:43], v[102:103], v[42:43] op_sel:[1,0] op_sel_hi:[0,0]
	v_pk_add_f32 v[40:41], v[40:41], v[44:45]
	v_pk_fma_f32 v[44:45], v[102:103], v[70:71], v[42:43] neg_lo:[0,0,1] neg_hi:[0,0,1]
	v_pk_fma_f32 v[42:43], v[102:103], v[70:71], v[42:43] op_sel_hi:[1,0,1]
	s_nop 0
	v_mov_b32_e32 v45, v43
	s_waitcnt vmcnt(1) lgkmcnt(0)
	v_pk_mul_f32 v[42:43], v[106:107], v[0:1] op_sel:[1,1] op_sel_hi:[0,1]
	v_pk_add_f32 v[40:41], v[40:41], v[44:45]
	v_pk_fma_f32 v[44:45], v[106:107], v[0:1], v[42:43] neg_lo:[0,0,1] neg_hi:[0,0,1]
	v_pk_fma_f32 v[0:1], v[106:107], v[0:1], v[42:43] op_sel_hi:[1,0,1]
	s_nop 0
	v_mov_b32_e32 v45, v1
	v_pk_add_f32 v[0:1], v[40:41], v[44:45]
	s_waitcnt vmcnt(0)
	v_pk_add_f32 v[0:1], v[104:105], v[0:1] neg_lo:[0,1] neg_hi:[0,1]
	scratch_store_dwordx2 off, v[0:1], off
	s_cbranch_vccz .LBB81_156
; %bb.122:
	global_load_dword v0, v38, s[8:9] offset:64
	s_waitcnt vmcnt(0)
	v_readfirstlane_b32 s0, v0
	s_add_i32 s0, s0, -1
	s_cmp_lg_u32 s0, 16
	s_cbranch_scc0 .LBB81_124
; %bb.123:
	s_lshl_b32 s0, s0, 3
	s_nop 0
	scratch_load_dwordx2 v[0:1], off, s0
	scratch_load_dwordx2 v[38:39], off, off offset:128
	s_waitcnt vmcnt(1)
	scratch_store_dwordx2 off, v[0:1], off offset:128
	s_waitcnt vmcnt(1)
	scratch_store_dwordx2 off, v[38:39], s0
.LBB81_124:
	v_mov_b32_e32 v0, 0
	global_load_dword v1, v0, s[8:9] offset:60
	s_waitcnt vmcnt(0)
	v_readfirstlane_b32 s0, v1
	s_add_i32 s0, s0, -1
	s_cmp_eq_u32 s0, 15
	s_cbranch_scc1 .LBB81_126
; %bb.125:
	s_lshl_b32 s0, s0, 3
	s_nop 0
	scratch_load_dwordx2 v[38:39], off, s0
	scratch_load_dwordx2 v[40:41], off, off offset:120
	s_waitcnt vmcnt(1)
	scratch_store_dwordx2 off, v[38:39], off offset:120
	s_waitcnt vmcnt(1)
	scratch_store_dwordx2 off, v[40:41], s0
.LBB81_126:
	global_load_dword v0, v0, s[8:9] offset:56
	s_waitcnt vmcnt(0)
	v_readfirstlane_b32 s0, v0
	s_add_i32 s0, s0, -1
	s_cmp_eq_u32 s0, 14
	s_cbranch_scc1 .LBB81_128
; %bb.127:
	s_lshl_b32 s0, s0, 3
	s_nop 0
	scratch_load_dwordx2 v[0:1], off, s0
	scratch_load_dwordx2 v[38:39], off, off offset:112
	s_waitcnt vmcnt(1)
	scratch_store_dwordx2 off, v[0:1], off offset:112
	s_waitcnt vmcnt(1)
	scratch_store_dwordx2 off, v[38:39], s0
.LBB81_128:
	v_mov_b32_e32 v0, 0
	global_load_dword v1, v0, s[8:9] offset:52
	s_waitcnt vmcnt(0)
	v_readfirstlane_b32 s0, v1
	s_add_i32 s0, s0, -1
	s_cmp_eq_u32 s0, 13
	s_cbranch_scc1 .LBB81_130
; %bb.129:
	s_lshl_b32 s0, s0, 3
	s_nop 0
	scratch_load_dwordx2 v[38:39], off, s0
	scratch_load_dwordx2 v[40:41], off, off offset:104
	s_waitcnt vmcnt(1)
	scratch_store_dwordx2 off, v[38:39], off offset:104
	s_waitcnt vmcnt(1)
	scratch_store_dwordx2 off, v[40:41], s0
.LBB81_130:
	global_load_dword v0, v0, s[8:9] offset:48
	s_waitcnt vmcnt(0)
	v_readfirstlane_b32 s0, v0
	s_add_i32 s0, s0, -1
	s_cmp_eq_u32 s0, 12
	s_cbranch_scc1 .LBB81_132
; %bb.131:
	s_lshl_b32 s0, s0, 3
	s_nop 0
	scratch_load_dwordx2 v[0:1], off, s0
	scratch_load_dwordx2 v[38:39], off, off offset:96
	s_waitcnt vmcnt(1)
	scratch_store_dwordx2 off, v[0:1], off offset:96
	s_waitcnt vmcnt(1)
	scratch_store_dwordx2 off, v[38:39], s0
.LBB81_132:
	;; [unrolled: 33-line block ×7, first 2 shown]
	v_mov_b32_e32 v0, 0
	global_load_dword v1, v0, s[8:9] offset:4
	s_waitcnt vmcnt(0)
	v_readfirstlane_b32 s0, v1
	s_add_i32 s0, s0, -1
	s_cmp_eq_u32 s0, 1
	s_cbranch_scc1 .LBB81_154
; %bb.153:
	s_lshl_b32 s0, s0, 3
	s_nop 0
	scratch_load_dwordx2 v[38:39], off, s0
	scratch_load_dwordx2 v[40:41], off, off offset:8
	s_waitcnt vmcnt(1)
	scratch_store_dwordx2 off, v[38:39], off offset:8
	s_waitcnt vmcnt(1)
	scratch_store_dwordx2 off, v[40:41], s0
.LBB81_154:
	global_load_dword v38, v0, s[8:9]
	s_nop 0
	scratch_load_dwordx2 v[0:1], off, off
	s_waitcnt vmcnt(1)
	v_readfirstlane_b32 s0, v38
	s_add_i32 s0, s0, -1
	s_cmp_eq_u32 s0, 0
	s_cbranch_scc1 .LBB81_156
; %bb.155:
	s_lshl_b32 s0, s0, 3
	s_nop 0
	scratch_load_dwordx2 v[38:39], off, s0
	s_waitcnt vmcnt(0)
	scratch_store_dwordx2 off, v[38:39], off
	scratch_store_dwordx2 off, v[0:1], s0
	scratch_load_dwordx2 v[0:1], off, off
.LBB81_156:
	s_waitcnt vmcnt(0)
	flat_store_dwordx2 v[2:3], v[0:1]
	scratch_load_dwordx2 v[0:1], off, off offset:8
	s_waitcnt vmcnt(0)
	flat_store_dwordx2 v[4:5], v[0:1]
	scratch_load_dwordx2 v[0:1], off, off offset:16
	;; [unrolled: 3-line block ×17, first 2 shown]
	s_waitcnt vmcnt(0)
	flat_store_dwordx2 v[36:37], v[0:1]
	s_endpgm
	.section	.rodata,"a",@progbits
	.p2align	6, 0x0
	.amdhsa_kernel _ZN9rocsolver6v33100L18getri_kernel_smallILi18E19rocblas_complex_numIfEPKPS3_EEvT1_iilPiilS8_bb
		.amdhsa_group_segment_fixed_size 292
		.amdhsa_private_segment_fixed_size 160
		.amdhsa_kernarg_size 60
		.amdhsa_user_sgpr_count 2
		.amdhsa_user_sgpr_dispatch_ptr 0
		.amdhsa_user_sgpr_queue_ptr 0
		.amdhsa_user_sgpr_kernarg_segment_ptr 1
		.amdhsa_user_sgpr_dispatch_id 0
		.amdhsa_user_sgpr_kernarg_preload_length 0
		.amdhsa_user_sgpr_kernarg_preload_offset 0
		.amdhsa_user_sgpr_private_segment_size 0
		.amdhsa_uses_dynamic_stack 0
		.amdhsa_enable_private_segment 1
		.amdhsa_system_sgpr_workgroup_id_x 1
		.amdhsa_system_sgpr_workgroup_id_y 0
		.amdhsa_system_sgpr_workgroup_id_z 0
		.amdhsa_system_sgpr_workgroup_info 0
		.amdhsa_system_vgpr_workitem_id 0
		.amdhsa_next_free_vgpr 124
		.amdhsa_next_free_sgpr 17
		.amdhsa_accum_offset 124
		.amdhsa_reserve_vcc 1
		.amdhsa_float_round_mode_32 0
		.amdhsa_float_round_mode_16_64 0
		.amdhsa_float_denorm_mode_32 3
		.amdhsa_float_denorm_mode_16_64 3
		.amdhsa_dx10_clamp 1
		.amdhsa_ieee_mode 1
		.amdhsa_fp16_overflow 0
		.amdhsa_tg_split 0
		.amdhsa_exception_fp_ieee_invalid_op 0
		.amdhsa_exception_fp_denorm_src 0
		.amdhsa_exception_fp_ieee_div_zero 0
		.amdhsa_exception_fp_ieee_overflow 0
		.amdhsa_exception_fp_ieee_underflow 0
		.amdhsa_exception_fp_ieee_inexact 0
		.amdhsa_exception_int_div_zero 0
	.end_amdhsa_kernel
	.section	.text._ZN9rocsolver6v33100L18getri_kernel_smallILi18E19rocblas_complex_numIfEPKPS3_EEvT1_iilPiilS8_bb,"axG",@progbits,_ZN9rocsolver6v33100L18getri_kernel_smallILi18E19rocblas_complex_numIfEPKPS3_EEvT1_iilPiilS8_bb,comdat
.Lfunc_end81:
	.size	_ZN9rocsolver6v33100L18getri_kernel_smallILi18E19rocblas_complex_numIfEPKPS3_EEvT1_iilPiilS8_bb, .Lfunc_end81-_ZN9rocsolver6v33100L18getri_kernel_smallILi18E19rocblas_complex_numIfEPKPS3_EEvT1_iilPiilS8_bb
                                        ; -- End function
	.set _ZN9rocsolver6v33100L18getri_kernel_smallILi18E19rocblas_complex_numIfEPKPS3_EEvT1_iilPiilS8_bb.num_vgpr, 124
	.set _ZN9rocsolver6v33100L18getri_kernel_smallILi18E19rocblas_complex_numIfEPKPS3_EEvT1_iilPiilS8_bb.num_agpr, 0
	.set _ZN9rocsolver6v33100L18getri_kernel_smallILi18E19rocblas_complex_numIfEPKPS3_EEvT1_iilPiilS8_bb.numbered_sgpr, 17
	.set _ZN9rocsolver6v33100L18getri_kernel_smallILi18E19rocblas_complex_numIfEPKPS3_EEvT1_iilPiilS8_bb.num_named_barrier, 0
	.set _ZN9rocsolver6v33100L18getri_kernel_smallILi18E19rocblas_complex_numIfEPKPS3_EEvT1_iilPiilS8_bb.private_seg_size, 160
	.set _ZN9rocsolver6v33100L18getri_kernel_smallILi18E19rocblas_complex_numIfEPKPS3_EEvT1_iilPiilS8_bb.uses_vcc, 1
	.set _ZN9rocsolver6v33100L18getri_kernel_smallILi18E19rocblas_complex_numIfEPKPS3_EEvT1_iilPiilS8_bb.uses_flat_scratch, 0
	.set _ZN9rocsolver6v33100L18getri_kernel_smallILi18E19rocblas_complex_numIfEPKPS3_EEvT1_iilPiilS8_bb.has_dyn_sized_stack, 0
	.set _ZN9rocsolver6v33100L18getri_kernel_smallILi18E19rocblas_complex_numIfEPKPS3_EEvT1_iilPiilS8_bb.has_recursion, 0
	.set _ZN9rocsolver6v33100L18getri_kernel_smallILi18E19rocblas_complex_numIfEPKPS3_EEvT1_iilPiilS8_bb.has_indirect_call, 0
	.section	.AMDGPU.csdata,"",@progbits
; Kernel info:
; codeLenInByte = 15328
; TotalNumSgprs: 23
; NumVgprs: 124
; NumAgprs: 0
; TotalNumVgprs: 124
; ScratchSize: 160
; MemoryBound: 0
; FloatMode: 240
; IeeeMode: 1
; LDSByteSize: 292 bytes/workgroup (compile time only)
; SGPRBlocks: 2
; VGPRBlocks: 15
; NumSGPRsForWavesPerEU: 23
; NumVGPRsForWavesPerEU: 124
; AccumOffset: 124
; Occupancy: 4
; WaveLimiterHint : 1
; COMPUTE_PGM_RSRC2:SCRATCH_EN: 1
; COMPUTE_PGM_RSRC2:USER_SGPR: 2
; COMPUTE_PGM_RSRC2:TRAP_HANDLER: 0
; COMPUTE_PGM_RSRC2:TGID_X_EN: 1
; COMPUTE_PGM_RSRC2:TGID_Y_EN: 0
; COMPUTE_PGM_RSRC2:TGID_Z_EN: 0
; COMPUTE_PGM_RSRC2:TIDIG_COMP_CNT: 0
; COMPUTE_PGM_RSRC3_GFX90A:ACCUM_OFFSET: 30
; COMPUTE_PGM_RSRC3_GFX90A:TG_SPLIT: 0
	.section	.text._ZN9rocsolver6v33100L18getri_kernel_smallILi19E19rocblas_complex_numIfEPKPS3_EEvT1_iilPiilS8_bb,"axG",@progbits,_ZN9rocsolver6v33100L18getri_kernel_smallILi19E19rocblas_complex_numIfEPKPS3_EEvT1_iilPiilS8_bb,comdat
	.globl	_ZN9rocsolver6v33100L18getri_kernel_smallILi19E19rocblas_complex_numIfEPKPS3_EEvT1_iilPiilS8_bb ; -- Begin function _ZN9rocsolver6v33100L18getri_kernel_smallILi19E19rocblas_complex_numIfEPKPS3_EEvT1_iilPiilS8_bb
	.p2align	8
	.type	_ZN9rocsolver6v33100L18getri_kernel_smallILi19E19rocblas_complex_numIfEPKPS3_EEvT1_iilPiilS8_bb,@function
_ZN9rocsolver6v33100L18getri_kernel_smallILi19E19rocblas_complex_numIfEPKPS3_EEvT1_iilPiilS8_bb: ; @_ZN9rocsolver6v33100L18getri_kernel_smallILi19E19rocblas_complex_numIfEPKPS3_EEvT1_iilPiilS8_bb
; %bb.0:
	v_cmp_gt_u32_e32 vcc, 19, v0
	s_and_saveexec_b64 s[4:5], vcc
	s_cbranch_execz .LBB82_90
; %bb.1:
	s_load_dword s14, s[0:1], 0x38
	s_load_dwordx2 s[8:9], s[0:1], 0x0
	s_load_dwordx4 s[4:7], s[0:1], 0x28
	s_waitcnt lgkmcnt(0)
	s_bitcmp1_b32 s14, 8
	s_cselect_b64 s[10:11], -1, 0
	s_ashr_i32 s3, s2, 31
	s_lshl_b64 s[12:13], s[2:3], 3
	s_add_u32 s8, s8, s12
	s_addc_u32 s9, s9, s13
	s_load_dwordx2 s[12:13], s[8:9], 0x0
	s_bfe_u32 s8, s14, 0x10008
	s_cmp_eq_u32 s8, 0
                                        ; implicit-def: $sgpr8_sgpr9
	s_cbranch_scc1 .LBB82_3
; %bb.2:
	s_load_dword s8, s[0:1], 0x20
	s_load_dwordx2 s[14:15], s[0:1], 0x18
	s_mul_i32 s9, s4, s3
	s_mul_hi_u32 s16, s4, s2
	s_add_i32 s16, s16, s9
	s_mul_i32 s5, s5, s2
	s_add_i32 s5, s16, s5
	s_mul_i32 s4, s4, s2
	s_waitcnt lgkmcnt(0)
	s_ashr_i32 s9, s8, 31
	s_lshl_b64 s[4:5], s[4:5], 2
	s_add_u32 s14, s14, s4
	s_addc_u32 s15, s15, s5
	s_lshl_b64 s[4:5], s[8:9], 2
	s_add_u32 s8, s14, s4
	s_addc_u32 s9, s15, s5
.LBB82_3:
	s_load_dwordx2 s[4:5], s[0:1], 0x8
	s_load_dword s14, s[0:1], 0x38
	v_lshlrev_b32_e32 v40, 3, v0
	v_mov_b32_e32 v41, 0
	s_waitcnt lgkmcnt(0)
	s_ashr_i32 s1, s4, 31
	s_mov_b32 s0, s4
	s_lshl_b64 s[0:1], s[0:1], 3
	s_add_u32 s0, s12, s0
	s_addc_u32 s1, s13, s1
	v_lshl_add_u64 v[2:3], s[0:1], 0, v[40:41]
	flat_load_dwordx2 v[6:7], v[2:3]
	s_mov_b32 s12, s5
	s_ashr_i32 s13, s5, 31
	v_lshl_add_u64 v[4:5], s[12:13], 3, v[2:3]
	s_add_i32 s4, s5, s5
	v_add_u32_e32 v10, s4, v0
	v_ashrrev_i32_e32 v11, 31, v10
	s_bitcmp0_b32 s14, 0
	s_waitcnt vmcnt(0) lgkmcnt(0)
	scratch_store_dwordx2 off, v[6:7], off
	flat_load_dwordx2 v[8:9], v[4:5]
	v_lshl_add_u64 v[6:7], v[10:11], 3, s[0:1]
	v_add_u32_e32 v10, s5, v10
	v_ashrrev_i32_e32 v11, 31, v10
	v_add_u32_e32 v14, s5, v10
	v_ashrrev_i32_e32 v15, 31, v14
	s_waitcnt vmcnt(0) lgkmcnt(0)
	scratch_store_dwordx2 off, v[8:9], off offset:8
	flat_load_dwordx2 v[12:13], v[6:7]
	v_lshl_add_u64 v[8:9], v[10:11], 3, s[0:1]
	v_lshl_add_u64 v[10:11], v[14:15], 3, s[0:1]
	v_add_u32_e32 v14, s5, v14
	v_ashrrev_i32_e32 v15, 31, v14
	v_add_u32_e32 v18, s5, v14
	v_ashrrev_i32_e32 v19, 31, v18
	s_waitcnt vmcnt(0) lgkmcnt(0)
	scratch_store_dwordx2 off, v[12:13], off offset:16
	flat_load_dwordx2 v[12:13], v[8:9]
	s_waitcnt vmcnt(0) lgkmcnt(0)
	scratch_store_dwordx2 off, v[12:13], off offset:24
	flat_load_dwordx2 v[16:17], v[10:11]
	v_lshl_add_u64 v[12:13], v[14:15], 3, s[0:1]
	v_lshl_add_u64 v[14:15], v[18:19], 3, s[0:1]
	v_add_u32_e32 v18, s5, v18
	v_ashrrev_i32_e32 v19, 31, v18
	v_add_u32_e32 v22, s5, v18
	v_ashrrev_i32_e32 v23, 31, v22
	s_waitcnt vmcnt(0) lgkmcnt(0)
	scratch_store_dwordx2 off, v[16:17], off offset:32
	flat_load_dwordx2 v[16:17], v[12:13]
	;; [unrolled: 12-line block ×6, first 2 shown]
	s_waitcnt vmcnt(0) lgkmcnt(0)
	scratch_store_dwordx2 off, v[32:33], off offset:104
	flat_load_dwordx2 v[36:37], v[30:31]
	v_lshl_add_u64 v[32:33], v[34:35], 3, s[0:1]
	v_lshl_add_u64 v[34:35], v[38:39], 3, s[0:1]
	v_add_u32_e32 v38, s5, v38
	v_ashrrev_i32_e32 v39, 31, v38
	s_waitcnt vmcnt(0) lgkmcnt(0)
	scratch_store_dwordx2 off, v[36:37], off offset:112
	flat_load_dwordx2 v[36:37], v[32:33]
	s_waitcnt vmcnt(0) lgkmcnt(0)
	scratch_store_dwordx2 off, v[36:37], off offset:120
	flat_load_dwordx2 v[42:43], v[34:35]
	v_lshl_add_u64 v[36:37], v[38:39], 3, s[0:1]
	v_add_u32_e32 v38, s5, v38
	v_ashrrev_i32_e32 v39, 31, v38
	v_lshl_add_u64 v[38:39], v[38:39], 3, s[0:1]
	s_mov_b64 s[4:5], -1
	s_waitcnt vmcnt(0) lgkmcnt(0)
	scratch_store_dwordx2 off, v[42:43], off offset:128
	flat_load_dwordx2 v[42:43], v[36:37]
	s_waitcnt vmcnt(0) lgkmcnt(0)
	scratch_store_dwordx2 off, v[42:43], off offset:136
	flat_load_dwordx2 v[42:43], v[38:39]
	s_waitcnt vmcnt(0) lgkmcnt(0)
	scratch_store_dwordx2 off, v[42:43], off offset:144
	s_cbranch_scc1 .LBB82_88
; %bb.4:
	v_cmp_eq_u32_e64 s[0:1], 0, v0
	s_and_saveexec_b64 s[4:5], s[0:1]
; %bb.5:
	v_mov_b32_e32 v1, 0
	ds_write_b32 v1, v1 offset:152
; %bb.6:
	s_or_b64 exec, exec, s[4:5]
	s_waitcnt lgkmcnt(0)
	; wave barrier
	scratch_load_dwordx2 v[42:43], v40, off
	s_waitcnt vmcnt(0)
	v_cmp_eq_f32_e32 vcc, 0, v42
	v_cmp_eq_f32_e64 s[4:5], 0, v43
	s_and_b64 s[4:5], vcc, s[4:5]
	s_and_saveexec_b64 s[12:13], s[4:5]
	s_cbranch_execz .LBB82_10
; %bb.7:
	v_mov_b32_e32 v1, 0
	ds_read_b32 v42, v1 offset:152
	v_add_u32_e32 v41, 1, v0
	s_waitcnt lgkmcnt(0)
	v_readfirstlane_b32 s4, v42
	s_cmp_eq_u32 s4, 0
	s_cselect_b64 s[14:15], -1, 0
	v_cmp_gt_i32_e32 vcc, s4, v41
	s_or_b64 s[14:15], s[14:15], vcc
	s_and_b64 exec, exec, s[14:15]
	s_cbranch_execz .LBB82_10
; %bb.8:
	s_mov_b64 s[14:15], 0
	v_mov_b32_e32 v42, s4
.LBB82_9:                               ; =>This Inner Loop Header: Depth=1
	ds_cmpst_rtn_b32 v42, v1, v42, v41 offset:152
	s_waitcnt lgkmcnt(0)
	v_cmp_ne_u32_e32 vcc, 0, v42
	v_cmp_le_i32_e64 s[4:5], v42, v41
	s_and_b64 s[4:5], vcc, s[4:5]
	s_and_b64 s[4:5], exec, s[4:5]
	s_or_b64 s[14:15], s[4:5], s[14:15]
	s_andn2_b64 exec, exec, s[14:15]
	s_cbranch_execnz .LBB82_9
.LBB82_10:
	s_or_b64 exec, exec, s[12:13]
	v_mov_b32_e32 v41, 0
	; wave barrier
	ds_read_b32 v1, v41 offset:152
	s_and_saveexec_b64 s[4:5], s[0:1]
	s_cbranch_execz .LBB82_12
; %bb.11:
	s_lshl_b64 s[12:13], s[2:3], 2
	s_add_u32 s12, s6, s12
	s_addc_u32 s13, s7, s13
	s_waitcnt lgkmcnt(0)
	global_store_dword v41, v1, s[12:13]
.LBB82_12:
	s_or_b64 exec, exec, s[4:5]
	s_waitcnt lgkmcnt(0)
	v_cmp_ne_u32_e32 vcc, 0, v1
	s_mov_b64 s[4:5], 0
	s_cbranch_vccnz .LBB82_88
; %bb.13:
	v_mov_b32_e32 v41, v40
	scratch_load_dwordx2 v[42:43], v41, off
                                        ; implicit-def: $vgpr45
                                        ; implicit-def: $vgpr46
	s_waitcnt vmcnt(0)
	v_cmp_ngt_f32_e64 s[4:5], |v42|, |v43|
	s_and_saveexec_b64 s[12:13], s[4:5]
	s_xor_b64 s[4:5], exec, s[12:13]
	s_cbranch_execz .LBB82_15
; %bb.14:
	v_div_scale_f32 v1, s[12:13], v43, v43, v42
	v_rcp_f32_e32 v44, v1
	v_div_scale_f32 v45, vcc, v42, v43, v42
	v_fma_f32 v46, -v1, v44, 1.0
	v_fmac_f32_e32 v44, v46, v44
	v_mul_f32_e32 v46, v45, v44
	v_fma_f32 v47, -v1, v46, v45
	v_fmac_f32_e32 v46, v47, v44
	v_fma_f32 v1, -v1, v46, v45
	v_div_fmas_f32 v1, v1, v44, v46
	v_div_fixup_f32 v1, v1, v43, v42
	v_fmac_f32_e32 v43, v42, v1
	v_div_scale_f32 v42, s[12:13], v43, v43, -1.0
	v_rcp_f32_e32 v44, v42
	s_nop 0
	v_fma_f32 v45, -v42, v44, 1.0
	v_fmac_f32_e32 v44, v45, v44
	v_div_scale_f32 v45, vcc, -1.0, v43, -1.0
	v_mul_f32_e32 v46, v45, v44
	v_fma_f32 v47, -v42, v46, v45
	v_fmac_f32_e32 v46, v47, v44
	v_fma_f32 v42, -v42, v46, v45
	v_div_fmas_f32 v42, v42, v44, v46
	v_div_fixup_f32 v45, v42, v43, -1.0
	v_mul_f32_e32 v46, v1, v45
	v_xor_b32_e32 v44, 0x80000000, v46
                                        ; implicit-def: $vgpr42_vgpr43
.LBB82_15:
	s_andn2_saveexec_b64 s[4:5], s[4:5]
	s_cbranch_execz .LBB82_17
; %bb.16:
	v_div_scale_f32 v1, s[12:13], v42, v42, v43
	v_rcp_f32_e32 v44, v1
	v_div_scale_f32 v45, vcc, v43, v42, v43
	v_fma_f32 v46, -v1, v44, 1.0
	v_fmac_f32_e32 v44, v46, v44
	v_mul_f32_e32 v46, v45, v44
	v_fma_f32 v47, -v1, v46, v45
	v_fmac_f32_e32 v46, v47, v44
	v_fma_f32 v1, -v1, v46, v45
	v_div_fmas_f32 v1, v1, v44, v46
	v_div_fixup_f32 v1, v1, v42, v43
	v_fmac_f32_e32 v42, v43, v1
	v_div_scale_f32 v43, s[12:13], v42, v42, 1.0
	v_rcp_f32_e32 v44, v43
	s_nop 0
	v_fma_f32 v45, -v43, v44, 1.0
	v_fmac_f32_e32 v44, v45, v44
	v_div_scale_f32 v45, vcc, 1.0, v42, 1.0
	v_mul_f32_e32 v46, v45, v44
	v_fma_f32 v47, -v43, v46, v45
	v_fmac_f32_e32 v46, v47, v44
	v_fma_f32 v43, -v43, v46, v45
	v_div_fmas_f32 v43, v43, v44, v46
	v_div_fixup_f32 v44, v43, v42, 1.0
	v_xor_b32_e32 v46, 0x80000000, v44
	v_mul_f32_e64 v45, v1, -v44
.LBB82_17:
	s_or_b64 exec, exec, s[4:5]
	scratch_store_dwordx2 v41, v[44:45], off
	scratch_load_dwordx2 v[42:43], off, off offset:8
	v_xor_b32_e32 v47, 0x80000000, v45
	v_add_u32_e32 v1, 0xa0, v40
	s_waitcnt vmcnt(0)
	ds_write2_b64 v40, v[46:47], v[42:43] offset1:20
	s_waitcnt lgkmcnt(0)
	; wave barrier
	s_and_saveexec_b64 s[4:5], s[0:1]
	s_cbranch_execz .LBB82_19
; %bb.18:
	scratch_load_dwordx2 v[42:43], v41, off
	ds_read_b64 v[44:45], v1
	v_mov_b32_e32 v46, 0
	ds_read_b64 v[46:47], v46 offset:8
	s_waitcnt vmcnt(0) lgkmcnt(1)
	v_pk_mul_f32 v[48:49], v[44:45], v[42:43] op_sel:[1,1] op_sel_hi:[0,1]
	v_pk_fma_f32 v[50:51], v[44:45], v[42:43], v[48:49] neg_lo:[0,0,1] neg_hi:[0,0,1]
	v_pk_fma_f32 v[42:43], v[44:45], v[42:43], v[48:49] op_sel_hi:[1,0,1]
	s_nop 0
	v_mov_b32_e32 v51, v43
	v_pk_add_f32 v[42:43], v[50:51], 0 op_sel_hi:[1,0]
	s_waitcnt lgkmcnt(0)
	v_pk_mul_f32 v[44:45], v[42:43], v[46:47] op_sel:[1,1] op_sel_hi:[0,1]
	v_pk_fma_f32 v[48:49], v[42:43], v[46:47], v[44:45] neg_lo:[0,0,1] neg_hi:[0,0,1]
	v_pk_fma_f32 v[42:43], v[42:43], v[46:47], v[44:45] op_sel_hi:[1,0,1]
	s_nop 0
	v_mov_b32_e32 v49, v43
	scratch_store_dwordx2 off, v[48:49], off offset:8
.LBB82_19:
	s_or_b64 exec, exec, s[4:5]
	; wave barrier
	scratch_load_dwordx2 v[42:43], off, off offset:16
	v_cmp_gt_u32_e32 vcc, 2, v0
	s_waitcnt vmcnt(0)
	ds_write_b64 v1, v[42:43]
	s_waitcnt lgkmcnt(0)
	; wave barrier
	s_and_saveexec_b64 s[4:5], vcc
	s_cbranch_execz .LBB82_23
; %bb.20:
	scratch_load_dwordx2 v[42:43], v41, off
	ds_read_b64 v[44:45], v1
	s_waitcnt vmcnt(0) lgkmcnt(0)
	v_pk_mul_f32 v[46:47], v[44:45], v[42:43] op_sel:[1,1] op_sel_hi:[0,1]
	v_pk_fma_f32 v[48:49], v[44:45], v[42:43], v[46:47] neg_lo:[0,0,1] neg_hi:[0,0,1]
	v_pk_fma_f32 v[42:43], v[44:45], v[42:43], v[46:47] op_sel_hi:[1,0,1]
	s_nop 0
	v_mov_b32_e32 v49, v43
	v_pk_add_f32 v[42:43], v[48:49], 0 op_sel_hi:[1,0]
	s_and_saveexec_b64 s[12:13], s[0:1]
	s_cbranch_execz .LBB82_22
; %bb.21:
	scratch_load_dwordx2 v[44:45], off, off offset:8
	v_mov_b32_e32 v41, 0
	ds_read_b64 v[46:47], v41 offset:168
	s_waitcnt vmcnt(0) lgkmcnt(0)
	v_pk_mul_f32 v[48:49], v[46:47], v[44:45] op_sel:[1,1] op_sel_hi:[0,1]
	v_pk_fma_f32 v[50:51], v[46:47], v[44:45], v[48:49] neg_lo:[0,0,1] neg_hi:[0,0,1]
	v_pk_fma_f32 v[44:45], v[46:47], v[44:45], v[48:49] op_sel_hi:[1,0,1]
	s_nop 0
	v_mov_b32_e32 v51, v45
	v_pk_add_f32 v[42:43], v[42:43], v[50:51]
.LBB82_22:
	s_or_b64 exec, exec, s[12:13]
	v_mov_b32_e32 v41, 0
	ds_read_b64 v[44:45], v41 offset:16
	s_waitcnt lgkmcnt(0)
	v_pk_mul_f32 v[46:47], v[42:43], v[44:45] op_sel:[1,1] op_sel_hi:[0,1]
	v_pk_fma_f32 v[48:49], v[42:43], v[44:45], v[46:47] neg_lo:[0,0,1] neg_hi:[0,0,1]
	v_pk_fma_f32 v[42:43], v[42:43], v[44:45], v[46:47] op_sel_hi:[1,0,1]
	s_nop 0
	v_mov_b32_e32 v49, v43
	scratch_store_dwordx2 off, v[48:49], off offset:16
.LBB82_23:
	s_or_b64 exec, exec, s[4:5]
	; wave barrier
	scratch_load_dwordx2 v[42:43], off, off offset:24
	v_cmp_gt_u32_e32 vcc, 3, v0
	v_add_u32_e32 v44, -1, v0
	s_waitcnt vmcnt(0)
	ds_write_b64 v1, v[42:43]
	s_waitcnt lgkmcnt(0)
	; wave barrier
	s_and_saveexec_b64 s[0:1], vcc
	s_cbranch_execz .LBB82_27
; %bb.24:
	v_mov_b32_e32 v42, 0
	v_add_u32_e32 v41, -1, v0
	v_add_u32_e32 v45, 0xa0, v40
	v_mov_b32_e32 v46, v40
	s_mov_b64 s[4:5], 0
	v_mov_b32_e32 v43, v42
.LBB82_25:                              ; =>This Inner Loop Header: Depth=1
	scratch_load_dwordx2 v[48:49], v46, off
	ds_read_b64 v[50:51], v45
	v_add_u32_e32 v41, 1, v41
	v_cmp_lt_u32_e32 vcc, 1, v41
	v_add_u32_e32 v45, 8, v45
	v_add_u32_e32 v46, 8, v46
	s_or_b64 s[4:5], vcc, s[4:5]
	s_waitcnt vmcnt(0) lgkmcnt(0)
	v_pk_mul_f32 v[52:53], v[50:51], v[48:49] op_sel:[1,1] op_sel_hi:[0,1]
	v_pk_fma_f32 v[54:55], v[50:51], v[48:49], v[52:53] neg_lo:[0,0,1] neg_hi:[0,0,1]
	v_pk_fma_f32 v[48:49], v[50:51], v[48:49], v[52:53] op_sel_hi:[1,0,1]
	s_nop 0
	v_mov_b32_e32 v55, v49
	v_pk_add_f32 v[42:43], v[42:43], v[54:55]
	s_andn2_b64 exec, exec, s[4:5]
	s_cbranch_execnz .LBB82_25
; %bb.26:
	s_or_b64 exec, exec, s[4:5]
	v_mov_b32_e32 v41, 0
	ds_read_b64 v[46:47], v41 offset:24
	s_waitcnt lgkmcnt(0)
	v_pk_mul_f32 v[48:49], v[42:43], v[46:47] op_sel:[1,1] op_sel_hi:[0,1]
	v_pk_fma_f32 v[50:51], v[42:43], v[46:47], v[48:49] neg_lo:[0,0,1] neg_hi:[0,0,1]
	v_pk_fma_f32 v[42:43], v[42:43], v[46:47], v[48:49] op_sel_hi:[1,0,1]
	s_nop 0
	v_mov_b32_e32 v51, v43
	scratch_store_dwordx2 off, v[50:51], off offset:24
.LBB82_27:
	s_or_b64 exec, exec, s[0:1]
	; wave barrier
	scratch_load_dwordx2 v[42:43], off, off offset:32
	v_cmp_gt_u32_e32 vcc, 4, v0
	s_waitcnt vmcnt(0)
	ds_write_b64 v1, v[42:43]
	s_waitcnt lgkmcnt(0)
	; wave barrier
	s_and_saveexec_b64 s[0:1], vcc
	s_cbranch_execz .LBB82_31
; %bb.28:
	v_mov_b32_e32 v42, 0
	v_add_u32_e32 v41, -1, v0
	v_add_u32_e32 v45, 0xa0, v40
	v_mov_b32_e32 v46, v40
	s_mov_b64 s[4:5], 0
	v_mov_b32_e32 v43, v42
.LBB82_29:                              ; =>This Inner Loop Header: Depth=1
	scratch_load_dwordx2 v[48:49], v46, off
	ds_read_b64 v[50:51], v45
	v_add_u32_e32 v41, 1, v41
	v_cmp_lt_u32_e32 vcc, 2, v41
	v_add_u32_e32 v45, 8, v45
	v_add_u32_e32 v46, 8, v46
	s_or_b64 s[4:5], vcc, s[4:5]
	s_waitcnt vmcnt(0) lgkmcnt(0)
	v_pk_mul_f32 v[52:53], v[50:51], v[48:49] op_sel:[1,1] op_sel_hi:[0,1]
	v_pk_fma_f32 v[54:55], v[50:51], v[48:49], v[52:53] neg_lo:[0,0,1] neg_hi:[0,0,1]
	v_pk_fma_f32 v[48:49], v[50:51], v[48:49], v[52:53] op_sel_hi:[1,0,1]
	s_nop 0
	v_mov_b32_e32 v55, v49
	v_pk_add_f32 v[42:43], v[42:43], v[54:55]
	s_andn2_b64 exec, exec, s[4:5]
	s_cbranch_execnz .LBB82_29
; %bb.30:
	s_or_b64 exec, exec, s[4:5]
	v_mov_b32_e32 v41, 0
	ds_read_b64 v[46:47], v41 offset:32
	s_waitcnt lgkmcnt(0)
	v_pk_mul_f32 v[48:49], v[42:43], v[46:47] op_sel:[1,1] op_sel_hi:[0,1]
	v_pk_fma_f32 v[50:51], v[42:43], v[46:47], v[48:49] neg_lo:[0,0,1] neg_hi:[0,0,1]
	v_pk_fma_f32 v[42:43], v[42:43], v[46:47], v[48:49] op_sel_hi:[1,0,1]
	s_nop 0
	v_mov_b32_e32 v51, v43
	scratch_store_dwordx2 off, v[50:51], off offset:32
.LBB82_31:
	s_or_b64 exec, exec, s[0:1]
	; wave barrier
	scratch_load_dwordx2 v[42:43], off, off offset:40
	v_cmp_gt_u32_e32 vcc, 5, v0
	s_waitcnt vmcnt(0)
	ds_write_b64 v1, v[42:43]
	s_waitcnt lgkmcnt(0)
	; wave barrier
	s_and_saveexec_b64 s[0:1], vcc
	s_cbranch_execz .LBB82_35
; %bb.32:
	v_mov_b32_e32 v42, 0
	v_add_u32_e32 v41, -1, v0
	v_add_u32_e32 v45, 0xa0, v40
	v_mov_b32_e32 v46, v40
	s_mov_b64 s[4:5], 0
	v_mov_b32_e32 v43, v42
.LBB82_33:                              ; =>This Inner Loop Header: Depth=1
	scratch_load_dwordx2 v[48:49], v46, off
	ds_read_b64 v[50:51], v45
	v_add_u32_e32 v41, 1, v41
	v_cmp_lt_u32_e32 vcc, 3, v41
	v_add_u32_e32 v45, 8, v45
	v_add_u32_e32 v46, 8, v46
	s_or_b64 s[4:5], vcc, s[4:5]
	s_waitcnt vmcnt(0) lgkmcnt(0)
	v_pk_mul_f32 v[52:53], v[50:51], v[48:49] op_sel:[1,1] op_sel_hi:[0,1]
	v_pk_fma_f32 v[54:55], v[50:51], v[48:49], v[52:53] neg_lo:[0,0,1] neg_hi:[0,0,1]
	v_pk_fma_f32 v[48:49], v[50:51], v[48:49], v[52:53] op_sel_hi:[1,0,1]
	s_nop 0
	v_mov_b32_e32 v55, v49
	v_pk_add_f32 v[42:43], v[42:43], v[54:55]
	s_andn2_b64 exec, exec, s[4:5]
	s_cbranch_execnz .LBB82_33
; %bb.34:
	s_or_b64 exec, exec, s[4:5]
	v_mov_b32_e32 v41, 0
	ds_read_b64 v[46:47], v41 offset:40
	s_waitcnt lgkmcnt(0)
	v_pk_mul_f32 v[48:49], v[42:43], v[46:47] op_sel:[1,1] op_sel_hi:[0,1]
	v_pk_fma_f32 v[50:51], v[42:43], v[46:47], v[48:49] neg_lo:[0,0,1] neg_hi:[0,0,1]
	v_pk_fma_f32 v[42:43], v[42:43], v[46:47], v[48:49] op_sel_hi:[1,0,1]
	s_nop 0
	v_mov_b32_e32 v51, v43
	scratch_store_dwordx2 off, v[50:51], off offset:40
.LBB82_35:
	s_or_b64 exec, exec, s[0:1]
	; wave barrier
	scratch_load_dwordx2 v[42:43], off, off offset:48
	v_cmp_gt_u32_e32 vcc, 6, v0
	s_waitcnt vmcnt(0)
	ds_write_b64 v1, v[42:43]
	s_waitcnt lgkmcnt(0)
	; wave barrier
	s_and_saveexec_b64 s[0:1], vcc
	s_cbranch_execz .LBB82_39
; %bb.36:
	v_mov_b32_e32 v42, 0
	v_add_u32_e32 v41, -1, v0
	v_add_u32_e32 v45, 0xa0, v40
	v_mov_b32_e32 v46, v40
	s_mov_b64 s[4:5], 0
	v_mov_b32_e32 v43, v42
.LBB82_37:                              ; =>This Inner Loop Header: Depth=1
	scratch_load_dwordx2 v[48:49], v46, off
	ds_read_b64 v[50:51], v45
	v_add_u32_e32 v41, 1, v41
	v_cmp_lt_u32_e32 vcc, 4, v41
	v_add_u32_e32 v45, 8, v45
	v_add_u32_e32 v46, 8, v46
	s_or_b64 s[4:5], vcc, s[4:5]
	s_waitcnt vmcnt(0) lgkmcnt(0)
	v_pk_mul_f32 v[52:53], v[50:51], v[48:49] op_sel:[1,1] op_sel_hi:[0,1]
	v_pk_fma_f32 v[54:55], v[50:51], v[48:49], v[52:53] neg_lo:[0,0,1] neg_hi:[0,0,1]
	v_pk_fma_f32 v[48:49], v[50:51], v[48:49], v[52:53] op_sel_hi:[1,0,1]
	s_nop 0
	v_mov_b32_e32 v55, v49
	v_pk_add_f32 v[42:43], v[42:43], v[54:55]
	s_andn2_b64 exec, exec, s[4:5]
	s_cbranch_execnz .LBB82_37
; %bb.38:
	s_or_b64 exec, exec, s[4:5]
	v_mov_b32_e32 v41, 0
	ds_read_b64 v[46:47], v41 offset:48
	s_waitcnt lgkmcnt(0)
	v_pk_mul_f32 v[48:49], v[42:43], v[46:47] op_sel:[1,1] op_sel_hi:[0,1]
	v_pk_fma_f32 v[50:51], v[42:43], v[46:47], v[48:49] neg_lo:[0,0,1] neg_hi:[0,0,1]
	v_pk_fma_f32 v[42:43], v[42:43], v[46:47], v[48:49] op_sel_hi:[1,0,1]
	s_nop 0
	v_mov_b32_e32 v51, v43
	scratch_store_dwordx2 off, v[50:51], off offset:48
.LBB82_39:
	s_or_b64 exec, exec, s[0:1]
	; wave barrier
	scratch_load_dwordx2 v[42:43], off, off offset:56
	v_cmp_gt_u32_e32 vcc, 7, v0
	s_waitcnt vmcnt(0)
	ds_write_b64 v1, v[42:43]
	s_waitcnt lgkmcnt(0)
	; wave barrier
	s_and_saveexec_b64 s[0:1], vcc
	s_cbranch_execz .LBB82_43
; %bb.40:
	v_mov_b32_e32 v42, 0
	v_add_u32_e32 v41, -1, v0
	v_add_u32_e32 v45, 0xa0, v40
	v_mov_b32_e32 v46, v40
	s_mov_b64 s[4:5], 0
	v_mov_b32_e32 v43, v42
.LBB82_41:                              ; =>This Inner Loop Header: Depth=1
	scratch_load_dwordx2 v[48:49], v46, off
	ds_read_b64 v[50:51], v45
	v_add_u32_e32 v41, 1, v41
	v_cmp_lt_u32_e32 vcc, 5, v41
	v_add_u32_e32 v45, 8, v45
	v_add_u32_e32 v46, 8, v46
	s_or_b64 s[4:5], vcc, s[4:5]
	s_waitcnt vmcnt(0) lgkmcnt(0)
	v_pk_mul_f32 v[52:53], v[50:51], v[48:49] op_sel:[1,1] op_sel_hi:[0,1]
	v_pk_fma_f32 v[54:55], v[50:51], v[48:49], v[52:53] neg_lo:[0,0,1] neg_hi:[0,0,1]
	v_pk_fma_f32 v[48:49], v[50:51], v[48:49], v[52:53] op_sel_hi:[1,0,1]
	s_nop 0
	v_mov_b32_e32 v55, v49
	v_pk_add_f32 v[42:43], v[42:43], v[54:55]
	s_andn2_b64 exec, exec, s[4:5]
	s_cbranch_execnz .LBB82_41
; %bb.42:
	s_or_b64 exec, exec, s[4:5]
	v_mov_b32_e32 v41, 0
	ds_read_b64 v[46:47], v41 offset:56
	s_waitcnt lgkmcnt(0)
	v_pk_mul_f32 v[48:49], v[42:43], v[46:47] op_sel:[1,1] op_sel_hi:[0,1]
	v_pk_fma_f32 v[50:51], v[42:43], v[46:47], v[48:49] neg_lo:[0,0,1] neg_hi:[0,0,1]
	v_pk_fma_f32 v[42:43], v[42:43], v[46:47], v[48:49] op_sel_hi:[1,0,1]
	s_nop 0
	v_mov_b32_e32 v51, v43
	scratch_store_dwordx2 off, v[50:51], off offset:56
.LBB82_43:
	s_or_b64 exec, exec, s[0:1]
	; wave barrier
	scratch_load_dwordx2 v[42:43], off, off offset:64
	v_cmp_gt_u32_e32 vcc, 8, v0
	s_waitcnt vmcnt(0)
	ds_write_b64 v1, v[42:43]
	s_waitcnt lgkmcnt(0)
	; wave barrier
	s_and_saveexec_b64 s[0:1], vcc
	s_cbranch_execz .LBB82_47
; %bb.44:
	v_mov_b32_e32 v42, 0
	v_add_u32_e32 v41, -1, v0
	v_add_u32_e32 v45, 0xa0, v40
	v_mov_b32_e32 v46, v40
	s_mov_b64 s[4:5], 0
	v_mov_b32_e32 v43, v42
.LBB82_45:                              ; =>This Inner Loop Header: Depth=1
	scratch_load_dwordx2 v[48:49], v46, off
	ds_read_b64 v[50:51], v45
	v_add_u32_e32 v41, 1, v41
	v_cmp_lt_u32_e32 vcc, 6, v41
	v_add_u32_e32 v45, 8, v45
	v_add_u32_e32 v46, 8, v46
	s_or_b64 s[4:5], vcc, s[4:5]
	s_waitcnt vmcnt(0) lgkmcnt(0)
	v_pk_mul_f32 v[52:53], v[50:51], v[48:49] op_sel:[1,1] op_sel_hi:[0,1]
	v_pk_fma_f32 v[54:55], v[50:51], v[48:49], v[52:53] neg_lo:[0,0,1] neg_hi:[0,0,1]
	v_pk_fma_f32 v[48:49], v[50:51], v[48:49], v[52:53] op_sel_hi:[1,0,1]
	s_nop 0
	v_mov_b32_e32 v55, v49
	v_pk_add_f32 v[42:43], v[42:43], v[54:55]
	s_andn2_b64 exec, exec, s[4:5]
	s_cbranch_execnz .LBB82_45
; %bb.46:
	s_or_b64 exec, exec, s[4:5]
	v_mov_b32_e32 v41, 0
	ds_read_b64 v[46:47], v41 offset:64
	s_waitcnt lgkmcnt(0)
	v_pk_mul_f32 v[48:49], v[42:43], v[46:47] op_sel:[1,1] op_sel_hi:[0,1]
	v_pk_fma_f32 v[50:51], v[42:43], v[46:47], v[48:49] neg_lo:[0,0,1] neg_hi:[0,0,1]
	v_pk_fma_f32 v[42:43], v[42:43], v[46:47], v[48:49] op_sel_hi:[1,0,1]
	s_nop 0
	v_mov_b32_e32 v51, v43
	scratch_store_dwordx2 off, v[50:51], off offset:64
.LBB82_47:
	s_or_b64 exec, exec, s[0:1]
	; wave barrier
	scratch_load_dwordx2 v[42:43], off, off offset:72
	v_cmp_gt_u32_e32 vcc, 9, v0
	s_waitcnt vmcnt(0)
	ds_write_b64 v1, v[42:43]
	s_waitcnt lgkmcnt(0)
	; wave barrier
	s_and_saveexec_b64 s[0:1], vcc
	s_cbranch_execz .LBB82_51
; %bb.48:
	v_mov_b32_e32 v42, 0
	v_add_u32_e32 v41, -1, v0
	v_add_u32_e32 v45, 0xa0, v40
	v_mov_b32_e32 v46, v40
	s_mov_b64 s[4:5], 0
	v_mov_b32_e32 v43, v42
.LBB82_49:                              ; =>This Inner Loop Header: Depth=1
	scratch_load_dwordx2 v[48:49], v46, off
	ds_read_b64 v[50:51], v45
	v_add_u32_e32 v41, 1, v41
	v_cmp_lt_u32_e32 vcc, 7, v41
	v_add_u32_e32 v45, 8, v45
	v_add_u32_e32 v46, 8, v46
	s_or_b64 s[4:5], vcc, s[4:5]
	s_waitcnt vmcnt(0) lgkmcnt(0)
	v_pk_mul_f32 v[52:53], v[50:51], v[48:49] op_sel:[1,1] op_sel_hi:[0,1]
	v_pk_fma_f32 v[54:55], v[50:51], v[48:49], v[52:53] neg_lo:[0,0,1] neg_hi:[0,0,1]
	v_pk_fma_f32 v[48:49], v[50:51], v[48:49], v[52:53] op_sel_hi:[1,0,1]
	s_nop 0
	v_mov_b32_e32 v55, v49
	v_pk_add_f32 v[42:43], v[42:43], v[54:55]
	s_andn2_b64 exec, exec, s[4:5]
	s_cbranch_execnz .LBB82_49
; %bb.50:
	s_or_b64 exec, exec, s[4:5]
	v_mov_b32_e32 v41, 0
	ds_read_b64 v[46:47], v41 offset:72
	s_waitcnt lgkmcnt(0)
	v_pk_mul_f32 v[48:49], v[42:43], v[46:47] op_sel:[1,1] op_sel_hi:[0,1]
	v_pk_fma_f32 v[50:51], v[42:43], v[46:47], v[48:49] neg_lo:[0,0,1] neg_hi:[0,0,1]
	v_pk_fma_f32 v[42:43], v[42:43], v[46:47], v[48:49] op_sel_hi:[1,0,1]
	s_nop 0
	v_mov_b32_e32 v51, v43
	scratch_store_dwordx2 off, v[50:51], off offset:72
.LBB82_51:
	s_or_b64 exec, exec, s[0:1]
	; wave barrier
	scratch_load_dwordx2 v[42:43], off, off offset:80
	v_cmp_gt_u32_e32 vcc, 10, v0
	s_waitcnt vmcnt(0)
	ds_write_b64 v1, v[42:43]
	s_waitcnt lgkmcnt(0)
	; wave barrier
	s_and_saveexec_b64 s[0:1], vcc
	s_cbranch_execz .LBB82_55
; %bb.52:
	v_mov_b32_e32 v42, 0
	v_add_u32_e32 v41, -1, v0
	v_add_u32_e32 v45, 0xa0, v40
	v_mov_b32_e32 v46, v40
	s_mov_b64 s[4:5], 0
	v_mov_b32_e32 v43, v42
.LBB82_53:                              ; =>This Inner Loop Header: Depth=1
	scratch_load_dwordx2 v[48:49], v46, off
	ds_read_b64 v[50:51], v45
	v_add_u32_e32 v41, 1, v41
	v_cmp_lt_u32_e32 vcc, 8, v41
	v_add_u32_e32 v45, 8, v45
	v_add_u32_e32 v46, 8, v46
	s_or_b64 s[4:5], vcc, s[4:5]
	s_waitcnt vmcnt(0) lgkmcnt(0)
	v_pk_mul_f32 v[52:53], v[50:51], v[48:49] op_sel:[1,1] op_sel_hi:[0,1]
	v_pk_fma_f32 v[54:55], v[50:51], v[48:49], v[52:53] neg_lo:[0,0,1] neg_hi:[0,0,1]
	v_pk_fma_f32 v[48:49], v[50:51], v[48:49], v[52:53] op_sel_hi:[1,0,1]
	s_nop 0
	v_mov_b32_e32 v55, v49
	v_pk_add_f32 v[42:43], v[42:43], v[54:55]
	s_andn2_b64 exec, exec, s[4:5]
	s_cbranch_execnz .LBB82_53
; %bb.54:
	s_or_b64 exec, exec, s[4:5]
	v_mov_b32_e32 v41, 0
	ds_read_b64 v[46:47], v41 offset:80
	s_waitcnt lgkmcnt(0)
	v_pk_mul_f32 v[48:49], v[42:43], v[46:47] op_sel:[1,1] op_sel_hi:[0,1]
	v_pk_fma_f32 v[50:51], v[42:43], v[46:47], v[48:49] neg_lo:[0,0,1] neg_hi:[0,0,1]
	v_pk_fma_f32 v[42:43], v[42:43], v[46:47], v[48:49] op_sel_hi:[1,0,1]
	s_nop 0
	v_mov_b32_e32 v51, v43
	scratch_store_dwordx2 off, v[50:51], off offset:80
.LBB82_55:
	s_or_b64 exec, exec, s[0:1]
	; wave barrier
	scratch_load_dwordx2 v[42:43], off, off offset:88
	v_cmp_gt_u32_e32 vcc, 11, v0
	s_waitcnt vmcnt(0)
	ds_write_b64 v1, v[42:43]
	s_waitcnt lgkmcnt(0)
	; wave barrier
	s_and_saveexec_b64 s[0:1], vcc
	s_cbranch_execz .LBB82_59
; %bb.56:
	v_mov_b32_e32 v42, 0
	v_add_u32_e32 v41, -1, v0
	v_add_u32_e32 v45, 0xa0, v40
	v_mov_b32_e32 v46, v40
	s_mov_b64 s[4:5], 0
	v_mov_b32_e32 v43, v42
.LBB82_57:                              ; =>This Inner Loop Header: Depth=1
	scratch_load_dwordx2 v[48:49], v46, off
	ds_read_b64 v[50:51], v45
	v_add_u32_e32 v41, 1, v41
	v_cmp_lt_u32_e32 vcc, 9, v41
	v_add_u32_e32 v45, 8, v45
	v_add_u32_e32 v46, 8, v46
	s_or_b64 s[4:5], vcc, s[4:5]
	s_waitcnt vmcnt(0) lgkmcnt(0)
	v_pk_mul_f32 v[52:53], v[50:51], v[48:49] op_sel:[1,1] op_sel_hi:[0,1]
	v_pk_fma_f32 v[54:55], v[50:51], v[48:49], v[52:53] neg_lo:[0,0,1] neg_hi:[0,0,1]
	v_pk_fma_f32 v[48:49], v[50:51], v[48:49], v[52:53] op_sel_hi:[1,0,1]
	s_nop 0
	v_mov_b32_e32 v55, v49
	v_pk_add_f32 v[42:43], v[42:43], v[54:55]
	s_andn2_b64 exec, exec, s[4:5]
	s_cbranch_execnz .LBB82_57
; %bb.58:
	s_or_b64 exec, exec, s[4:5]
	v_mov_b32_e32 v41, 0
	ds_read_b64 v[46:47], v41 offset:88
	s_waitcnt lgkmcnt(0)
	v_pk_mul_f32 v[48:49], v[42:43], v[46:47] op_sel:[1,1] op_sel_hi:[0,1]
	v_pk_fma_f32 v[50:51], v[42:43], v[46:47], v[48:49] neg_lo:[0,0,1] neg_hi:[0,0,1]
	v_pk_fma_f32 v[42:43], v[42:43], v[46:47], v[48:49] op_sel_hi:[1,0,1]
	s_nop 0
	v_mov_b32_e32 v51, v43
	scratch_store_dwordx2 off, v[50:51], off offset:88
.LBB82_59:
	s_or_b64 exec, exec, s[0:1]
	; wave barrier
	scratch_load_dwordx2 v[42:43], off, off offset:96
	v_cmp_gt_u32_e32 vcc, 12, v0
	s_waitcnt vmcnt(0)
	ds_write_b64 v1, v[42:43]
	s_waitcnt lgkmcnt(0)
	; wave barrier
	s_and_saveexec_b64 s[0:1], vcc
	s_cbranch_execz .LBB82_63
; %bb.60:
	v_mov_b32_e32 v42, 0
	v_add_u32_e32 v41, -1, v0
	v_add_u32_e32 v45, 0xa0, v40
	v_mov_b32_e32 v46, v40
	s_mov_b64 s[4:5], 0
	v_mov_b32_e32 v43, v42
.LBB82_61:                              ; =>This Inner Loop Header: Depth=1
	scratch_load_dwordx2 v[48:49], v46, off
	ds_read_b64 v[50:51], v45
	v_add_u32_e32 v41, 1, v41
	v_cmp_lt_u32_e32 vcc, 10, v41
	v_add_u32_e32 v45, 8, v45
	v_add_u32_e32 v46, 8, v46
	s_or_b64 s[4:5], vcc, s[4:5]
	s_waitcnt vmcnt(0) lgkmcnt(0)
	v_pk_mul_f32 v[52:53], v[50:51], v[48:49] op_sel:[1,1] op_sel_hi:[0,1]
	v_pk_fma_f32 v[54:55], v[50:51], v[48:49], v[52:53] neg_lo:[0,0,1] neg_hi:[0,0,1]
	v_pk_fma_f32 v[48:49], v[50:51], v[48:49], v[52:53] op_sel_hi:[1,0,1]
	s_nop 0
	v_mov_b32_e32 v55, v49
	v_pk_add_f32 v[42:43], v[42:43], v[54:55]
	s_andn2_b64 exec, exec, s[4:5]
	s_cbranch_execnz .LBB82_61
; %bb.62:
	s_or_b64 exec, exec, s[4:5]
	v_mov_b32_e32 v41, 0
	ds_read_b64 v[46:47], v41 offset:96
	s_waitcnt lgkmcnt(0)
	v_pk_mul_f32 v[48:49], v[42:43], v[46:47] op_sel:[1,1] op_sel_hi:[0,1]
	v_pk_fma_f32 v[50:51], v[42:43], v[46:47], v[48:49] neg_lo:[0,0,1] neg_hi:[0,0,1]
	v_pk_fma_f32 v[42:43], v[42:43], v[46:47], v[48:49] op_sel_hi:[1,0,1]
	s_nop 0
	v_mov_b32_e32 v51, v43
	scratch_store_dwordx2 off, v[50:51], off offset:96
.LBB82_63:
	s_or_b64 exec, exec, s[0:1]
	; wave barrier
	scratch_load_dwordx2 v[42:43], off, off offset:104
	v_cmp_gt_u32_e32 vcc, 13, v0
	s_waitcnt vmcnt(0)
	ds_write_b64 v1, v[42:43]
	s_waitcnt lgkmcnt(0)
	; wave barrier
	s_and_saveexec_b64 s[0:1], vcc
	s_cbranch_execz .LBB82_67
; %bb.64:
	v_mov_b32_e32 v42, 0
	v_add_u32_e32 v41, -1, v0
	v_add_u32_e32 v45, 0xa0, v40
	v_mov_b32_e32 v46, v40
	s_mov_b64 s[4:5], 0
	v_mov_b32_e32 v43, v42
.LBB82_65:                              ; =>This Inner Loop Header: Depth=1
	scratch_load_dwordx2 v[48:49], v46, off
	ds_read_b64 v[50:51], v45
	v_add_u32_e32 v41, 1, v41
	v_cmp_lt_u32_e32 vcc, 11, v41
	v_add_u32_e32 v45, 8, v45
	v_add_u32_e32 v46, 8, v46
	s_or_b64 s[4:5], vcc, s[4:5]
	s_waitcnt vmcnt(0) lgkmcnt(0)
	v_pk_mul_f32 v[52:53], v[50:51], v[48:49] op_sel:[1,1] op_sel_hi:[0,1]
	v_pk_fma_f32 v[54:55], v[50:51], v[48:49], v[52:53] neg_lo:[0,0,1] neg_hi:[0,0,1]
	v_pk_fma_f32 v[48:49], v[50:51], v[48:49], v[52:53] op_sel_hi:[1,0,1]
	s_nop 0
	v_mov_b32_e32 v55, v49
	v_pk_add_f32 v[42:43], v[42:43], v[54:55]
	s_andn2_b64 exec, exec, s[4:5]
	s_cbranch_execnz .LBB82_65
; %bb.66:
	s_or_b64 exec, exec, s[4:5]
	v_mov_b32_e32 v41, 0
	ds_read_b64 v[46:47], v41 offset:104
	s_waitcnt lgkmcnt(0)
	v_pk_mul_f32 v[48:49], v[42:43], v[46:47] op_sel:[1,1] op_sel_hi:[0,1]
	v_pk_fma_f32 v[50:51], v[42:43], v[46:47], v[48:49] neg_lo:[0,0,1] neg_hi:[0,0,1]
	v_pk_fma_f32 v[42:43], v[42:43], v[46:47], v[48:49] op_sel_hi:[1,0,1]
	s_nop 0
	v_mov_b32_e32 v51, v43
	scratch_store_dwordx2 off, v[50:51], off offset:104
.LBB82_67:
	s_or_b64 exec, exec, s[0:1]
	; wave barrier
	scratch_load_dwordx2 v[42:43], off, off offset:112
	v_cmp_gt_u32_e32 vcc, 14, v0
	s_waitcnt vmcnt(0)
	ds_write_b64 v1, v[42:43]
	s_waitcnt lgkmcnt(0)
	; wave barrier
	s_and_saveexec_b64 s[0:1], vcc
	s_cbranch_execz .LBB82_71
; %bb.68:
	v_mov_b32_e32 v42, 0
	v_add_u32_e32 v41, -1, v0
	v_add_u32_e32 v45, 0xa0, v40
	v_mov_b32_e32 v46, v40
	s_mov_b64 s[4:5], 0
	v_mov_b32_e32 v43, v42
.LBB82_69:                              ; =>This Inner Loop Header: Depth=1
	scratch_load_dwordx2 v[48:49], v46, off
	ds_read_b64 v[50:51], v45
	v_add_u32_e32 v41, 1, v41
	v_cmp_lt_u32_e32 vcc, 12, v41
	v_add_u32_e32 v45, 8, v45
	v_add_u32_e32 v46, 8, v46
	s_or_b64 s[4:5], vcc, s[4:5]
	s_waitcnt vmcnt(0) lgkmcnt(0)
	v_pk_mul_f32 v[52:53], v[50:51], v[48:49] op_sel:[1,1] op_sel_hi:[0,1]
	v_pk_fma_f32 v[54:55], v[50:51], v[48:49], v[52:53] neg_lo:[0,0,1] neg_hi:[0,0,1]
	v_pk_fma_f32 v[48:49], v[50:51], v[48:49], v[52:53] op_sel_hi:[1,0,1]
	s_nop 0
	v_mov_b32_e32 v55, v49
	v_pk_add_f32 v[42:43], v[42:43], v[54:55]
	s_andn2_b64 exec, exec, s[4:5]
	s_cbranch_execnz .LBB82_69
; %bb.70:
	s_or_b64 exec, exec, s[4:5]
	v_mov_b32_e32 v41, 0
	ds_read_b64 v[46:47], v41 offset:112
	s_waitcnt lgkmcnt(0)
	v_pk_mul_f32 v[48:49], v[42:43], v[46:47] op_sel:[1,1] op_sel_hi:[0,1]
	v_pk_fma_f32 v[50:51], v[42:43], v[46:47], v[48:49] neg_lo:[0,0,1] neg_hi:[0,0,1]
	v_pk_fma_f32 v[42:43], v[42:43], v[46:47], v[48:49] op_sel_hi:[1,0,1]
	s_nop 0
	v_mov_b32_e32 v51, v43
	scratch_store_dwordx2 off, v[50:51], off offset:112
.LBB82_71:
	s_or_b64 exec, exec, s[0:1]
	; wave barrier
	scratch_load_dwordx2 v[42:43], off, off offset:120
	v_cmp_gt_u32_e32 vcc, 15, v0
	s_waitcnt vmcnt(0)
	ds_write_b64 v1, v[42:43]
	s_waitcnt lgkmcnt(0)
	; wave barrier
	s_and_saveexec_b64 s[0:1], vcc
	s_cbranch_execz .LBB82_75
; %bb.72:
	v_mov_b32_e32 v42, 0
	v_add_u32_e32 v41, -1, v0
	v_add_u32_e32 v45, 0xa0, v40
	v_mov_b32_e32 v46, v40
	s_mov_b64 s[4:5], 0
	v_mov_b32_e32 v43, v42
.LBB82_73:                              ; =>This Inner Loop Header: Depth=1
	scratch_load_dwordx2 v[48:49], v46, off
	ds_read_b64 v[50:51], v45
	v_add_u32_e32 v41, 1, v41
	v_cmp_lt_u32_e32 vcc, 13, v41
	v_add_u32_e32 v45, 8, v45
	v_add_u32_e32 v46, 8, v46
	s_or_b64 s[4:5], vcc, s[4:5]
	s_waitcnt vmcnt(0) lgkmcnt(0)
	v_pk_mul_f32 v[52:53], v[50:51], v[48:49] op_sel:[1,1] op_sel_hi:[0,1]
	v_pk_fma_f32 v[54:55], v[50:51], v[48:49], v[52:53] neg_lo:[0,0,1] neg_hi:[0,0,1]
	v_pk_fma_f32 v[48:49], v[50:51], v[48:49], v[52:53] op_sel_hi:[1,0,1]
	s_nop 0
	v_mov_b32_e32 v55, v49
	v_pk_add_f32 v[42:43], v[42:43], v[54:55]
	s_andn2_b64 exec, exec, s[4:5]
	s_cbranch_execnz .LBB82_73
; %bb.74:
	s_or_b64 exec, exec, s[4:5]
	v_mov_b32_e32 v41, 0
	ds_read_b64 v[46:47], v41 offset:120
	s_waitcnt lgkmcnt(0)
	v_pk_mul_f32 v[48:49], v[42:43], v[46:47] op_sel:[1,1] op_sel_hi:[0,1]
	v_pk_fma_f32 v[50:51], v[42:43], v[46:47], v[48:49] neg_lo:[0,0,1] neg_hi:[0,0,1]
	v_pk_fma_f32 v[42:43], v[42:43], v[46:47], v[48:49] op_sel_hi:[1,0,1]
	s_nop 0
	v_mov_b32_e32 v51, v43
	scratch_store_dwordx2 off, v[50:51], off offset:120
.LBB82_75:
	s_or_b64 exec, exec, s[0:1]
	; wave barrier
	scratch_load_dwordx2 v[42:43], off, off offset:128
	v_cmp_gt_u32_e32 vcc, 16, v0
	s_waitcnt vmcnt(0)
	ds_write_b64 v1, v[42:43]
	s_waitcnt lgkmcnt(0)
	; wave barrier
	s_and_saveexec_b64 s[0:1], vcc
	s_cbranch_execz .LBB82_79
; %bb.76:
	v_mov_b32_e32 v42, 0
	v_add_u32_e32 v41, -1, v0
	v_add_u32_e32 v45, 0xa0, v40
	v_mov_b32_e32 v46, v40
	s_mov_b64 s[4:5], 0
	v_mov_b32_e32 v43, v42
.LBB82_77:                              ; =>This Inner Loop Header: Depth=1
	scratch_load_dwordx2 v[48:49], v46, off
	ds_read_b64 v[50:51], v45
	v_add_u32_e32 v41, 1, v41
	v_cmp_lt_u32_e32 vcc, 14, v41
	v_add_u32_e32 v45, 8, v45
	v_add_u32_e32 v46, 8, v46
	s_or_b64 s[4:5], vcc, s[4:5]
	s_waitcnt vmcnt(0) lgkmcnt(0)
	v_pk_mul_f32 v[52:53], v[50:51], v[48:49] op_sel:[1,1] op_sel_hi:[0,1]
	v_pk_fma_f32 v[54:55], v[50:51], v[48:49], v[52:53] neg_lo:[0,0,1] neg_hi:[0,0,1]
	v_pk_fma_f32 v[48:49], v[50:51], v[48:49], v[52:53] op_sel_hi:[1,0,1]
	s_nop 0
	v_mov_b32_e32 v55, v49
	v_pk_add_f32 v[42:43], v[42:43], v[54:55]
	s_andn2_b64 exec, exec, s[4:5]
	s_cbranch_execnz .LBB82_77
; %bb.78:
	s_or_b64 exec, exec, s[4:5]
	v_mov_b32_e32 v41, 0
	ds_read_b64 v[46:47], v41 offset:128
	s_waitcnt lgkmcnt(0)
	v_pk_mul_f32 v[48:49], v[42:43], v[46:47] op_sel:[1,1] op_sel_hi:[0,1]
	v_pk_fma_f32 v[50:51], v[42:43], v[46:47], v[48:49] neg_lo:[0,0,1] neg_hi:[0,0,1]
	v_pk_fma_f32 v[42:43], v[42:43], v[46:47], v[48:49] op_sel_hi:[1,0,1]
	s_nop 0
	v_mov_b32_e32 v51, v43
	scratch_store_dwordx2 off, v[50:51], off offset:128
.LBB82_79:
	s_or_b64 exec, exec, s[0:1]
	; wave barrier
	scratch_load_dwordx2 v[42:43], off, off offset:136
	v_cmp_gt_u32_e32 vcc, 17, v0
	s_waitcnt vmcnt(0)
	ds_write_b64 v1, v[42:43]
	s_waitcnt lgkmcnt(0)
	; wave barrier
	s_and_saveexec_b64 s[0:1], vcc
	s_cbranch_execz .LBB82_83
; %bb.80:
	v_mov_b32_e32 v42, 0
	v_add_u32_e32 v41, -1, v0
	v_add_u32_e32 v45, 0xa0, v40
	v_mov_b32_e32 v46, v40
	s_mov_b64 s[4:5], 0
	v_mov_b32_e32 v43, v42
.LBB82_81:                              ; =>This Inner Loop Header: Depth=1
	scratch_load_dwordx2 v[48:49], v46, off
	ds_read_b64 v[50:51], v45
	v_add_u32_e32 v41, 1, v41
	v_cmp_lt_u32_e32 vcc, 15, v41
	v_add_u32_e32 v45, 8, v45
	v_add_u32_e32 v46, 8, v46
	s_or_b64 s[4:5], vcc, s[4:5]
	s_waitcnt vmcnt(0) lgkmcnt(0)
	v_pk_mul_f32 v[52:53], v[50:51], v[48:49] op_sel:[1,1] op_sel_hi:[0,1]
	v_pk_fma_f32 v[54:55], v[50:51], v[48:49], v[52:53] neg_lo:[0,0,1] neg_hi:[0,0,1]
	v_pk_fma_f32 v[48:49], v[50:51], v[48:49], v[52:53] op_sel_hi:[1,0,1]
	s_nop 0
	v_mov_b32_e32 v55, v49
	v_pk_add_f32 v[42:43], v[42:43], v[54:55]
	s_andn2_b64 exec, exec, s[4:5]
	s_cbranch_execnz .LBB82_81
; %bb.82:
	s_or_b64 exec, exec, s[4:5]
	v_mov_b32_e32 v41, 0
	ds_read_b64 v[46:47], v41 offset:136
	s_waitcnt lgkmcnt(0)
	v_pk_mul_f32 v[48:49], v[42:43], v[46:47] op_sel:[1,1] op_sel_hi:[0,1]
	v_pk_fma_f32 v[50:51], v[42:43], v[46:47], v[48:49] neg_lo:[0,0,1] neg_hi:[0,0,1]
	v_pk_fma_f32 v[42:43], v[42:43], v[46:47], v[48:49] op_sel_hi:[1,0,1]
	s_nop 0
	v_mov_b32_e32 v51, v43
	scratch_store_dwordx2 off, v[50:51], off offset:136
.LBB82_83:
	s_or_b64 exec, exec, s[0:1]
	; wave barrier
	scratch_load_dwordx2 v[42:43], off, off offset:144
	v_cmp_ne_u32_e32 vcc, 18, v0
	s_waitcnt vmcnt(0)
	ds_write_b64 v1, v[42:43]
	s_waitcnt lgkmcnt(0)
	; wave barrier
	s_and_saveexec_b64 s[0:1], vcc
	s_cbranch_execz .LBB82_87
; %bb.84:
	v_add_u32_e32 v1, 0xa0, v40
	v_mov_b32_e32 v42, v40
	v_mov_b32_e32 v40, 0
	s_mov_b64 s[4:5], 0
	v_mov_b32_e32 v41, v40
.LBB82_85:                              ; =>This Inner Loop Header: Depth=1
	scratch_load_dwordx2 v[46:47], v42, off
	ds_read_b64 v[48:49], v1
	v_add_u32_e32 v44, 1, v44
	v_cmp_lt_u32_e32 vcc, 16, v44
	v_add_u32_e32 v1, 8, v1
	v_add_u32_e32 v42, 8, v42
	s_or_b64 s[4:5], vcc, s[4:5]
	s_waitcnt vmcnt(0) lgkmcnt(0)
	v_pk_mul_f32 v[50:51], v[48:49], v[46:47] op_sel:[1,1] op_sel_hi:[0,1]
	v_pk_fma_f32 v[52:53], v[48:49], v[46:47], v[50:51] neg_lo:[0,0,1] neg_hi:[0,0,1]
	v_pk_fma_f32 v[46:47], v[48:49], v[46:47], v[50:51] op_sel_hi:[1,0,1]
	s_nop 0
	v_mov_b32_e32 v53, v47
	v_pk_add_f32 v[40:41], v[40:41], v[52:53]
	s_andn2_b64 exec, exec, s[4:5]
	s_cbranch_execnz .LBB82_85
; %bb.86:
	s_or_b64 exec, exec, s[4:5]
	v_mov_b32_e32 v1, 0
	ds_read_b64 v[42:43], v1 offset:144
	s_waitcnt lgkmcnt(0)
	v_pk_mul_f32 v[44:45], v[40:41], v[42:43] op_sel:[1,1] op_sel_hi:[0,1]
	v_pk_fma_f32 v[46:47], v[40:41], v[42:43], v[44:45] neg_lo:[0,0,1] neg_hi:[0,0,1]
	v_pk_fma_f32 v[40:41], v[40:41], v[42:43], v[44:45] op_sel_hi:[1,0,1]
	s_nop 0
	v_mov_b32_e32 v47, v41
	scratch_store_dwordx2 off, v[46:47], off offset:144
.LBB82_87:
	s_or_b64 exec, exec, s[0:1]
	s_mov_b64 s[4:5], -1
	; wave barrier
.LBB82_88:
	s_and_b64 vcc, exec, s[4:5]
	s_cbranch_vccz .LBB82_90
; %bb.89:
	s_lshl_b64 s[0:1], s[2:3], 2
	s_add_u32 s0, s6, s0
	s_addc_u32 s1, s7, s1
	v_mov_b32_e32 v1, 0
	global_load_dword v1, v1, s[0:1]
	s_waitcnt vmcnt(0)
	v_cmp_ne_u32_e32 vcc, 0, v1
	s_cbranch_vccz .LBB82_91
.LBB82_90:
	s_endpgm
.LBB82_91:
	v_mov_b32_e32 v1, 0xa0
	v_lshl_add_u32 v1, v0, 3, v1
	v_cmp_eq_u32_e32 vcc, 18, v0
	s_and_saveexec_b64 s[0:1], vcc
	s_cbranch_execz .LBB82_93
; %bb.92:
	scratch_load_dwordx2 v[40:41], off, off offset:136
	v_mov_b32_e32 v42, 0
	v_mov_b32_e32 v43, v42
	scratch_store_dwordx2 off, v[42:43], off offset:136
	s_waitcnt vmcnt(1)
	ds_write_b64 v1, v[40:41]
.LBB82_93:
	s_or_b64 exec, exec, s[0:1]
	s_waitcnt lgkmcnt(0)
	; wave barrier
	scratch_load_dwordx2 v[42:43], off, off offset:144
	scratch_load_dwordx2 v[44:45], off, off offset:136
	v_mov_b32_e32 v40, 0
	ds_read_b64 v[46:47], v40 offset:304
	v_cmp_lt_u32_e32 vcc, 16, v0
	s_waitcnt vmcnt(1) lgkmcnt(0)
	v_pk_mul_f32 v[48:49], v[46:47], v[42:43] op_sel:[1,1] op_sel_hi:[0,1]
	v_pk_fma_f32 v[50:51], v[46:47], v[42:43], v[48:49] neg_lo:[0,0,1] neg_hi:[0,0,1]
	v_pk_fma_f32 v[42:43], v[46:47], v[42:43], v[48:49] op_sel_hi:[1,0,1]
	s_nop 0
	v_mov_b32_e32 v51, v43
	v_pk_add_f32 v[42:43], v[50:51], 0 op_sel_hi:[1,0]
	s_waitcnt vmcnt(0)
	v_pk_add_f32 v[42:43], v[44:45], v[42:43] neg_lo:[0,1] neg_hi:[0,1]
	scratch_store_dwordx2 off, v[42:43], off offset:136
	s_and_saveexec_b64 s[0:1], vcc
	s_cbranch_execz .LBB82_95
; %bb.94:
	scratch_load_dwordx2 v[42:43], off, off offset:128
	v_mov_b32_e32 v41, v40
	scratch_store_dwordx2 off, v[40:41], off offset:128
	s_waitcnt vmcnt(1)
	ds_write_b64 v1, v[42:43]
.LBB82_95:
	s_or_b64 exec, exec, s[0:1]
	s_waitcnt lgkmcnt(0)
	; wave barrier
	scratch_load_dwordx4 v[42:45], off, off offset:136
	scratch_load_dwordx2 v[50:51], off, off offset:128
	ds_read2_b64 v[46:49], v40 offset0:37 offset1:38
	v_cmp_lt_u32_e32 vcc, 15, v0
	s_waitcnt vmcnt(1) lgkmcnt(0)
	v_pk_mul_f32 v[40:41], v[46:47], v[42:43] op_sel:[1,1] op_sel_hi:[0,1]
	v_mov_b32_e32 v52, v45
	v_pk_fma_f32 v[54:55], v[46:47], v[42:43], v[40:41] neg_lo:[0,0,1] neg_hi:[0,0,1]
	v_pk_fma_f32 v[40:41], v[46:47], v[42:43], v[40:41] op_sel_hi:[1,0,1]
	v_pk_mul_f32 v[42:43], v[48:49], v[52:53] op_sel:[1,0] op_sel_hi:[0,0]
	v_mov_b32_e32 v55, v41
	v_pk_fma_f32 v[40:41], v[48:49], v[44:45], v[42:43] neg_lo:[0,0,1] neg_hi:[0,0,1]
	v_pk_fma_f32 v[42:43], v[48:49], v[44:45], v[42:43] op_sel_hi:[1,0,1]
	v_pk_add_f32 v[44:45], v[54:55], 0 op_sel_hi:[1,0]
	v_mov_b32_e32 v41, v43
	v_pk_add_f32 v[40:41], v[44:45], v[40:41]
	s_waitcnt vmcnt(0)
	v_pk_add_f32 v[40:41], v[50:51], v[40:41] neg_lo:[0,1] neg_hi:[0,1]
	scratch_store_dwordx2 off, v[40:41], off offset:128
	s_and_saveexec_b64 s[0:1], vcc
	s_cbranch_execz .LBB82_97
; %bb.96:
	scratch_load_dwordx2 v[40:41], off, off offset:120
	v_mov_b32_e32 v42, 0
	v_mov_b32_e32 v43, v42
	scratch_store_dwordx2 off, v[42:43], off offset:120
	s_waitcnt vmcnt(1)
	ds_write_b64 v1, v[40:41]
.LBB82_97:
	s_or_b64 exec, exec, s[0:1]
	s_waitcnt lgkmcnt(0)
	; wave barrier
	scratch_load_dwordx4 v[42:45], off, off offset:128
	scratch_load_dwordx2 v[50:51], off, off offset:144
	scratch_load_dwordx2 v[52:53], off, off offset:120
	v_mov_b32_e32 v40, 0
	ds_read_b128 v[46:49], v40 offset:288
	ds_read_b64 v[54:55], v40 offset:304
	v_cmp_lt_u32_e32 vcc, 14, v0
	s_waitcnt vmcnt(2) lgkmcnt(1)
	v_pk_mul_f32 v[56:57], v[46:47], v[42:43] op_sel:[1,1] op_sel_hi:[0,1]
	v_mov_b32_e32 v58, v45
	v_pk_fma_f32 v[62:63], v[46:47], v[42:43], v[56:57] neg_lo:[0,0,1] neg_hi:[0,0,1]
	v_pk_fma_f32 v[42:43], v[46:47], v[42:43], v[56:57] op_sel_hi:[1,0,1]
	v_pk_mul_f32 v[46:47], v[48:49], v[58:59] op_sel:[1,0] op_sel_hi:[0,0]
	s_waitcnt vmcnt(1) lgkmcnt(0)
	v_pk_mul_f32 v[60:61], v[54:55], v[50:51] op_sel:[1,1] op_sel_hi:[0,1]
	v_mov_b32_e32 v63, v43
	v_pk_fma_f32 v[42:43], v[48:49], v[44:45], v[46:47] neg_lo:[0,0,1] neg_hi:[0,0,1]
	v_pk_fma_f32 v[44:45], v[48:49], v[44:45], v[46:47] op_sel_hi:[1,0,1]
	v_pk_fma_f32 v[56:57], v[54:55], v[50:51], v[60:61] neg_lo:[0,0,1] neg_hi:[0,0,1]
	v_pk_fma_f32 v[50:51], v[54:55], v[50:51], v[60:61] op_sel_hi:[1,0,1]
	v_pk_add_f32 v[46:47], v[62:63], 0 op_sel_hi:[1,0]
	v_mov_b32_e32 v43, v45
	v_mov_b32_e32 v57, v51
	v_pk_add_f32 v[42:43], v[46:47], v[42:43]
	s_nop 0
	v_pk_add_f32 v[42:43], v[42:43], v[56:57]
	s_waitcnt vmcnt(0)
	v_pk_add_f32 v[42:43], v[52:53], v[42:43] neg_lo:[0,1] neg_hi:[0,1]
	scratch_store_dwordx2 off, v[42:43], off offset:120
	s_and_saveexec_b64 s[0:1], vcc
	s_cbranch_execz .LBB82_99
; %bb.98:
	scratch_load_dwordx2 v[42:43], off, off offset:112
	v_mov_b32_e32 v41, v40
	scratch_store_dwordx2 off, v[40:41], off offset:112
	s_waitcnt vmcnt(1)
	ds_write_b64 v1, v[42:43]
.LBB82_99:
	s_or_b64 exec, exec, s[0:1]
	s_waitcnt lgkmcnt(0)
	; wave barrier
	scratch_load_dwordx4 v[42:45], off, off offset:120
	scratch_load_dwordx4 v[46:49], off, off offset:136
	scratch_load_dwordx2 v[58:59], off, off offset:112
	ds_read2_b64 v[50:53], v40 offset0:35 offset1:36
	ds_read2_b64 v[54:57], v40 offset0:37 offset1:38
	v_cmp_lt_u32_e32 vcc, 13, v0
	s_waitcnt vmcnt(2) lgkmcnt(1)
	v_pk_mul_f32 v[40:41], v[50:51], v[42:43] op_sel:[1,1] op_sel_hi:[0,1]
	v_mov_b32_e32 v60, v45
	s_waitcnt vmcnt(1) lgkmcnt(0)
	v_pk_mul_f32 v[62:63], v[54:55], v[46:47] op_sel:[1,1] op_sel_hi:[0,1]
	v_mov_b32_e32 v64, v49
	v_pk_fma_f32 v[66:67], v[50:51], v[42:43], v[40:41] neg_lo:[0,0,1] neg_hi:[0,0,1]
	v_pk_fma_f32 v[40:41], v[50:51], v[42:43], v[40:41] op_sel_hi:[1,0,1]
	v_pk_mul_f32 v[42:43], v[52:53], v[60:61] op_sel:[1,0] op_sel_hi:[0,0]
	v_pk_fma_f32 v[50:51], v[54:55], v[46:47], v[62:63] neg_lo:[0,0,1] neg_hi:[0,0,1]
	v_pk_fma_f32 v[46:47], v[54:55], v[46:47], v[62:63] op_sel_hi:[1,0,1]
	v_pk_mul_f32 v[54:55], v[56:57], v[64:65] op_sel:[1,0] op_sel_hi:[0,0]
	v_mov_b32_e32 v67, v41
	v_pk_fma_f32 v[40:41], v[52:53], v[44:45], v[42:43] neg_lo:[0,0,1] neg_hi:[0,0,1]
	v_pk_fma_f32 v[42:43], v[52:53], v[44:45], v[42:43] op_sel_hi:[1,0,1]
	v_mov_b32_e32 v51, v47
	v_pk_fma_f32 v[44:45], v[56:57], v[48:49], v[54:55] neg_lo:[0,0,1] neg_hi:[0,0,1]
	v_pk_fma_f32 v[46:47], v[56:57], v[48:49], v[54:55] op_sel_hi:[1,0,1]
	v_pk_add_f32 v[48:49], v[66:67], 0 op_sel_hi:[1,0]
	v_mov_b32_e32 v41, v43
	v_pk_add_f32 v[40:41], v[48:49], v[40:41]
	v_mov_b32_e32 v45, v47
	v_pk_add_f32 v[40:41], v[40:41], v[50:51]
	s_nop 0
	v_pk_add_f32 v[40:41], v[40:41], v[44:45]
	s_waitcnt vmcnt(0)
	v_pk_add_f32 v[40:41], v[58:59], v[40:41] neg_lo:[0,1] neg_hi:[0,1]
	scratch_store_dwordx2 off, v[40:41], off offset:112
	s_and_saveexec_b64 s[0:1], vcc
	s_cbranch_execz .LBB82_101
; %bb.100:
	scratch_load_dwordx2 v[40:41], off, off offset:104
	v_mov_b32_e32 v42, 0
	v_mov_b32_e32 v43, v42
	scratch_store_dwordx2 off, v[42:43], off offset:104
	s_waitcnt vmcnt(1)
	ds_write_b64 v1, v[40:41]
.LBB82_101:
	s_or_b64 exec, exec, s[0:1]
	s_waitcnt lgkmcnt(0)
	; wave barrier
	scratch_load_dwordx4 v[42:45], off, off offset:112
	scratch_load_dwordx4 v[46:49], off, off offset:128
	scratch_load_dwordx2 v[58:59], off, off offset:144
	scratch_load_dwordx2 v[60:61], off, off offset:104
	v_mov_b32_e32 v40, 0
	ds_read_b128 v[50:53], v40 offset:272
	ds_read_b128 v[54:57], v40 offset:288
	ds_read_b64 v[62:63], v40 offset:304
	v_cmp_lt_u32_e32 vcc, 12, v0
	s_waitcnt vmcnt(3) lgkmcnt(2)
	v_pk_mul_f32 v[64:65], v[50:51], v[42:43] op_sel:[1,1] op_sel_hi:[0,1]
	v_mov_b32_e32 v66, v45
	v_pk_fma_f32 v[74:75], v[50:51], v[42:43], v[64:65] neg_lo:[0,0,1] neg_hi:[0,0,1]
	v_pk_fma_f32 v[42:43], v[50:51], v[42:43], v[64:65] op_sel_hi:[1,0,1]
	v_pk_mul_f32 v[50:51], v[52:53], v[66:67] op_sel:[1,0] op_sel_hi:[0,0]
	s_waitcnt vmcnt(2) lgkmcnt(1)
	v_pk_mul_f32 v[68:69], v[54:55], v[46:47] op_sel:[1,1] op_sel_hi:[0,1]
	v_mov_b32_e32 v70, v49
	v_mov_b32_e32 v75, v43
	v_pk_fma_f32 v[42:43], v[52:53], v[44:45], v[50:51] neg_lo:[0,0,1] neg_hi:[0,0,1]
	v_pk_fma_f32 v[44:45], v[52:53], v[44:45], v[50:51] op_sel_hi:[1,0,1]
	v_pk_fma_f32 v[64:65], v[54:55], v[46:47], v[68:69] neg_lo:[0,0,1] neg_hi:[0,0,1]
	v_pk_fma_f32 v[46:47], v[54:55], v[46:47], v[68:69] op_sel_hi:[1,0,1]
	v_pk_mul_f32 v[54:55], v[56:57], v[70:71] op_sel:[1,0] op_sel_hi:[0,0]
	v_pk_add_f32 v[50:51], v[74:75], 0 op_sel_hi:[1,0]
	v_mov_b32_e32 v43, v45
	s_waitcnt vmcnt(1) lgkmcnt(0)
	v_pk_mul_f32 v[72:73], v[62:63], v[58:59] op_sel:[1,1] op_sel_hi:[0,1]
	v_mov_b32_e32 v65, v47
	v_pk_fma_f32 v[46:47], v[56:57], v[48:49], v[54:55] neg_lo:[0,0,1] neg_hi:[0,0,1]
	v_pk_fma_f32 v[48:49], v[56:57], v[48:49], v[54:55] op_sel_hi:[1,0,1]
	v_pk_add_f32 v[42:43], v[50:51], v[42:43]
	v_pk_fma_f32 v[66:67], v[62:63], v[58:59], v[72:73] neg_lo:[0,0,1] neg_hi:[0,0,1]
	v_pk_fma_f32 v[58:59], v[62:63], v[58:59], v[72:73] op_sel_hi:[1,0,1]
	v_mov_b32_e32 v47, v49
	v_pk_add_f32 v[42:43], v[42:43], v[64:65]
	v_mov_b32_e32 v67, v59
	v_pk_add_f32 v[42:43], v[42:43], v[46:47]
	s_nop 0
	v_pk_add_f32 v[42:43], v[42:43], v[66:67]
	s_waitcnt vmcnt(0)
	v_pk_add_f32 v[42:43], v[60:61], v[42:43] neg_lo:[0,1] neg_hi:[0,1]
	scratch_store_dwordx2 off, v[42:43], off offset:104
	s_and_saveexec_b64 s[0:1], vcc
	s_cbranch_execz .LBB82_103
; %bb.102:
	scratch_load_dwordx2 v[42:43], off, off offset:96
	v_mov_b32_e32 v41, v40
	scratch_store_dwordx2 off, v[40:41], off offset:96
	s_waitcnt vmcnt(1)
	ds_write_b64 v1, v[42:43]
.LBB82_103:
	s_or_b64 exec, exec, s[0:1]
	s_waitcnt lgkmcnt(0)
	; wave barrier
	scratch_load_dwordx4 v[42:45], off, off offset:104
	scratch_load_dwordx4 v[46:49], off, off offset:120
	;; [unrolled: 1-line block ×3, first 2 shown]
	scratch_load_dwordx2 v[66:67], off, off offset:96
	ds_read2_b64 v[54:57], v40 offset0:33 offset1:34
	ds_read2_b64 v[58:61], v40 offset0:35 offset1:36
	;; [unrolled: 1-line block ×3, first 2 shown]
	v_cmp_lt_u32_e32 vcc, 11, v0
	s_waitcnt vmcnt(3) lgkmcnt(2)
	v_pk_mul_f32 v[40:41], v[54:55], v[42:43] op_sel:[1,1] op_sel_hi:[0,1]
	v_mov_b32_e32 v68, v45
	s_waitcnt vmcnt(2) lgkmcnt(1)
	v_pk_mul_f32 v[70:71], v[58:59], v[46:47] op_sel:[1,1] op_sel_hi:[0,1]
	v_mov_b32_e32 v72, v49
	s_waitcnt vmcnt(1) lgkmcnt(0)
	v_pk_mul_f32 v[74:75], v[62:63], v[50:51] op_sel:[1,1] op_sel_hi:[0,1]
	v_mov_b32_e32 v76, v53
	v_pk_fma_f32 v[78:79], v[54:55], v[42:43], v[40:41] neg_lo:[0,0,1] neg_hi:[0,0,1]
	v_pk_fma_f32 v[40:41], v[54:55], v[42:43], v[40:41] op_sel_hi:[1,0,1]
	v_pk_mul_f32 v[42:43], v[56:57], v[68:69] op_sel:[1,0] op_sel_hi:[0,0]
	v_pk_fma_f32 v[54:55], v[58:59], v[46:47], v[70:71] neg_lo:[0,0,1] neg_hi:[0,0,1]
	v_pk_fma_f32 v[46:47], v[58:59], v[46:47], v[70:71] op_sel_hi:[1,0,1]
	v_pk_mul_f32 v[58:59], v[60:61], v[72:73] op_sel:[1,0] op_sel_hi:[0,0]
	;; [unrolled: 3-line block ×3, first 2 shown]
	v_mov_b32_e32 v79, v41
	v_pk_fma_f32 v[40:41], v[56:57], v[44:45], v[42:43] neg_lo:[0,0,1] neg_hi:[0,0,1]
	v_pk_fma_f32 v[42:43], v[56:57], v[44:45], v[42:43] op_sel_hi:[1,0,1]
	v_mov_b32_e32 v55, v47
	v_pk_fma_f32 v[44:45], v[60:61], v[48:49], v[58:59] neg_lo:[0,0,1] neg_hi:[0,0,1]
	v_pk_fma_f32 v[46:47], v[60:61], v[48:49], v[58:59] op_sel_hi:[1,0,1]
	;; [unrolled: 3-line block ×3, first 2 shown]
	v_pk_add_f32 v[52:53], v[78:79], 0 op_sel_hi:[1,0]
	v_mov_b32_e32 v41, v43
	v_pk_add_f32 v[40:41], v[52:53], v[40:41]
	v_mov_b32_e32 v45, v47
	v_pk_add_f32 v[40:41], v[40:41], v[54:55]
	;; [unrolled: 2-line block ×3, first 2 shown]
	s_nop 0
	v_pk_add_f32 v[40:41], v[40:41], v[68:69]
	s_nop 0
	v_pk_add_f32 v[40:41], v[40:41], v[48:49]
	s_waitcnt vmcnt(0)
	v_pk_add_f32 v[40:41], v[66:67], v[40:41] neg_lo:[0,1] neg_hi:[0,1]
	scratch_store_dwordx2 off, v[40:41], off offset:96
	s_and_saveexec_b64 s[0:1], vcc
	s_cbranch_execz .LBB82_105
; %bb.104:
	scratch_load_dwordx2 v[40:41], off, off offset:88
	v_mov_b32_e32 v42, 0
	v_mov_b32_e32 v43, v42
	scratch_store_dwordx2 off, v[42:43], off offset:88
	s_waitcnt vmcnt(1)
	ds_write_b64 v1, v[40:41]
.LBB82_105:
	s_or_b64 exec, exec, s[0:1]
	s_waitcnt lgkmcnt(0)
	; wave barrier
	scratch_load_dwordx4 v[42:45], off, off offset:96
	scratch_load_dwordx4 v[46:49], off, off offset:112
	;; [unrolled: 1-line block ×3, first 2 shown]
	scratch_load_dwordx2 v[66:67], off, off offset:144
	scratch_load_dwordx2 v[68:69], off, off offset:88
	v_mov_b32_e32 v40, 0
	ds_read_b128 v[54:57], v40 offset:256
	ds_read_b128 v[58:61], v40 offset:272
	;; [unrolled: 1-line block ×3, first 2 shown]
	ds_read_b64 v[70:71], v40 offset:304
	v_cmp_lt_u32_e32 vcc, 10, v0
	s_waitcnt vmcnt(4) lgkmcnt(3)
	v_pk_mul_f32 v[72:73], v[54:55], v[42:43] op_sel:[1,1] op_sel_hi:[0,1]
	v_mov_b32_e32 v74, v45
	v_pk_fma_f32 v[86:87], v[54:55], v[42:43], v[72:73] neg_lo:[0,0,1] neg_hi:[0,0,1]
	v_pk_fma_f32 v[42:43], v[54:55], v[42:43], v[72:73] op_sel_hi:[1,0,1]
	v_pk_mul_f32 v[54:55], v[56:57], v[74:75] op_sel:[1,0] op_sel_hi:[0,0]
	s_waitcnt vmcnt(3) lgkmcnt(2)
	v_pk_mul_f32 v[76:77], v[58:59], v[46:47] op_sel:[1,1] op_sel_hi:[0,1]
	v_mov_b32_e32 v78, v49
	v_mov_b32_e32 v87, v43
	v_pk_fma_f32 v[42:43], v[56:57], v[44:45], v[54:55] neg_lo:[0,0,1] neg_hi:[0,0,1]
	v_pk_fma_f32 v[44:45], v[56:57], v[44:45], v[54:55] op_sel_hi:[1,0,1]
	v_pk_fma_f32 v[72:73], v[58:59], v[46:47], v[76:77] neg_lo:[0,0,1] neg_hi:[0,0,1]
	v_pk_fma_f32 v[46:47], v[58:59], v[46:47], v[76:77] op_sel_hi:[1,0,1]
	v_pk_mul_f32 v[58:59], v[60:61], v[78:79] op_sel:[1,0] op_sel_hi:[0,0]
	v_pk_add_f32 v[54:55], v[86:87], 0 op_sel_hi:[1,0]
	v_mov_b32_e32 v43, v45
	s_waitcnt vmcnt(2) lgkmcnt(1)
	v_pk_mul_f32 v[80:81], v[62:63], v[50:51] op_sel:[1,1] op_sel_hi:[0,1]
	v_mov_b32_e32 v82, v53
	v_mov_b32_e32 v73, v47
	v_pk_fma_f32 v[46:47], v[60:61], v[48:49], v[58:59] neg_lo:[0,0,1] neg_hi:[0,0,1]
	v_pk_fma_f32 v[48:49], v[60:61], v[48:49], v[58:59] op_sel_hi:[1,0,1]
	v_pk_add_f32 v[42:43], v[54:55], v[42:43]
	v_pk_fma_f32 v[74:75], v[62:63], v[50:51], v[80:81] neg_lo:[0,0,1] neg_hi:[0,0,1]
	v_pk_fma_f32 v[50:51], v[62:63], v[50:51], v[80:81] op_sel_hi:[1,0,1]
	v_pk_mul_f32 v[62:63], v[64:65], v[82:83] op_sel:[1,0] op_sel_hi:[0,0]
	v_mov_b32_e32 v47, v49
	v_pk_add_f32 v[42:43], v[42:43], v[72:73]
	s_waitcnt vmcnt(1) lgkmcnt(0)
	v_pk_mul_f32 v[84:85], v[70:71], v[66:67] op_sel:[1,1] op_sel_hi:[0,1]
	v_mov_b32_e32 v75, v51
	v_pk_fma_f32 v[50:51], v[64:65], v[52:53], v[62:63] neg_lo:[0,0,1] neg_hi:[0,0,1]
	v_pk_fma_f32 v[52:53], v[64:65], v[52:53], v[62:63] op_sel_hi:[1,0,1]
	v_pk_add_f32 v[42:43], v[42:43], v[46:47]
	v_pk_fma_f32 v[76:77], v[70:71], v[66:67], v[84:85] neg_lo:[0,0,1] neg_hi:[0,0,1]
	v_pk_fma_f32 v[66:67], v[70:71], v[66:67], v[84:85] op_sel_hi:[1,0,1]
	v_mov_b32_e32 v51, v53
	v_pk_add_f32 v[42:43], v[42:43], v[74:75]
	v_mov_b32_e32 v77, v67
	v_pk_add_f32 v[42:43], v[42:43], v[50:51]
	s_nop 0
	v_pk_add_f32 v[42:43], v[42:43], v[76:77]
	s_waitcnt vmcnt(0)
	v_pk_add_f32 v[42:43], v[68:69], v[42:43] neg_lo:[0,1] neg_hi:[0,1]
	scratch_store_dwordx2 off, v[42:43], off offset:88
	s_and_saveexec_b64 s[0:1], vcc
	s_cbranch_execz .LBB82_107
; %bb.106:
	scratch_load_dwordx2 v[42:43], off, off offset:80
	v_mov_b32_e32 v41, v40
	scratch_store_dwordx2 off, v[40:41], off offset:80
	s_waitcnt vmcnt(1)
	ds_write_b64 v1, v[42:43]
.LBB82_107:
	s_or_b64 exec, exec, s[0:1]
	s_waitcnt lgkmcnt(0)
	; wave barrier
	scratch_load_dwordx4 v[42:45], off, off offset:88
	scratch_load_dwordx4 v[46:49], off, off offset:104
	;; [unrolled: 1-line block ×4, first 2 shown]
	scratch_load_dwordx2 v[74:75], off, off offset:80
	ds_read2_b64 v[58:61], v40 offset0:31 offset1:32
	ds_read2_b64 v[62:65], v40 offset0:33 offset1:34
	ds_read2_b64 v[66:69], v40 offset0:35 offset1:36
	ds_read2_b64 v[70:73], v40 offset0:37 offset1:38
	v_cmp_lt_u32_e32 vcc, 9, v0
	s_waitcnt vmcnt(4) lgkmcnt(3)
	v_pk_mul_f32 v[40:41], v[58:59], v[42:43] op_sel:[1,1] op_sel_hi:[0,1]
	v_mov_b32_e32 v76, v45
	s_waitcnt vmcnt(3) lgkmcnt(2)
	v_pk_mul_f32 v[78:79], v[62:63], v[46:47] op_sel:[1,1] op_sel_hi:[0,1]
	v_mov_b32_e32 v80, v49
	;; [unrolled: 3-line block ×4, first 2 shown]
	v_pk_fma_f32 v[90:91], v[58:59], v[42:43], v[40:41] neg_lo:[0,0,1] neg_hi:[0,0,1]
	v_pk_fma_f32 v[40:41], v[58:59], v[42:43], v[40:41] op_sel_hi:[1,0,1]
	v_pk_mul_f32 v[42:43], v[60:61], v[76:77] op_sel:[1,0] op_sel_hi:[0,0]
	v_pk_fma_f32 v[58:59], v[62:63], v[46:47], v[78:79] neg_lo:[0,0,1] neg_hi:[0,0,1]
	v_pk_fma_f32 v[46:47], v[62:63], v[46:47], v[78:79] op_sel_hi:[1,0,1]
	v_pk_mul_f32 v[62:63], v[64:65], v[80:81] op_sel:[1,0] op_sel_hi:[0,0]
	;; [unrolled: 3-line block ×4, first 2 shown]
	v_mov_b32_e32 v91, v41
	v_pk_fma_f32 v[40:41], v[60:61], v[44:45], v[42:43] neg_lo:[0,0,1] neg_hi:[0,0,1]
	v_pk_fma_f32 v[42:43], v[60:61], v[44:45], v[42:43] op_sel_hi:[1,0,1]
	v_mov_b32_e32 v59, v47
	v_pk_fma_f32 v[44:45], v[64:65], v[48:49], v[62:63] neg_lo:[0,0,1] neg_hi:[0,0,1]
	v_pk_fma_f32 v[46:47], v[64:65], v[48:49], v[62:63] op_sel_hi:[1,0,1]
	;; [unrolled: 3-line block ×4, first 2 shown]
	v_pk_add_f32 v[56:57], v[90:91], 0 op_sel_hi:[1,0]
	v_mov_b32_e32 v41, v43
	v_pk_add_f32 v[40:41], v[56:57], v[40:41]
	v_mov_b32_e32 v45, v47
	v_pk_add_f32 v[40:41], v[40:41], v[58:59]
	;; [unrolled: 2-line block ×4, first 2 shown]
	s_nop 0
	v_pk_add_f32 v[40:41], v[40:41], v[48:49]
	s_nop 0
	v_pk_add_f32 v[40:41], v[40:41], v[78:79]
	;; [unrolled: 2-line block ×3, first 2 shown]
	s_waitcnt vmcnt(0)
	v_pk_add_f32 v[40:41], v[74:75], v[40:41] neg_lo:[0,1] neg_hi:[0,1]
	scratch_store_dwordx2 off, v[40:41], off offset:80
	s_and_saveexec_b64 s[0:1], vcc
	s_cbranch_execz .LBB82_109
; %bb.108:
	scratch_load_dwordx2 v[40:41], off, off offset:72
	v_mov_b32_e32 v42, 0
	v_mov_b32_e32 v43, v42
	scratch_store_dwordx2 off, v[42:43], off offset:72
	s_waitcnt vmcnt(1)
	ds_write_b64 v1, v[40:41]
.LBB82_109:
	s_or_b64 exec, exec, s[0:1]
	s_waitcnt lgkmcnt(0)
	; wave barrier
	scratch_load_dwordx4 v[42:45], off, off offset:80
	scratch_load_dwordx4 v[46:49], off, off offset:96
	;; [unrolled: 1-line block ×4, first 2 shown]
	scratch_load_dwordx2 v[74:75], off, off offset:144
	scratch_load_dwordx2 v[76:77], off, off offset:72
	v_mov_b32_e32 v40, 0
	ds_read_b128 v[58:61], v40 offset:240
	ds_read_b128 v[62:65], v40 offset:256
	;; [unrolled: 1-line block ×4, first 2 shown]
	ds_read_b64 v[78:79], v40 offset:304
	v_cmp_lt_u32_e32 vcc, 8, v0
	s_waitcnt vmcnt(5) lgkmcnt(4)
	v_mul_f32_e32 v81, v58, v43
	v_mul_f32_e32 v41, v59, v43
	v_mov_b32_e32 v82, v45
	s_waitcnt vmcnt(4) lgkmcnt(3)
	v_pk_mul_f32 v[84:85], v[62:63], v[46:47] op_sel:[1,1] op_sel_hi:[0,1]
	v_mov_b32_e32 v86, v49
	s_waitcnt vmcnt(1) lgkmcnt(0)
	v_pk_mul_f32 v[96:97], v[78:79], v[74:75] op_sel:[1,1] op_sel_hi:[0,1]
	v_fmac_f32_e32 v81, v59, v42
	v_fma_f32 v80, v58, v42, -v41
	v_pk_mul_f32 v[42:43], v[60:61], v[82:83] op_sel:[1,0] op_sel_hi:[0,0]
	v_pk_fma_f32 v[58:59], v[62:63], v[46:47], v[84:85] neg_lo:[0,0,1] neg_hi:[0,0,1]
	v_pk_fma_f32 v[46:47], v[62:63], v[46:47], v[84:85] op_sel_hi:[1,0,1]
	v_pk_mul_f32 v[62:63], v[64:65], v[86:87] op_sel:[1,0] op_sel_hi:[0,0]
	v_pk_fma_f32 v[86:87], v[78:79], v[74:75], v[96:97] neg_lo:[0,0,1] neg_hi:[0,0,1]
	v_pk_fma_f32 v[74:75], v[78:79], v[74:75], v[96:97] op_sel_hi:[1,0,1]
	v_pk_add_f32 v[78:79], v[80:81], 0 op_sel_hi:[1,0]
	v_pk_fma_f32 v[80:81], v[60:61], v[44:45], v[42:43] neg_lo:[0,0,1] neg_hi:[0,0,1]
	v_pk_fma_f32 v[42:43], v[60:61], v[44:45], v[42:43] op_sel_hi:[1,0,1]
	v_pk_mul_f32 v[88:89], v[66:67], v[50:51] op_sel:[1,1] op_sel_hi:[0,1]
	v_mov_b32_e32 v81, v43
	v_mov_b32_e32 v90, v53
	;; [unrolled: 1-line block ×3, first 2 shown]
	v_pk_fma_f32 v[44:45], v[64:65], v[48:49], v[62:63] neg_lo:[0,0,1] neg_hi:[0,0,1]
	v_pk_fma_f32 v[46:47], v[64:65], v[48:49], v[62:63] op_sel_hi:[1,0,1]
	v_pk_add_f32 v[42:43], v[78:79], v[80:81]
	v_pk_fma_f32 v[82:83], v[66:67], v[50:51], v[88:89] neg_lo:[0,0,1] neg_hi:[0,0,1]
	v_pk_fma_f32 v[50:51], v[66:67], v[50:51], v[88:89] op_sel_hi:[1,0,1]
	v_pk_mul_f32 v[66:67], v[68:69], v[90:91] op_sel:[1,0] op_sel_hi:[0,0]
	v_mov_b32_e32 v45, v47
	v_pk_add_f32 v[42:43], v[42:43], v[58:59]
	v_pk_mul_f32 v[92:93], v[70:71], v[54:55] op_sel:[1,1] op_sel_hi:[0,1]
	v_mov_b32_e32 v94, v57
	v_mov_b32_e32 v83, v51
	v_pk_fma_f32 v[48:49], v[68:69], v[52:53], v[66:67] neg_lo:[0,0,1] neg_hi:[0,0,1]
	v_pk_fma_f32 v[50:51], v[68:69], v[52:53], v[66:67] op_sel_hi:[1,0,1]
	v_pk_add_f32 v[42:43], v[42:43], v[44:45]
	v_pk_fma_f32 v[84:85], v[70:71], v[54:55], v[92:93] neg_lo:[0,0,1] neg_hi:[0,0,1]
	v_pk_fma_f32 v[54:55], v[70:71], v[54:55], v[92:93] op_sel_hi:[1,0,1]
	v_pk_mul_f32 v[70:71], v[72:73], v[94:95] op_sel:[1,0] op_sel_hi:[0,0]
	v_mov_b32_e32 v49, v51
	v_pk_add_f32 v[42:43], v[42:43], v[82:83]
	v_mov_b32_e32 v85, v55
	v_pk_fma_f32 v[52:53], v[72:73], v[56:57], v[70:71] neg_lo:[0,0,1] neg_hi:[0,0,1]
	v_pk_fma_f32 v[54:55], v[72:73], v[56:57], v[70:71] op_sel_hi:[1,0,1]
	v_pk_add_f32 v[42:43], v[42:43], v[48:49]
	v_mov_b32_e32 v53, v55
	v_pk_add_f32 v[42:43], v[42:43], v[84:85]
	v_mov_b32_e32 v87, v75
	v_pk_add_f32 v[42:43], v[42:43], v[52:53]
	s_nop 0
	v_pk_add_f32 v[42:43], v[42:43], v[86:87]
	s_waitcnt vmcnt(0)
	v_pk_add_f32 v[42:43], v[76:77], v[42:43] neg_lo:[0,1] neg_hi:[0,1]
	scratch_store_dwordx2 off, v[42:43], off offset:72
	s_and_saveexec_b64 s[0:1], vcc
	s_cbranch_execz .LBB82_111
; %bb.110:
	scratch_load_dwordx2 v[42:43], off, off offset:64
	v_mov_b32_e32 v41, v40
	scratch_store_dwordx2 off, v[40:41], off offset:64
	s_waitcnt vmcnt(1)
	ds_write_b64 v1, v[42:43]
.LBB82_111:
	s_or_b64 exec, exec, s[0:1]
	s_waitcnt lgkmcnt(0)
	; wave barrier
	scratch_load_dwordx4 v[42:45], off, off offset:72
	scratch_load_dwordx4 v[46:49], off, off offset:88
	scratch_load_dwordx4 v[50:53], off, off offset:104
	scratch_load_dwordx4 v[54:57], off, off offset:120
	scratch_load_dwordx4 v[58:61], off, off offset:136
	scratch_load_dwordx2 v[82:83], off, off offset:64
	ds_read2_b64 v[62:65], v40 offset0:29 offset1:30
	ds_read2_b64 v[66:69], v40 offset0:31 offset1:32
	;; [unrolled: 1-line block ×5, first 2 shown]
	v_cmp_lt_u32_e32 vcc, 7, v0
	s_waitcnt vmcnt(5) lgkmcnt(4)
	v_mul_f32_e32 v41, v62, v43
	v_mul_f32_e32 v40, v63, v43
	;; [unrolled: 1-line block ×4, first 2 shown]
	s_waitcnt vmcnt(4) lgkmcnt(3)
	v_pk_mul_f32 v[86:87], v[66:67], v[46:47] op_sel:[1,1] op_sel_hi:[0,1]
	v_mov_b32_e32 v88, v49
	v_fmac_f32_e32 v41, v63, v42
	v_fma_f32 v40, v62, v42, -v40
	v_fmac_f32_e32 v85, v65, v44
	v_fma_f32 v84, v64, v44, -v43
	v_pk_fma_f32 v[42:43], v[66:67], v[46:47], v[86:87] neg_lo:[0,0,1] neg_hi:[0,0,1]
	v_pk_fma_f32 v[44:45], v[66:67], v[46:47], v[86:87] op_sel_hi:[1,0,1]
	v_pk_mul_f32 v[46:47], v[68:69], v[88:89] op_sel:[1,0] op_sel_hi:[0,0]
	v_pk_add_f32 v[40:41], v[40:41], 0 op_sel_hi:[1,0]
	s_waitcnt vmcnt(3) lgkmcnt(2)
	v_pk_mul_f32 v[90:91], v[70:71], v[50:51] op_sel:[1,1] op_sel_hi:[0,1]
	v_mov_b32_e32 v92, v53
	v_mov_b32_e32 v43, v45
	v_pk_fma_f32 v[44:45], v[68:69], v[48:49], v[46:47] neg_lo:[0,0,1] neg_hi:[0,0,1]
	v_pk_fma_f32 v[46:47], v[68:69], v[48:49], v[46:47] op_sel_hi:[1,0,1]
	v_pk_add_f32 v[40:41], v[40:41], v[84:85]
	v_pk_fma_f32 v[62:63], v[70:71], v[50:51], v[90:91] neg_lo:[0,0,1] neg_hi:[0,0,1]
	v_pk_fma_f32 v[50:51], v[70:71], v[50:51], v[90:91] op_sel_hi:[1,0,1]
	v_pk_mul_f32 v[64:65], v[72:73], v[92:93] op_sel:[1,0] op_sel_hi:[0,0]
	v_mov_b32_e32 v45, v47
	v_pk_add_f32 v[40:41], v[40:41], v[42:43]
	s_waitcnt vmcnt(2) lgkmcnt(1)
	v_pk_mul_f32 v[94:95], v[74:75], v[54:55] op_sel:[1,1] op_sel_hi:[0,1]
	v_mov_b32_e32 v96, v57
	v_mov_b32_e32 v63, v51
	v_pk_fma_f32 v[48:49], v[72:73], v[52:53], v[64:65] neg_lo:[0,0,1] neg_hi:[0,0,1]
	v_pk_fma_f32 v[50:51], v[72:73], v[52:53], v[64:65] op_sel_hi:[1,0,1]
	v_pk_add_f32 v[40:41], v[40:41], v[44:45]
	v_pk_fma_f32 v[66:67], v[74:75], v[54:55], v[94:95] neg_lo:[0,0,1] neg_hi:[0,0,1]
	v_pk_fma_f32 v[54:55], v[74:75], v[54:55], v[94:95] op_sel_hi:[1,0,1]
	v_pk_mul_f32 v[70:71], v[76:77], v[96:97] op_sel:[1,0] op_sel_hi:[0,0]
	v_mov_b32_e32 v49, v51
	v_pk_add_f32 v[40:41], v[40:41], v[62:63]
	;; [unrolled: 12-line block ×3, first 2 shown]
	v_mov_b32_e32 v75, v59
	v_pk_fma_f32 v[56:57], v[80:81], v[60:61], v[78:79] neg_lo:[0,0,1] neg_hi:[0,0,1]
	v_pk_fma_f32 v[58:59], v[80:81], v[60:61], v[78:79] op_sel_hi:[1,0,1]
	v_pk_add_f32 v[40:41], v[40:41], v[52:53]
	v_mov_b32_e32 v57, v59
	v_pk_add_f32 v[40:41], v[40:41], v[74:75]
	s_nop 0
	v_pk_add_f32 v[40:41], v[40:41], v[56:57]
	s_waitcnt vmcnt(0)
	v_pk_add_f32 v[40:41], v[82:83], v[40:41] neg_lo:[0,1] neg_hi:[0,1]
	scratch_store_dwordx2 off, v[40:41], off offset:64
	s_and_saveexec_b64 s[0:1], vcc
	s_cbranch_execz .LBB82_113
; %bb.112:
	scratch_load_dwordx2 v[40:41], off, off offset:56
	v_mov_b32_e32 v42, 0
	v_mov_b32_e32 v43, v42
	scratch_store_dwordx2 off, v[42:43], off offset:56
	s_waitcnt vmcnt(1)
	ds_write_b64 v1, v[40:41]
.LBB82_113:
	s_or_b64 exec, exec, s[0:1]
	s_waitcnt lgkmcnt(0)
	; wave barrier
	scratch_load_dwordx4 v[42:45], off, off offset:64
	scratch_load_dwordx4 v[46:49], off, off offset:80
	;; [unrolled: 1-line block ×5, first 2 shown]
	scratch_load_dwordx2 v[82:83], off, off offset:144
	scratch_load_dwordx2 v[84:85], off, off offset:56
	v_mov_b32_e32 v40, 0
	ds_read_b128 v[62:65], v40 offset:224
	ds_read_b128 v[66:69], v40 offset:240
	;; [unrolled: 1-line block ×5, first 2 shown]
	ds_read_b64 v[86:87], v40 offset:304
	v_cmp_lt_u32_e32 vcc, 6, v0
	s_waitcnt vmcnt(6) lgkmcnt(5)
	v_mul_f32_e32 v41, v62, v43
	v_mul_f32_e32 v43, v63, v43
	;; [unrolled: 1-line block ×3, first 2 shown]
	s_waitcnt vmcnt(5) lgkmcnt(4)
	v_mul_f32_e32 v91, v66, v47
	v_mul_f32_e32 v45, v65, v45
	;; [unrolled: 1-line block ×3, first 2 shown]
	v_mov_b32_e32 v92, v49
	s_waitcnt vmcnt(3) lgkmcnt(2)
	v_pk_mul_f32 v[98:99], v[74:75], v[54:55] op_sel:[1,1] op_sel_hi:[0,1]
	s_waitcnt vmcnt(2) lgkmcnt(1)
	v_pk_mul_f32 v[102:103], v[78:79], v[58:59] op_sel:[1,1] op_sel_hi:[0,1]
	;; [unrolled: 2-line block ×3, first 2 shown]
	v_fmac_f32_e32 v41, v63, v42
	v_fma_f32 v93, v62, v42, -v43
	v_fmac_f32_e32 v89, v65, v44
	v_fmac_f32_e32 v91, v67, v46
	v_fma_f32 v88, v64, v44, -v45
	v_fma_f32 v90, v66, v46, -v47
	v_pk_mul_f32 v[42:43], v[68:69], v[92:93] op_sel:[1,0] op_sel_hi:[0,0]
	v_pk_fma_f32 v[62:63], v[74:75], v[54:55], v[98:99] neg_lo:[0,0,1] neg_hi:[0,0,1]
	v_pk_fma_f32 v[54:55], v[74:75], v[54:55], v[98:99] op_sel_hi:[1,0,1]
	v_pk_fma_f32 v[66:67], v[78:79], v[58:59], v[102:103] neg_lo:[0,0,1] neg_hi:[0,0,1]
	v_pk_fma_f32 v[58:59], v[78:79], v[58:59], v[102:103] op_sel_hi:[1,0,1]
	v_pk_fma_f32 v[74:75], v[86:87], v[82:83], v[106:107] neg_lo:[0,0,1] neg_hi:[0,0,1]
	v_pk_fma_f32 v[78:79], v[86:87], v[82:83], v[106:107] op_sel_hi:[1,0,1]
	v_add_f32_e32 v83, 0, v41
	v_add_f32_e32 v82, 0, v93
	v_pk_mul_f32 v[94:95], v[70:71], v[50:51] op_sel:[1,1] op_sel_hi:[0,1]
	v_mov_b32_e32 v96, v53
	v_pk_fma_f32 v[86:87], v[68:69], v[48:49], v[42:43] neg_lo:[0,0,1] neg_hi:[0,0,1]
	v_pk_fma_f32 v[42:43], v[68:69], v[48:49], v[42:43] op_sel_hi:[1,0,1]
	v_mov_b32_e32 v67, v59
	v_pk_add_f32 v[58:59], v[82:83], v[88:89]
	v_pk_fma_f32 v[44:45], v[70:71], v[50:51], v[94:95] neg_lo:[0,0,1] neg_hi:[0,0,1]
	v_pk_fma_f32 v[46:47], v[70:71], v[50:51], v[94:95] op_sel_hi:[1,0,1]
	v_pk_mul_f32 v[50:51], v[72:73], v[96:97] op_sel:[1,0] op_sel_hi:[0,0]
	v_mov_b32_e32 v87, v43
	v_pk_add_f32 v[42:43], v[58:59], v[90:91]
	v_mov_b32_e32 v100, v57
	v_mov_b32_e32 v45, v47
	v_pk_fma_f32 v[46:47], v[72:73], v[52:53], v[50:51] neg_lo:[0,0,1] neg_hi:[0,0,1]
	v_pk_fma_f32 v[48:49], v[72:73], v[52:53], v[50:51] op_sel_hi:[1,0,1]
	v_pk_add_f32 v[42:43], v[42:43], v[86:87]
	v_pk_mul_f32 v[64:65], v[76:77], v[100:101] op_sel:[1,0] op_sel_hi:[0,0]
	v_mov_b32_e32 v47, v49
	v_pk_add_f32 v[42:43], v[42:43], v[44:45]
	v_mov_b32_e32 v104, v61
	v_mov_b32_e32 v63, v55
	v_pk_fma_f32 v[50:51], v[76:77], v[56:57], v[64:65] neg_lo:[0,0,1] neg_hi:[0,0,1]
	v_pk_fma_f32 v[52:53], v[76:77], v[56:57], v[64:65] op_sel_hi:[1,0,1]
	v_pk_add_f32 v[42:43], v[42:43], v[46:47]
	v_pk_mul_f32 v[70:71], v[80:81], v[104:105] op_sel:[1,0] op_sel_hi:[0,0]
	v_mov_b32_e32 v51, v53
	v_pk_add_f32 v[42:43], v[42:43], v[62:63]
	v_pk_fma_f32 v[54:55], v[80:81], v[60:61], v[70:71] neg_lo:[0,0,1] neg_hi:[0,0,1]
	v_pk_fma_f32 v[56:57], v[80:81], v[60:61], v[70:71] op_sel_hi:[1,0,1]
	v_pk_add_f32 v[42:43], v[42:43], v[50:51]
	v_mov_b32_e32 v55, v57
	v_pk_add_f32 v[42:43], v[42:43], v[66:67]
	v_mov_b32_e32 v75, v79
	v_pk_add_f32 v[42:43], v[42:43], v[54:55]
	s_nop 0
	v_pk_add_f32 v[42:43], v[42:43], v[74:75]
	s_waitcnt vmcnt(0)
	v_pk_add_f32 v[42:43], v[84:85], v[42:43] neg_lo:[0,1] neg_hi:[0,1]
	scratch_store_dwordx2 off, v[42:43], off offset:56
	s_and_saveexec_b64 s[0:1], vcc
	s_cbranch_execz .LBB82_115
; %bb.114:
	scratch_load_dwordx2 v[42:43], off, off offset:48
	v_mov_b32_e32 v41, v40
	scratch_store_dwordx2 off, v[40:41], off offset:48
	s_waitcnt vmcnt(1)
	ds_write_b64 v1, v[42:43]
.LBB82_115:
	s_or_b64 exec, exec, s[0:1]
	s_waitcnt lgkmcnt(0)
	; wave barrier
	scratch_load_dwordx4 v[42:45], off, off offset:56
	scratch_load_dwordx4 v[46:49], off, off offset:72
	;; [unrolled: 1-line block ×6, first 2 shown]
	scratch_load_dwordx2 v[90:91], off, off offset:48
	ds_read2_b64 v[66:69], v40 offset0:27 offset1:28
	ds_read2_b64 v[70:73], v40 offset0:29 offset1:30
	;; [unrolled: 1-line block ×6, first 2 shown]
	v_cmp_lt_u32_e32 vcc, 5, v0
	s_waitcnt vmcnt(6) lgkmcnt(5)
	v_mul_f32_e32 v97, v66, v43
	v_mul_f32_e32 v101, v68, v45
	s_waitcnt vmcnt(5) lgkmcnt(4)
	v_mul_f32_e32 v41, v70, v47
	v_mul_f32_e32 v40, v67, v43
	;; [unrolled: 1-line block ×4, first 2 shown]
	s_waitcnt vmcnt(1) lgkmcnt(0)
	v_pk_mul_f32 v[106:107], v[86:87], v[62:63] op_sel:[1,1] op_sel_hi:[0,1]
	v_pk_mul_f32 v[94:95], v[74:75], v[50:51] op_sel:[1,1] op_sel_hi:[0,1]
	v_fmac_f32_e32 v97, v67, v42
	v_fmac_f32_e32 v41, v71, v46
	v_fma_f32 v105, v66, v42, -v40
	v_fma_f32 v40, v70, v46, -v45
	v_pk_fma_f32 v[70:71], v[86:87], v[62:63], v[106:107] neg_lo:[0,0,1] neg_hi:[0,0,1]
	v_pk_fma_f32 v[62:63], v[86:87], v[62:63], v[106:107] op_sel_hi:[1,0,1]
	v_fmac_f32_e32 v101, v69, v44
	v_fma_f32 v109, v68, v44, -v43
	v_pk_fma_f32 v[42:43], v[74:75], v[50:51], v[94:95] neg_lo:[0,0,1] neg_hi:[0,0,1]
	v_pk_fma_f32 v[44:45], v[74:75], v[50:51], v[94:95] op_sel_hi:[1,0,1]
	v_add_f32_e32 v62, 0, v97
	v_add_f32_e32 v74, 0, v105
	v_mul_f32_e32 v93, v72, v49
	v_mul_f32_e32 v47, v73, v49
	v_mov_b32_e32 v96, v53
	v_mov_b32_e32 v71, v63
	v_add_f32_e32 v63, v62, v101
	v_add_f32_e32 v62, v74, v109
	v_fmac_f32_e32 v93, v73, v48
	v_fma_f32 v92, v72, v48, -v47
	v_pk_mul_f32 v[46:47], v[76:77], v[96:97] op_sel:[1,0] op_sel_hi:[0,0]
	v_pk_add_f32 v[40:41], v[62:63], v[40:41]
	v_pk_mul_f32 v[98:99], v[78:79], v[54:55] op_sel:[1,1] op_sel_hi:[0,1]
	v_mov_b32_e32 v100, v57
	v_mov_b32_e32 v43, v45
	v_pk_fma_f32 v[44:45], v[76:77], v[52:53], v[46:47] neg_lo:[0,0,1] neg_hi:[0,0,1]
	v_pk_fma_f32 v[46:47], v[76:77], v[52:53], v[46:47] op_sel_hi:[1,0,1]
	v_pk_add_f32 v[40:41], v[40:41], v[92:93]
	v_pk_fma_f32 v[48:49], v[78:79], v[54:55], v[98:99] neg_lo:[0,0,1] neg_hi:[0,0,1]
	v_pk_fma_f32 v[50:51], v[78:79], v[54:55], v[98:99] op_sel_hi:[1,0,1]
	v_pk_mul_f32 v[54:55], v[80:81], v[100:101] op_sel:[1,0] op_sel_hi:[0,0]
	v_mov_b32_e32 v45, v47
	v_pk_add_f32 v[40:41], v[40:41], v[42:43]
	v_pk_mul_f32 v[102:103], v[82:83], v[58:59] op_sel:[1,1] op_sel_hi:[0,1]
	v_mov_b32_e32 v104, v61
	v_mov_b32_e32 v49, v51
	v_pk_fma_f32 v[50:51], v[80:81], v[56:57], v[54:55] neg_lo:[0,0,1] neg_hi:[0,0,1]
	v_pk_fma_f32 v[52:53], v[80:81], v[56:57], v[54:55] op_sel_hi:[1,0,1]
	v_pk_add_f32 v[40:41], v[40:41], v[44:45]
	v_pk_fma_f32 v[66:67], v[82:83], v[58:59], v[102:103] neg_lo:[0,0,1] neg_hi:[0,0,1]
	v_pk_fma_f32 v[58:59], v[82:83], v[58:59], v[102:103] op_sel_hi:[1,0,1]
	v_pk_mul_f32 v[68:69], v[84:85], v[104:105] op_sel:[1,0] op_sel_hi:[0,0]
	v_mov_b32_e32 v51, v53
	v_pk_add_f32 v[40:41], v[40:41], v[48:49]
	v_mov_b32_e32 v108, v65
	v_mov_b32_e32 v67, v59
	v_pk_fma_f32 v[54:55], v[84:85], v[60:61], v[68:69] neg_lo:[0,0,1] neg_hi:[0,0,1]
	v_pk_fma_f32 v[56:57], v[84:85], v[60:61], v[68:69] op_sel_hi:[1,0,1]
	v_pk_add_f32 v[40:41], v[40:41], v[50:51]
	v_pk_mul_f32 v[72:73], v[88:89], v[108:109] op_sel:[1,0] op_sel_hi:[0,0]
	v_mov_b32_e32 v55, v57
	v_pk_add_f32 v[40:41], v[40:41], v[66:67]
	v_pk_fma_f32 v[58:59], v[88:89], v[64:65], v[72:73] neg_lo:[0,0,1] neg_hi:[0,0,1]
	v_pk_fma_f32 v[60:61], v[88:89], v[64:65], v[72:73] op_sel_hi:[1,0,1]
	v_pk_add_f32 v[40:41], v[40:41], v[54:55]
	v_mov_b32_e32 v59, v61
	v_pk_add_f32 v[40:41], v[40:41], v[70:71]
	s_nop 0
	v_pk_add_f32 v[40:41], v[40:41], v[58:59]
	s_waitcnt vmcnt(0)
	v_pk_add_f32 v[40:41], v[90:91], v[40:41] neg_lo:[0,1] neg_hi:[0,1]
	scratch_store_dwordx2 off, v[40:41], off offset:48
	s_and_saveexec_b64 s[0:1], vcc
	s_cbranch_execz .LBB82_117
; %bb.116:
	scratch_load_dwordx2 v[40:41], off, off offset:40
	v_mov_b32_e32 v42, 0
	v_mov_b32_e32 v43, v42
	scratch_store_dwordx2 off, v[42:43], off offset:40
	s_waitcnt vmcnt(1)
	ds_write_b64 v1, v[40:41]
.LBB82_117:
	s_or_b64 exec, exec, s[0:1]
	s_waitcnt lgkmcnt(0)
	; wave barrier
	scratch_load_dwordx4 v[42:45], off, off offset:48
	scratch_load_dwordx4 v[46:49], off, off offset:64
	;; [unrolled: 1-line block ×6, first 2 shown]
	scratch_load_dwordx2 v[90:91], off, off offset:144
	scratch_load_dwordx2 v[92:93], off, off offset:40
	v_mov_b32_e32 v40, 0
	ds_read_b128 v[66:69], v40 offset:208
	ds_read_b128 v[70:73], v40 offset:224
	;; [unrolled: 1-line block ×6, first 2 shown]
	ds_read_b64 v[94:95], v40 offset:304
	v_cmp_lt_u32_e32 vcc, 4, v0
	s_waitcnt vmcnt(7) lgkmcnt(6)
	v_mul_f32_e32 v101, v68, v45
	v_mul_f32_e32 v41, v66, v43
	s_waitcnt vmcnt(5) lgkmcnt(4)
	v_mul_f32_e32 v99, v74, v51
	v_mul_f32_e32 v43, v67, v43
	v_mov_b32_e32 v100, v53
	s_waitcnt vmcnt(2) lgkmcnt(1)
	v_pk_mul_f32 v[110:111], v[86:87], v[62:63] op_sel:[1,1] op_sel_hi:[0,1]
	v_fmac_f32_e32 v101, v69, v44
	v_mul_f32_e32 v45, v69, v45
	v_mul_f32_e32 v51, v75, v51
	v_fmac_f32_e32 v41, v67, v42
	v_fmac_f32_e32 v99, v75, v50
	v_fma_f32 v75, v66, v42, -v43
	v_pk_mul_f32 v[42:43], v[76:77], v[100:101] op_sel:[1,0] op_sel_hi:[0,0]
	v_pk_fma_f32 v[66:67], v[86:87], v[62:63], v[110:111] neg_lo:[0,0,1] neg_hi:[0,0,1]
	v_pk_fma_f32 v[62:63], v[86:87], v[62:63], v[110:111] op_sel_hi:[1,0,1]
	v_mul_f32_e32 v105, v70, v47
	v_mul_f32_e32 v47, v71, v47
	v_fma_f32 v109, v68, v44, -v45
	v_fma_f32 v98, v74, v50, -v51
	v_add_f32_e32 v41, 0, v41
	v_add_f32_e32 v62, 0, v75
	v_pk_fma_f32 v[74:75], v[76:77], v[52:53], v[42:43] neg_lo:[0,0,1] neg_hi:[0,0,1]
	v_pk_fma_f32 v[42:43], v[76:77], v[52:53], v[42:43] op_sel_hi:[1,0,1]
	v_mul_f32_e32 v97, v72, v49
	v_mul_f32_e32 v49, v73, v49
	v_fmac_f32_e32 v105, v71, v46
	v_fma_f32 v113, v70, v46, -v47
	v_add_f32_e32 v41, v41, v101
	v_add_f32_e32 v42, v62, v109
	v_fmac_f32_e32 v97, v73, v48
	v_fma_f32 v96, v72, v48, -v49
	v_mov_b32_e32 v75, v43
	v_add_f32_e32 v43, v41, v105
	v_add_f32_e32 v42, v42, v113
	v_pk_mul_f32 v[102:103], v[78:79], v[54:55] op_sel:[1,1] op_sel_hi:[0,1]
	v_mov_b32_e32 v104, v57
	v_pk_add_f32 v[42:43], v[42:43], v[96:97]
	v_pk_fma_f32 v[44:45], v[78:79], v[54:55], v[102:103] neg_lo:[0,0,1] neg_hi:[0,0,1]
	v_pk_fma_f32 v[46:47], v[78:79], v[54:55], v[102:103] op_sel_hi:[1,0,1]
	v_pk_mul_f32 v[48:49], v[80:81], v[104:105] op_sel:[1,0] op_sel_hi:[0,0]
	v_pk_add_f32 v[42:43], v[42:43], v[98:99]
	v_pk_mul_f32 v[106:107], v[82:83], v[58:59] op_sel:[1,1] op_sel_hi:[0,1]
	v_mov_b32_e32 v108, v61
	v_mov_b32_e32 v45, v47
	v_pk_fma_f32 v[46:47], v[80:81], v[56:57], v[48:49] neg_lo:[0,0,1] neg_hi:[0,0,1]
	v_pk_fma_f32 v[48:49], v[80:81], v[56:57], v[48:49] op_sel_hi:[1,0,1]
	v_pk_add_f32 v[42:43], v[42:43], v[74:75]
	v_pk_fma_f32 v[50:51], v[82:83], v[58:59], v[106:107] neg_lo:[0,0,1] neg_hi:[0,0,1]
	v_pk_fma_f32 v[54:55], v[82:83], v[58:59], v[106:107] op_sel_hi:[1,0,1]
	v_pk_mul_f32 v[58:59], v[84:85], v[108:109] op_sel:[1,0] op_sel_hi:[0,0]
	v_mov_b32_e32 v47, v49
	v_pk_add_f32 v[42:43], v[42:43], v[44:45]
	v_mov_b32_e32 v112, v65
	v_mov_b32_e32 v51, v55
	v_pk_fma_f32 v[52:53], v[84:85], v[60:61], v[58:59] neg_lo:[0,0,1] neg_hi:[0,0,1]
	v_pk_fma_f32 v[54:55], v[84:85], v[60:61], v[58:59] op_sel_hi:[1,0,1]
	v_pk_add_f32 v[42:43], v[42:43], v[46:47]
	v_pk_mul_f32 v[68:69], v[88:89], v[112:113] op_sel:[1,0] op_sel_hi:[0,0]
	v_mov_b32_e32 v53, v55
	v_pk_add_f32 v[42:43], v[42:43], v[50:51]
	s_waitcnt vmcnt(1) lgkmcnt(0)
	v_pk_mul_f32 v[114:115], v[94:95], v[90:91] op_sel:[1,1] op_sel_hi:[0,1]
	v_mov_b32_e32 v67, v63
	v_pk_fma_f32 v[56:57], v[88:89], v[64:65], v[68:69] neg_lo:[0,0,1] neg_hi:[0,0,1]
	v_pk_fma_f32 v[58:59], v[88:89], v[64:65], v[68:69] op_sel_hi:[1,0,1]
	v_pk_add_f32 v[42:43], v[42:43], v[52:53]
	v_pk_fma_f32 v[70:71], v[94:95], v[90:91], v[114:115] neg_lo:[0,0,1] neg_hi:[0,0,1]
	v_pk_fma_f32 v[72:73], v[94:95], v[90:91], v[114:115] op_sel_hi:[1,0,1]
	v_mov_b32_e32 v57, v59
	v_pk_add_f32 v[42:43], v[42:43], v[66:67]
	v_mov_b32_e32 v71, v73
	v_pk_add_f32 v[42:43], v[42:43], v[56:57]
	s_nop 0
	v_pk_add_f32 v[42:43], v[42:43], v[70:71]
	s_waitcnt vmcnt(0)
	v_pk_add_f32 v[42:43], v[92:93], v[42:43] neg_lo:[0,1] neg_hi:[0,1]
	scratch_store_dwordx2 off, v[42:43], off offset:40
	s_and_saveexec_b64 s[0:1], vcc
	s_cbranch_execz .LBB82_119
; %bb.118:
	scratch_load_dwordx2 v[42:43], off, off offset:32
	v_mov_b32_e32 v41, v40
	scratch_store_dwordx2 off, v[40:41], off offset:32
	s_waitcnt vmcnt(1)
	ds_write_b64 v1, v[42:43]
.LBB82_119:
	s_or_b64 exec, exec, s[0:1]
	s_waitcnt lgkmcnt(0)
	; wave barrier
	scratch_load_dwordx4 v[42:45], off, off offset:40
	scratch_load_dwordx4 v[46:49], off, off offset:56
	;; [unrolled: 1-line block ×7, first 2 shown]
	ds_read2_b64 v[70:73], v40 offset0:25 offset1:26
	ds_read2_b64 v[74:77], v40 offset0:27 offset1:28
	;; [unrolled: 1-line block ×6, first 2 shown]
	scratch_load_dwordx2 v[98:99], off, off offset:32
	ds_read2_b64 v[94:97], v40 offset0:37 offset1:38
	v_cmp_lt_u32_e32 vcc, 3, v0
	s_waitcnt vmcnt(7) lgkmcnt(6)
	v_mul_f32_e32 v105, v70, v43
	v_mul_f32_e32 v109, v72, v45
	s_waitcnt vmcnt(6) lgkmcnt(5)
	v_mul_f32_e32 v113, v74, v47
	v_mul_f32_e32 v117, v76, v49
	;; [unrolled: 3-line block ×3, first 2 shown]
	v_mul_f32_e32 v40, v71, v43
	v_mul_f32_e32 v43, v73, v45
	;; [unrolled: 1-line block ×6, first 2 shown]
	s_waitcnt vmcnt(4) lgkmcnt(3)
	v_pk_mul_f32 v[102:103], v[82:83], v[54:55] op_sel:[1,1] op_sel_hi:[0,1]
	v_mov_b32_e32 v104, v57
	s_waitcnt vmcnt(3) lgkmcnt(2)
	v_pk_mul_f32 v[106:107], v[86:87], v[58:59] op_sel:[1,1] op_sel_hi:[0,1]
	v_mov_b32_e32 v108, v61
	s_waitcnt vmcnt(1) lgkmcnt(0)
	v_pk_mul_f32 v[114:115], v[94:95], v[66:67] op_sel:[1,1] op_sel_hi:[0,1]
	v_fmac_f32_e32 v105, v71, v42
	v_fmac_f32_e32 v109, v73, v44
	;; [unrolled: 1-line block ×6, first 2 shown]
	v_fma_f32 v75, v70, v42, -v40
	v_fma_f32 v77, v72, v44, -v43
	;; [unrolled: 1-line block ×6, first 2 shown]
	v_pk_fma_f32 v[42:43], v[82:83], v[54:55], v[102:103] neg_lo:[0,0,1] neg_hi:[0,0,1]
	v_pk_fma_f32 v[44:45], v[82:83], v[54:55], v[102:103] op_sel_hi:[1,0,1]
	v_pk_mul_f32 v[46:47], v[84:85], v[104:105] op_sel:[1,0] op_sel_hi:[0,0]
	v_pk_fma_f32 v[48:49], v[86:87], v[58:59], v[106:107] neg_lo:[0,0,1] neg_hi:[0,0,1]
	v_pk_fma_f32 v[50:51], v[86:87], v[58:59], v[106:107] op_sel_hi:[1,0,1]
	v_pk_mul_f32 v[52:53], v[88:89], v[108:109] op_sel:[1,0] op_sel_hi:[0,0]
	v_pk_fma_f32 v[70:71], v[94:95], v[66:67], v[114:115] neg_lo:[0,0,1] neg_hi:[0,0,1]
	v_pk_fma_f32 v[66:67], v[94:95], v[66:67], v[114:115] op_sel_hi:[1,0,1]
	v_add_f32_e32 v75, 0, v75
	v_add_f32_e32 v66, 0, v105
	v_mov_b32_e32 v43, v45
	v_pk_fma_f32 v[44:45], v[84:85], v[56:57], v[46:47] neg_lo:[0,0,1] neg_hi:[0,0,1]
	v_pk_fma_f32 v[46:47], v[84:85], v[56:57], v[46:47] op_sel_hi:[1,0,1]
	v_mov_b32_e32 v49, v51
	v_pk_fma_f32 v[50:51], v[88:89], v[60:61], v[52:53] neg_lo:[0,0,1] neg_hi:[0,0,1]
	v_pk_fma_f32 v[52:53], v[88:89], v[60:61], v[52:53] op_sel_hi:[1,0,1]
	v_add_f32_e32 v46, v66, v109
	v_add_f32_e32 v52, v75, v77
	;; [unrolled: 1-line block ×4, first 2 shown]
	v_mov_b32_e32 v45, v47
	v_add_f32_e32 v47, v46, v117
	v_add_f32_e32 v46, v52, v76
	v_pk_add_f32 v[40:41], v[46:47], v[40:41]
	v_pk_mul_f32 v[110:111], v[90:91], v[62:63] op_sel:[1,1] op_sel_hi:[0,1]
	v_pk_add_f32 v[40:41], v[40:41], v[100:101]
	v_mov_b32_e32 v112, v65
	v_pk_add_f32 v[40:41], v[40:41], v[42:43]
	v_pk_fma_f32 v[54:55], v[90:91], v[62:63], v[110:111] neg_lo:[0,0,1] neg_hi:[0,0,1]
	v_pk_add_f32 v[40:41], v[40:41], v[44:45]
	v_pk_fma_f32 v[58:59], v[90:91], v[62:63], v[110:111] op_sel_hi:[1,0,1]
	v_pk_mul_f32 v[62:63], v[92:93], v[112:113] op_sel:[1,0] op_sel_hi:[0,0]
	v_mov_b32_e32 v51, v53
	v_pk_add_f32 v[40:41], v[40:41], v[48:49]
	v_mov_b32_e32 v116, v69
	v_mov_b32_e32 v55, v59
	v_pk_fma_f32 v[56:57], v[92:93], v[64:65], v[62:63] neg_lo:[0,0,1] neg_hi:[0,0,1]
	v_pk_fma_f32 v[58:59], v[92:93], v[64:65], v[62:63] op_sel_hi:[1,0,1]
	v_pk_add_f32 v[40:41], v[40:41], v[50:51]
	v_pk_mul_f32 v[72:73], v[96:97], v[116:117] op_sel:[1,0] op_sel_hi:[0,0]
	v_mov_b32_e32 v57, v59
	v_pk_add_f32 v[40:41], v[40:41], v[54:55]
	v_mov_b32_e32 v71, v67
	v_pk_fma_f32 v[60:61], v[96:97], v[68:69], v[72:73] neg_lo:[0,0,1] neg_hi:[0,0,1]
	v_pk_fma_f32 v[62:63], v[96:97], v[68:69], v[72:73] op_sel_hi:[1,0,1]
	v_pk_add_f32 v[40:41], v[40:41], v[56:57]
	v_mov_b32_e32 v61, v63
	v_pk_add_f32 v[40:41], v[40:41], v[70:71]
	s_nop 0
	v_pk_add_f32 v[40:41], v[40:41], v[60:61]
	s_waitcnt vmcnt(0)
	v_pk_add_f32 v[40:41], v[98:99], v[40:41] neg_lo:[0,1] neg_hi:[0,1]
	scratch_store_dwordx2 off, v[40:41], off offset:32
	s_and_saveexec_b64 s[0:1], vcc
	s_cbranch_execz .LBB82_121
; %bb.120:
	scratch_load_dwordx2 v[40:41], off, off offset:24
	v_mov_b32_e32 v42, 0
	v_mov_b32_e32 v43, v42
	scratch_store_dwordx2 off, v[42:43], off offset:24
	s_waitcnt vmcnt(1)
	ds_write_b64 v1, v[40:41]
.LBB82_121:
	s_or_b64 exec, exec, s[0:1]
	s_waitcnt lgkmcnt(0)
	; wave barrier
	scratch_load_dwordx4 v[42:45], off, off offset:32
	scratch_load_dwordx4 v[46:49], off, off offset:48
	;; [unrolled: 1-line block ×7, first 2 shown]
	scratch_load_dwordx2 v[98:99], off, off offset:144
	scratch_load_dwordx2 v[100:101], off, off offset:24
	v_mov_b32_e32 v40, 0
	ds_read_b128 v[70:73], v40 offset:192
	ds_read_b128 v[74:77], v40 offset:208
	;; [unrolled: 1-line block ×7, first 2 shown]
	ds_read_b64 v[102:103], v40 offset:304
	v_cmp_lt_u32_e32 vcc, 2, v0
	s_waitcnt vmcnt(8) lgkmcnt(7)
	v_mul_f32_e32 v109, v72, v45
	v_mul_f32_e32 v41, v70, v43
	s_waitcnt vmcnt(7) lgkmcnt(6)
	v_mul_f32_e32 v113, v74, v47
	s_waitcnt vmcnt(6) lgkmcnt(5)
	v_mul_f32_e32 v121, v78, v51
	v_mul_f32_e32 v105, v80, v53
	;; [unrolled: 1-line block ×5, first 2 shown]
	s_waitcnt vmcnt(5)
	v_mov_b32_e32 v108, v57
	s_waitcnt vmcnt(3) lgkmcnt(2)
	v_pk_mul_f32 v[114:115], v[90:91], v[62:63] op_sel:[1,1] op_sel_hi:[0,1]
	s_waitcnt vmcnt(2) lgkmcnt(1)
	v_pk_mul_f32 v[118:119], v[94:95], v[66:67] op_sel:[1,1] op_sel_hi:[0,1]
	v_fmac_f32_e32 v109, v73, v44
	v_mul_f32_e32 v45, v73, v45
	v_mul_f32_e32 v47, v75, v47
	v_fmac_f32_e32 v41, v71, v42
	v_fmac_f32_e32 v113, v75, v46
	v_fmac_f32_e32 v121, v79, v50
	v_fmac_f32_e32 v105, v81, v52
	v_fma_f32 v70, v70, v42, -v43
	v_fma_f32 v75, v78, v50, -v51
	;; [unrolled: 1-line block ×3, first 2 shown]
	v_pk_mul_f32 v[42:43], v[84:85], v[108:109] op_sel:[1,0] op_sel_hi:[0,0]
	v_pk_fma_f32 v[50:51], v[90:91], v[62:63], v[114:115] neg_lo:[0,0,1] neg_hi:[0,0,1]
	v_pk_fma_f32 v[52:53], v[90:91], v[62:63], v[114:115] op_sel_hi:[1,0,1]
	v_pk_fma_f32 v[62:63], v[94:95], v[66:67], v[118:119] op_sel_hi:[1,0,1]
	v_fma_f32 v72, v72, v44, -v45
	v_add_f32_e32 v41, 0, v41
	v_add_f32_e32 v62, 0, v70
	v_pk_fma_f32 v[70:71], v[84:85], v[56:57], v[42:43] neg_lo:[0,0,1] neg_hi:[0,0,1]
	v_pk_fma_f32 v[42:43], v[84:85], v[56:57], v[42:43] op_sel_hi:[1,0,1]
	v_mul_f32_e32 v117, v76, v49
	v_mul_f32_e32 v49, v77, v49
	v_fma_f32 v73, v74, v46, -v47
	v_add_f32_e32 v41, v41, v109
	v_add_f32_e32 v42, v62, v72
	v_fmac_f32_e32 v117, v77, v48
	v_fma_f32 v74, v76, v48, -v49
	v_add_f32_e32 v41, v41, v113
	v_add_f32_e32 v42, v42, v73
	;; [unrolled: 1-line block ×4, first 2 shown]
	v_mul_f32_e32 v107, v82, v55
	v_mul_f32_e32 v55, v83, v55
	v_mov_b32_e32 v71, v43
	v_add_f32_e32 v43, v41, v121
	v_add_f32_e32 v42, v42, v75
	v_pk_mul_f32 v[110:111], v[86:87], v[58:59] op_sel:[1,1] op_sel_hi:[0,1]
	v_mov_b32_e32 v112, v61
	v_fmac_f32_e32 v107, v83, v54
	v_fma_f32 v106, v82, v54, -v55
	v_pk_add_f32 v[42:43], v[42:43], v[104:105]
	v_pk_fma_f32 v[44:45], v[86:87], v[58:59], v[110:111] neg_lo:[0,0,1] neg_hi:[0,0,1]
	v_pk_fma_f32 v[46:47], v[86:87], v[58:59], v[110:111] op_sel_hi:[1,0,1]
	v_pk_mul_f32 v[48:49], v[88:89], v[112:113] op_sel:[1,0] op_sel_hi:[0,0]
	v_pk_add_f32 v[42:43], v[42:43], v[106:107]
	v_mov_b32_e32 v116, v65
	v_mov_b32_e32 v45, v47
	v_pk_fma_f32 v[46:47], v[88:89], v[60:61], v[48:49] neg_lo:[0,0,1] neg_hi:[0,0,1]
	v_pk_fma_f32 v[48:49], v[88:89], v[60:61], v[48:49] op_sel_hi:[1,0,1]
	v_pk_add_f32 v[42:43], v[42:43], v[70:71]
	v_pk_mul_f32 v[54:55], v[92:93], v[116:117] op_sel:[1,0] op_sel_hi:[0,0]
	v_mov_b32_e32 v47, v49
	v_pk_add_f32 v[42:43], v[42:43], v[44:45]
	v_mov_b32_e32 v120, v69
	v_mov_b32_e32 v51, v53
	v_pk_fma_f32 v[52:53], v[92:93], v[64:65], v[54:55] neg_lo:[0,0,1] neg_hi:[0,0,1]
	v_pk_fma_f32 v[54:55], v[92:93], v[64:65], v[54:55] op_sel_hi:[1,0,1]
	v_pk_add_f32 v[42:43], v[42:43], v[46:47]
	v_pk_fma_f32 v[58:59], v[94:95], v[66:67], v[118:119] neg_lo:[0,0,1] neg_hi:[0,0,1]
	v_pk_mul_f32 v[66:67], v[96:97], v[120:121] op_sel:[1,0] op_sel_hi:[0,0]
	v_mov_b32_e32 v53, v55
	v_pk_add_f32 v[42:43], v[42:43], v[50:51]
	v_mov_b32_e32 v59, v63
	v_pk_add_f32 v[42:43], v[42:43], v[52:53]
	v_pk_fma_f32 v[44:45], v[96:97], v[68:69], v[66:67] neg_lo:[0,0,1] neg_hi:[0,0,1]
	v_pk_fma_f32 v[46:47], v[96:97], v[68:69], v[66:67] op_sel_hi:[1,0,1]
	v_pk_add_f32 v[42:43], v[42:43], v[58:59]
	v_mov_b32_e32 v45, v47
	v_pk_add_f32 v[42:43], v[42:43], v[44:45]
	s_waitcnt vmcnt(1) lgkmcnt(0)
	v_pk_mul_f32 v[44:45], v[102:103], v[98:99] op_sel:[1,1] op_sel_hi:[0,1]
	v_pk_fma_f32 v[46:47], v[102:103], v[98:99], v[44:45] neg_lo:[0,0,1] neg_hi:[0,0,1]
	v_pk_fma_f32 v[44:45], v[102:103], v[98:99], v[44:45] op_sel_hi:[1,0,1]
	s_nop 0
	v_mov_b32_e32 v47, v45
	v_pk_add_f32 v[42:43], v[42:43], v[46:47]
	s_waitcnt vmcnt(0)
	v_pk_add_f32 v[42:43], v[100:101], v[42:43] neg_lo:[0,1] neg_hi:[0,1]
	scratch_store_dwordx2 off, v[42:43], off offset:24
	s_and_saveexec_b64 s[0:1], vcc
	s_cbranch_execz .LBB82_123
; %bb.122:
	scratch_load_dwordx2 v[42:43], off, off offset:16
	v_mov_b32_e32 v41, v40
	scratch_store_dwordx2 off, v[40:41], off offset:16
	s_waitcnt vmcnt(1)
	ds_write_b64 v1, v[42:43]
.LBB82_123:
	s_or_b64 exec, exec, s[0:1]
	s_waitcnt lgkmcnt(0)
	; wave barrier
	scratch_load_dwordx4 v[42:45], off, off offset:24
	scratch_load_dwordx4 v[46:49], off, off offset:40
	;; [unrolled: 1-line block ×7, first 2 shown]
	ds_read2_b64 v[70:73], v40 offset0:23 offset1:24
	ds_read2_b64 v[74:77], v40 offset0:25 offset1:26
	;; [unrolled: 1-line block ×4, first 2 shown]
	scratch_load_dwordx4 v[86:89], off, off offset:136
	ds_read2_b64 v[90:93], v40 offset0:31 offset1:32
	ds_read2_b64 v[94:97], v40 offset0:33 offset1:34
	;; [unrolled: 1-line block ×4, first 2 shown]
	scratch_load_dwordx2 v[40:41], off, off offset:16
	v_cmp_lt_u32_e32 vcc, 1, v0
	s_waitcnt vmcnt(8) lgkmcnt(7)
	v_mul_f32_e32 v113, v70, v43
	v_mul_f32_e32 v117, v72, v45
	s_waitcnt vmcnt(7) lgkmcnt(6)
	v_mul_f32_e32 v121, v74, v47
	v_mul_f32_e32 v122, v76, v49
	s_waitcnt vmcnt(6) lgkmcnt(5)
	v_mul_f32_e32 v123, v78, v51
	v_mul_f32_e32 v124, v80, v53
	v_mul_f32_e32 v43, v71, v43
	v_mul_f32_e32 v45, v73, v45
	;; [unrolled: 1-line block ×6, first 2 shown]
	s_waitcnt vmcnt(4) lgkmcnt(3)
	v_pk_mul_f32 v[110:111], v[90:91], v[58:59] op_sel:[1,1] op_sel_hi:[0,1]
	v_mov_b32_e32 v112, v61
	s_waitcnt vmcnt(3) lgkmcnt(2)
	v_pk_mul_f32 v[114:115], v[94:95], v[62:63] op_sel:[1,1] op_sel_hi:[0,1]
	v_mov_b32_e32 v116, v65
	v_fmac_f32_e32 v113, v71, v42
	v_fmac_f32_e32 v117, v73, v44
	v_fmac_f32_e32 v121, v75, v46
	v_fmac_f32_e32 v122, v77, v48
	v_fmac_f32_e32 v123, v79, v50
	v_fmac_f32_e32 v124, v81, v52
	v_fma_f32 v70, v70, v42, -v43
	v_fma_f32 v71, v72, v44, -v45
	v_fma_f32 v72, v74, v46, -v47
	v_fma_f32 v73, v76, v48, -v49
	v_fma_f32 v74, v78, v50, -v51
	v_fma_f32 v75, v80, v52, -v53
	v_pk_fma_f32 v[42:43], v[90:91], v[58:59], v[110:111] neg_lo:[0,0,1] neg_hi:[0,0,1]
	v_pk_fma_f32 v[44:45], v[90:91], v[58:59], v[110:111] op_sel_hi:[1,0,1]
	v_pk_mul_f32 v[46:47], v[92:93], v[112:113] op_sel:[1,0] op_sel_hi:[0,0]
	v_pk_fma_f32 v[48:49], v[94:95], v[62:63], v[114:115] neg_lo:[0,0,1] neg_hi:[0,0,1]
	v_pk_fma_f32 v[50:51], v[94:95], v[62:63], v[114:115] op_sel_hi:[1,0,1]
	v_pk_mul_f32 v[52:53], v[96:97], v[116:117] op_sel:[1,0] op_sel_hi:[0,0]
	v_add_f32_e32 v62, 0, v113
	v_add_f32_e32 v63, 0, v70
	v_mov_b32_e32 v43, v45
	v_pk_fma_f32 v[44:45], v[92:93], v[60:61], v[46:47] neg_lo:[0,0,1] neg_hi:[0,0,1]
	v_pk_fma_f32 v[46:47], v[92:93], v[60:61], v[46:47] op_sel_hi:[1,0,1]
	v_mov_b32_e32 v49, v51
	v_pk_fma_f32 v[50:51], v[96:97], v[64:65], v[52:53] neg_lo:[0,0,1] neg_hi:[0,0,1]
	v_pk_fma_f32 v[52:53], v[96:97], v[64:65], v[52:53] op_sel_hi:[1,0,1]
	v_add_f32_e32 v46, v62, v117
	v_add_f32_e32 v52, v63, v71
	v_mov_b32_e32 v45, v47
	v_add_f32_e32 v46, v46, v121
	v_add_f32_e32 v47, v52, v72
	;; [unrolled: 1-line block ×4, first 2 shown]
	v_mul_f32_e32 v107, v82, v55
	v_mul_f32_e32 v55, v83, v55
	v_add_f32_e32 v46, v46, v123
	v_add_f32_e32 v52, v47, v74
	v_mul_f32_e32 v109, v84, v57
	v_mul_f32_e32 v57, v85, v57
	v_fmac_f32_e32 v107, v83, v54
	v_fma_f32 v106, v82, v54, -v55
	v_add_f32_e32 v47, v46, v124
	v_add_f32_e32 v46, v52, v75
	v_fmac_f32_e32 v109, v85, v56
	v_fma_f32 v108, v84, v56, -v57
	v_pk_add_f32 v[46:47], v[46:47], v[106:107]
	s_waitcnt vmcnt(2) lgkmcnt(1)
	v_pk_mul_f32 v[118:119], v[98:99], v[66:67] op_sel:[1,1] op_sel_hi:[0,1]
	v_mov_b32_e32 v120, v69
	v_pk_add_f32 v[46:47], v[46:47], v[108:109]
	v_pk_fma_f32 v[54:55], v[98:99], v[66:67], v[118:119] neg_lo:[0,0,1] neg_hi:[0,0,1]
	v_pk_fma_f32 v[56:57], v[98:99], v[66:67], v[118:119] op_sel_hi:[1,0,1]
	v_pk_mul_f32 v[58:59], v[100:101], v[120:121] op_sel:[1,0] op_sel_hi:[0,0]
	v_pk_add_f32 v[42:43], v[46:47], v[42:43]
	v_mov_b32_e32 v55, v57
	v_pk_fma_f32 v[56:57], v[100:101], v[68:69], v[58:59] neg_lo:[0,0,1] neg_hi:[0,0,1]
	v_pk_add_f32 v[42:43], v[42:43], v[44:45]
	v_pk_fma_f32 v[44:45], v[100:101], v[68:69], v[58:59] op_sel_hi:[1,0,1]
	v_mov_b32_e32 v51, v53
	v_pk_add_f32 v[42:43], v[42:43], v[48:49]
	v_mov_b32_e32 v57, v45
	s_waitcnt vmcnt(1) lgkmcnt(0)
	v_pk_mul_f32 v[44:45], v[102:103], v[86:87] op_sel:[1,1] op_sel_hi:[0,1]
	v_pk_add_f32 v[42:43], v[42:43], v[50:51]
	v_pk_fma_f32 v[46:47], v[102:103], v[86:87], v[44:45] neg_lo:[0,0,1] neg_hi:[0,0,1]
	v_pk_fma_f32 v[44:45], v[102:103], v[86:87], v[44:45] op_sel_hi:[1,0,1]
	v_pk_add_f32 v[42:43], v[42:43], v[54:55]
	v_mov_b32_e32 v44, v89
	v_pk_add_f32 v[42:43], v[42:43], v[56:57]
	v_mov_b32_e32 v47, v45
	v_pk_mul_f32 v[44:45], v[104:105], v[44:45] op_sel:[1,0] op_sel_hi:[0,0]
	v_pk_add_f32 v[42:43], v[42:43], v[46:47]
	v_pk_fma_f32 v[46:47], v[104:105], v[88:89], v[44:45] neg_lo:[0,0,1] neg_hi:[0,0,1]
	v_pk_fma_f32 v[44:45], v[104:105], v[88:89], v[44:45] op_sel_hi:[1,0,1]
	s_nop 0
	v_mov_b32_e32 v47, v45
	v_pk_add_f32 v[42:43], v[42:43], v[46:47]
	s_waitcnt vmcnt(0)
	v_pk_add_f32 v[40:41], v[40:41], v[42:43] neg_lo:[0,1] neg_hi:[0,1]
	scratch_store_dwordx2 off, v[40:41], off offset:16
	s_and_saveexec_b64 s[0:1], vcc
	s_cbranch_execz .LBB82_125
; %bb.124:
	scratch_load_dwordx2 v[40:41], off, off offset:8
	v_mov_b32_e32 v42, 0
	v_mov_b32_e32 v43, v42
	scratch_store_dwordx2 off, v[42:43], off offset:8
	s_waitcnt vmcnt(1)
	ds_write_b64 v1, v[40:41]
.LBB82_125:
	s_or_b64 exec, exec, s[0:1]
	s_waitcnt lgkmcnt(0)
	; wave barrier
	scratch_load_dwordx4 v[42:45], off, off offset:16
	scratch_load_dwordx4 v[46:49], off, off offset:32
	;; [unrolled: 1-line block ×8, first 2 shown]
	scratch_load_dwordx2 v[106:107], off, off offset:144
	scratch_load_dwordx2 v[108:109], off, off offset:8
	v_mov_b32_e32 v40, 0
	ds_read_b128 v[74:77], v40 offset:176
	ds_read_b128 v[78:81], v40 offset:192
	;; [unrolled: 1-line block ×8, first 2 shown]
	ds_read_b64 v[110:111], v40 offset:304
	v_cmp_ne_u32_e32 vcc, 0, v0
	s_waitcnt vmcnt(9) lgkmcnt(8)
	v_mul_f32_e32 v117, v76, v45
	v_mul_f32_e32 v41, v74, v43
	s_waitcnt vmcnt(8) lgkmcnt(7)
	v_mul_f32_e32 v121, v78, v47
	s_waitcnt vmcnt(7) lgkmcnt(6)
	v_mul_f32_e32 v125, v82, v51
	v_mul_f32_e32 v43, v75, v43
	;; [unrolled: 1-line block ×5, first 2 shown]
	s_waitcnt vmcnt(5)
	v_mov_b32_e32 v116, v61
	s_waitcnt vmcnt(3) lgkmcnt(2)
	v_pk_mul_f32 v[122:123], v[98:99], v[66:67] op_sel:[1,1] op_sel_hi:[0,1]
	v_fmac_f32_e32 v117, v77, v44
	v_mul_f32_e32 v124, v80, v49
	v_mul_f32_e32 v127, v86, v55
	;; [unrolled: 1-line block ×4, first 2 shown]
	v_fmac_f32_e32 v41, v75, v42
	v_fmac_f32_e32 v125, v83, v50
	v_fma_f32 v74, v74, v42, -v43
	v_fma_f32 v75, v76, v44, -v45
	;; [unrolled: 1-line block ×4, first 2 shown]
	v_pk_mul_f32 v[42:43], v[92:93], v[116:117] op_sel:[1,0] op_sel_hi:[0,0]
	v_pk_fma_f32 v[50:51], v[98:99], v[66:67], v[122:123] neg_lo:[0,0,1] neg_hi:[0,0,1]
	v_fmac_f32_e32 v127, v87, v54
	v_fma_f32 v77, v80, v48, -v49
	v_fma_f32 v80, v86, v54, -v55
	v_add_f32_e32 v41, 0, v41
	v_add_f32_e32 v51, 0, v74
	v_pk_fma_f32 v[54:55], v[92:93], v[60:61], v[42:43] neg_lo:[0,0,1] neg_hi:[0,0,1]
	v_pk_fma_f32 v[42:43], v[92:93], v[60:61], v[42:43] op_sel_hi:[1,0,1]
	v_fmac_f32_e32 v121, v79, v46
	v_add_f32_e32 v41, v41, v117
	v_add_f32_e32 v42, v51, v75
	v_fmac_f32_e32 v124, v81, v48
	v_add_f32_e32 v41, v41, v121
	v_add_f32_e32 v42, v42, v76
	v_mul_f32_e32 v126, v84, v53
	v_mul_f32_e32 v53, v85, v53
	v_add_f32_e32 v41, v41, v124
	v_add_f32_e32 v42, v42, v77
	v_fmac_f32_e32 v126, v85, v52
	v_fma_f32 v79, v84, v52, -v53
	v_add_f32_e32 v41, v41, v125
	v_add_f32_e32 v42, v42, v78
	v_mul_f32_e32 v113, v88, v57
	v_mul_f32_e32 v57, v89, v57
	v_add_f32_e32 v41, v41, v126
	v_add_f32_e32 v42, v42, v79
	v_mul_f32_e32 v115, v90, v59
	v_mul_f32_e32 v59, v91, v59
	v_fmac_f32_e32 v113, v89, v56
	v_fma_f32 v112, v88, v56, -v57
	v_mov_b32_e32 v55, v43
	v_add_f32_e32 v43, v41, v127
	v_add_f32_e32 v42, v42, v80
	v_pk_mul_f32 v[118:119], v[94:95], v[62:63] op_sel:[1,1] op_sel_hi:[0,1]
	v_fmac_f32_e32 v115, v91, v58
	v_fma_f32 v114, v90, v58, -v59
	v_pk_add_f32 v[42:43], v[42:43], v[112:113]
	v_mov_b32_e32 v120, v65
	v_pk_fma_f32 v[44:45], v[94:95], v[62:63], v[118:119] neg_lo:[0,0,1] neg_hi:[0,0,1]
	v_pk_fma_f32 v[46:47], v[94:95], v[62:63], v[118:119] op_sel_hi:[1,0,1]
	v_pk_add_f32 v[42:43], v[42:43], v[114:115]
	v_pk_mul_f32 v[48:49], v[96:97], v[120:121] op_sel:[1,0] op_sel_hi:[0,0]
	v_mov_b32_e32 v45, v47
	v_pk_add_f32 v[42:43], v[42:43], v[54:55]
	v_pk_fma_f32 v[46:47], v[96:97], v[64:65], v[48:49] neg_lo:[0,0,1] neg_hi:[0,0,1]
	v_pk_fma_f32 v[48:49], v[96:97], v[64:65], v[48:49] op_sel_hi:[1,0,1]
	v_pk_add_f32 v[42:43], v[42:43], v[44:45]
	v_mov_b32_e32 v44, v69
	v_pk_fma_f32 v[52:53], v[98:99], v[66:67], v[122:123] op_sel_hi:[1,0,1]
	v_mov_b32_e32 v47, v49
	v_pk_mul_f32 v[44:45], v[100:101], v[44:45] op_sel:[1,0] op_sel_hi:[0,0]
	v_pk_add_f32 v[42:43], v[42:43], v[46:47]
	v_mov_b32_e32 v51, v53
	v_pk_fma_f32 v[46:47], v[100:101], v[68:69], v[44:45] neg_lo:[0,0,1] neg_hi:[0,0,1]
	v_pk_fma_f32 v[44:45], v[100:101], v[68:69], v[44:45] op_sel_hi:[1,0,1]
	v_pk_add_f32 v[42:43], v[42:43], v[50:51]
	v_mov_b32_e32 v47, v45
	s_waitcnt vmcnt(2) lgkmcnt(1)
	v_pk_mul_f32 v[44:45], v[102:103], v[70:71] op_sel:[1,1] op_sel_hi:[0,1]
	v_pk_add_f32 v[42:43], v[42:43], v[46:47]
	v_pk_fma_f32 v[46:47], v[102:103], v[70:71], v[44:45] neg_lo:[0,0,1] neg_hi:[0,0,1]
	v_pk_fma_f32 v[44:45], v[102:103], v[70:71], v[44:45] op_sel_hi:[1,0,1]
	s_nop 0
	v_mov_b32_e32 v44, v73
	v_mov_b32_e32 v47, v45
	v_pk_mul_f32 v[44:45], v[104:105], v[44:45] op_sel:[1,0] op_sel_hi:[0,0]
	v_pk_add_f32 v[42:43], v[42:43], v[46:47]
	v_pk_fma_f32 v[46:47], v[104:105], v[72:73], v[44:45] neg_lo:[0,0,1] neg_hi:[0,0,1]
	v_pk_fma_f32 v[44:45], v[104:105], v[72:73], v[44:45] op_sel_hi:[1,0,1]
	s_nop 0
	v_mov_b32_e32 v47, v45
	s_waitcnt vmcnt(1) lgkmcnt(0)
	v_pk_mul_f32 v[44:45], v[110:111], v[106:107] op_sel:[1,1] op_sel_hi:[0,1]
	v_pk_add_f32 v[42:43], v[42:43], v[46:47]
	v_pk_fma_f32 v[46:47], v[110:111], v[106:107], v[44:45] neg_lo:[0,0,1] neg_hi:[0,0,1]
	v_pk_fma_f32 v[44:45], v[110:111], v[106:107], v[44:45] op_sel_hi:[1,0,1]
	s_nop 0
	v_mov_b32_e32 v47, v45
	v_pk_add_f32 v[42:43], v[42:43], v[46:47]
	s_waitcnt vmcnt(0)
	v_pk_add_f32 v[42:43], v[108:109], v[42:43] neg_lo:[0,1] neg_hi:[0,1]
	scratch_store_dwordx2 off, v[42:43], off offset:8
	s_and_saveexec_b64 s[0:1], vcc
	s_cbranch_execz .LBB82_127
; %bb.126:
	scratch_load_dwordx2 v[42:43], off, off
	v_mov_b32_e32 v41, v40
	scratch_store_dwordx2 off, v[40:41], off
	s_waitcnt vmcnt(1)
	ds_write_b64 v1, v[42:43]
.LBB82_127:
	s_or_b64 exec, exec, s[0:1]
	s_waitcnt lgkmcnt(0)
	; wave barrier
	scratch_load_dwordx4 v[42:45], off, off offset:8
	scratch_load_dwordx4 v[46:49], off, off offset:24
	;; [unrolled: 1-line block ×7, first 2 shown]
	ds_read2_b64 v[70:73], v40 offset0:21 offset1:22
	ds_read2_b64 v[74:77], v40 offset0:23 offset1:24
	;; [unrolled: 1-line block ×4, first 2 shown]
	scratch_load_dwordx4 v[86:89], off, off offset:120
	scratch_load_dwordx4 v[90:93], off, off offset:136
	ds_read2_b64 v[94:97], v40 offset0:29 offset1:30
	ds_read2_b64 v[98:101], v40 offset0:31 offset1:32
	ds_read2_b64 v[102:105], v40 offset0:33 offset1:34
	ds_read2_b64 v[106:109], v40 offset0:35 offset1:36
	ds_read2_b64 v[110:113], v40 offset0:37 offset1:38
	scratch_load_dwordx2 v[0:1], off, off
	s_and_b64 vcc, exec, s[10:11]
	s_waitcnt vmcnt(9) lgkmcnt(8)
	v_mul_f32_e32 v119, v70, v43
	v_mul_f32_e32 v122, v72, v45
	s_waitcnt vmcnt(8) lgkmcnt(7)
	v_mul_f32_e32 v123, v74, v47
	v_mul_f32_e32 v124, v76, v49
	;; [unrolled: 3-line block ×3, first 2 shown]
	v_mul_f32_e32 v40, v71, v43
	v_mul_f32_e32 v43, v73, v45
	;; [unrolled: 1-line block ×6, first 2 shown]
	s_waitcnt vmcnt(4) lgkmcnt(3)
	v_pk_mul_f32 v[116:117], v[98:99], v[62:63] op_sel:[1,1] op_sel_hi:[0,1]
	v_mov_b32_e32 v118, v65
	s_waitcnt vmcnt(3) lgkmcnt(2)
	v_pk_mul_f32 v[120:121], v[102:103], v[66:67] op_sel:[1,1] op_sel_hi:[0,1]
	v_fmac_f32_e32 v119, v71, v42
	v_mul_f32_e32 v127, v82, v55
	v_mul_f32_e32 v128, v84, v57
	;; [unrolled: 1-line block ×8, first 2 shown]
	v_fmac_f32_e32 v122, v73, v44
	v_fmac_f32_e32 v123, v75, v46
	;; [unrolled: 1-line block ×4, first 2 shown]
	v_fma_f32 v61, v70, v42, -v40
	v_fma_f32 v70, v72, v44, -v43
	;; [unrolled: 1-line block ×6, first 2 shown]
	v_pk_fma_f32 v[42:43], v[98:99], v[62:63], v[116:117] neg_lo:[0,0,1] neg_hi:[0,0,1]
	v_pk_fma_f32 v[44:45], v[98:99], v[62:63], v[116:117] op_sel_hi:[1,0,1]
	v_pk_mul_f32 v[46:47], v[100:101], v[118:119] op_sel:[1,0] op_sel_hi:[0,0]
	v_pk_fma_f32 v[50:51], v[102:103], v[66:67], v[120:121] op_sel_hi:[1,0,1]
	v_fmac_f32_e32 v127, v83, v54
	v_fma_f32 v53, v82, v54, -v53
	v_fma_f32 v54, v84, v56, -v55
	v_add_f32_e32 v50, 0, v119
	v_add_f32_e32 v55, 0, v61
	v_mov_b32_e32 v43, v45
	v_pk_fma_f32 v[44:45], v[100:101], v[64:65], v[46:47] neg_lo:[0,0,1] neg_hi:[0,0,1]
	v_pk_fma_f32 v[46:47], v[100:101], v[64:65], v[46:47] op_sel_hi:[1,0,1]
	v_fmac_f32_e32 v124, v77, v48
	v_add_f32_e32 v46, v50, v122
	v_add_f32_e32 v50, v55, v70
	v_mov_b32_e32 v45, v47
	v_add_f32_e32 v46, v46, v123
	v_add_f32_e32 v47, v50, v71
	;; [unrolled: 1-line block ×8, first 2 shown]
	v_fmac_f32_e32 v128, v85, v56
	v_add_f32_e32 v46, v46, v127
	v_add_f32_e32 v50, v47, v53
	v_fmac_f32_e32 v41, v95, v58
	v_fma_f32 v40, v94, v58, -v57
	v_add_f32_e32 v47, v46, v128
	v_add_f32_e32 v46, v50, v54
	v_fmac_f32_e32 v115, v97, v60
	v_fma_f32 v114, v96, v60, -v59
	v_pk_add_f32 v[40:41], v[46:47], v[40:41]
	v_pk_fma_f32 v[48:49], v[102:103], v[66:67], v[120:121] neg_lo:[0,0,1] neg_hi:[0,0,1]
	v_pk_add_f32 v[40:41], v[40:41], v[114:115]
	v_mov_b32_e32 v49, v51
	v_pk_add_f32 v[40:41], v[40:41], v[42:43]
	v_mov_b32_e32 v42, v69
	v_pk_mul_f32 v[42:43], v[104:105], v[42:43] op_sel:[1,0] op_sel_hi:[0,0]
	v_pk_add_f32 v[40:41], v[40:41], v[44:45]
	v_pk_fma_f32 v[44:45], v[104:105], v[68:69], v[42:43] neg_lo:[0,0,1] neg_hi:[0,0,1]
	v_pk_fma_f32 v[42:43], v[104:105], v[68:69], v[42:43] op_sel_hi:[1,0,1]
	v_pk_add_f32 v[40:41], v[40:41], v[48:49]
	v_mov_b32_e32 v45, v43
	s_waitcnt vmcnt(2) lgkmcnt(1)
	v_pk_mul_f32 v[42:43], v[106:107], v[86:87] op_sel:[1,1] op_sel_hi:[0,1]
	v_pk_add_f32 v[40:41], v[40:41], v[44:45]
	v_pk_fma_f32 v[44:45], v[106:107], v[86:87], v[42:43] neg_lo:[0,0,1] neg_hi:[0,0,1]
	v_pk_fma_f32 v[42:43], v[106:107], v[86:87], v[42:43] op_sel_hi:[1,0,1]
	s_nop 0
	v_mov_b32_e32 v42, v89
	v_mov_b32_e32 v45, v43
	v_pk_mul_f32 v[42:43], v[108:109], v[42:43] op_sel:[1,0] op_sel_hi:[0,0]
	v_pk_add_f32 v[40:41], v[40:41], v[44:45]
	v_pk_fma_f32 v[44:45], v[108:109], v[88:89], v[42:43] neg_lo:[0,0,1] neg_hi:[0,0,1]
	v_pk_fma_f32 v[42:43], v[108:109], v[88:89], v[42:43] op_sel_hi:[1,0,1]
	s_nop 0
	v_mov_b32_e32 v45, v43
	s_waitcnt vmcnt(1) lgkmcnt(0)
	v_pk_mul_f32 v[42:43], v[110:111], v[90:91] op_sel:[1,1] op_sel_hi:[0,1]
	v_pk_add_f32 v[40:41], v[40:41], v[44:45]
	v_pk_fma_f32 v[44:45], v[110:111], v[90:91], v[42:43] neg_lo:[0,0,1] neg_hi:[0,0,1]
	v_pk_fma_f32 v[42:43], v[110:111], v[90:91], v[42:43] op_sel_hi:[1,0,1]
	s_nop 0
	v_mov_b32_e32 v42, v93
	v_mov_b32_e32 v45, v43
	v_pk_mul_f32 v[42:43], v[112:113], v[42:43] op_sel:[1,0] op_sel_hi:[0,0]
	v_pk_add_f32 v[40:41], v[40:41], v[44:45]
	v_pk_fma_f32 v[44:45], v[112:113], v[92:93], v[42:43] neg_lo:[0,0,1] neg_hi:[0,0,1]
	v_pk_fma_f32 v[42:43], v[112:113], v[92:93], v[42:43] op_sel_hi:[1,0,1]
	s_nop 0
	v_mov_b32_e32 v45, v43
	v_pk_add_f32 v[40:41], v[40:41], v[44:45]
	s_waitcnt vmcnt(0)
	v_pk_add_f32 v[0:1], v[0:1], v[40:41] neg_lo:[0,1] neg_hi:[0,1]
	scratch_store_dwordx2 off, v[0:1], off
	s_cbranch_vccz .LBB82_164
; %bb.128:
	v_mov_b32_e32 v0, 0
	global_load_dword v1, v0, s[8:9] offset:68
	s_waitcnt vmcnt(0)
	v_readfirstlane_b32 s0, v1
	s_add_i32 s0, s0, -1
	s_cmp_lg_u32 s0, 17
	s_cbranch_scc0 .LBB82_130
; %bb.129:
	s_lshl_b32 s0, s0, 3
	s_nop 0
	scratch_load_dwordx2 v[40:41], off, s0
	scratch_load_dwordx2 v[42:43], off, off offset:136
	s_waitcnt vmcnt(1)
	scratch_store_dwordx2 off, v[40:41], off offset:136
	s_waitcnt vmcnt(1)
	scratch_store_dwordx2 off, v[42:43], s0
.LBB82_130:
	global_load_dword v0, v0, s[8:9] offset:64
	s_waitcnt vmcnt(0)
	v_readfirstlane_b32 s0, v0
	s_add_i32 s0, s0, -1
	s_cmp_eq_u32 s0, 16
	s_cbranch_scc1 .LBB82_132
; %bb.131:
	s_lshl_b32 s0, s0, 3
	s_nop 0
	scratch_load_dwordx2 v[0:1], off, s0
	scratch_load_dwordx2 v[40:41], off, off offset:128
	s_waitcnt vmcnt(1)
	scratch_store_dwordx2 off, v[0:1], off offset:128
	s_waitcnt vmcnt(1)
	scratch_store_dwordx2 off, v[40:41], s0
.LBB82_132:
	v_mov_b32_e32 v0, 0
	global_load_dword v1, v0, s[8:9] offset:60
	s_waitcnt vmcnt(0)
	v_readfirstlane_b32 s0, v1
	s_add_i32 s0, s0, -1
	s_cmp_eq_u32 s0, 15
	s_cbranch_scc1 .LBB82_134
; %bb.133:
	s_lshl_b32 s0, s0, 3
	s_nop 0
	scratch_load_dwordx2 v[40:41], off, s0
	scratch_load_dwordx2 v[42:43], off, off offset:120
	s_waitcnt vmcnt(1)
	scratch_store_dwordx2 off, v[40:41], off offset:120
	s_waitcnt vmcnt(1)
	scratch_store_dwordx2 off, v[42:43], s0
.LBB82_134:
	global_load_dword v0, v0, s[8:9] offset:56
	s_waitcnt vmcnt(0)
	v_readfirstlane_b32 s0, v0
	s_add_i32 s0, s0, -1
	s_cmp_eq_u32 s0, 14
	s_cbranch_scc1 .LBB82_136
; %bb.135:
	s_lshl_b32 s0, s0, 3
	s_nop 0
	scratch_load_dwordx2 v[0:1], off, s0
	scratch_load_dwordx2 v[40:41], off, off offset:112
	s_waitcnt vmcnt(1)
	scratch_store_dwordx2 off, v[0:1], off offset:112
	s_waitcnt vmcnt(1)
	scratch_store_dwordx2 off, v[40:41], s0
.LBB82_136:
	v_mov_b32_e32 v0, 0
	global_load_dword v1, v0, s[8:9] offset:52
	s_waitcnt vmcnt(0)
	v_readfirstlane_b32 s0, v1
	s_add_i32 s0, s0, -1
	s_cmp_eq_u32 s0, 13
	s_cbranch_scc1 .LBB82_138
; %bb.137:
	s_lshl_b32 s0, s0, 3
	s_nop 0
	scratch_load_dwordx2 v[40:41], off, s0
	scratch_load_dwordx2 v[42:43], off, off offset:104
	s_waitcnt vmcnt(1)
	scratch_store_dwordx2 off, v[40:41], off offset:104
	s_waitcnt vmcnt(1)
	scratch_store_dwordx2 off, v[42:43], s0
.LBB82_138:
	;; [unrolled: 33-line block ×8, first 2 shown]
	global_load_dword v40, v0, s[8:9]
	s_nop 0
	scratch_load_dwordx2 v[0:1], off, off
	s_waitcnt vmcnt(1)
	v_readfirstlane_b32 s0, v40
	s_add_i32 s0, s0, -1
	s_cmp_eq_u32 s0, 0
	s_cbranch_scc1 .LBB82_164
; %bb.163:
	s_lshl_b32 s0, s0, 3
	s_nop 0
	scratch_load_dwordx2 v[40:41], off, s0
	s_waitcnt vmcnt(0)
	scratch_store_dwordx2 off, v[40:41], off
	scratch_store_dwordx2 off, v[0:1], s0
	scratch_load_dwordx2 v[0:1], off, off
.LBB82_164:
	s_waitcnt vmcnt(0)
	flat_store_dwordx2 v[2:3], v[0:1]
	scratch_load_dwordx2 v[0:1], off, off offset:8
	s_waitcnt vmcnt(0)
	flat_store_dwordx2 v[4:5], v[0:1]
	scratch_load_dwordx2 v[0:1], off, off offset:16
	;; [unrolled: 3-line block ×18, first 2 shown]
	s_waitcnt vmcnt(0)
	flat_store_dwordx2 v[38:39], v[0:1]
	s_endpgm
	.section	.rodata,"a",@progbits
	.p2align	6, 0x0
	.amdhsa_kernel _ZN9rocsolver6v33100L18getri_kernel_smallILi19E19rocblas_complex_numIfEPKPS3_EEvT1_iilPiilS8_bb
		.amdhsa_group_segment_fixed_size 312
		.amdhsa_private_segment_fixed_size 160
		.amdhsa_kernarg_size 60
		.amdhsa_user_sgpr_count 2
		.amdhsa_user_sgpr_dispatch_ptr 0
		.amdhsa_user_sgpr_queue_ptr 0
		.amdhsa_user_sgpr_kernarg_segment_ptr 1
		.amdhsa_user_sgpr_dispatch_id 0
		.amdhsa_user_sgpr_kernarg_preload_length 0
		.amdhsa_user_sgpr_kernarg_preload_offset 0
		.amdhsa_user_sgpr_private_segment_size 0
		.amdhsa_uses_dynamic_stack 0
		.amdhsa_enable_private_segment 1
		.amdhsa_system_sgpr_workgroup_id_x 1
		.amdhsa_system_sgpr_workgroup_id_y 0
		.amdhsa_system_sgpr_workgroup_id_z 0
		.amdhsa_system_sgpr_workgroup_info 0
		.amdhsa_system_vgpr_workitem_id 0
		.amdhsa_next_free_vgpr 129
		.amdhsa_next_free_sgpr 17
		.amdhsa_accum_offset 132
		.amdhsa_reserve_vcc 1
		.amdhsa_float_round_mode_32 0
		.amdhsa_float_round_mode_16_64 0
		.amdhsa_float_denorm_mode_32 3
		.amdhsa_float_denorm_mode_16_64 3
		.amdhsa_dx10_clamp 1
		.amdhsa_ieee_mode 1
		.amdhsa_fp16_overflow 0
		.amdhsa_tg_split 0
		.amdhsa_exception_fp_ieee_invalid_op 0
		.amdhsa_exception_fp_denorm_src 0
		.amdhsa_exception_fp_ieee_div_zero 0
		.amdhsa_exception_fp_ieee_overflow 0
		.amdhsa_exception_fp_ieee_underflow 0
		.amdhsa_exception_fp_ieee_inexact 0
		.amdhsa_exception_int_div_zero 0
	.end_amdhsa_kernel
	.section	.text._ZN9rocsolver6v33100L18getri_kernel_smallILi19E19rocblas_complex_numIfEPKPS3_EEvT1_iilPiilS8_bb,"axG",@progbits,_ZN9rocsolver6v33100L18getri_kernel_smallILi19E19rocblas_complex_numIfEPKPS3_EEvT1_iilPiilS8_bb,comdat
.Lfunc_end82:
	.size	_ZN9rocsolver6v33100L18getri_kernel_smallILi19E19rocblas_complex_numIfEPKPS3_EEvT1_iilPiilS8_bb, .Lfunc_end82-_ZN9rocsolver6v33100L18getri_kernel_smallILi19E19rocblas_complex_numIfEPKPS3_EEvT1_iilPiilS8_bb
                                        ; -- End function
	.set _ZN9rocsolver6v33100L18getri_kernel_smallILi19E19rocblas_complex_numIfEPKPS3_EEvT1_iilPiilS8_bb.num_vgpr, 129
	.set _ZN9rocsolver6v33100L18getri_kernel_smallILi19E19rocblas_complex_numIfEPKPS3_EEvT1_iilPiilS8_bb.num_agpr, 0
	.set _ZN9rocsolver6v33100L18getri_kernel_smallILi19E19rocblas_complex_numIfEPKPS3_EEvT1_iilPiilS8_bb.numbered_sgpr, 17
	.set _ZN9rocsolver6v33100L18getri_kernel_smallILi19E19rocblas_complex_numIfEPKPS3_EEvT1_iilPiilS8_bb.num_named_barrier, 0
	.set _ZN9rocsolver6v33100L18getri_kernel_smallILi19E19rocblas_complex_numIfEPKPS3_EEvT1_iilPiilS8_bb.private_seg_size, 160
	.set _ZN9rocsolver6v33100L18getri_kernel_smallILi19E19rocblas_complex_numIfEPKPS3_EEvT1_iilPiilS8_bb.uses_vcc, 1
	.set _ZN9rocsolver6v33100L18getri_kernel_smallILi19E19rocblas_complex_numIfEPKPS3_EEvT1_iilPiilS8_bb.uses_flat_scratch, 0
	.set _ZN9rocsolver6v33100L18getri_kernel_smallILi19E19rocblas_complex_numIfEPKPS3_EEvT1_iilPiilS8_bb.has_dyn_sized_stack, 0
	.set _ZN9rocsolver6v33100L18getri_kernel_smallILi19E19rocblas_complex_numIfEPKPS3_EEvT1_iilPiilS8_bb.has_recursion, 0
	.set _ZN9rocsolver6v33100L18getri_kernel_smallILi19E19rocblas_complex_numIfEPKPS3_EEvT1_iilPiilS8_bb.has_indirect_call, 0
	.section	.AMDGPU.csdata,"",@progbits
; Kernel info:
; codeLenInByte = 16532
; TotalNumSgprs: 23
; NumVgprs: 129
; NumAgprs: 0
; TotalNumVgprs: 129
; ScratchSize: 160
; MemoryBound: 0
; FloatMode: 240
; IeeeMode: 1
; LDSByteSize: 312 bytes/workgroup (compile time only)
; SGPRBlocks: 2
; VGPRBlocks: 16
; NumSGPRsForWavesPerEU: 23
; NumVGPRsForWavesPerEU: 129
; AccumOffset: 132
; Occupancy: 3
; WaveLimiterHint : 1
; COMPUTE_PGM_RSRC2:SCRATCH_EN: 1
; COMPUTE_PGM_RSRC2:USER_SGPR: 2
; COMPUTE_PGM_RSRC2:TRAP_HANDLER: 0
; COMPUTE_PGM_RSRC2:TGID_X_EN: 1
; COMPUTE_PGM_RSRC2:TGID_Y_EN: 0
; COMPUTE_PGM_RSRC2:TGID_Z_EN: 0
; COMPUTE_PGM_RSRC2:TIDIG_COMP_CNT: 0
; COMPUTE_PGM_RSRC3_GFX90A:ACCUM_OFFSET: 32
; COMPUTE_PGM_RSRC3_GFX90A:TG_SPLIT: 0
	.section	.text._ZN9rocsolver6v33100L18getri_kernel_smallILi20E19rocblas_complex_numIfEPKPS3_EEvT1_iilPiilS8_bb,"axG",@progbits,_ZN9rocsolver6v33100L18getri_kernel_smallILi20E19rocblas_complex_numIfEPKPS3_EEvT1_iilPiilS8_bb,comdat
	.globl	_ZN9rocsolver6v33100L18getri_kernel_smallILi20E19rocblas_complex_numIfEPKPS3_EEvT1_iilPiilS8_bb ; -- Begin function _ZN9rocsolver6v33100L18getri_kernel_smallILi20E19rocblas_complex_numIfEPKPS3_EEvT1_iilPiilS8_bb
	.p2align	8
	.type	_ZN9rocsolver6v33100L18getri_kernel_smallILi20E19rocblas_complex_numIfEPKPS3_EEvT1_iilPiilS8_bb,@function
_ZN9rocsolver6v33100L18getri_kernel_smallILi20E19rocblas_complex_numIfEPKPS3_EEvT1_iilPiilS8_bb: ; @_ZN9rocsolver6v33100L18getri_kernel_smallILi20E19rocblas_complex_numIfEPKPS3_EEvT1_iilPiilS8_bb
; %bb.0:
	v_cmp_gt_u32_e32 vcc, 20, v0
	s_and_saveexec_b64 s[4:5], vcc
	s_cbranch_execz .LBB83_94
; %bb.1:
	s_load_dword s14, s[0:1], 0x38
	s_load_dwordx2 s[8:9], s[0:1], 0x0
	s_load_dwordx4 s[4:7], s[0:1], 0x28
	s_waitcnt lgkmcnt(0)
	s_bitcmp1_b32 s14, 8
	s_cselect_b64 s[10:11], -1, 0
	s_ashr_i32 s3, s2, 31
	s_lshl_b64 s[12:13], s[2:3], 3
	s_add_u32 s8, s8, s12
	s_addc_u32 s9, s9, s13
	s_load_dwordx2 s[12:13], s[8:9], 0x0
	s_bfe_u32 s8, s14, 0x10008
	s_cmp_eq_u32 s8, 0
                                        ; implicit-def: $sgpr8_sgpr9
	s_cbranch_scc1 .LBB83_3
; %bb.2:
	s_load_dword s8, s[0:1], 0x20
	s_load_dwordx2 s[14:15], s[0:1], 0x18
	s_mul_i32 s9, s4, s3
	s_mul_hi_u32 s16, s4, s2
	s_add_i32 s16, s16, s9
	s_mul_i32 s5, s5, s2
	s_add_i32 s5, s16, s5
	s_mul_i32 s4, s4, s2
	s_waitcnt lgkmcnt(0)
	s_ashr_i32 s9, s8, 31
	s_lshl_b64 s[4:5], s[4:5], 2
	s_add_u32 s14, s14, s4
	s_addc_u32 s15, s15, s5
	s_lshl_b64 s[4:5], s[8:9], 2
	s_add_u32 s8, s14, s4
	s_addc_u32 s9, s15, s5
.LBB83_3:
	s_load_dwordx2 s[4:5], s[0:1], 0x8
	s_load_dword s14, s[0:1], 0x38
	v_lshlrev_b32_e32 v42, 3, v0
	v_mov_b32_e32 v43, 0
	s_waitcnt lgkmcnt(0)
	s_ashr_i32 s1, s4, 31
	s_mov_b32 s0, s4
	s_lshl_b64 s[0:1], s[0:1], 3
	s_add_u32 s0, s12, s0
	s_addc_u32 s1, s13, s1
	v_lshl_add_u64 v[2:3], s[0:1], 0, v[42:43]
	flat_load_dwordx2 v[6:7], v[2:3]
	s_mov_b32 s12, s5
	s_ashr_i32 s13, s5, 31
	v_lshl_add_u64 v[4:5], s[12:13], 3, v[2:3]
	s_add_i32 s4, s5, s5
	v_add_u32_e32 v10, s4, v0
	v_ashrrev_i32_e32 v11, 31, v10
	s_bitcmp0_b32 s14, 0
	s_waitcnt vmcnt(0) lgkmcnt(0)
	scratch_store_dwordx2 off, v[6:7], off
	flat_load_dwordx2 v[8:9], v[4:5]
	v_lshl_add_u64 v[6:7], v[10:11], 3, s[0:1]
	v_add_u32_e32 v10, s5, v10
	v_ashrrev_i32_e32 v11, 31, v10
	v_add_u32_e32 v14, s5, v10
	v_ashrrev_i32_e32 v15, 31, v14
	s_waitcnt vmcnt(0) lgkmcnt(0)
	scratch_store_dwordx2 off, v[8:9], off offset:8
	flat_load_dwordx2 v[12:13], v[6:7]
	v_lshl_add_u64 v[8:9], v[10:11], 3, s[0:1]
	v_lshl_add_u64 v[10:11], v[14:15], 3, s[0:1]
	v_add_u32_e32 v14, s5, v14
	v_ashrrev_i32_e32 v15, 31, v14
	v_add_u32_e32 v18, s5, v14
	v_ashrrev_i32_e32 v19, 31, v18
	s_waitcnt vmcnt(0) lgkmcnt(0)
	scratch_store_dwordx2 off, v[12:13], off offset:16
	flat_load_dwordx2 v[12:13], v[8:9]
	s_waitcnt vmcnt(0) lgkmcnt(0)
	scratch_store_dwordx2 off, v[12:13], off offset:24
	flat_load_dwordx2 v[16:17], v[10:11]
	v_lshl_add_u64 v[12:13], v[14:15], 3, s[0:1]
	v_lshl_add_u64 v[14:15], v[18:19], 3, s[0:1]
	v_add_u32_e32 v18, s5, v18
	v_ashrrev_i32_e32 v19, 31, v18
	v_add_u32_e32 v22, s5, v18
	v_ashrrev_i32_e32 v23, 31, v22
	s_waitcnt vmcnt(0) lgkmcnt(0)
	scratch_store_dwordx2 off, v[16:17], off offset:32
	flat_load_dwordx2 v[16:17], v[12:13]
	;; [unrolled: 12-line block ×7, first 2 shown]
	s_waitcnt vmcnt(0) lgkmcnt(0)
	scratch_store_dwordx2 off, v[36:37], off offset:120
	flat_load_dwordx2 v[40:41], v[34:35]
	v_lshl_add_u64 v[36:37], v[38:39], 3, s[0:1]
	v_lshl_add_u64 v[38:39], v[44:45], 3, s[0:1]
	s_waitcnt vmcnt(0) lgkmcnt(0)
	scratch_store_dwordx2 off, v[40:41], off offset:128
	flat_load_dwordx2 v[40:41], v[36:37]
	s_waitcnt vmcnt(0) lgkmcnt(0)
	scratch_store_dwordx2 off, v[40:41], off offset:136
	flat_load_dwordx2 v[46:47], v[38:39]
	v_add_u32_e32 v40, s5, v44
	v_ashrrev_i32_e32 v41, 31, v40
	v_lshl_add_u64 v[40:41], v[40:41], 3, s[0:1]
	s_mov_b64 s[4:5], -1
	s_waitcnt vmcnt(0) lgkmcnt(0)
	scratch_store_dwordx2 off, v[46:47], off offset:144
	flat_load_dwordx2 v[44:45], v[40:41]
	s_waitcnt vmcnt(0) lgkmcnt(0)
	scratch_store_dwordx2 off, v[44:45], off offset:152
	s_cbranch_scc1 .LBB83_92
; %bb.4:
	v_cmp_eq_u32_e64 s[0:1], 0, v0
	s_and_saveexec_b64 s[4:5], s[0:1]
; %bb.5:
	v_mov_b32_e32 v1, 0
	ds_write_b32 v1, v1 offset:320
; %bb.6:
	s_or_b64 exec, exec, s[4:5]
	s_waitcnt lgkmcnt(0)
	; wave barrier
	scratch_load_dwordx2 v[44:45], v42, off
	s_waitcnt vmcnt(0)
	v_cmp_eq_f32_e32 vcc, 0, v44
	v_cmp_eq_f32_e64 s[4:5], 0, v45
	s_and_b64 s[4:5], vcc, s[4:5]
	s_and_saveexec_b64 s[12:13], s[4:5]
	s_cbranch_execz .LBB83_10
; %bb.7:
	v_mov_b32_e32 v1, 0
	ds_read_b32 v44, v1 offset:320
	v_add_u32_e32 v43, 1, v0
	s_waitcnt lgkmcnt(0)
	v_readfirstlane_b32 s4, v44
	s_cmp_eq_u32 s4, 0
	s_cselect_b64 s[14:15], -1, 0
	v_cmp_gt_i32_e32 vcc, s4, v43
	s_or_b64 s[14:15], s[14:15], vcc
	s_and_b64 exec, exec, s[14:15]
	s_cbranch_execz .LBB83_10
; %bb.8:
	s_mov_b64 s[14:15], 0
	v_mov_b32_e32 v44, s4
.LBB83_9:                               ; =>This Inner Loop Header: Depth=1
	ds_cmpst_rtn_b32 v44, v1, v44, v43 offset:320
	s_waitcnt lgkmcnt(0)
	v_cmp_ne_u32_e32 vcc, 0, v44
	v_cmp_le_i32_e64 s[4:5], v44, v43
	s_and_b64 s[4:5], vcc, s[4:5]
	s_and_b64 s[4:5], exec, s[4:5]
	s_or_b64 s[14:15], s[4:5], s[14:15]
	s_andn2_b64 exec, exec, s[14:15]
	s_cbranch_execnz .LBB83_9
.LBB83_10:
	s_or_b64 exec, exec, s[12:13]
	v_mov_b32_e32 v43, 0
	; wave barrier
	ds_read_b32 v1, v43 offset:320
	s_and_saveexec_b64 s[4:5], s[0:1]
	s_cbranch_execz .LBB83_12
; %bb.11:
	s_lshl_b64 s[12:13], s[2:3], 2
	s_add_u32 s12, s6, s12
	s_addc_u32 s13, s7, s13
	s_waitcnt lgkmcnt(0)
	global_store_dword v43, v1, s[12:13]
.LBB83_12:
	s_or_b64 exec, exec, s[4:5]
	s_waitcnt lgkmcnt(0)
	v_cmp_ne_u32_e32 vcc, 0, v1
	s_mov_b64 s[4:5], 0
	s_cbranch_vccnz .LBB83_92
; %bb.13:
	v_mov_b32_e32 v43, v42
	scratch_load_dwordx2 v[44:45], v43, off
                                        ; implicit-def: $vgpr47
                                        ; implicit-def: $vgpr48
	s_waitcnt vmcnt(0)
	v_cmp_ngt_f32_e64 s[4:5], |v44|, |v45|
	s_and_saveexec_b64 s[12:13], s[4:5]
	s_xor_b64 s[4:5], exec, s[12:13]
	s_cbranch_execz .LBB83_15
; %bb.14:
	v_div_scale_f32 v1, s[12:13], v45, v45, v44
	v_rcp_f32_e32 v46, v1
	v_div_scale_f32 v47, vcc, v44, v45, v44
	v_fma_f32 v48, -v1, v46, 1.0
	v_fmac_f32_e32 v46, v48, v46
	v_mul_f32_e32 v48, v47, v46
	v_fma_f32 v49, -v1, v48, v47
	v_fmac_f32_e32 v48, v49, v46
	v_fma_f32 v1, -v1, v48, v47
	v_div_fmas_f32 v1, v1, v46, v48
	v_div_fixup_f32 v1, v1, v45, v44
	v_fmac_f32_e32 v45, v44, v1
	v_div_scale_f32 v44, s[12:13], v45, v45, -1.0
	v_rcp_f32_e32 v46, v44
	s_nop 0
	v_fma_f32 v47, -v44, v46, 1.0
	v_fmac_f32_e32 v46, v47, v46
	v_div_scale_f32 v47, vcc, -1.0, v45, -1.0
	v_mul_f32_e32 v48, v47, v46
	v_fma_f32 v49, -v44, v48, v47
	v_fmac_f32_e32 v48, v49, v46
	v_fma_f32 v44, -v44, v48, v47
	v_div_fmas_f32 v44, v44, v46, v48
	v_div_fixup_f32 v47, v44, v45, -1.0
	v_mul_f32_e32 v48, v1, v47
	v_xor_b32_e32 v46, 0x80000000, v48
                                        ; implicit-def: $vgpr44_vgpr45
.LBB83_15:
	s_andn2_saveexec_b64 s[4:5], s[4:5]
	s_cbranch_execz .LBB83_17
; %bb.16:
	v_div_scale_f32 v1, s[12:13], v44, v44, v45
	v_rcp_f32_e32 v46, v1
	v_div_scale_f32 v47, vcc, v45, v44, v45
	v_fma_f32 v48, -v1, v46, 1.0
	v_fmac_f32_e32 v46, v48, v46
	v_mul_f32_e32 v48, v47, v46
	v_fma_f32 v49, -v1, v48, v47
	v_fmac_f32_e32 v48, v49, v46
	v_fma_f32 v1, -v1, v48, v47
	v_div_fmas_f32 v1, v1, v46, v48
	v_div_fixup_f32 v1, v1, v44, v45
	v_fmac_f32_e32 v44, v45, v1
	v_div_scale_f32 v45, s[12:13], v44, v44, 1.0
	v_rcp_f32_e32 v46, v45
	s_nop 0
	v_fma_f32 v47, -v45, v46, 1.0
	v_fmac_f32_e32 v46, v47, v46
	v_div_scale_f32 v47, vcc, 1.0, v44, 1.0
	v_mul_f32_e32 v48, v47, v46
	v_fma_f32 v49, -v45, v48, v47
	v_fmac_f32_e32 v48, v49, v46
	v_fma_f32 v45, -v45, v48, v47
	v_div_fmas_f32 v45, v45, v46, v48
	v_div_fixup_f32 v46, v45, v44, 1.0
	v_xor_b32_e32 v48, 0x80000000, v46
	v_mul_f32_e64 v47, v1, -v46
.LBB83_17:
	s_or_b64 exec, exec, s[4:5]
	scratch_store_dwordx2 v43, v[46:47], off
	scratch_load_dwordx2 v[44:45], off, off offset:8
	v_xor_b32_e32 v49, 0x80000000, v47
	v_add_u32_e32 v1, 0xa0, v42
	s_waitcnt vmcnt(0)
	ds_write2_b64 v42, v[48:49], v[44:45] offset1:20
	s_waitcnt lgkmcnt(0)
	; wave barrier
	s_and_saveexec_b64 s[4:5], s[0:1]
	s_cbranch_execz .LBB83_19
; %bb.18:
	scratch_load_dwordx2 v[44:45], v43, off
	ds_read_b64 v[46:47], v1
	v_mov_b32_e32 v48, 0
	ds_read_b64 v[48:49], v48 offset:8
	s_waitcnt vmcnt(0) lgkmcnt(1)
	v_pk_mul_f32 v[50:51], v[46:47], v[44:45] op_sel:[1,1] op_sel_hi:[0,1]
	v_pk_fma_f32 v[52:53], v[46:47], v[44:45], v[50:51] neg_lo:[0,0,1] neg_hi:[0,0,1]
	v_pk_fma_f32 v[44:45], v[46:47], v[44:45], v[50:51] op_sel_hi:[1,0,1]
	s_nop 0
	v_mov_b32_e32 v53, v45
	v_pk_add_f32 v[44:45], v[52:53], 0 op_sel_hi:[1,0]
	s_waitcnt lgkmcnt(0)
	v_pk_mul_f32 v[46:47], v[44:45], v[48:49] op_sel:[1,1] op_sel_hi:[0,1]
	v_pk_fma_f32 v[50:51], v[44:45], v[48:49], v[46:47] neg_lo:[0,0,1] neg_hi:[0,0,1]
	v_pk_fma_f32 v[44:45], v[44:45], v[48:49], v[46:47] op_sel_hi:[1,0,1]
	s_nop 0
	v_mov_b32_e32 v51, v45
	scratch_store_dwordx2 off, v[50:51], off offset:8
.LBB83_19:
	s_or_b64 exec, exec, s[4:5]
	; wave barrier
	scratch_load_dwordx2 v[44:45], off, off offset:16
	v_cmp_gt_u32_e32 vcc, 2, v0
	s_waitcnt vmcnt(0)
	ds_write_b64 v1, v[44:45]
	s_waitcnt lgkmcnt(0)
	; wave barrier
	s_and_saveexec_b64 s[4:5], vcc
	s_cbranch_execz .LBB83_23
; %bb.20:
	scratch_load_dwordx2 v[44:45], v43, off
	ds_read_b64 v[46:47], v1
	s_waitcnt vmcnt(0) lgkmcnt(0)
	v_pk_mul_f32 v[48:49], v[46:47], v[44:45] op_sel:[1,1] op_sel_hi:[0,1]
	v_pk_fma_f32 v[50:51], v[46:47], v[44:45], v[48:49] neg_lo:[0,0,1] neg_hi:[0,0,1]
	v_pk_fma_f32 v[44:45], v[46:47], v[44:45], v[48:49] op_sel_hi:[1,0,1]
	s_nop 0
	v_mov_b32_e32 v51, v45
	v_pk_add_f32 v[44:45], v[50:51], 0 op_sel_hi:[1,0]
	s_and_saveexec_b64 s[12:13], s[0:1]
	s_cbranch_execz .LBB83_22
; %bb.21:
	scratch_load_dwordx2 v[46:47], off, off offset:8
	v_mov_b32_e32 v43, 0
	ds_read_b64 v[48:49], v43 offset:168
	s_waitcnt vmcnt(0) lgkmcnt(0)
	v_pk_mul_f32 v[50:51], v[48:49], v[46:47] op_sel:[1,1] op_sel_hi:[0,1]
	v_pk_fma_f32 v[52:53], v[48:49], v[46:47], v[50:51] neg_lo:[0,0,1] neg_hi:[0,0,1]
	v_pk_fma_f32 v[46:47], v[48:49], v[46:47], v[50:51] op_sel_hi:[1,0,1]
	s_nop 0
	v_mov_b32_e32 v53, v47
	v_pk_add_f32 v[44:45], v[44:45], v[52:53]
.LBB83_22:
	s_or_b64 exec, exec, s[12:13]
	v_mov_b32_e32 v43, 0
	ds_read_b64 v[46:47], v43 offset:16
	s_waitcnt lgkmcnt(0)
	v_pk_mul_f32 v[48:49], v[44:45], v[46:47] op_sel:[1,1] op_sel_hi:[0,1]
	v_pk_fma_f32 v[50:51], v[44:45], v[46:47], v[48:49] neg_lo:[0,0,1] neg_hi:[0,0,1]
	v_pk_fma_f32 v[44:45], v[44:45], v[46:47], v[48:49] op_sel_hi:[1,0,1]
	s_nop 0
	v_mov_b32_e32 v51, v45
	scratch_store_dwordx2 off, v[50:51], off offset:16
.LBB83_23:
	s_or_b64 exec, exec, s[4:5]
	; wave barrier
	scratch_load_dwordx2 v[44:45], off, off offset:24
	v_cmp_gt_u32_e32 vcc, 3, v0
	v_add_u32_e32 v46, -1, v0
	s_waitcnt vmcnt(0)
	ds_write_b64 v1, v[44:45]
	s_waitcnt lgkmcnt(0)
	; wave barrier
	s_and_saveexec_b64 s[0:1], vcc
	s_cbranch_execz .LBB83_27
; %bb.24:
	v_mov_b32_e32 v44, 0
	v_add_u32_e32 v43, -1, v0
	v_add_u32_e32 v47, 0xa0, v42
	v_mov_b32_e32 v48, v42
	s_mov_b64 s[4:5], 0
	v_mov_b32_e32 v45, v44
.LBB83_25:                              ; =>This Inner Loop Header: Depth=1
	scratch_load_dwordx2 v[50:51], v48, off
	ds_read_b64 v[52:53], v47
	v_add_u32_e32 v43, 1, v43
	v_cmp_lt_u32_e32 vcc, 1, v43
	v_add_u32_e32 v47, 8, v47
	v_add_u32_e32 v48, 8, v48
	s_or_b64 s[4:5], vcc, s[4:5]
	s_waitcnt vmcnt(0) lgkmcnt(0)
	v_pk_mul_f32 v[54:55], v[52:53], v[50:51] op_sel:[1,1] op_sel_hi:[0,1]
	v_pk_fma_f32 v[56:57], v[52:53], v[50:51], v[54:55] neg_lo:[0,0,1] neg_hi:[0,0,1]
	v_pk_fma_f32 v[50:51], v[52:53], v[50:51], v[54:55] op_sel_hi:[1,0,1]
	s_nop 0
	v_mov_b32_e32 v57, v51
	v_pk_add_f32 v[44:45], v[44:45], v[56:57]
	s_andn2_b64 exec, exec, s[4:5]
	s_cbranch_execnz .LBB83_25
; %bb.26:
	s_or_b64 exec, exec, s[4:5]
	v_mov_b32_e32 v43, 0
	ds_read_b64 v[48:49], v43 offset:24
	s_waitcnt lgkmcnt(0)
	v_pk_mul_f32 v[50:51], v[44:45], v[48:49] op_sel:[1,1] op_sel_hi:[0,1]
	v_pk_fma_f32 v[52:53], v[44:45], v[48:49], v[50:51] neg_lo:[0,0,1] neg_hi:[0,0,1]
	v_pk_fma_f32 v[44:45], v[44:45], v[48:49], v[50:51] op_sel_hi:[1,0,1]
	s_nop 0
	v_mov_b32_e32 v53, v45
	scratch_store_dwordx2 off, v[52:53], off offset:24
.LBB83_27:
	s_or_b64 exec, exec, s[0:1]
	; wave barrier
	scratch_load_dwordx2 v[44:45], off, off offset:32
	v_cmp_gt_u32_e32 vcc, 4, v0
	s_waitcnt vmcnt(0)
	ds_write_b64 v1, v[44:45]
	s_waitcnt lgkmcnt(0)
	; wave barrier
	s_and_saveexec_b64 s[0:1], vcc
	s_cbranch_execz .LBB83_31
; %bb.28:
	v_mov_b32_e32 v44, 0
	v_add_u32_e32 v43, -1, v0
	v_add_u32_e32 v47, 0xa0, v42
	v_mov_b32_e32 v48, v42
	s_mov_b64 s[4:5], 0
	v_mov_b32_e32 v45, v44
.LBB83_29:                              ; =>This Inner Loop Header: Depth=1
	scratch_load_dwordx2 v[50:51], v48, off
	ds_read_b64 v[52:53], v47
	v_add_u32_e32 v43, 1, v43
	v_cmp_lt_u32_e32 vcc, 2, v43
	v_add_u32_e32 v47, 8, v47
	v_add_u32_e32 v48, 8, v48
	s_or_b64 s[4:5], vcc, s[4:5]
	s_waitcnt vmcnt(0) lgkmcnt(0)
	v_pk_mul_f32 v[54:55], v[52:53], v[50:51] op_sel:[1,1] op_sel_hi:[0,1]
	v_pk_fma_f32 v[56:57], v[52:53], v[50:51], v[54:55] neg_lo:[0,0,1] neg_hi:[0,0,1]
	v_pk_fma_f32 v[50:51], v[52:53], v[50:51], v[54:55] op_sel_hi:[1,0,1]
	s_nop 0
	v_mov_b32_e32 v57, v51
	v_pk_add_f32 v[44:45], v[44:45], v[56:57]
	s_andn2_b64 exec, exec, s[4:5]
	s_cbranch_execnz .LBB83_29
; %bb.30:
	s_or_b64 exec, exec, s[4:5]
	v_mov_b32_e32 v43, 0
	ds_read_b64 v[48:49], v43 offset:32
	s_waitcnt lgkmcnt(0)
	v_pk_mul_f32 v[50:51], v[44:45], v[48:49] op_sel:[1,1] op_sel_hi:[0,1]
	v_pk_fma_f32 v[52:53], v[44:45], v[48:49], v[50:51] neg_lo:[0,0,1] neg_hi:[0,0,1]
	v_pk_fma_f32 v[44:45], v[44:45], v[48:49], v[50:51] op_sel_hi:[1,0,1]
	s_nop 0
	v_mov_b32_e32 v53, v45
	scratch_store_dwordx2 off, v[52:53], off offset:32
.LBB83_31:
	s_or_b64 exec, exec, s[0:1]
	; wave barrier
	scratch_load_dwordx2 v[44:45], off, off offset:40
	v_cmp_gt_u32_e32 vcc, 5, v0
	;; [unrolled: 46-line block ×15, first 2 shown]
	s_waitcnt vmcnt(0)
	ds_write_b64 v1, v[44:45]
	s_waitcnt lgkmcnt(0)
	; wave barrier
	s_and_saveexec_b64 s[0:1], vcc
	s_cbranch_execz .LBB83_87
; %bb.84:
	v_mov_b32_e32 v44, 0
	v_add_u32_e32 v43, -1, v0
	v_add_u32_e32 v47, 0xa0, v42
	v_mov_b32_e32 v48, v42
	s_mov_b64 s[4:5], 0
	v_mov_b32_e32 v45, v44
.LBB83_85:                              ; =>This Inner Loop Header: Depth=1
	scratch_load_dwordx2 v[50:51], v48, off
	ds_read_b64 v[52:53], v47
	v_add_u32_e32 v43, 1, v43
	v_cmp_lt_u32_e32 vcc, 16, v43
	v_add_u32_e32 v47, 8, v47
	v_add_u32_e32 v48, 8, v48
	s_or_b64 s[4:5], vcc, s[4:5]
	s_waitcnt vmcnt(0) lgkmcnt(0)
	v_pk_mul_f32 v[54:55], v[52:53], v[50:51] op_sel:[1,1] op_sel_hi:[0,1]
	v_pk_fma_f32 v[56:57], v[52:53], v[50:51], v[54:55] neg_lo:[0,0,1] neg_hi:[0,0,1]
	v_pk_fma_f32 v[50:51], v[52:53], v[50:51], v[54:55] op_sel_hi:[1,0,1]
	s_nop 0
	v_mov_b32_e32 v57, v51
	v_pk_add_f32 v[44:45], v[44:45], v[56:57]
	s_andn2_b64 exec, exec, s[4:5]
	s_cbranch_execnz .LBB83_85
; %bb.86:
	s_or_b64 exec, exec, s[4:5]
	v_mov_b32_e32 v43, 0
	ds_read_b64 v[48:49], v43 offset:144
	s_waitcnt lgkmcnt(0)
	v_pk_mul_f32 v[50:51], v[44:45], v[48:49] op_sel:[1,1] op_sel_hi:[0,1]
	v_pk_fma_f32 v[52:53], v[44:45], v[48:49], v[50:51] neg_lo:[0,0,1] neg_hi:[0,0,1]
	v_pk_fma_f32 v[44:45], v[44:45], v[48:49], v[50:51] op_sel_hi:[1,0,1]
	s_nop 0
	v_mov_b32_e32 v53, v45
	scratch_store_dwordx2 off, v[52:53], off offset:144
.LBB83_87:
	s_or_b64 exec, exec, s[0:1]
	; wave barrier
	scratch_load_dwordx2 v[44:45], off, off offset:152
	v_cmp_ne_u32_e32 vcc, 19, v0
	s_waitcnt vmcnt(0)
	ds_write_b64 v1, v[44:45]
	s_waitcnt lgkmcnt(0)
	; wave barrier
	s_and_saveexec_b64 s[0:1], vcc
	s_cbranch_execz .LBB83_91
; %bb.88:
	v_add_u32_e32 v1, 0xa0, v42
	v_mov_b32_e32 v44, v42
	v_mov_b32_e32 v42, 0
	s_mov_b64 s[4:5], 0
	v_mov_b32_e32 v43, v42
.LBB83_89:                              ; =>This Inner Loop Header: Depth=1
	scratch_load_dwordx2 v[48:49], v44, off
	ds_read_b64 v[50:51], v1
	v_add_u32_e32 v46, 1, v46
	v_cmp_lt_u32_e32 vcc, 17, v46
	v_add_u32_e32 v1, 8, v1
	v_add_u32_e32 v44, 8, v44
	s_or_b64 s[4:5], vcc, s[4:5]
	s_waitcnt vmcnt(0) lgkmcnt(0)
	v_pk_mul_f32 v[52:53], v[50:51], v[48:49] op_sel:[1,1] op_sel_hi:[0,1]
	v_pk_fma_f32 v[54:55], v[50:51], v[48:49], v[52:53] neg_lo:[0,0,1] neg_hi:[0,0,1]
	v_pk_fma_f32 v[48:49], v[50:51], v[48:49], v[52:53] op_sel_hi:[1,0,1]
	s_nop 0
	v_mov_b32_e32 v55, v49
	v_pk_add_f32 v[42:43], v[42:43], v[54:55]
	s_andn2_b64 exec, exec, s[4:5]
	s_cbranch_execnz .LBB83_89
; %bb.90:
	s_or_b64 exec, exec, s[4:5]
	v_mov_b32_e32 v1, 0
	ds_read_b64 v[44:45], v1 offset:152
	s_waitcnt lgkmcnt(0)
	v_pk_mul_f32 v[46:47], v[42:43], v[44:45] op_sel:[1,1] op_sel_hi:[0,1]
	v_pk_fma_f32 v[48:49], v[42:43], v[44:45], v[46:47] neg_lo:[0,0,1] neg_hi:[0,0,1]
	v_pk_fma_f32 v[42:43], v[42:43], v[44:45], v[46:47] op_sel_hi:[1,0,1]
	s_nop 0
	v_mov_b32_e32 v49, v43
	scratch_store_dwordx2 off, v[48:49], off offset:152
.LBB83_91:
	s_or_b64 exec, exec, s[0:1]
	s_mov_b64 s[4:5], -1
	; wave barrier
.LBB83_92:
	s_and_b64 vcc, exec, s[4:5]
	s_cbranch_vccz .LBB83_94
; %bb.93:
	s_lshl_b64 s[0:1], s[2:3], 2
	s_add_u32 s0, s6, s0
	s_addc_u32 s1, s7, s1
	v_mov_b32_e32 v1, 0
	global_load_dword v1, v1, s[0:1]
	s_waitcnt vmcnt(0)
	v_cmp_ne_u32_e32 vcc, 0, v1
	s_cbranch_vccz .LBB83_95
.LBB83_94:
	s_endpgm
.LBB83_95:
	v_mov_b32_e32 v1, 0xa0
	v_lshl_add_u32 v1, v0, 3, v1
	v_cmp_eq_u32_e32 vcc, 19, v0
	s_and_saveexec_b64 s[0:1], vcc
	s_cbranch_execz .LBB83_97
; %bb.96:
	scratch_load_dwordx2 v[42:43], off, off offset:144
	v_mov_b32_e32 v44, 0
	v_mov_b32_e32 v45, v44
	scratch_store_dwordx2 off, v[44:45], off offset:144
	s_waitcnt vmcnt(1)
	ds_write_b64 v1, v[42:43]
.LBB83_97:
	s_or_b64 exec, exec, s[0:1]
	s_waitcnt lgkmcnt(0)
	; wave barrier
	scratch_load_dwordx2 v[44:45], off, off offset:152
	scratch_load_dwordx2 v[46:47], off, off offset:144
	v_mov_b32_e32 v42, 0
	ds_read_b64 v[48:49], v42 offset:312
	v_cmp_lt_u32_e32 vcc, 17, v0
	s_waitcnt vmcnt(1) lgkmcnt(0)
	v_pk_mul_f32 v[50:51], v[48:49], v[44:45] op_sel:[1,1] op_sel_hi:[0,1]
	v_pk_fma_f32 v[52:53], v[48:49], v[44:45], v[50:51] neg_lo:[0,0,1] neg_hi:[0,0,1]
	v_pk_fma_f32 v[44:45], v[48:49], v[44:45], v[50:51] op_sel_hi:[1,0,1]
	s_nop 0
	v_mov_b32_e32 v53, v45
	v_pk_add_f32 v[44:45], v[52:53], 0 op_sel_hi:[1,0]
	s_waitcnt vmcnt(0)
	v_pk_add_f32 v[44:45], v[46:47], v[44:45] neg_lo:[0,1] neg_hi:[0,1]
	scratch_store_dwordx2 off, v[44:45], off offset:144
	s_and_saveexec_b64 s[0:1], vcc
	s_cbranch_execz .LBB83_99
; %bb.98:
	scratch_load_dwordx2 v[44:45], off, off offset:136
	v_mov_b32_e32 v43, v42
	scratch_store_dwordx2 off, v[42:43], off offset:136
	s_waitcnt vmcnt(1)
	ds_write_b64 v1, v[44:45]
.LBB83_99:
	s_or_b64 exec, exec, s[0:1]
	s_waitcnt lgkmcnt(0)
	; wave barrier
	scratch_load_dwordx4 v[44:47], off, off offset:144
	scratch_load_dwordx2 v[52:53], off, off offset:136
	ds_read_b128 v[48:51], v42 offset:304
	v_cmp_lt_u32_e32 vcc, 16, v0
	s_waitcnt vmcnt(1) lgkmcnt(0)
	v_pk_mul_f32 v[42:43], v[48:49], v[44:45] op_sel:[1,1] op_sel_hi:[0,1]
	v_mov_b32_e32 v54, v47
	v_pk_fma_f32 v[56:57], v[48:49], v[44:45], v[42:43] neg_lo:[0,0,1] neg_hi:[0,0,1]
	v_pk_fma_f32 v[42:43], v[48:49], v[44:45], v[42:43] op_sel_hi:[1,0,1]
	v_pk_mul_f32 v[44:45], v[50:51], v[54:55] op_sel:[1,0] op_sel_hi:[0,0]
	v_mov_b32_e32 v57, v43
	v_pk_fma_f32 v[42:43], v[50:51], v[46:47], v[44:45] neg_lo:[0,0,1] neg_hi:[0,0,1]
	v_pk_fma_f32 v[44:45], v[50:51], v[46:47], v[44:45] op_sel_hi:[1,0,1]
	v_pk_add_f32 v[46:47], v[56:57], 0 op_sel_hi:[1,0]
	v_mov_b32_e32 v43, v45
	v_pk_add_f32 v[42:43], v[46:47], v[42:43]
	s_waitcnt vmcnt(0)
	v_pk_add_f32 v[42:43], v[52:53], v[42:43] neg_lo:[0,1] neg_hi:[0,1]
	scratch_store_dwordx2 off, v[42:43], off offset:136
	s_and_saveexec_b64 s[0:1], vcc
	s_cbranch_execz .LBB83_101
; %bb.100:
	scratch_load_dwordx2 v[42:43], off, off offset:128
	v_mov_b32_e32 v44, 0
	v_mov_b32_e32 v45, v44
	scratch_store_dwordx2 off, v[44:45], off offset:128
	s_waitcnt vmcnt(1)
	ds_write_b64 v1, v[42:43]
.LBB83_101:
	s_or_b64 exec, exec, s[0:1]
	s_waitcnt lgkmcnt(0)
	; wave barrier
	scratch_load_dwordx4 v[44:47], off, off offset:136
	scratch_load_dwordx2 v[52:53], off, off offset:152
	scratch_load_dwordx2 v[54:55], off, off offset:128
	v_mov_b32_e32 v42, 0
	ds_read2_b64 v[48:51], v42 offset0:37 offset1:38
	ds_read_b64 v[56:57], v42 offset:312
	v_cmp_lt_u32_e32 vcc, 15, v0
	s_waitcnt vmcnt(2) lgkmcnt(1)
	v_pk_mul_f32 v[58:59], v[48:49], v[44:45] op_sel:[1,1] op_sel_hi:[0,1]
	v_mov_b32_e32 v60, v47
	v_pk_fma_f32 v[64:65], v[48:49], v[44:45], v[58:59] neg_lo:[0,0,1] neg_hi:[0,0,1]
	v_pk_fma_f32 v[44:45], v[48:49], v[44:45], v[58:59] op_sel_hi:[1,0,1]
	v_pk_mul_f32 v[48:49], v[50:51], v[60:61] op_sel:[1,0] op_sel_hi:[0,0]
	s_waitcnt vmcnt(1) lgkmcnt(0)
	v_pk_mul_f32 v[62:63], v[56:57], v[52:53] op_sel:[1,1] op_sel_hi:[0,1]
	v_mov_b32_e32 v65, v45
	v_pk_fma_f32 v[44:45], v[50:51], v[46:47], v[48:49] neg_lo:[0,0,1] neg_hi:[0,0,1]
	v_pk_fma_f32 v[46:47], v[50:51], v[46:47], v[48:49] op_sel_hi:[1,0,1]
	v_pk_fma_f32 v[58:59], v[56:57], v[52:53], v[62:63] neg_lo:[0,0,1] neg_hi:[0,0,1]
	v_pk_fma_f32 v[52:53], v[56:57], v[52:53], v[62:63] op_sel_hi:[1,0,1]
	v_pk_add_f32 v[48:49], v[64:65], 0 op_sel_hi:[1,0]
	v_mov_b32_e32 v45, v47
	v_mov_b32_e32 v59, v53
	v_pk_add_f32 v[44:45], v[48:49], v[44:45]
	s_nop 0
	v_pk_add_f32 v[44:45], v[44:45], v[58:59]
	s_waitcnt vmcnt(0)
	v_pk_add_f32 v[44:45], v[54:55], v[44:45] neg_lo:[0,1] neg_hi:[0,1]
	scratch_store_dwordx2 off, v[44:45], off offset:128
	s_and_saveexec_b64 s[0:1], vcc
	s_cbranch_execz .LBB83_103
; %bb.102:
	scratch_load_dwordx2 v[44:45], off, off offset:120
	v_mov_b32_e32 v43, v42
	scratch_store_dwordx2 off, v[42:43], off offset:120
	s_waitcnt vmcnt(1)
	ds_write_b64 v1, v[44:45]
.LBB83_103:
	s_or_b64 exec, exec, s[0:1]
	s_waitcnt lgkmcnt(0)
	; wave barrier
	scratch_load_dwordx4 v[44:47], off, off offset:128
	scratch_load_dwordx4 v[48:51], off, off offset:144
	scratch_load_dwordx2 v[60:61], off, off offset:120
	ds_read_b128 v[52:55], v42 offset:288
	ds_read_b128 v[56:59], v42 offset:304
	v_cmp_lt_u32_e32 vcc, 14, v0
	s_waitcnt vmcnt(2) lgkmcnt(1)
	v_pk_mul_f32 v[42:43], v[52:53], v[44:45] op_sel:[1,1] op_sel_hi:[0,1]
	v_mov_b32_e32 v62, v47
	s_waitcnt vmcnt(1) lgkmcnt(0)
	v_pk_mul_f32 v[64:65], v[56:57], v[48:49] op_sel:[1,1] op_sel_hi:[0,1]
	v_mov_b32_e32 v66, v51
	v_pk_fma_f32 v[68:69], v[52:53], v[44:45], v[42:43] neg_lo:[0,0,1] neg_hi:[0,0,1]
	v_pk_fma_f32 v[42:43], v[52:53], v[44:45], v[42:43] op_sel_hi:[1,0,1]
	v_pk_mul_f32 v[44:45], v[54:55], v[62:63] op_sel:[1,0] op_sel_hi:[0,0]
	v_pk_fma_f32 v[52:53], v[56:57], v[48:49], v[64:65] neg_lo:[0,0,1] neg_hi:[0,0,1]
	v_pk_fma_f32 v[48:49], v[56:57], v[48:49], v[64:65] op_sel_hi:[1,0,1]
	v_pk_mul_f32 v[56:57], v[58:59], v[66:67] op_sel:[1,0] op_sel_hi:[0,0]
	v_mov_b32_e32 v69, v43
	v_pk_fma_f32 v[42:43], v[54:55], v[46:47], v[44:45] neg_lo:[0,0,1] neg_hi:[0,0,1]
	v_pk_fma_f32 v[44:45], v[54:55], v[46:47], v[44:45] op_sel_hi:[1,0,1]
	v_mov_b32_e32 v53, v49
	v_pk_fma_f32 v[46:47], v[58:59], v[50:51], v[56:57] neg_lo:[0,0,1] neg_hi:[0,0,1]
	v_pk_fma_f32 v[48:49], v[58:59], v[50:51], v[56:57] op_sel_hi:[1,0,1]
	v_pk_add_f32 v[50:51], v[68:69], 0 op_sel_hi:[1,0]
	v_mov_b32_e32 v43, v45
	v_pk_add_f32 v[42:43], v[50:51], v[42:43]
	v_mov_b32_e32 v47, v49
	v_pk_add_f32 v[42:43], v[42:43], v[52:53]
	s_nop 0
	v_pk_add_f32 v[42:43], v[42:43], v[46:47]
	s_waitcnt vmcnt(0)
	v_pk_add_f32 v[42:43], v[60:61], v[42:43] neg_lo:[0,1] neg_hi:[0,1]
	scratch_store_dwordx2 off, v[42:43], off offset:120
	s_and_saveexec_b64 s[0:1], vcc
	s_cbranch_execz .LBB83_105
; %bb.104:
	scratch_load_dwordx2 v[42:43], off, off offset:112
	v_mov_b32_e32 v44, 0
	v_mov_b32_e32 v45, v44
	scratch_store_dwordx2 off, v[44:45], off offset:112
	s_waitcnt vmcnt(1)
	ds_write_b64 v1, v[42:43]
.LBB83_105:
	s_or_b64 exec, exec, s[0:1]
	s_waitcnt lgkmcnt(0)
	; wave barrier
	scratch_load_dwordx4 v[44:47], off, off offset:120
	scratch_load_dwordx4 v[48:51], off, off offset:136
	scratch_load_dwordx2 v[60:61], off, off offset:152
	scratch_load_dwordx2 v[62:63], off, off offset:112
	v_mov_b32_e32 v42, 0
	ds_read2_b64 v[52:55], v42 offset0:35 offset1:36
	ds_read2_b64 v[56:59], v42 offset0:37 offset1:38
	ds_read_b64 v[64:65], v42 offset:312
	v_cmp_lt_u32_e32 vcc, 13, v0
	s_waitcnt vmcnt(3) lgkmcnt(2)
	v_pk_mul_f32 v[66:67], v[52:53], v[44:45] op_sel:[1,1] op_sel_hi:[0,1]
	v_mov_b32_e32 v68, v47
	v_pk_fma_f32 v[76:77], v[52:53], v[44:45], v[66:67] neg_lo:[0,0,1] neg_hi:[0,0,1]
	v_pk_fma_f32 v[44:45], v[52:53], v[44:45], v[66:67] op_sel_hi:[1,0,1]
	v_pk_mul_f32 v[52:53], v[54:55], v[68:69] op_sel:[1,0] op_sel_hi:[0,0]
	s_waitcnt vmcnt(2) lgkmcnt(1)
	v_pk_mul_f32 v[70:71], v[56:57], v[48:49] op_sel:[1,1] op_sel_hi:[0,1]
	v_mov_b32_e32 v72, v51
	v_mov_b32_e32 v77, v45
	v_pk_fma_f32 v[44:45], v[54:55], v[46:47], v[52:53] neg_lo:[0,0,1] neg_hi:[0,0,1]
	v_pk_fma_f32 v[46:47], v[54:55], v[46:47], v[52:53] op_sel_hi:[1,0,1]
	v_pk_fma_f32 v[66:67], v[56:57], v[48:49], v[70:71] neg_lo:[0,0,1] neg_hi:[0,0,1]
	v_pk_fma_f32 v[48:49], v[56:57], v[48:49], v[70:71] op_sel_hi:[1,0,1]
	v_pk_mul_f32 v[56:57], v[58:59], v[72:73] op_sel:[1,0] op_sel_hi:[0,0]
	v_pk_add_f32 v[52:53], v[76:77], 0 op_sel_hi:[1,0]
	v_mov_b32_e32 v45, v47
	s_waitcnt vmcnt(1) lgkmcnt(0)
	v_pk_mul_f32 v[74:75], v[64:65], v[60:61] op_sel:[1,1] op_sel_hi:[0,1]
	v_mov_b32_e32 v67, v49
	v_pk_fma_f32 v[48:49], v[58:59], v[50:51], v[56:57] neg_lo:[0,0,1] neg_hi:[0,0,1]
	v_pk_fma_f32 v[50:51], v[58:59], v[50:51], v[56:57] op_sel_hi:[1,0,1]
	v_pk_add_f32 v[44:45], v[52:53], v[44:45]
	v_pk_fma_f32 v[68:69], v[64:65], v[60:61], v[74:75] neg_lo:[0,0,1] neg_hi:[0,0,1]
	v_pk_fma_f32 v[60:61], v[64:65], v[60:61], v[74:75] op_sel_hi:[1,0,1]
	v_mov_b32_e32 v49, v51
	v_pk_add_f32 v[44:45], v[44:45], v[66:67]
	v_mov_b32_e32 v69, v61
	v_pk_add_f32 v[44:45], v[44:45], v[48:49]
	s_nop 0
	v_pk_add_f32 v[44:45], v[44:45], v[68:69]
	s_waitcnt vmcnt(0)
	v_pk_add_f32 v[44:45], v[62:63], v[44:45] neg_lo:[0,1] neg_hi:[0,1]
	scratch_store_dwordx2 off, v[44:45], off offset:112
	s_and_saveexec_b64 s[0:1], vcc
	s_cbranch_execz .LBB83_107
; %bb.106:
	scratch_load_dwordx2 v[44:45], off, off offset:104
	v_mov_b32_e32 v43, v42
	scratch_store_dwordx2 off, v[42:43], off offset:104
	s_waitcnt vmcnt(1)
	ds_write_b64 v1, v[44:45]
.LBB83_107:
	s_or_b64 exec, exec, s[0:1]
	s_waitcnt lgkmcnt(0)
	; wave barrier
	scratch_load_dwordx4 v[44:47], off, off offset:112
	scratch_load_dwordx4 v[48:51], off, off offset:128
	;; [unrolled: 1-line block ×3, first 2 shown]
	scratch_load_dwordx2 v[68:69], off, off offset:104
	ds_read_b128 v[56:59], v42 offset:272
	ds_read_b128 v[60:63], v42 offset:288
	;; [unrolled: 1-line block ×3, first 2 shown]
	v_cmp_lt_u32_e32 vcc, 12, v0
	s_waitcnt vmcnt(3) lgkmcnt(2)
	v_pk_mul_f32 v[42:43], v[56:57], v[44:45] op_sel:[1,1] op_sel_hi:[0,1]
	v_mov_b32_e32 v70, v47
	s_waitcnt vmcnt(2) lgkmcnt(1)
	v_pk_mul_f32 v[72:73], v[60:61], v[48:49] op_sel:[1,1] op_sel_hi:[0,1]
	v_mov_b32_e32 v74, v51
	;; [unrolled: 3-line block ×3, first 2 shown]
	v_pk_fma_f32 v[80:81], v[56:57], v[44:45], v[42:43] neg_lo:[0,0,1] neg_hi:[0,0,1]
	v_pk_fma_f32 v[42:43], v[56:57], v[44:45], v[42:43] op_sel_hi:[1,0,1]
	v_pk_mul_f32 v[44:45], v[58:59], v[70:71] op_sel:[1,0] op_sel_hi:[0,0]
	v_pk_fma_f32 v[56:57], v[60:61], v[48:49], v[72:73] neg_lo:[0,0,1] neg_hi:[0,0,1]
	v_pk_fma_f32 v[48:49], v[60:61], v[48:49], v[72:73] op_sel_hi:[1,0,1]
	v_pk_mul_f32 v[60:61], v[62:63], v[74:75] op_sel:[1,0] op_sel_hi:[0,0]
	;; [unrolled: 3-line block ×3, first 2 shown]
	v_mov_b32_e32 v81, v43
	v_pk_fma_f32 v[42:43], v[58:59], v[46:47], v[44:45] neg_lo:[0,0,1] neg_hi:[0,0,1]
	v_pk_fma_f32 v[44:45], v[58:59], v[46:47], v[44:45] op_sel_hi:[1,0,1]
	v_mov_b32_e32 v57, v49
	v_pk_fma_f32 v[46:47], v[62:63], v[50:51], v[60:61] neg_lo:[0,0,1] neg_hi:[0,0,1]
	v_pk_fma_f32 v[48:49], v[62:63], v[50:51], v[60:61] op_sel_hi:[1,0,1]
	;; [unrolled: 3-line block ×3, first 2 shown]
	v_pk_add_f32 v[54:55], v[80:81], 0 op_sel_hi:[1,0]
	v_mov_b32_e32 v43, v45
	v_pk_add_f32 v[42:43], v[54:55], v[42:43]
	v_mov_b32_e32 v47, v49
	v_pk_add_f32 v[42:43], v[42:43], v[56:57]
	;; [unrolled: 2-line block ×3, first 2 shown]
	s_nop 0
	v_pk_add_f32 v[42:43], v[42:43], v[70:71]
	s_nop 0
	v_pk_add_f32 v[42:43], v[42:43], v[50:51]
	s_waitcnt vmcnt(0)
	v_pk_add_f32 v[42:43], v[68:69], v[42:43] neg_lo:[0,1] neg_hi:[0,1]
	scratch_store_dwordx2 off, v[42:43], off offset:104
	s_and_saveexec_b64 s[0:1], vcc
	s_cbranch_execz .LBB83_109
; %bb.108:
	scratch_load_dwordx2 v[42:43], off, off offset:96
	v_mov_b32_e32 v44, 0
	v_mov_b32_e32 v45, v44
	scratch_store_dwordx2 off, v[44:45], off offset:96
	s_waitcnt vmcnt(1)
	ds_write_b64 v1, v[42:43]
.LBB83_109:
	s_or_b64 exec, exec, s[0:1]
	s_waitcnt lgkmcnt(0)
	; wave barrier
	scratch_load_dwordx4 v[44:47], off, off offset:104
	scratch_load_dwordx4 v[48:51], off, off offset:120
	;; [unrolled: 1-line block ×3, first 2 shown]
	scratch_load_dwordx2 v[68:69], off, off offset:152
	scratch_load_dwordx2 v[70:71], off, off offset:96
	v_mov_b32_e32 v42, 0
	ds_read2_b64 v[56:59], v42 offset0:33 offset1:34
	ds_read2_b64 v[60:63], v42 offset0:35 offset1:36
	;; [unrolled: 1-line block ×3, first 2 shown]
	ds_read_b64 v[72:73], v42 offset:312
	v_cmp_lt_u32_e32 vcc, 11, v0
	s_waitcnt vmcnt(4) lgkmcnt(3)
	v_pk_mul_f32 v[74:75], v[56:57], v[44:45] op_sel:[1,1] op_sel_hi:[0,1]
	v_mov_b32_e32 v76, v47
	v_pk_fma_f32 v[88:89], v[56:57], v[44:45], v[74:75] neg_lo:[0,0,1] neg_hi:[0,0,1]
	v_pk_fma_f32 v[44:45], v[56:57], v[44:45], v[74:75] op_sel_hi:[1,0,1]
	v_pk_mul_f32 v[56:57], v[58:59], v[76:77] op_sel:[1,0] op_sel_hi:[0,0]
	s_waitcnt vmcnt(3) lgkmcnt(2)
	v_pk_mul_f32 v[78:79], v[60:61], v[48:49] op_sel:[1,1] op_sel_hi:[0,1]
	v_mov_b32_e32 v80, v51
	v_mov_b32_e32 v89, v45
	v_pk_fma_f32 v[44:45], v[58:59], v[46:47], v[56:57] neg_lo:[0,0,1] neg_hi:[0,0,1]
	v_pk_fma_f32 v[46:47], v[58:59], v[46:47], v[56:57] op_sel_hi:[1,0,1]
	v_pk_fma_f32 v[74:75], v[60:61], v[48:49], v[78:79] neg_lo:[0,0,1] neg_hi:[0,0,1]
	v_pk_fma_f32 v[48:49], v[60:61], v[48:49], v[78:79] op_sel_hi:[1,0,1]
	v_pk_mul_f32 v[60:61], v[62:63], v[80:81] op_sel:[1,0] op_sel_hi:[0,0]
	v_pk_add_f32 v[56:57], v[88:89], 0 op_sel_hi:[1,0]
	v_mov_b32_e32 v45, v47
	s_waitcnt vmcnt(2) lgkmcnt(1)
	v_pk_mul_f32 v[82:83], v[64:65], v[52:53] op_sel:[1,1] op_sel_hi:[0,1]
	v_mov_b32_e32 v84, v55
	v_mov_b32_e32 v75, v49
	v_pk_fma_f32 v[48:49], v[62:63], v[50:51], v[60:61] neg_lo:[0,0,1] neg_hi:[0,0,1]
	v_pk_fma_f32 v[50:51], v[62:63], v[50:51], v[60:61] op_sel_hi:[1,0,1]
	v_pk_add_f32 v[44:45], v[56:57], v[44:45]
	v_pk_fma_f32 v[76:77], v[64:65], v[52:53], v[82:83] neg_lo:[0,0,1] neg_hi:[0,0,1]
	v_pk_fma_f32 v[52:53], v[64:65], v[52:53], v[82:83] op_sel_hi:[1,0,1]
	v_pk_mul_f32 v[64:65], v[66:67], v[84:85] op_sel:[1,0] op_sel_hi:[0,0]
	v_mov_b32_e32 v49, v51
	v_pk_add_f32 v[44:45], v[44:45], v[74:75]
	s_waitcnt vmcnt(1) lgkmcnt(0)
	v_pk_mul_f32 v[86:87], v[72:73], v[68:69] op_sel:[1,1] op_sel_hi:[0,1]
	v_mov_b32_e32 v77, v53
	v_pk_fma_f32 v[52:53], v[66:67], v[54:55], v[64:65] neg_lo:[0,0,1] neg_hi:[0,0,1]
	v_pk_fma_f32 v[54:55], v[66:67], v[54:55], v[64:65] op_sel_hi:[1,0,1]
	v_pk_add_f32 v[44:45], v[44:45], v[48:49]
	v_pk_fma_f32 v[78:79], v[72:73], v[68:69], v[86:87] neg_lo:[0,0,1] neg_hi:[0,0,1]
	v_pk_fma_f32 v[68:69], v[72:73], v[68:69], v[86:87] op_sel_hi:[1,0,1]
	v_mov_b32_e32 v53, v55
	v_pk_add_f32 v[44:45], v[44:45], v[76:77]
	v_mov_b32_e32 v79, v69
	v_pk_add_f32 v[44:45], v[44:45], v[52:53]
	s_nop 0
	v_pk_add_f32 v[44:45], v[44:45], v[78:79]
	s_waitcnt vmcnt(0)
	v_pk_add_f32 v[44:45], v[70:71], v[44:45] neg_lo:[0,1] neg_hi:[0,1]
	scratch_store_dwordx2 off, v[44:45], off offset:96
	s_and_saveexec_b64 s[0:1], vcc
	s_cbranch_execz .LBB83_111
; %bb.110:
	scratch_load_dwordx2 v[44:45], off, off offset:88
	v_mov_b32_e32 v43, v42
	scratch_store_dwordx2 off, v[42:43], off offset:88
	s_waitcnt vmcnt(1)
	ds_write_b64 v1, v[44:45]
.LBB83_111:
	s_or_b64 exec, exec, s[0:1]
	s_waitcnt lgkmcnt(0)
	; wave barrier
	scratch_load_dwordx4 v[44:47], off, off offset:96
	scratch_load_dwordx4 v[48:51], off, off offset:112
	;; [unrolled: 1-line block ×4, first 2 shown]
	scratch_load_dwordx2 v[76:77], off, off offset:88
	ds_read_b128 v[60:63], v42 offset:256
	ds_read_b128 v[64:67], v42 offset:272
	;; [unrolled: 1-line block ×4, first 2 shown]
	v_cmp_lt_u32_e32 vcc, 10, v0
	s_waitcnt vmcnt(4) lgkmcnt(3)
	v_pk_mul_f32 v[42:43], v[60:61], v[44:45] op_sel:[1,1] op_sel_hi:[0,1]
	v_mov_b32_e32 v78, v47
	s_waitcnt vmcnt(3) lgkmcnt(2)
	v_pk_mul_f32 v[80:81], v[64:65], v[48:49] op_sel:[1,1] op_sel_hi:[0,1]
	v_mov_b32_e32 v82, v51
	;; [unrolled: 3-line block ×4, first 2 shown]
	v_pk_fma_f32 v[92:93], v[60:61], v[44:45], v[42:43] neg_lo:[0,0,1] neg_hi:[0,0,1]
	v_pk_fma_f32 v[42:43], v[60:61], v[44:45], v[42:43] op_sel_hi:[1,0,1]
	v_pk_mul_f32 v[44:45], v[62:63], v[78:79] op_sel:[1,0] op_sel_hi:[0,0]
	v_pk_fma_f32 v[60:61], v[64:65], v[48:49], v[80:81] neg_lo:[0,0,1] neg_hi:[0,0,1]
	v_pk_fma_f32 v[48:49], v[64:65], v[48:49], v[80:81] op_sel_hi:[1,0,1]
	v_pk_mul_f32 v[64:65], v[66:67], v[82:83] op_sel:[1,0] op_sel_hi:[0,0]
	;; [unrolled: 3-line block ×4, first 2 shown]
	v_mov_b32_e32 v93, v43
	v_pk_fma_f32 v[42:43], v[62:63], v[46:47], v[44:45] neg_lo:[0,0,1] neg_hi:[0,0,1]
	v_pk_fma_f32 v[44:45], v[62:63], v[46:47], v[44:45] op_sel_hi:[1,0,1]
	v_mov_b32_e32 v61, v49
	v_pk_fma_f32 v[46:47], v[66:67], v[50:51], v[64:65] neg_lo:[0,0,1] neg_hi:[0,0,1]
	v_pk_fma_f32 v[48:49], v[66:67], v[50:51], v[64:65] op_sel_hi:[1,0,1]
	;; [unrolled: 3-line block ×4, first 2 shown]
	v_pk_add_f32 v[58:59], v[92:93], 0 op_sel_hi:[1,0]
	v_mov_b32_e32 v43, v45
	v_pk_add_f32 v[42:43], v[58:59], v[42:43]
	v_mov_b32_e32 v47, v49
	v_pk_add_f32 v[42:43], v[42:43], v[60:61]
	;; [unrolled: 2-line block ×4, first 2 shown]
	s_nop 0
	v_pk_add_f32 v[42:43], v[42:43], v[50:51]
	s_nop 0
	v_pk_add_f32 v[42:43], v[42:43], v[80:81]
	;; [unrolled: 2-line block ×3, first 2 shown]
	s_waitcnt vmcnt(0)
	v_pk_add_f32 v[42:43], v[76:77], v[42:43] neg_lo:[0,1] neg_hi:[0,1]
	scratch_store_dwordx2 off, v[42:43], off offset:88
	s_and_saveexec_b64 s[0:1], vcc
	s_cbranch_execz .LBB83_113
; %bb.112:
	scratch_load_dwordx2 v[42:43], off, off offset:80
	v_mov_b32_e32 v44, 0
	v_mov_b32_e32 v45, v44
	scratch_store_dwordx2 off, v[44:45], off offset:80
	s_waitcnt vmcnt(1)
	ds_write_b64 v1, v[42:43]
.LBB83_113:
	s_or_b64 exec, exec, s[0:1]
	s_waitcnt lgkmcnt(0)
	; wave barrier
	scratch_load_dwordx4 v[44:47], off, off offset:88
	scratch_load_dwordx4 v[48:51], off, off offset:104
	;; [unrolled: 1-line block ×4, first 2 shown]
	scratch_load_dwordx2 v[76:77], off, off offset:152
	scratch_load_dwordx2 v[78:79], off, off offset:80
	v_mov_b32_e32 v42, 0
	ds_read2_b64 v[60:63], v42 offset0:31 offset1:32
	ds_read2_b64 v[64:67], v42 offset0:33 offset1:34
	;; [unrolled: 1-line block ×4, first 2 shown]
	ds_read_b64 v[80:81], v42 offset:312
	v_cmp_lt_u32_e32 vcc, 9, v0
	s_waitcnt vmcnt(5) lgkmcnt(4)
	v_mul_f32_e32 v83, v60, v45
	v_mul_f32_e32 v43, v61, v45
	v_mov_b32_e32 v84, v47
	s_waitcnt vmcnt(4) lgkmcnt(3)
	v_pk_mul_f32 v[86:87], v[64:65], v[48:49] op_sel:[1,1] op_sel_hi:[0,1]
	v_mov_b32_e32 v88, v51
	s_waitcnt vmcnt(1) lgkmcnt(0)
	v_pk_mul_f32 v[98:99], v[80:81], v[76:77] op_sel:[1,1] op_sel_hi:[0,1]
	v_fmac_f32_e32 v83, v61, v44
	v_fma_f32 v82, v60, v44, -v43
	v_pk_mul_f32 v[44:45], v[62:63], v[84:85] op_sel:[1,0] op_sel_hi:[0,0]
	v_pk_fma_f32 v[60:61], v[64:65], v[48:49], v[86:87] neg_lo:[0,0,1] neg_hi:[0,0,1]
	v_pk_fma_f32 v[48:49], v[64:65], v[48:49], v[86:87] op_sel_hi:[1,0,1]
	v_pk_mul_f32 v[64:65], v[66:67], v[88:89] op_sel:[1,0] op_sel_hi:[0,0]
	v_pk_fma_f32 v[88:89], v[80:81], v[76:77], v[98:99] neg_lo:[0,0,1] neg_hi:[0,0,1]
	v_pk_fma_f32 v[76:77], v[80:81], v[76:77], v[98:99] op_sel_hi:[1,0,1]
	v_pk_add_f32 v[80:81], v[82:83], 0 op_sel_hi:[1,0]
	v_pk_fma_f32 v[82:83], v[62:63], v[46:47], v[44:45] neg_lo:[0,0,1] neg_hi:[0,0,1]
	v_pk_fma_f32 v[44:45], v[62:63], v[46:47], v[44:45] op_sel_hi:[1,0,1]
	v_pk_mul_f32 v[90:91], v[68:69], v[52:53] op_sel:[1,1] op_sel_hi:[0,1]
	v_mov_b32_e32 v83, v45
	v_mov_b32_e32 v92, v55
	;; [unrolled: 1-line block ×3, first 2 shown]
	v_pk_fma_f32 v[46:47], v[66:67], v[50:51], v[64:65] neg_lo:[0,0,1] neg_hi:[0,0,1]
	v_pk_fma_f32 v[48:49], v[66:67], v[50:51], v[64:65] op_sel_hi:[1,0,1]
	v_pk_add_f32 v[44:45], v[80:81], v[82:83]
	v_pk_fma_f32 v[84:85], v[68:69], v[52:53], v[90:91] neg_lo:[0,0,1] neg_hi:[0,0,1]
	v_pk_fma_f32 v[52:53], v[68:69], v[52:53], v[90:91] op_sel_hi:[1,0,1]
	v_pk_mul_f32 v[68:69], v[70:71], v[92:93] op_sel:[1,0] op_sel_hi:[0,0]
	v_mov_b32_e32 v47, v49
	v_pk_add_f32 v[44:45], v[44:45], v[60:61]
	v_pk_mul_f32 v[94:95], v[72:73], v[56:57] op_sel:[1,1] op_sel_hi:[0,1]
	v_mov_b32_e32 v96, v59
	v_mov_b32_e32 v85, v53
	v_pk_fma_f32 v[50:51], v[70:71], v[54:55], v[68:69] neg_lo:[0,0,1] neg_hi:[0,0,1]
	v_pk_fma_f32 v[52:53], v[70:71], v[54:55], v[68:69] op_sel_hi:[1,0,1]
	v_pk_add_f32 v[44:45], v[44:45], v[46:47]
	v_pk_fma_f32 v[86:87], v[72:73], v[56:57], v[94:95] neg_lo:[0,0,1] neg_hi:[0,0,1]
	v_pk_fma_f32 v[56:57], v[72:73], v[56:57], v[94:95] op_sel_hi:[1,0,1]
	v_pk_mul_f32 v[72:73], v[74:75], v[96:97] op_sel:[1,0] op_sel_hi:[0,0]
	v_mov_b32_e32 v51, v53
	v_pk_add_f32 v[44:45], v[44:45], v[84:85]
	v_mov_b32_e32 v87, v57
	v_pk_fma_f32 v[54:55], v[74:75], v[58:59], v[72:73] neg_lo:[0,0,1] neg_hi:[0,0,1]
	v_pk_fma_f32 v[56:57], v[74:75], v[58:59], v[72:73] op_sel_hi:[1,0,1]
	v_pk_add_f32 v[44:45], v[44:45], v[50:51]
	v_mov_b32_e32 v55, v57
	v_pk_add_f32 v[44:45], v[44:45], v[86:87]
	v_mov_b32_e32 v89, v77
	v_pk_add_f32 v[44:45], v[44:45], v[54:55]
	s_nop 0
	v_pk_add_f32 v[44:45], v[44:45], v[88:89]
	s_waitcnt vmcnt(0)
	v_pk_add_f32 v[44:45], v[78:79], v[44:45] neg_lo:[0,1] neg_hi:[0,1]
	scratch_store_dwordx2 off, v[44:45], off offset:80
	s_and_saveexec_b64 s[0:1], vcc
	s_cbranch_execz .LBB83_115
; %bb.114:
	scratch_load_dwordx2 v[44:45], off, off offset:72
	v_mov_b32_e32 v43, v42
	scratch_store_dwordx2 off, v[42:43], off offset:72
	s_waitcnt vmcnt(1)
	ds_write_b64 v1, v[44:45]
.LBB83_115:
	s_or_b64 exec, exec, s[0:1]
	s_waitcnt lgkmcnt(0)
	; wave barrier
	scratch_load_dwordx4 v[44:47], off, off offset:80
	scratch_load_dwordx4 v[48:51], off, off offset:96
	;; [unrolled: 1-line block ×5, first 2 shown]
	scratch_load_dwordx2 v[84:85], off, off offset:72
	ds_read_b128 v[64:67], v42 offset:240
	ds_read_b128 v[68:71], v42 offset:256
	;; [unrolled: 1-line block ×5, first 2 shown]
	v_cmp_lt_u32_e32 vcc, 8, v0
	s_waitcnt vmcnt(5) lgkmcnt(4)
	v_mul_f32_e32 v43, v64, v45
	v_mul_f32_e32 v42, v65, v45
	v_mul_f32_e32 v87, v66, v47
	v_mul_f32_e32 v45, v67, v47
	s_waitcnt vmcnt(4) lgkmcnt(3)
	v_pk_mul_f32 v[88:89], v[68:69], v[48:49] op_sel:[1,1] op_sel_hi:[0,1]
	v_mov_b32_e32 v90, v51
	v_fmac_f32_e32 v43, v65, v44
	v_fma_f32 v42, v64, v44, -v42
	v_fmac_f32_e32 v87, v67, v46
	v_fma_f32 v86, v66, v46, -v45
	v_pk_fma_f32 v[44:45], v[68:69], v[48:49], v[88:89] neg_lo:[0,0,1] neg_hi:[0,0,1]
	v_pk_fma_f32 v[46:47], v[68:69], v[48:49], v[88:89] op_sel_hi:[1,0,1]
	v_pk_mul_f32 v[48:49], v[70:71], v[90:91] op_sel:[1,0] op_sel_hi:[0,0]
	v_pk_add_f32 v[42:43], v[42:43], 0 op_sel_hi:[1,0]
	s_waitcnt vmcnt(3) lgkmcnt(2)
	v_pk_mul_f32 v[92:93], v[72:73], v[52:53] op_sel:[1,1] op_sel_hi:[0,1]
	v_mov_b32_e32 v94, v55
	v_mov_b32_e32 v45, v47
	v_pk_fma_f32 v[46:47], v[70:71], v[50:51], v[48:49] neg_lo:[0,0,1] neg_hi:[0,0,1]
	v_pk_fma_f32 v[48:49], v[70:71], v[50:51], v[48:49] op_sel_hi:[1,0,1]
	v_pk_add_f32 v[42:43], v[42:43], v[86:87]
	v_pk_fma_f32 v[64:65], v[72:73], v[52:53], v[92:93] neg_lo:[0,0,1] neg_hi:[0,0,1]
	v_pk_fma_f32 v[52:53], v[72:73], v[52:53], v[92:93] op_sel_hi:[1,0,1]
	v_pk_mul_f32 v[66:67], v[74:75], v[94:95] op_sel:[1,0] op_sel_hi:[0,0]
	v_mov_b32_e32 v47, v49
	v_pk_add_f32 v[42:43], v[42:43], v[44:45]
	s_waitcnt vmcnt(2) lgkmcnt(1)
	v_pk_mul_f32 v[96:97], v[76:77], v[56:57] op_sel:[1,1] op_sel_hi:[0,1]
	v_mov_b32_e32 v98, v59
	v_mov_b32_e32 v65, v53
	v_pk_fma_f32 v[50:51], v[74:75], v[54:55], v[66:67] neg_lo:[0,0,1] neg_hi:[0,0,1]
	v_pk_fma_f32 v[52:53], v[74:75], v[54:55], v[66:67] op_sel_hi:[1,0,1]
	v_pk_add_f32 v[42:43], v[42:43], v[46:47]
	v_pk_fma_f32 v[68:69], v[76:77], v[56:57], v[96:97] neg_lo:[0,0,1] neg_hi:[0,0,1]
	v_pk_fma_f32 v[56:57], v[76:77], v[56:57], v[96:97] op_sel_hi:[1,0,1]
	v_pk_mul_f32 v[72:73], v[78:79], v[98:99] op_sel:[1,0] op_sel_hi:[0,0]
	v_mov_b32_e32 v51, v53
	v_pk_add_f32 v[42:43], v[42:43], v[64:65]
	;; [unrolled: 12-line block ×3, first 2 shown]
	v_mov_b32_e32 v77, v61
	v_pk_fma_f32 v[58:59], v[82:83], v[62:63], v[80:81] neg_lo:[0,0,1] neg_hi:[0,0,1]
	v_pk_fma_f32 v[60:61], v[82:83], v[62:63], v[80:81] op_sel_hi:[1,0,1]
	v_pk_add_f32 v[42:43], v[42:43], v[54:55]
	v_mov_b32_e32 v59, v61
	v_pk_add_f32 v[42:43], v[42:43], v[76:77]
	s_nop 0
	v_pk_add_f32 v[42:43], v[42:43], v[58:59]
	s_waitcnt vmcnt(0)
	v_pk_add_f32 v[42:43], v[84:85], v[42:43] neg_lo:[0,1] neg_hi:[0,1]
	scratch_store_dwordx2 off, v[42:43], off offset:72
	s_and_saveexec_b64 s[0:1], vcc
	s_cbranch_execz .LBB83_117
; %bb.116:
	scratch_load_dwordx2 v[42:43], off, off offset:64
	v_mov_b32_e32 v44, 0
	v_mov_b32_e32 v45, v44
	scratch_store_dwordx2 off, v[44:45], off offset:64
	s_waitcnt vmcnt(1)
	ds_write_b64 v1, v[42:43]
.LBB83_117:
	s_or_b64 exec, exec, s[0:1]
	s_waitcnt lgkmcnt(0)
	; wave barrier
	scratch_load_dwordx4 v[44:47], off, off offset:72
	scratch_load_dwordx4 v[48:51], off, off offset:88
	;; [unrolled: 1-line block ×5, first 2 shown]
	scratch_load_dwordx2 v[84:85], off, off offset:152
	scratch_load_dwordx2 v[86:87], off, off offset:64
	v_mov_b32_e32 v42, 0
	ds_read2_b64 v[64:67], v42 offset0:29 offset1:30
	ds_read2_b64 v[68:71], v42 offset0:31 offset1:32
	;; [unrolled: 1-line block ×5, first 2 shown]
	ds_read_b64 v[88:89], v42 offset:312
	v_cmp_lt_u32_e32 vcc, 7, v0
	s_waitcnt vmcnt(6) lgkmcnt(5)
	v_mul_f32_e32 v43, v64, v45
	v_mul_f32_e32 v45, v65, v45
	;; [unrolled: 1-line block ×3, first 2 shown]
	s_waitcnt vmcnt(5) lgkmcnt(4)
	v_mul_f32_e32 v93, v68, v49
	v_mul_f32_e32 v47, v67, v47
	;; [unrolled: 1-line block ×3, first 2 shown]
	v_mov_b32_e32 v94, v51
	s_waitcnt vmcnt(3) lgkmcnt(2)
	v_pk_mul_f32 v[100:101], v[76:77], v[56:57] op_sel:[1,1] op_sel_hi:[0,1]
	s_waitcnt vmcnt(2) lgkmcnt(1)
	v_pk_mul_f32 v[104:105], v[80:81], v[60:61] op_sel:[1,1] op_sel_hi:[0,1]
	;; [unrolled: 2-line block ×3, first 2 shown]
	v_fmac_f32_e32 v43, v65, v44
	v_fma_f32 v95, v64, v44, -v45
	v_fmac_f32_e32 v91, v67, v46
	v_fmac_f32_e32 v93, v69, v48
	v_fma_f32 v90, v66, v46, -v47
	v_fma_f32 v92, v68, v48, -v49
	v_pk_mul_f32 v[44:45], v[70:71], v[94:95] op_sel:[1,0] op_sel_hi:[0,0]
	v_pk_fma_f32 v[64:65], v[76:77], v[56:57], v[100:101] neg_lo:[0,0,1] neg_hi:[0,0,1]
	v_pk_fma_f32 v[56:57], v[76:77], v[56:57], v[100:101] op_sel_hi:[1,0,1]
	v_pk_fma_f32 v[68:69], v[80:81], v[60:61], v[104:105] neg_lo:[0,0,1] neg_hi:[0,0,1]
	v_pk_fma_f32 v[60:61], v[80:81], v[60:61], v[104:105] op_sel_hi:[1,0,1]
	;; [unrolled: 2-line block ×3, first 2 shown]
	v_add_f32_e32 v85, 0, v43
	v_add_f32_e32 v84, 0, v95
	v_pk_mul_f32 v[96:97], v[72:73], v[52:53] op_sel:[1,1] op_sel_hi:[0,1]
	v_mov_b32_e32 v98, v55
	v_pk_fma_f32 v[88:89], v[70:71], v[50:51], v[44:45] neg_lo:[0,0,1] neg_hi:[0,0,1]
	v_pk_fma_f32 v[44:45], v[70:71], v[50:51], v[44:45] op_sel_hi:[1,0,1]
	v_mov_b32_e32 v69, v61
	v_pk_add_f32 v[60:61], v[84:85], v[90:91]
	v_pk_fma_f32 v[46:47], v[72:73], v[52:53], v[96:97] neg_lo:[0,0,1] neg_hi:[0,0,1]
	v_pk_fma_f32 v[48:49], v[72:73], v[52:53], v[96:97] op_sel_hi:[1,0,1]
	v_pk_mul_f32 v[52:53], v[74:75], v[98:99] op_sel:[1,0] op_sel_hi:[0,0]
	v_mov_b32_e32 v89, v45
	v_pk_add_f32 v[44:45], v[60:61], v[92:93]
	v_mov_b32_e32 v102, v59
	v_mov_b32_e32 v47, v49
	v_pk_fma_f32 v[48:49], v[74:75], v[54:55], v[52:53] neg_lo:[0,0,1] neg_hi:[0,0,1]
	v_pk_fma_f32 v[50:51], v[74:75], v[54:55], v[52:53] op_sel_hi:[1,0,1]
	v_pk_add_f32 v[44:45], v[44:45], v[88:89]
	v_pk_mul_f32 v[66:67], v[78:79], v[102:103] op_sel:[1,0] op_sel_hi:[0,0]
	v_mov_b32_e32 v49, v51
	v_pk_add_f32 v[44:45], v[44:45], v[46:47]
	v_mov_b32_e32 v106, v63
	v_mov_b32_e32 v65, v57
	v_pk_fma_f32 v[52:53], v[78:79], v[58:59], v[66:67] neg_lo:[0,0,1] neg_hi:[0,0,1]
	v_pk_fma_f32 v[54:55], v[78:79], v[58:59], v[66:67] op_sel_hi:[1,0,1]
	v_pk_add_f32 v[44:45], v[44:45], v[48:49]
	v_pk_mul_f32 v[72:73], v[82:83], v[106:107] op_sel:[1,0] op_sel_hi:[0,0]
	v_mov_b32_e32 v53, v55
	v_pk_add_f32 v[44:45], v[44:45], v[64:65]
	v_pk_fma_f32 v[56:57], v[82:83], v[62:63], v[72:73] neg_lo:[0,0,1] neg_hi:[0,0,1]
	v_pk_fma_f32 v[58:59], v[82:83], v[62:63], v[72:73] op_sel_hi:[1,0,1]
	v_pk_add_f32 v[44:45], v[44:45], v[52:53]
	v_mov_b32_e32 v57, v59
	v_pk_add_f32 v[44:45], v[44:45], v[68:69]
	v_mov_b32_e32 v77, v81
	v_pk_add_f32 v[44:45], v[44:45], v[56:57]
	s_nop 0
	v_pk_add_f32 v[44:45], v[44:45], v[76:77]
	s_waitcnt vmcnt(0)
	v_pk_add_f32 v[44:45], v[86:87], v[44:45] neg_lo:[0,1] neg_hi:[0,1]
	scratch_store_dwordx2 off, v[44:45], off offset:64
	s_and_saveexec_b64 s[0:1], vcc
	s_cbranch_execz .LBB83_119
; %bb.118:
	scratch_load_dwordx2 v[44:45], off, off offset:56
	v_mov_b32_e32 v43, v42
	scratch_store_dwordx2 off, v[42:43], off offset:56
	s_waitcnt vmcnt(1)
	ds_write_b64 v1, v[44:45]
.LBB83_119:
	s_or_b64 exec, exec, s[0:1]
	s_waitcnt lgkmcnt(0)
	; wave barrier
	scratch_load_dwordx4 v[44:47], off, off offset:64
	scratch_load_dwordx4 v[48:51], off, off offset:80
	;; [unrolled: 1-line block ×6, first 2 shown]
	scratch_load_dwordx2 v[92:93], off, off offset:56
	ds_read_b128 v[68:71], v42 offset:224
	ds_read_b128 v[72:75], v42 offset:240
	;; [unrolled: 1-line block ×6, first 2 shown]
	v_cmp_lt_u32_e32 vcc, 6, v0
	s_waitcnt vmcnt(6) lgkmcnt(5)
	v_mul_f32_e32 v99, v68, v45
	v_mul_f32_e32 v103, v70, v47
	s_waitcnt vmcnt(5) lgkmcnt(4)
	v_mul_f32_e32 v43, v72, v49
	v_mul_f32_e32 v42, v69, v45
	;; [unrolled: 1-line block ×4, first 2 shown]
	s_waitcnt vmcnt(1) lgkmcnt(0)
	v_pk_mul_f32 v[108:109], v[88:89], v[64:65] op_sel:[1,1] op_sel_hi:[0,1]
	v_pk_mul_f32 v[96:97], v[76:77], v[52:53] op_sel:[1,1] op_sel_hi:[0,1]
	v_fmac_f32_e32 v99, v69, v44
	v_fmac_f32_e32 v43, v73, v48
	v_fma_f32 v107, v68, v44, -v42
	v_fma_f32 v42, v72, v48, -v47
	v_pk_fma_f32 v[72:73], v[88:89], v[64:65], v[108:109] neg_lo:[0,0,1] neg_hi:[0,0,1]
	v_pk_fma_f32 v[64:65], v[88:89], v[64:65], v[108:109] op_sel_hi:[1,0,1]
	v_fmac_f32_e32 v103, v71, v46
	v_fma_f32 v111, v70, v46, -v45
	v_pk_fma_f32 v[44:45], v[76:77], v[52:53], v[96:97] neg_lo:[0,0,1] neg_hi:[0,0,1]
	v_pk_fma_f32 v[46:47], v[76:77], v[52:53], v[96:97] op_sel_hi:[1,0,1]
	v_add_f32_e32 v64, 0, v99
	v_add_f32_e32 v76, 0, v107
	v_mul_f32_e32 v95, v74, v51
	v_mul_f32_e32 v49, v75, v51
	v_mov_b32_e32 v98, v55
	v_mov_b32_e32 v73, v65
	v_add_f32_e32 v65, v64, v103
	v_add_f32_e32 v64, v76, v111
	v_fmac_f32_e32 v95, v75, v50
	v_fma_f32 v94, v74, v50, -v49
	v_pk_mul_f32 v[48:49], v[78:79], v[98:99] op_sel:[1,0] op_sel_hi:[0,0]
	v_pk_add_f32 v[42:43], v[64:65], v[42:43]
	v_pk_mul_f32 v[100:101], v[80:81], v[56:57] op_sel:[1,1] op_sel_hi:[0,1]
	v_mov_b32_e32 v102, v59
	v_mov_b32_e32 v45, v47
	v_pk_fma_f32 v[46:47], v[78:79], v[54:55], v[48:49] neg_lo:[0,0,1] neg_hi:[0,0,1]
	v_pk_fma_f32 v[48:49], v[78:79], v[54:55], v[48:49] op_sel_hi:[1,0,1]
	v_pk_add_f32 v[42:43], v[42:43], v[94:95]
	v_pk_fma_f32 v[50:51], v[80:81], v[56:57], v[100:101] neg_lo:[0,0,1] neg_hi:[0,0,1]
	v_pk_fma_f32 v[52:53], v[80:81], v[56:57], v[100:101] op_sel_hi:[1,0,1]
	v_pk_mul_f32 v[56:57], v[82:83], v[102:103] op_sel:[1,0] op_sel_hi:[0,0]
	v_mov_b32_e32 v47, v49
	v_pk_add_f32 v[42:43], v[42:43], v[44:45]
	v_pk_mul_f32 v[104:105], v[84:85], v[60:61] op_sel:[1,1] op_sel_hi:[0,1]
	v_mov_b32_e32 v106, v63
	v_mov_b32_e32 v51, v53
	v_pk_fma_f32 v[52:53], v[82:83], v[58:59], v[56:57] neg_lo:[0,0,1] neg_hi:[0,0,1]
	v_pk_fma_f32 v[54:55], v[82:83], v[58:59], v[56:57] op_sel_hi:[1,0,1]
	v_pk_add_f32 v[42:43], v[42:43], v[46:47]
	v_pk_fma_f32 v[68:69], v[84:85], v[60:61], v[104:105] neg_lo:[0,0,1] neg_hi:[0,0,1]
	v_pk_fma_f32 v[60:61], v[84:85], v[60:61], v[104:105] op_sel_hi:[1,0,1]
	v_pk_mul_f32 v[70:71], v[86:87], v[106:107] op_sel:[1,0] op_sel_hi:[0,0]
	v_mov_b32_e32 v53, v55
	v_pk_add_f32 v[42:43], v[42:43], v[50:51]
	v_mov_b32_e32 v110, v67
	v_mov_b32_e32 v69, v61
	v_pk_fma_f32 v[56:57], v[86:87], v[62:63], v[70:71] neg_lo:[0,0,1] neg_hi:[0,0,1]
	v_pk_fma_f32 v[58:59], v[86:87], v[62:63], v[70:71] op_sel_hi:[1,0,1]
	v_pk_add_f32 v[42:43], v[42:43], v[52:53]
	v_pk_mul_f32 v[74:75], v[90:91], v[110:111] op_sel:[1,0] op_sel_hi:[0,0]
	v_mov_b32_e32 v57, v59
	v_pk_add_f32 v[42:43], v[42:43], v[68:69]
	v_pk_fma_f32 v[60:61], v[90:91], v[66:67], v[74:75] neg_lo:[0,0,1] neg_hi:[0,0,1]
	v_pk_fma_f32 v[62:63], v[90:91], v[66:67], v[74:75] op_sel_hi:[1,0,1]
	v_pk_add_f32 v[42:43], v[42:43], v[56:57]
	v_mov_b32_e32 v61, v63
	v_pk_add_f32 v[42:43], v[42:43], v[72:73]
	s_nop 0
	v_pk_add_f32 v[42:43], v[42:43], v[60:61]
	s_waitcnt vmcnt(0)
	v_pk_add_f32 v[42:43], v[92:93], v[42:43] neg_lo:[0,1] neg_hi:[0,1]
	scratch_store_dwordx2 off, v[42:43], off offset:56
	s_and_saveexec_b64 s[0:1], vcc
	s_cbranch_execz .LBB83_121
; %bb.120:
	scratch_load_dwordx2 v[42:43], off, off offset:48
	v_mov_b32_e32 v44, 0
	v_mov_b32_e32 v45, v44
	scratch_store_dwordx2 off, v[44:45], off offset:48
	s_waitcnt vmcnt(1)
	ds_write_b64 v1, v[42:43]
.LBB83_121:
	s_or_b64 exec, exec, s[0:1]
	s_waitcnt lgkmcnt(0)
	; wave barrier
	scratch_load_dwordx4 v[44:47], off, off offset:56
	scratch_load_dwordx4 v[48:51], off, off offset:72
	;; [unrolled: 1-line block ×6, first 2 shown]
	scratch_load_dwordx2 v[92:93], off, off offset:152
	scratch_load_dwordx2 v[94:95], off, off offset:48
	v_mov_b32_e32 v42, 0
	ds_read2_b64 v[68:71], v42 offset0:27 offset1:28
	ds_read2_b64 v[72:75], v42 offset0:29 offset1:30
	;; [unrolled: 1-line block ×6, first 2 shown]
	ds_read_b64 v[96:97], v42 offset:312
	v_cmp_lt_u32_e32 vcc, 5, v0
	s_waitcnt vmcnt(7) lgkmcnt(6)
	v_mul_f32_e32 v103, v70, v47
	v_mul_f32_e32 v43, v68, v45
	s_waitcnt vmcnt(5) lgkmcnt(4)
	v_mul_f32_e32 v101, v76, v53
	v_mul_f32_e32 v45, v69, v45
	v_mov_b32_e32 v102, v55
	s_waitcnt vmcnt(2) lgkmcnt(1)
	v_pk_mul_f32 v[112:113], v[88:89], v[64:65] op_sel:[1,1] op_sel_hi:[0,1]
	v_fmac_f32_e32 v103, v71, v46
	v_mul_f32_e32 v47, v71, v47
	v_mul_f32_e32 v53, v77, v53
	v_fmac_f32_e32 v43, v69, v44
	v_fmac_f32_e32 v101, v77, v52
	v_fma_f32 v77, v68, v44, -v45
	v_pk_mul_f32 v[44:45], v[78:79], v[102:103] op_sel:[1,0] op_sel_hi:[0,0]
	v_pk_fma_f32 v[68:69], v[88:89], v[64:65], v[112:113] neg_lo:[0,0,1] neg_hi:[0,0,1]
	v_pk_fma_f32 v[64:65], v[88:89], v[64:65], v[112:113] op_sel_hi:[1,0,1]
	v_mul_f32_e32 v107, v72, v49
	v_mul_f32_e32 v49, v73, v49
	v_fma_f32 v111, v70, v46, -v47
	v_fma_f32 v100, v76, v52, -v53
	v_add_f32_e32 v43, 0, v43
	v_add_f32_e32 v64, 0, v77
	v_pk_fma_f32 v[76:77], v[78:79], v[54:55], v[44:45] neg_lo:[0,0,1] neg_hi:[0,0,1]
	v_pk_fma_f32 v[44:45], v[78:79], v[54:55], v[44:45] op_sel_hi:[1,0,1]
	v_mul_f32_e32 v99, v74, v51
	v_mul_f32_e32 v51, v75, v51
	v_fmac_f32_e32 v107, v73, v48
	v_fma_f32 v115, v72, v48, -v49
	v_add_f32_e32 v43, v43, v103
	v_add_f32_e32 v44, v64, v111
	v_fmac_f32_e32 v99, v75, v50
	v_fma_f32 v98, v74, v50, -v51
	v_mov_b32_e32 v77, v45
	v_add_f32_e32 v45, v43, v107
	v_add_f32_e32 v44, v44, v115
	v_pk_mul_f32 v[104:105], v[80:81], v[56:57] op_sel:[1,1] op_sel_hi:[0,1]
	v_mov_b32_e32 v106, v59
	v_pk_add_f32 v[44:45], v[44:45], v[98:99]
	v_pk_fma_f32 v[46:47], v[80:81], v[56:57], v[104:105] neg_lo:[0,0,1] neg_hi:[0,0,1]
	v_pk_fma_f32 v[48:49], v[80:81], v[56:57], v[104:105] op_sel_hi:[1,0,1]
	v_pk_mul_f32 v[50:51], v[82:83], v[106:107] op_sel:[1,0] op_sel_hi:[0,0]
	v_pk_add_f32 v[44:45], v[44:45], v[100:101]
	v_pk_mul_f32 v[108:109], v[84:85], v[60:61] op_sel:[1,1] op_sel_hi:[0,1]
	v_mov_b32_e32 v110, v63
	v_mov_b32_e32 v47, v49
	v_pk_fma_f32 v[48:49], v[82:83], v[58:59], v[50:51] neg_lo:[0,0,1] neg_hi:[0,0,1]
	v_pk_fma_f32 v[50:51], v[82:83], v[58:59], v[50:51] op_sel_hi:[1,0,1]
	v_pk_add_f32 v[44:45], v[44:45], v[76:77]
	v_pk_fma_f32 v[52:53], v[84:85], v[60:61], v[108:109] neg_lo:[0,0,1] neg_hi:[0,0,1]
	v_pk_fma_f32 v[56:57], v[84:85], v[60:61], v[108:109] op_sel_hi:[1,0,1]
	v_pk_mul_f32 v[60:61], v[86:87], v[110:111] op_sel:[1,0] op_sel_hi:[0,0]
	v_mov_b32_e32 v49, v51
	v_pk_add_f32 v[44:45], v[44:45], v[46:47]
	v_mov_b32_e32 v114, v67
	v_mov_b32_e32 v53, v57
	v_pk_fma_f32 v[54:55], v[86:87], v[62:63], v[60:61] neg_lo:[0,0,1] neg_hi:[0,0,1]
	v_pk_fma_f32 v[56:57], v[86:87], v[62:63], v[60:61] op_sel_hi:[1,0,1]
	v_pk_add_f32 v[44:45], v[44:45], v[48:49]
	v_pk_mul_f32 v[70:71], v[90:91], v[114:115] op_sel:[1,0] op_sel_hi:[0,0]
	v_mov_b32_e32 v55, v57
	v_pk_add_f32 v[44:45], v[44:45], v[52:53]
	s_waitcnt vmcnt(1) lgkmcnt(0)
	v_pk_mul_f32 v[116:117], v[96:97], v[92:93] op_sel:[1,1] op_sel_hi:[0,1]
	v_mov_b32_e32 v69, v65
	v_pk_fma_f32 v[58:59], v[90:91], v[66:67], v[70:71] neg_lo:[0,0,1] neg_hi:[0,0,1]
	v_pk_fma_f32 v[60:61], v[90:91], v[66:67], v[70:71] op_sel_hi:[1,0,1]
	v_pk_add_f32 v[44:45], v[44:45], v[54:55]
	v_pk_fma_f32 v[72:73], v[96:97], v[92:93], v[116:117] neg_lo:[0,0,1] neg_hi:[0,0,1]
	v_pk_fma_f32 v[74:75], v[96:97], v[92:93], v[116:117] op_sel_hi:[1,0,1]
	v_mov_b32_e32 v59, v61
	v_pk_add_f32 v[44:45], v[44:45], v[68:69]
	v_mov_b32_e32 v73, v75
	v_pk_add_f32 v[44:45], v[44:45], v[58:59]
	s_nop 0
	v_pk_add_f32 v[44:45], v[44:45], v[72:73]
	s_waitcnt vmcnt(0)
	v_pk_add_f32 v[44:45], v[94:95], v[44:45] neg_lo:[0,1] neg_hi:[0,1]
	scratch_store_dwordx2 off, v[44:45], off offset:48
	s_and_saveexec_b64 s[0:1], vcc
	s_cbranch_execz .LBB83_123
; %bb.122:
	scratch_load_dwordx2 v[44:45], off, off offset:40
	v_mov_b32_e32 v43, v42
	scratch_store_dwordx2 off, v[42:43], off offset:40
	s_waitcnt vmcnt(1)
	ds_write_b64 v1, v[44:45]
.LBB83_123:
	s_or_b64 exec, exec, s[0:1]
	s_waitcnt lgkmcnt(0)
	; wave barrier
	scratch_load_dwordx4 v[44:47], off, off offset:48
	scratch_load_dwordx4 v[48:51], off, off offset:64
	;; [unrolled: 1-line block ×7, first 2 shown]
	ds_read_b128 v[72:75], v42 offset:208
	ds_read_b128 v[76:79], v42 offset:224
	ds_read_b128 v[80:83], v42 offset:240
	ds_read_b128 v[84:87], v42 offset:256
	ds_read_b128 v[88:91], v42 offset:272
	ds_read_b128 v[92:95], v42 offset:288
	scratch_load_dwordx2 v[100:101], off, off offset:40
	ds_read_b128 v[96:99], v42 offset:304
	v_cmp_lt_u32_e32 vcc, 4, v0
	s_waitcnt vmcnt(7) lgkmcnt(6)
	v_mul_f32_e32 v107, v72, v45
	v_mul_f32_e32 v111, v74, v47
	s_waitcnt vmcnt(6) lgkmcnt(5)
	v_mul_f32_e32 v115, v76, v49
	v_mul_f32_e32 v119, v78, v51
	;; [unrolled: 3-line block ×3, first 2 shown]
	v_mul_f32_e32 v42, v73, v45
	v_mul_f32_e32 v45, v75, v47
	;; [unrolled: 1-line block ×6, first 2 shown]
	s_waitcnt vmcnt(4) lgkmcnt(3)
	v_pk_mul_f32 v[104:105], v[84:85], v[56:57] op_sel:[1,1] op_sel_hi:[0,1]
	v_mov_b32_e32 v106, v59
	s_waitcnt vmcnt(3) lgkmcnt(2)
	v_pk_mul_f32 v[108:109], v[88:89], v[60:61] op_sel:[1,1] op_sel_hi:[0,1]
	v_mov_b32_e32 v110, v63
	s_waitcnt vmcnt(1) lgkmcnt(0)
	v_pk_mul_f32 v[116:117], v[96:97], v[68:69] op_sel:[1,1] op_sel_hi:[0,1]
	v_fmac_f32_e32 v107, v73, v44
	v_fmac_f32_e32 v111, v75, v46
	;; [unrolled: 1-line block ×6, first 2 shown]
	v_fma_f32 v77, v72, v44, -v42
	v_fma_f32 v79, v74, v46, -v45
	;; [unrolled: 1-line block ×6, first 2 shown]
	v_pk_fma_f32 v[44:45], v[84:85], v[56:57], v[104:105] neg_lo:[0,0,1] neg_hi:[0,0,1]
	v_pk_fma_f32 v[46:47], v[84:85], v[56:57], v[104:105] op_sel_hi:[1,0,1]
	v_pk_mul_f32 v[48:49], v[86:87], v[106:107] op_sel:[1,0] op_sel_hi:[0,0]
	v_pk_fma_f32 v[50:51], v[88:89], v[60:61], v[108:109] neg_lo:[0,0,1] neg_hi:[0,0,1]
	v_pk_fma_f32 v[52:53], v[88:89], v[60:61], v[108:109] op_sel_hi:[1,0,1]
	v_pk_mul_f32 v[54:55], v[90:91], v[110:111] op_sel:[1,0] op_sel_hi:[0,0]
	v_pk_fma_f32 v[72:73], v[96:97], v[68:69], v[116:117] neg_lo:[0,0,1] neg_hi:[0,0,1]
	v_pk_fma_f32 v[68:69], v[96:97], v[68:69], v[116:117] op_sel_hi:[1,0,1]
	v_add_f32_e32 v77, 0, v77
	v_add_f32_e32 v68, 0, v107
	v_mov_b32_e32 v45, v47
	v_pk_fma_f32 v[46:47], v[86:87], v[58:59], v[48:49] neg_lo:[0,0,1] neg_hi:[0,0,1]
	v_pk_fma_f32 v[48:49], v[86:87], v[58:59], v[48:49] op_sel_hi:[1,0,1]
	v_mov_b32_e32 v51, v53
	v_pk_fma_f32 v[52:53], v[90:91], v[62:63], v[54:55] neg_lo:[0,0,1] neg_hi:[0,0,1]
	v_pk_fma_f32 v[54:55], v[90:91], v[62:63], v[54:55] op_sel_hi:[1,0,1]
	v_add_f32_e32 v48, v68, v111
	v_add_f32_e32 v54, v77, v79
	v_add_f32_e32 v48, v48, v115
	v_add_f32_e32 v54, v54, v76
	v_mov_b32_e32 v47, v49
	v_add_f32_e32 v49, v48, v119
	v_add_f32_e32 v48, v54, v78
	v_pk_add_f32 v[42:43], v[48:49], v[42:43]
	v_pk_mul_f32 v[112:113], v[92:93], v[64:65] op_sel:[1,1] op_sel_hi:[0,1]
	v_pk_add_f32 v[42:43], v[42:43], v[102:103]
	v_mov_b32_e32 v114, v67
	v_pk_add_f32 v[42:43], v[42:43], v[44:45]
	v_pk_fma_f32 v[56:57], v[92:93], v[64:65], v[112:113] neg_lo:[0,0,1] neg_hi:[0,0,1]
	v_pk_add_f32 v[42:43], v[42:43], v[46:47]
	v_pk_fma_f32 v[60:61], v[92:93], v[64:65], v[112:113] op_sel_hi:[1,0,1]
	v_pk_mul_f32 v[64:65], v[94:95], v[114:115] op_sel:[1,0] op_sel_hi:[0,0]
	v_mov_b32_e32 v53, v55
	v_pk_add_f32 v[42:43], v[42:43], v[50:51]
	v_mov_b32_e32 v118, v71
	v_mov_b32_e32 v57, v61
	v_pk_fma_f32 v[58:59], v[94:95], v[66:67], v[64:65] neg_lo:[0,0,1] neg_hi:[0,0,1]
	v_pk_fma_f32 v[60:61], v[94:95], v[66:67], v[64:65] op_sel_hi:[1,0,1]
	v_pk_add_f32 v[42:43], v[42:43], v[52:53]
	v_pk_mul_f32 v[74:75], v[98:99], v[118:119] op_sel:[1,0] op_sel_hi:[0,0]
	v_mov_b32_e32 v59, v61
	v_pk_add_f32 v[42:43], v[42:43], v[56:57]
	v_mov_b32_e32 v73, v69
	v_pk_fma_f32 v[62:63], v[98:99], v[70:71], v[74:75] neg_lo:[0,0,1] neg_hi:[0,0,1]
	v_pk_fma_f32 v[64:65], v[98:99], v[70:71], v[74:75] op_sel_hi:[1,0,1]
	v_pk_add_f32 v[42:43], v[42:43], v[58:59]
	v_mov_b32_e32 v63, v65
	v_pk_add_f32 v[42:43], v[42:43], v[72:73]
	s_nop 0
	v_pk_add_f32 v[42:43], v[42:43], v[62:63]
	s_waitcnt vmcnt(0)
	v_pk_add_f32 v[42:43], v[100:101], v[42:43] neg_lo:[0,1] neg_hi:[0,1]
	scratch_store_dwordx2 off, v[42:43], off offset:40
	s_and_saveexec_b64 s[0:1], vcc
	s_cbranch_execz .LBB83_125
; %bb.124:
	scratch_load_dwordx2 v[42:43], off, off offset:32
	v_mov_b32_e32 v44, 0
	v_mov_b32_e32 v45, v44
	scratch_store_dwordx2 off, v[44:45], off offset:32
	s_waitcnt vmcnt(1)
	ds_write_b64 v1, v[42:43]
.LBB83_125:
	s_or_b64 exec, exec, s[0:1]
	s_waitcnt lgkmcnt(0)
	; wave barrier
	scratch_load_dwordx4 v[44:47], off, off offset:40
	scratch_load_dwordx4 v[48:51], off, off offset:56
	;; [unrolled: 1-line block ×7, first 2 shown]
	scratch_load_dwordx2 v[100:101], off, off offset:152
	scratch_load_dwordx2 v[102:103], off, off offset:32
	v_mov_b32_e32 v42, 0
	ds_read2_b64 v[72:75], v42 offset0:25 offset1:26
	ds_read2_b64 v[76:79], v42 offset0:27 offset1:28
	;; [unrolled: 1-line block ×7, first 2 shown]
	ds_read_b64 v[104:105], v42 offset:312
	v_cmp_lt_u32_e32 vcc, 3, v0
	s_waitcnt vmcnt(8) lgkmcnt(7)
	v_mul_f32_e32 v111, v74, v47
	v_mul_f32_e32 v43, v72, v45
	s_waitcnt vmcnt(7) lgkmcnt(6)
	v_mul_f32_e32 v115, v76, v49
	s_waitcnt vmcnt(6) lgkmcnt(5)
	v_mul_f32_e32 v123, v80, v53
	v_mul_f32_e32 v107, v82, v55
	;; [unrolled: 1-line block ×5, first 2 shown]
	s_waitcnt vmcnt(5)
	v_mov_b32_e32 v110, v59
	s_waitcnt vmcnt(3) lgkmcnt(2)
	v_pk_mul_f32 v[116:117], v[92:93], v[64:65] op_sel:[1,1] op_sel_hi:[0,1]
	s_waitcnt vmcnt(2) lgkmcnt(1)
	v_pk_mul_f32 v[120:121], v[96:97], v[68:69] op_sel:[1,1] op_sel_hi:[0,1]
	v_fmac_f32_e32 v111, v75, v46
	v_mul_f32_e32 v47, v75, v47
	v_mul_f32_e32 v49, v77, v49
	v_fmac_f32_e32 v43, v73, v44
	v_fmac_f32_e32 v115, v77, v48
	;; [unrolled: 1-line block ×4, first 2 shown]
	v_fma_f32 v72, v72, v44, -v45
	v_fma_f32 v77, v80, v52, -v53
	;; [unrolled: 1-line block ×3, first 2 shown]
	v_pk_mul_f32 v[44:45], v[86:87], v[110:111] op_sel:[1,0] op_sel_hi:[0,0]
	v_pk_fma_f32 v[52:53], v[92:93], v[64:65], v[116:117] neg_lo:[0,0,1] neg_hi:[0,0,1]
	v_pk_fma_f32 v[54:55], v[92:93], v[64:65], v[116:117] op_sel_hi:[1,0,1]
	v_pk_fma_f32 v[64:65], v[96:97], v[68:69], v[120:121] op_sel_hi:[1,0,1]
	v_fma_f32 v74, v74, v46, -v47
	v_add_f32_e32 v43, 0, v43
	v_add_f32_e32 v64, 0, v72
	v_pk_fma_f32 v[72:73], v[86:87], v[58:59], v[44:45] neg_lo:[0,0,1] neg_hi:[0,0,1]
	v_pk_fma_f32 v[44:45], v[86:87], v[58:59], v[44:45] op_sel_hi:[1,0,1]
	v_mul_f32_e32 v119, v78, v51
	v_mul_f32_e32 v51, v79, v51
	v_fma_f32 v75, v76, v48, -v49
	v_add_f32_e32 v43, v43, v111
	v_add_f32_e32 v44, v64, v74
	v_fmac_f32_e32 v119, v79, v50
	v_fma_f32 v76, v78, v50, -v51
	v_add_f32_e32 v43, v43, v115
	v_add_f32_e32 v44, v44, v75
	;; [unrolled: 1-line block ×4, first 2 shown]
	v_mul_f32_e32 v109, v84, v57
	v_mul_f32_e32 v57, v85, v57
	v_mov_b32_e32 v73, v45
	v_add_f32_e32 v45, v43, v123
	v_add_f32_e32 v44, v44, v77
	v_pk_mul_f32 v[112:113], v[88:89], v[60:61] op_sel:[1,1] op_sel_hi:[0,1]
	v_mov_b32_e32 v114, v63
	v_fmac_f32_e32 v109, v85, v56
	v_fma_f32 v108, v84, v56, -v57
	v_pk_add_f32 v[44:45], v[44:45], v[106:107]
	v_pk_fma_f32 v[46:47], v[88:89], v[60:61], v[112:113] neg_lo:[0,0,1] neg_hi:[0,0,1]
	v_pk_fma_f32 v[48:49], v[88:89], v[60:61], v[112:113] op_sel_hi:[1,0,1]
	v_pk_mul_f32 v[50:51], v[90:91], v[114:115] op_sel:[1,0] op_sel_hi:[0,0]
	v_pk_add_f32 v[44:45], v[44:45], v[108:109]
	v_mov_b32_e32 v118, v67
	v_mov_b32_e32 v47, v49
	v_pk_fma_f32 v[48:49], v[90:91], v[62:63], v[50:51] neg_lo:[0,0,1] neg_hi:[0,0,1]
	v_pk_fma_f32 v[50:51], v[90:91], v[62:63], v[50:51] op_sel_hi:[1,0,1]
	v_pk_add_f32 v[44:45], v[44:45], v[72:73]
	v_pk_mul_f32 v[56:57], v[94:95], v[118:119] op_sel:[1,0] op_sel_hi:[0,0]
	v_mov_b32_e32 v49, v51
	v_pk_add_f32 v[44:45], v[44:45], v[46:47]
	v_mov_b32_e32 v122, v71
	v_mov_b32_e32 v53, v55
	v_pk_fma_f32 v[54:55], v[94:95], v[66:67], v[56:57] neg_lo:[0,0,1] neg_hi:[0,0,1]
	v_pk_fma_f32 v[56:57], v[94:95], v[66:67], v[56:57] op_sel_hi:[1,0,1]
	v_pk_add_f32 v[44:45], v[44:45], v[48:49]
	v_pk_fma_f32 v[60:61], v[96:97], v[68:69], v[120:121] neg_lo:[0,0,1] neg_hi:[0,0,1]
	v_pk_mul_f32 v[68:69], v[98:99], v[122:123] op_sel:[1,0] op_sel_hi:[0,0]
	v_mov_b32_e32 v55, v57
	v_pk_add_f32 v[44:45], v[44:45], v[52:53]
	v_mov_b32_e32 v61, v65
	v_pk_add_f32 v[44:45], v[44:45], v[54:55]
	v_pk_fma_f32 v[46:47], v[98:99], v[70:71], v[68:69] neg_lo:[0,0,1] neg_hi:[0,0,1]
	v_pk_fma_f32 v[48:49], v[98:99], v[70:71], v[68:69] op_sel_hi:[1,0,1]
	v_pk_add_f32 v[44:45], v[44:45], v[60:61]
	v_mov_b32_e32 v47, v49
	v_pk_add_f32 v[44:45], v[44:45], v[46:47]
	s_waitcnt vmcnt(1) lgkmcnt(0)
	v_pk_mul_f32 v[46:47], v[104:105], v[100:101] op_sel:[1,1] op_sel_hi:[0,1]
	v_pk_fma_f32 v[48:49], v[104:105], v[100:101], v[46:47] neg_lo:[0,0,1] neg_hi:[0,0,1]
	v_pk_fma_f32 v[46:47], v[104:105], v[100:101], v[46:47] op_sel_hi:[1,0,1]
	s_nop 0
	v_mov_b32_e32 v49, v47
	v_pk_add_f32 v[44:45], v[44:45], v[48:49]
	s_waitcnt vmcnt(0)
	v_pk_add_f32 v[44:45], v[102:103], v[44:45] neg_lo:[0,1] neg_hi:[0,1]
	scratch_store_dwordx2 off, v[44:45], off offset:32
	s_and_saveexec_b64 s[0:1], vcc
	s_cbranch_execz .LBB83_127
; %bb.126:
	scratch_load_dwordx2 v[44:45], off, off offset:24
	v_mov_b32_e32 v43, v42
	scratch_store_dwordx2 off, v[42:43], off offset:24
	s_waitcnt vmcnt(1)
	ds_write_b64 v1, v[44:45]
.LBB83_127:
	s_or_b64 exec, exec, s[0:1]
	s_waitcnt lgkmcnt(0)
	; wave barrier
	scratch_load_dwordx4 v[44:47], off, off offset:32
	scratch_load_dwordx4 v[48:51], off, off offset:48
	;; [unrolled: 1-line block ×7, first 2 shown]
	ds_read_b128 v[72:75], v42 offset:192
	ds_read_b128 v[76:79], v42 offset:208
	;; [unrolled: 1-line block ×4, first 2 shown]
	scratch_load_dwordx4 v[88:91], off, off offset:144
	ds_read_b128 v[92:95], v42 offset:256
	ds_read_b128 v[96:99], v42 offset:272
	;; [unrolled: 1-line block ×4, first 2 shown]
	scratch_load_dwordx2 v[42:43], off, off offset:24
	v_cmp_lt_u32_e32 vcc, 2, v0
	s_waitcnt vmcnt(8) lgkmcnt(7)
	v_mul_f32_e32 v115, v72, v45
	v_mul_f32_e32 v119, v74, v47
	s_waitcnt vmcnt(7) lgkmcnt(6)
	v_mul_f32_e32 v123, v76, v49
	v_mul_f32_e32 v124, v78, v51
	;; [unrolled: 3-line block ×3, first 2 shown]
	v_mul_f32_e32 v45, v73, v45
	v_mul_f32_e32 v47, v75, v47
	;; [unrolled: 1-line block ×6, first 2 shown]
	s_waitcnt vmcnt(4) lgkmcnt(3)
	v_pk_mul_f32 v[112:113], v[92:93], v[60:61] op_sel:[1,1] op_sel_hi:[0,1]
	v_mov_b32_e32 v114, v63
	s_waitcnt vmcnt(3) lgkmcnt(2)
	v_pk_mul_f32 v[116:117], v[96:97], v[64:65] op_sel:[1,1] op_sel_hi:[0,1]
	v_mov_b32_e32 v118, v67
	v_fmac_f32_e32 v115, v73, v44
	v_fmac_f32_e32 v119, v75, v46
	;; [unrolled: 1-line block ×6, first 2 shown]
	v_fma_f32 v72, v72, v44, -v45
	v_fma_f32 v73, v74, v46, -v47
	;; [unrolled: 1-line block ×6, first 2 shown]
	v_pk_fma_f32 v[44:45], v[92:93], v[60:61], v[112:113] neg_lo:[0,0,1] neg_hi:[0,0,1]
	v_pk_fma_f32 v[46:47], v[92:93], v[60:61], v[112:113] op_sel_hi:[1,0,1]
	v_pk_mul_f32 v[48:49], v[94:95], v[114:115] op_sel:[1,0] op_sel_hi:[0,0]
	v_pk_fma_f32 v[50:51], v[96:97], v[64:65], v[116:117] neg_lo:[0,0,1] neg_hi:[0,0,1]
	v_pk_fma_f32 v[52:53], v[96:97], v[64:65], v[116:117] op_sel_hi:[1,0,1]
	v_pk_mul_f32 v[54:55], v[98:99], v[118:119] op_sel:[1,0] op_sel_hi:[0,0]
	v_add_f32_e32 v64, 0, v115
	v_add_f32_e32 v65, 0, v72
	v_mov_b32_e32 v45, v47
	v_pk_fma_f32 v[46:47], v[94:95], v[62:63], v[48:49] neg_lo:[0,0,1] neg_hi:[0,0,1]
	v_pk_fma_f32 v[48:49], v[94:95], v[62:63], v[48:49] op_sel_hi:[1,0,1]
	v_mov_b32_e32 v51, v53
	v_pk_fma_f32 v[52:53], v[98:99], v[66:67], v[54:55] neg_lo:[0,0,1] neg_hi:[0,0,1]
	v_pk_fma_f32 v[54:55], v[98:99], v[66:67], v[54:55] op_sel_hi:[1,0,1]
	v_add_f32_e32 v48, v64, v119
	v_add_f32_e32 v54, v65, v73
	v_mov_b32_e32 v47, v49
	v_add_f32_e32 v48, v48, v123
	v_add_f32_e32 v49, v54, v74
	;; [unrolled: 1-line block ×4, first 2 shown]
	v_mul_f32_e32 v109, v84, v57
	v_mul_f32_e32 v57, v85, v57
	v_add_f32_e32 v48, v48, v125
	v_add_f32_e32 v54, v49, v76
	v_mul_f32_e32 v111, v86, v59
	v_mul_f32_e32 v59, v87, v59
	v_fmac_f32_e32 v109, v85, v56
	v_fma_f32 v108, v84, v56, -v57
	v_add_f32_e32 v49, v48, v126
	v_add_f32_e32 v48, v54, v77
	v_fmac_f32_e32 v111, v87, v58
	v_fma_f32 v110, v86, v58, -v59
	v_pk_add_f32 v[48:49], v[48:49], v[108:109]
	s_waitcnt vmcnt(2) lgkmcnt(1)
	v_pk_mul_f32 v[120:121], v[100:101], v[68:69] op_sel:[1,1] op_sel_hi:[0,1]
	v_mov_b32_e32 v122, v71
	v_pk_add_f32 v[48:49], v[48:49], v[110:111]
	v_pk_fma_f32 v[56:57], v[100:101], v[68:69], v[120:121] neg_lo:[0,0,1] neg_hi:[0,0,1]
	v_pk_fma_f32 v[58:59], v[100:101], v[68:69], v[120:121] op_sel_hi:[1,0,1]
	v_pk_mul_f32 v[60:61], v[102:103], v[122:123] op_sel:[1,0] op_sel_hi:[0,0]
	v_pk_add_f32 v[44:45], v[48:49], v[44:45]
	v_mov_b32_e32 v57, v59
	v_pk_fma_f32 v[58:59], v[102:103], v[70:71], v[60:61] neg_lo:[0,0,1] neg_hi:[0,0,1]
	v_pk_add_f32 v[44:45], v[44:45], v[46:47]
	v_pk_fma_f32 v[46:47], v[102:103], v[70:71], v[60:61] op_sel_hi:[1,0,1]
	v_mov_b32_e32 v53, v55
	v_pk_add_f32 v[44:45], v[44:45], v[50:51]
	v_mov_b32_e32 v59, v47
	s_waitcnt vmcnt(1) lgkmcnt(0)
	v_pk_mul_f32 v[46:47], v[104:105], v[88:89] op_sel:[1,1] op_sel_hi:[0,1]
	v_pk_add_f32 v[44:45], v[44:45], v[52:53]
	v_pk_fma_f32 v[48:49], v[104:105], v[88:89], v[46:47] neg_lo:[0,0,1] neg_hi:[0,0,1]
	v_pk_fma_f32 v[46:47], v[104:105], v[88:89], v[46:47] op_sel_hi:[1,0,1]
	v_pk_add_f32 v[44:45], v[44:45], v[56:57]
	v_mov_b32_e32 v46, v91
	v_pk_add_f32 v[44:45], v[44:45], v[58:59]
	v_mov_b32_e32 v49, v47
	v_pk_mul_f32 v[46:47], v[106:107], v[46:47] op_sel:[1,0] op_sel_hi:[0,0]
	v_pk_add_f32 v[44:45], v[44:45], v[48:49]
	v_pk_fma_f32 v[48:49], v[106:107], v[90:91], v[46:47] neg_lo:[0,0,1] neg_hi:[0,0,1]
	v_pk_fma_f32 v[46:47], v[106:107], v[90:91], v[46:47] op_sel_hi:[1,0,1]
	s_nop 0
	v_mov_b32_e32 v49, v47
	v_pk_add_f32 v[44:45], v[44:45], v[48:49]
	s_waitcnt vmcnt(0)
	v_pk_add_f32 v[42:43], v[42:43], v[44:45] neg_lo:[0,1] neg_hi:[0,1]
	scratch_store_dwordx2 off, v[42:43], off offset:24
	s_and_saveexec_b64 s[0:1], vcc
	s_cbranch_execz .LBB83_129
; %bb.128:
	scratch_load_dwordx2 v[42:43], off, off offset:16
	v_mov_b32_e32 v44, 0
	v_mov_b32_e32 v45, v44
	scratch_store_dwordx2 off, v[44:45], off offset:16
	s_waitcnt vmcnt(1)
	ds_write_b64 v1, v[42:43]
.LBB83_129:
	s_or_b64 exec, exec, s[0:1]
	s_waitcnt lgkmcnt(0)
	; wave barrier
	scratch_load_dwordx4 v[44:47], off, off offset:24
	scratch_load_dwordx4 v[48:51], off, off offset:40
	;; [unrolled: 1-line block ×8, first 2 shown]
	scratch_load_dwordx2 v[108:109], off, off offset:152
	scratch_load_dwordx2 v[110:111], off, off offset:16
	v_mov_b32_e32 v42, 0
	ds_read2_b64 v[76:79], v42 offset0:23 offset1:24
	ds_read2_b64 v[80:83], v42 offset0:25 offset1:26
	;; [unrolled: 1-line block ×8, first 2 shown]
	ds_read_b64 v[112:113], v42 offset:312
	v_cmp_lt_u32_e32 vcc, 1, v0
	s_waitcnt vmcnt(9) lgkmcnt(8)
	v_mul_f32_e32 v119, v78, v47
	v_mul_f32_e32 v43, v76, v45
	s_waitcnt vmcnt(8) lgkmcnt(7)
	v_mul_f32_e32 v123, v80, v49
	s_waitcnt vmcnt(7) lgkmcnt(6)
	v_mul_f32_e32 v127, v84, v53
	v_mul_f32_e32 v45, v77, v45
	;; [unrolled: 1-line block ×5, first 2 shown]
	s_waitcnt vmcnt(5)
	v_mov_b32_e32 v118, v63
	s_waitcnt vmcnt(3) lgkmcnt(2)
	v_pk_mul_f32 v[124:125], v[100:101], v[68:69] op_sel:[1,1] op_sel_hi:[0,1]
	v_fmac_f32_e32 v119, v79, v46
	v_mul_f32_e32 v126, v82, v51
	v_mul_f32_e32 v129, v88, v57
	;; [unrolled: 1-line block ×4, first 2 shown]
	v_fmac_f32_e32 v43, v77, v44
	v_fmac_f32_e32 v127, v85, v52
	v_fma_f32 v76, v76, v44, -v45
	v_fma_f32 v77, v78, v46, -v47
	;; [unrolled: 1-line block ×4, first 2 shown]
	v_pk_mul_f32 v[44:45], v[94:95], v[118:119] op_sel:[1,0] op_sel_hi:[0,0]
	v_pk_fma_f32 v[52:53], v[100:101], v[68:69], v[124:125] neg_lo:[0,0,1] neg_hi:[0,0,1]
	v_fmac_f32_e32 v129, v89, v56
	v_fma_f32 v79, v82, v50, -v51
	v_fma_f32 v82, v88, v56, -v57
	v_add_f32_e32 v43, 0, v43
	v_add_f32_e32 v53, 0, v76
	v_pk_fma_f32 v[56:57], v[94:95], v[62:63], v[44:45] neg_lo:[0,0,1] neg_hi:[0,0,1]
	v_pk_fma_f32 v[44:45], v[94:95], v[62:63], v[44:45] op_sel_hi:[1,0,1]
	v_fmac_f32_e32 v123, v81, v48
	v_add_f32_e32 v43, v43, v119
	v_add_f32_e32 v44, v53, v77
	v_fmac_f32_e32 v126, v83, v50
	v_add_f32_e32 v43, v43, v123
	v_add_f32_e32 v44, v44, v78
	v_mul_f32_e32 v128, v86, v55
	v_mul_f32_e32 v55, v87, v55
	v_add_f32_e32 v43, v43, v126
	v_add_f32_e32 v44, v44, v79
	v_fmac_f32_e32 v128, v87, v54
	v_fma_f32 v81, v86, v54, -v55
	v_add_f32_e32 v43, v43, v127
	v_add_f32_e32 v44, v44, v80
	v_mul_f32_e32 v115, v90, v59
	v_mul_f32_e32 v59, v91, v59
	v_add_f32_e32 v43, v43, v128
	v_add_f32_e32 v44, v44, v81
	v_mul_f32_e32 v117, v92, v61
	v_mul_f32_e32 v61, v93, v61
	v_fmac_f32_e32 v115, v91, v58
	v_fma_f32 v114, v90, v58, -v59
	v_mov_b32_e32 v57, v45
	v_add_f32_e32 v45, v43, v129
	v_add_f32_e32 v44, v44, v82
	v_pk_mul_f32 v[120:121], v[96:97], v[64:65] op_sel:[1,1] op_sel_hi:[0,1]
	v_fmac_f32_e32 v117, v93, v60
	v_fma_f32 v116, v92, v60, -v61
	v_pk_add_f32 v[44:45], v[44:45], v[114:115]
	v_mov_b32_e32 v122, v67
	v_pk_fma_f32 v[46:47], v[96:97], v[64:65], v[120:121] neg_lo:[0,0,1] neg_hi:[0,0,1]
	v_pk_fma_f32 v[48:49], v[96:97], v[64:65], v[120:121] op_sel_hi:[1,0,1]
	v_pk_add_f32 v[44:45], v[44:45], v[116:117]
	v_pk_mul_f32 v[50:51], v[98:99], v[122:123] op_sel:[1,0] op_sel_hi:[0,0]
	v_mov_b32_e32 v47, v49
	v_pk_add_f32 v[44:45], v[44:45], v[56:57]
	v_pk_fma_f32 v[48:49], v[98:99], v[66:67], v[50:51] neg_lo:[0,0,1] neg_hi:[0,0,1]
	v_pk_fma_f32 v[50:51], v[98:99], v[66:67], v[50:51] op_sel_hi:[1,0,1]
	v_pk_add_f32 v[44:45], v[44:45], v[46:47]
	v_mov_b32_e32 v46, v71
	v_pk_fma_f32 v[54:55], v[100:101], v[68:69], v[124:125] op_sel_hi:[1,0,1]
	v_mov_b32_e32 v49, v51
	v_pk_mul_f32 v[46:47], v[102:103], v[46:47] op_sel:[1,0] op_sel_hi:[0,0]
	v_pk_add_f32 v[44:45], v[44:45], v[48:49]
	v_mov_b32_e32 v53, v55
	v_pk_fma_f32 v[48:49], v[102:103], v[70:71], v[46:47] neg_lo:[0,0,1] neg_hi:[0,0,1]
	v_pk_fma_f32 v[46:47], v[102:103], v[70:71], v[46:47] op_sel_hi:[1,0,1]
	v_pk_add_f32 v[44:45], v[44:45], v[52:53]
	v_mov_b32_e32 v49, v47
	s_waitcnt vmcnt(2) lgkmcnt(1)
	v_pk_mul_f32 v[46:47], v[104:105], v[72:73] op_sel:[1,1] op_sel_hi:[0,1]
	v_pk_add_f32 v[44:45], v[44:45], v[48:49]
	v_pk_fma_f32 v[48:49], v[104:105], v[72:73], v[46:47] neg_lo:[0,0,1] neg_hi:[0,0,1]
	v_pk_fma_f32 v[46:47], v[104:105], v[72:73], v[46:47] op_sel_hi:[1,0,1]
	s_nop 0
	v_mov_b32_e32 v46, v75
	v_mov_b32_e32 v49, v47
	v_pk_mul_f32 v[46:47], v[106:107], v[46:47] op_sel:[1,0] op_sel_hi:[0,0]
	v_pk_add_f32 v[44:45], v[44:45], v[48:49]
	v_pk_fma_f32 v[48:49], v[106:107], v[74:75], v[46:47] neg_lo:[0,0,1] neg_hi:[0,0,1]
	v_pk_fma_f32 v[46:47], v[106:107], v[74:75], v[46:47] op_sel_hi:[1,0,1]
	s_nop 0
	v_mov_b32_e32 v49, v47
	s_waitcnt vmcnt(1) lgkmcnt(0)
	v_pk_mul_f32 v[46:47], v[112:113], v[108:109] op_sel:[1,1] op_sel_hi:[0,1]
	v_pk_add_f32 v[44:45], v[44:45], v[48:49]
	v_pk_fma_f32 v[48:49], v[112:113], v[108:109], v[46:47] neg_lo:[0,0,1] neg_hi:[0,0,1]
	v_pk_fma_f32 v[46:47], v[112:113], v[108:109], v[46:47] op_sel_hi:[1,0,1]
	s_nop 0
	v_mov_b32_e32 v49, v47
	v_pk_add_f32 v[44:45], v[44:45], v[48:49]
	s_waitcnt vmcnt(0)
	v_pk_add_f32 v[44:45], v[110:111], v[44:45] neg_lo:[0,1] neg_hi:[0,1]
	scratch_store_dwordx2 off, v[44:45], off offset:16
	s_and_saveexec_b64 s[0:1], vcc
	s_cbranch_execz .LBB83_131
; %bb.130:
	scratch_load_dwordx2 v[44:45], off, off offset:8
	v_mov_b32_e32 v43, v42
	scratch_store_dwordx2 off, v[42:43], off offset:8
	s_waitcnt vmcnt(1)
	ds_write_b64 v1, v[44:45]
.LBB83_131:
	s_or_b64 exec, exec, s[0:1]
	s_waitcnt lgkmcnt(0)
	; wave barrier
	ds_read_b128 v[44:47], v42 offset:176
	ds_read_b128 v[48:51], v42 offset:192
	;; [unrolled: 1-line block ×4, first 2 shown]
	scratch_load_dwordx4 v[60:63], off, off offset:16
	scratch_load_dwordx4 v[80:83], off, off offset:80
	v_cmp_ne_u32_e32 vcc, 0, v0
	s_waitcnt vmcnt(1) lgkmcnt(3)
	v_mul_f32_e32 v43, v44, v61
	v_fmac_f32_e32 v43, v45, v60
	v_mul_f32_e32 v64, v46, v63
	v_add_f32_e32 v43, 0, v43
	v_fmac_f32_e32 v64, v47, v62
	v_add_f32_e32 v43, v43, v64
	scratch_load_dwordx4 v[64:67], off, off offset:32
	s_waitcnt vmcnt(0) lgkmcnt(2)
	v_mul_f32_e32 v68, v48, v65
	v_fmac_f32_e32 v68, v49, v64
	v_add_f32_e32 v43, v43, v68
	v_mul_f32_e32 v68, v50, v67
	v_fmac_f32_e32 v68, v51, v66
	v_add_f32_e32 v43, v43, v68
	scratch_load_dwordx4 v[68:71], off, off offset:48
	s_waitcnt vmcnt(0) lgkmcnt(1)
	v_mul_f32_e32 v72, v52, v69
	v_fmac_f32_e32 v72, v53, v68
	v_add_f32_e32 v43, v43, v72
	v_mul_f32_e32 v72, v54, v71
	;; [unrolled: 8-line block ×3, first 2 shown]
	v_fmac_f32_e32 v76, v59, v74
	v_add_f32_e32 v101, v43, v76
	ds_read_b128 v[76:79], v42 offset:240
	scratch_load_dwordx4 v[84:87], off, off offset:96
	scratch_load_dwordx4 v[88:91], off, off offset:112
	;; [unrolled: 1-line block ×4, first 2 shown]
	v_mul_f32_e32 v43, v45, v61
	v_fma_f32 v43, v44, v60, -v43
	v_mul_f32_e32 v44, v47, v63
	v_add_f32_e32 v43, 0, v43
	v_fma_f32 v44, v46, v62, -v44
	v_add_f32_e32 v43, v43, v44
	v_mul_f32_e32 v44, v49, v65
	v_fma_f32 v44, v48, v64, -v44
	v_add_f32_e32 v43, v43, v44
	v_mul_f32_e32 v44, v51, v67
	;; [unrolled: 3-line block ×6, first 2 shown]
	v_fma_f32 v44, v58, v74, -v44
	v_add_f32_e32 v100, v43, v44
	ds_read_b128 v[44:47], v42 offset:256
	ds_read_b128 v[48:51], v42 offset:272
	;; [unrolled: 1-line block ×4, first 2 shown]
	s_waitcnt lgkmcnt(4)
	v_mul_f32_e32 v103, v76, v81
	v_mul_f32_e32 v43, v77, v81
	v_fmac_f32_e32 v103, v77, v80
	v_mul_f32_e32 v105, v78, v83
	v_fma_f32 v102, v76, v80, -v43
	v_mul_f32_e32 v43, v79, v83
	v_fmac_f32_e32 v105, v79, v82
	v_fma_f32 v104, v78, v82, -v43
	v_pk_add_f32 v[42:43], v[100:101], v[102:103]
	s_waitcnt vmcnt(3) lgkmcnt(3)
	v_pk_mul_f32 v[60:61], v[44:45], v[84:85] op_sel:[1,1] op_sel_hi:[0,1]
	v_pk_fma_f32 v[62:63], v[44:45], v[84:85], v[60:61] neg_lo:[0,0,1] neg_hi:[0,0,1]
	v_pk_fma_f32 v[44:45], v[44:45], v[84:85], v[60:61] op_sel_hi:[1,0,1]
	v_pk_add_f32 v[42:43], v[42:43], v[104:105]
	v_mov_b32_e32 v44, v87
	v_mov_b32_e32 v63, v45
	v_pk_mul_f32 v[44:45], v[46:47], v[44:45] op_sel:[1,0] op_sel_hi:[0,0]
	v_pk_fma_f32 v[60:61], v[46:47], v[86:87], v[44:45] neg_lo:[0,0,1] neg_hi:[0,0,1]
	v_pk_fma_f32 v[44:45], v[46:47], v[86:87], v[44:45] op_sel_hi:[1,0,1]
	v_pk_add_f32 v[42:43], v[42:43], v[62:63]
	v_mov_b32_e32 v61, v45
	s_waitcnt vmcnt(2) lgkmcnt(2)
	v_pk_mul_f32 v[44:45], v[48:49], v[88:89] op_sel:[1,1] op_sel_hi:[0,1]
	v_pk_fma_f32 v[46:47], v[48:49], v[88:89], v[44:45] neg_lo:[0,0,1] neg_hi:[0,0,1]
	v_pk_fma_f32 v[44:45], v[48:49], v[88:89], v[44:45] op_sel_hi:[1,0,1]
	v_pk_add_f32 v[42:43], v[42:43], v[60:61]
	v_mov_b32_e32 v44, v91
	v_mov_b32_e32 v47, v45
	v_pk_mul_f32 v[44:45], v[50:51], v[44:45] op_sel:[1,0] op_sel_hi:[0,0]
	v_pk_add_f32 v[42:43], v[42:43], v[46:47]
	v_pk_fma_f32 v[46:47], v[50:51], v[90:91], v[44:45] neg_lo:[0,0,1] neg_hi:[0,0,1]
	v_pk_fma_f32 v[44:45], v[50:51], v[90:91], v[44:45] op_sel_hi:[1,0,1]
	s_nop 0
	v_mov_b32_e32 v47, v45
	s_waitcnt vmcnt(1) lgkmcnt(1)
	v_pk_mul_f32 v[44:45], v[52:53], v[92:93] op_sel:[1,1] op_sel_hi:[0,1]
	v_pk_add_f32 v[42:43], v[42:43], v[46:47]
	v_pk_fma_f32 v[46:47], v[52:53], v[92:93], v[44:45] neg_lo:[0,0,1] neg_hi:[0,0,1]
	v_pk_fma_f32 v[44:45], v[52:53], v[92:93], v[44:45] op_sel_hi:[1,0,1]
	s_nop 0
	v_mov_b32_e32 v44, v95
	v_mov_b32_e32 v47, v45
	v_pk_mul_f32 v[44:45], v[54:55], v[44:45] op_sel:[1,0] op_sel_hi:[0,0]
	v_pk_add_f32 v[42:43], v[42:43], v[46:47]
	v_pk_fma_f32 v[46:47], v[54:55], v[94:95], v[44:45] neg_lo:[0,0,1] neg_hi:[0,0,1]
	v_pk_fma_f32 v[44:45], v[54:55], v[94:95], v[44:45] op_sel_hi:[1,0,1]
	s_nop 0
	v_mov_b32_e32 v47, v45
	s_waitcnt vmcnt(0) lgkmcnt(0)
	v_pk_mul_f32 v[44:45], v[56:57], v[96:97] op_sel:[1,1] op_sel_hi:[0,1]
	v_pk_add_f32 v[42:43], v[42:43], v[46:47]
	v_pk_fma_f32 v[46:47], v[56:57], v[96:97], v[44:45] neg_lo:[0,0,1] neg_hi:[0,0,1]
	v_pk_fma_f32 v[44:45], v[56:57], v[96:97], v[44:45] op_sel_hi:[1,0,1]
	s_nop 0
	v_mov_b32_e32 v44, v99
	v_mov_b32_e32 v47, v45
	v_pk_mul_f32 v[44:45], v[58:59], v[44:45] op_sel:[1,0] op_sel_hi:[0,0]
	v_pk_add_f32 v[42:43], v[42:43], v[46:47]
	v_pk_fma_f32 v[46:47], v[58:59], v[98:99], v[44:45] neg_lo:[0,0,1] neg_hi:[0,0,1]
	v_pk_fma_f32 v[44:45], v[58:59], v[98:99], v[44:45] op_sel_hi:[1,0,1]
	s_nop 0
	v_mov_b32_e32 v47, v45
	scratch_load_dwordx2 v[44:45], off, off offset:8
	v_pk_add_f32 v[42:43], v[42:43], v[46:47]
	s_waitcnt vmcnt(0)
	v_pk_add_f32 v[42:43], v[44:45], v[42:43] neg_lo:[0,1] neg_hi:[0,1]
	scratch_store_dwordx2 off, v[42:43], off offset:8
	s_and_saveexec_b64 s[0:1], vcc
	s_cbranch_execz .LBB83_133
; %bb.132:
	scratch_load_dwordx2 v[42:43], off, off
	v_mov_b32_e32 v44, 0
	v_mov_b32_e32 v45, v44
	scratch_store_dwordx2 off, v[44:45], off
	s_waitcnt vmcnt(1)
	ds_write_b64 v1, v[42:43]
.LBB83_133:
	s_or_b64 exec, exec, s[0:1]
	s_waitcnt lgkmcnt(0)
	; wave barrier
	scratch_load_dwordx4 v[48:51], off, off offset:8
	scratch_load_dwordx4 v[56:59], off, off offset:24
	;; [unrolled: 1-line block ×6, first 2 shown]
	v_mov_b32_e32 v42, 0
	ds_read2_b64 v[44:47], v42 offset0:21 offset1:22
	ds_read2_b64 v[52:55], v42 offset0:23 offset1:24
	ds_read2_b64 v[60:63], v42 offset0:25 offset1:26
	ds_read2_b64 v[68:71], v42 offset0:27 offset1:28
	ds_read2_b64 v[76:79], v42 offset0:29 offset1:30
	ds_read2_b64 v[84:87], v42 offset0:31 offset1:32
	scratch_load_dwordx4 v[92:95], off, off offset:104
	scratch_load_dwordx4 v[96:99], off, off offset:120
	;; [unrolled: 1-line block ×3, first 2 shown]
	scratch_load_dwordx2 v[108:109], off, off offset:152
	s_and_b64 vcc, exec, s[10:11]
	s_waitcnt vmcnt(9) lgkmcnt(5)
	v_mul_f32_e32 v0, v44, v49
	v_fmac_f32_e32 v0, v45, v48
	v_mul_f32_e32 v1, v46, v51
	v_add_f32_e32 v0, 0, v0
	v_fmac_f32_e32 v1, v47, v50
	v_add_f32_e32 v0, v0, v1
	s_waitcnt vmcnt(8) lgkmcnt(4)
	v_mul_f32_e32 v1, v52, v57
	v_fmac_f32_e32 v1, v53, v56
	v_add_f32_e32 v0, v0, v1
	v_mul_f32_e32 v1, v54, v59
	v_fmac_f32_e32 v1, v55, v58
	v_add_f32_e32 v0, v0, v1
	s_waitcnt vmcnt(7) lgkmcnt(3)
	v_mul_f32_e32 v1, v60, v65
	v_fmac_f32_e32 v1, v61, v64
	v_add_f32_e32 v0, v0, v1
	v_mul_f32_e32 v1, v62, v67
	;; [unrolled: 7-line block ×4, first 2 shown]
	v_fma_f32 v0, v44, v48, -v0
	v_mul_f32_e32 v43, v47, v51
	v_add_f32_e32 v0, 0, v0
	v_fma_f32 v43, v46, v50, -v43
	v_add_f32_e32 v0, v0, v43
	v_mul_f32_e32 v43, v53, v57
	v_fma_f32 v43, v52, v56, -v43
	v_add_f32_e32 v0, v0, v43
	v_mul_f32_e32 v43, v55, v59
	;; [unrolled: 3-line block ×7, first 2 shown]
	v_fma_f32 v43, v76, v80, -v43
	v_mul_f32_e32 v105, v78, v83
	v_add_f32_e32 v0, v0, v43
	v_mul_f32_e32 v43, v79, v83
	s_waitcnt vmcnt(4)
	v_mov_b32_e32 v58, v91
	v_fmac_f32_e32 v105, v79, v82
	s_waitcnt lgkmcnt(0)
	v_mul_f32_e32 v107, v84, v89
	v_fma_f32 v104, v78, v82, -v43
	v_mul_f32_e32 v43, v85, v89
	ds_read2_b64 v[44:47], v42 offset0:33 offset1:34
	ds_read2_b64 v[48:51], v42 offset0:35 offset1:36
	;; [unrolled: 1-line block ×3, first 2 shown]
	ds_read_b64 v[56:57], v42 offset:312
	v_pk_mul_f32 v[58:59], v[86:87], v[58:59] op_sel:[1,0] op_sel_hi:[0,0]
	v_fmac_f32_e32 v107, v85, v88
	v_fma_f32 v106, v84, v88, -v43
	v_pk_add_f32 v[0:1], v[0:1], v[104:105]
	v_pk_fma_f32 v[60:61], v[86:87], v[90:91], v[58:59] neg_lo:[0,0,1] neg_hi:[0,0,1]
	v_pk_fma_f32 v[58:59], v[86:87], v[90:91], v[58:59] op_sel_hi:[1,0,1]
	v_pk_add_f32 v[0:1], v[0:1], v[106:107]
	v_mov_b32_e32 v61, v59
	s_waitcnt vmcnt(3) lgkmcnt(3)
	v_pk_mul_f32 v[58:59], v[44:45], v[92:93] op_sel:[1,1] op_sel_hi:[0,1]
	v_pk_add_f32 v[0:1], v[0:1], v[60:61]
	v_pk_fma_f32 v[60:61], v[44:45], v[92:93], v[58:59] neg_lo:[0,0,1] neg_hi:[0,0,1]
	v_pk_fma_f32 v[44:45], v[44:45], v[92:93], v[58:59] op_sel_hi:[1,0,1]
	s_nop 0
	v_mov_b32_e32 v44, v95
	v_mov_b32_e32 v61, v45
	v_pk_mul_f32 v[44:45], v[46:47], v[44:45] op_sel:[1,0] op_sel_hi:[0,0]
	v_pk_fma_f32 v[58:59], v[46:47], v[94:95], v[44:45] neg_lo:[0,0,1] neg_hi:[0,0,1]
	v_pk_fma_f32 v[44:45], v[46:47], v[94:95], v[44:45] op_sel_hi:[1,0,1]
	v_pk_add_f32 v[0:1], v[0:1], v[60:61]
	v_mov_b32_e32 v59, v45
	s_waitcnt vmcnt(2) lgkmcnt(2)
	v_pk_mul_f32 v[44:45], v[48:49], v[96:97] op_sel:[1,1] op_sel_hi:[0,1]
	v_pk_fma_f32 v[46:47], v[48:49], v[96:97], v[44:45] neg_lo:[0,0,1] neg_hi:[0,0,1]
	v_pk_fma_f32 v[44:45], v[48:49], v[96:97], v[44:45] op_sel_hi:[1,0,1]
	v_pk_add_f32 v[0:1], v[0:1], v[58:59]
	v_mov_b32_e32 v44, v99
	v_mov_b32_e32 v47, v45
	v_pk_mul_f32 v[44:45], v[50:51], v[44:45] op_sel:[1,0] op_sel_hi:[0,0]
	v_pk_add_f32 v[0:1], v[0:1], v[46:47]
	v_pk_fma_f32 v[46:47], v[50:51], v[98:99], v[44:45] neg_lo:[0,0,1] neg_hi:[0,0,1]
	v_pk_fma_f32 v[44:45], v[50:51], v[98:99], v[44:45] op_sel_hi:[1,0,1]
	s_nop 0
	v_mov_b32_e32 v47, v45
	s_waitcnt vmcnt(1) lgkmcnt(1)
	v_pk_mul_f32 v[44:45], v[52:53], v[100:101] op_sel:[1,1] op_sel_hi:[0,1]
	v_pk_add_f32 v[0:1], v[0:1], v[46:47]
	v_pk_fma_f32 v[46:47], v[52:53], v[100:101], v[44:45] neg_lo:[0,0,1] neg_hi:[0,0,1]
	v_pk_fma_f32 v[44:45], v[52:53], v[100:101], v[44:45] op_sel_hi:[1,0,1]
	s_nop 0
	v_mov_b32_e32 v44, v103
	v_mov_b32_e32 v47, v45
	v_pk_mul_f32 v[44:45], v[54:55], v[44:45] op_sel:[1,0] op_sel_hi:[0,0]
	v_pk_add_f32 v[0:1], v[0:1], v[46:47]
	v_pk_fma_f32 v[46:47], v[54:55], v[102:103], v[44:45] neg_lo:[0,0,1] neg_hi:[0,0,1]
	v_pk_fma_f32 v[44:45], v[54:55], v[102:103], v[44:45] op_sel_hi:[1,0,1]
	s_nop 0
	v_mov_b32_e32 v47, v45
	s_waitcnt vmcnt(0) lgkmcnt(0)
	v_pk_mul_f32 v[44:45], v[56:57], v[108:109] op_sel:[1,1] op_sel_hi:[0,1]
	v_pk_add_f32 v[0:1], v[0:1], v[46:47]
	v_pk_fma_f32 v[46:47], v[56:57], v[108:109], v[44:45] neg_lo:[0,0,1] neg_hi:[0,0,1]
	v_pk_fma_f32 v[44:45], v[56:57], v[108:109], v[44:45] op_sel_hi:[1,0,1]
	s_nop 0
	v_mov_b32_e32 v47, v45
	scratch_load_dwordx2 v[44:45], off, off
	v_pk_add_f32 v[0:1], v[0:1], v[46:47]
	s_waitcnt vmcnt(0)
	v_pk_add_f32 v[0:1], v[44:45], v[0:1] neg_lo:[0,1] neg_hi:[0,1]
	scratch_store_dwordx2 off, v[0:1], off
	s_cbranch_vccz .LBB83_172
; %bb.134:
	global_load_dword v0, v42, s[8:9] offset:72
	s_waitcnt vmcnt(0)
	v_readfirstlane_b32 s0, v0
	s_add_i32 s0, s0, -1
	s_cmp_lg_u32 s0, 18
	s_cbranch_scc0 .LBB83_136
; %bb.135:
	s_lshl_b32 s0, s0, 3
	s_nop 0
	scratch_load_dwordx2 v[0:1], off, s0
	scratch_load_dwordx2 v[42:43], off, off offset:144
	s_waitcnt vmcnt(1)
	scratch_store_dwordx2 off, v[0:1], off offset:144
	s_waitcnt vmcnt(1)
	scratch_store_dwordx2 off, v[42:43], s0
.LBB83_136:
	v_mov_b32_e32 v0, 0
	global_load_dword v1, v0, s[8:9] offset:68
	s_waitcnt vmcnt(0)
	v_readfirstlane_b32 s0, v1
	s_add_i32 s0, s0, -1
	s_cmp_eq_u32 s0, 17
	s_cbranch_scc1 .LBB83_138
; %bb.137:
	s_lshl_b32 s0, s0, 3
	s_nop 0
	scratch_load_dwordx2 v[42:43], off, s0
	scratch_load_dwordx2 v[44:45], off, off offset:136
	s_waitcnt vmcnt(1)
	scratch_store_dwordx2 off, v[42:43], off offset:136
	s_waitcnt vmcnt(1)
	scratch_store_dwordx2 off, v[44:45], s0
.LBB83_138:
	global_load_dword v0, v0, s[8:9] offset:64
	s_waitcnt vmcnt(0)
	v_readfirstlane_b32 s0, v0
	s_add_i32 s0, s0, -1
	s_cmp_eq_u32 s0, 16
	s_cbranch_scc1 .LBB83_140
; %bb.139:
	s_lshl_b32 s0, s0, 3
	s_nop 0
	scratch_load_dwordx2 v[0:1], off, s0
	scratch_load_dwordx2 v[42:43], off, off offset:128
	s_waitcnt vmcnt(1)
	scratch_store_dwordx2 off, v[0:1], off offset:128
	s_waitcnt vmcnt(1)
	scratch_store_dwordx2 off, v[42:43], s0
.LBB83_140:
	v_mov_b32_e32 v0, 0
	global_load_dword v1, v0, s[8:9] offset:60
	s_waitcnt vmcnt(0)
	v_readfirstlane_b32 s0, v1
	s_add_i32 s0, s0, -1
	s_cmp_eq_u32 s0, 15
	s_cbranch_scc1 .LBB83_142
; %bb.141:
	s_lshl_b32 s0, s0, 3
	s_nop 0
	scratch_load_dwordx2 v[42:43], off, s0
	scratch_load_dwordx2 v[44:45], off, off offset:120
	s_waitcnt vmcnt(1)
	scratch_store_dwordx2 off, v[42:43], off offset:120
	s_waitcnt vmcnt(1)
	scratch_store_dwordx2 off, v[44:45], s0
.LBB83_142:
	global_load_dword v0, v0, s[8:9] offset:56
	s_waitcnt vmcnt(0)
	v_readfirstlane_b32 s0, v0
	s_add_i32 s0, s0, -1
	s_cmp_eq_u32 s0, 14
	s_cbranch_scc1 .LBB83_144
; %bb.143:
	s_lshl_b32 s0, s0, 3
	s_nop 0
	scratch_load_dwordx2 v[0:1], off, s0
	scratch_load_dwordx2 v[42:43], off, off offset:112
	s_waitcnt vmcnt(1)
	scratch_store_dwordx2 off, v[0:1], off offset:112
	s_waitcnt vmcnt(1)
	scratch_store_dwordx2 off, v[42:43], s0
.LBB83_144:
	;; [unrolled: 33-line block ×8, first 2 shown]
	v_mov_b32_e32 v0, 0
	global_load_dword v1, v0, s[8:9] offset:4
	s_waitcnt vmcnt(0)
	v_readfirstlane_b32 s0, v1
	s_add_i32 s0, s0, -1
	s_cmp_eq_u32 s0, 1
	s_cbranch_scc1 .LBB83_170
; %bb.169:
	s_lshl_b32 s0, s0, 3
	s_nop 0
	scratch_load_dwordx2 v[42:43], off, s0
	scratch_load_dwordx2 v[44:45], off, off offset:8
	s_waitcnt vmcnt(1)
	scratch_store_dwordx2 off, v[42:43], off offset:8
	s_waitcnt vmcnt(1)
	scratch_store_dwordx2 off, v[44:45], s0
.LBB83_170:
	global_load_dword v42, v0, s[8:9]
	s_nop 0
	scratch_load_dwordx2 v[0:1], off, off
	s_waitcnt vmcnt(1)
	v_readfirstlane_b32 s0, v42
	s_add_i32 s0, s0, -1
	s_cmp_eq_u32 s0, 0
	s_cbranch_scc1 .LBB83_172
; %bb.171:
	s_lshl_b32 s0, s0, 3
	s_nop 0
	scratch_load_dwordx2 v[42:43], off, s0
	s_waitcnt vmcnt(0)
	scratch_store_dwordx2 off, v[42:43], off
	scratch_store_dwordx2 off, v[0:1], s0
	scratch_load_dwordx2 v[0:1], off, off
.LBB83_172:
	s_waitcnt vmcnt(0)
	flat_store_dwordx2 v[2:3], v[0:1]
	scratch_load_dwordx2 v[0:1], off, off offset:8
	s_waitcnt vmcnt(0)
	flat_store_dwordx2 v[4:5], v[0:1]
	scratch_load_dwordx2 v[0:1], off, off offset:16
	;; [unrolled: 3-line block ×19, first 2 shown]
	s_waitcnt vmcnt(0)
	flat_store_dwordx2 v[40:41], v[0:1]
	s_endpgm
	.section	.rodata,"a",@progbits
	.p2align	6, 0x0
	.amdhsa_kernel _ZN9rocsolver6v33100L18getri_kernel_smallILi20E19rocblas_complex_numIfEPKPS3_EEvT1_iilPiilS8_bb
		.amdhsa_group_segment_fixed_size 324
		.amdhsa_private_segment_fixed_size 176
		.amdhsa_kernarg_size 60
		.amdhsa_user_sgpr_count 2
		.amdhsa_user_sgpr_dispatch_ptr 0
		.amdhsa_user_sgpr_queue_ptr 0
		.amdhsa_user_sgpr_kernarg_segment_ptr 1
		.amdhsa_user_sgpr_dispatch_id 0
		.amdhsa_user_sgpr_kernarg_preload_length 0
		.amdhsa_user_sgpr_kernarg_preload_offset 0
		.amdhsa_user_sgpr_private_segment_size 0
		.amdhsa_uses_dynamic_stack 0
		.amdhsa_enable_private_segment 1
		.amdhsa_system_sgpr_workgroup_id_x 1
		.amdhsa_system_sgpr_workgroup_id_y 0
		.amdhsa_system_sgpr_workgroup_id_z 0
		.amdhsa_system_sgpr_workgroup_info 0
		.amdhsa_system_vgpr_workitem_id 0
		.amdhsa_next_free_vgpr 130
		.amdhsa_next_free_sgpr 17
		.amdhsa_accum_offset 132
		.amdhsa_reserve_vcc 1
		.amdhsa_float_round_mode_32 0
		.amdhsa_float_round_mode_16_64 0
		.amdhsa_float_denorm_mode_32 3
		.amdhsa_float_denorm_mode_16_64 3
		.amdhsa_dx10_clamp 1
		.amdhsa_ieee_mode 1
		.amdhsa_fp16_overflow 0
		.amdhsa_tg_split 0
		.amdhsa_exception_fp_ieee_invalid_op 0
		.amdhsa_exception_fp_denorm_src 0
		.amdhsa_exception_fp_ieee_div_zero 0
		.amdhsa_exception_fp_ieee_overflow 0
		.amdhsa_exception_fp_ieee_underflow 0
		.amdhsa_exception_fp_ieee_inexact 0
		.amdhsa_exception_int_div_zero 0
	.end_amdhsa_kernel
	.section	.text._ZN9rocsolver6v33100L18getri_kernel_smallILi20E19rocblas_complex_numIfEPKPS3_EEvT1_iilPiilS8_bb,"axG",@progbits,_ZN9rocsolver6v33100L18getri_kernel_smallILi20E19rocblas_complex_numIfEPKPS3_EEvT1_iilPiilS8_bb,comdat
.Lfunc_end83:
	.size	_ZN9rocsolver6v33100L18getri_kernel_smallILi20E19rocblas_complex_numIfEPKPS3_EEvT1_iilPiilS8_bb, .Lfunc_end83-_ZN9rocsolver6v33100L18getri_kernel_smallILi20E19rocblas_complex_numIfEPKPS3_EEvT1_iilPiilS8_bb
                                        ; -- End function
	.set _ZN9rocsolver6v33100L18getri_kernel_smallILi20E19rocblas_complex_numIfEPKPS3_EEvT1_iilPiilS8_bb.num_vgpr, 130
	.set _ZN9rocsolver6v33100L18getri_kernel_smallILi20E19rocblas_complex_numIfEPKPS3_EEvT1_iilPiilS8_bb.num_agpr, 0
	.set _ZN9rocsolver6v33100L18getri_kernel_smallILi20E19rocblas_complex_numIfEPKPS3_EEvT1_iilPiilS8_bb.numbered_sgpr, 17
	.set _ZN9rocsolver6v33100L18getri_kernel_smallILi20E19rocblas_complex_numIfEPKPS3_EEvT1_iilPiilS8_bb.num_named_barrier, 0
	.set _ZN9rocsolver6v33100L18getri_kernel_smallILi20E19rocblas_complex_numIfEPKPS3_EEvT1_iilPiilS8_bb.private_seg_size, 176
	.set _ZN9rocsolver6v33100L18getri_kernel_smallILi20E19rocblas_complex_numIfEPKPS3_EEvT1_iilPiilS8_bb.uses_vcc, 1
	.set _ZN9rocsolver6v33100L18getri_kernel_smallILi20E19rocblas_complex_numIfEPKPS3_EEvT1_iilPiilS8_bb.uses_flat_scratch, 0
	.set _ZN9rocsolver6v33100L18getri_kernel_smallILi20E19rocblas_complex_numIfEPKPS3_EEvT1_iilPiilS8_bb.has_dyn_sized_stack, 0
	.set _ZN9rocsolver6v33100L18getri_kernel_smallILi20E19rocblas_complex_numIfEPKPS3_EEvT1_iilPiilS8_bb.has_recursion, 0
	.set _ZN9rocsolver6v33100L18getri_kernel_smallILi20E19rocblas_complex_numIfEPKPS3_EEvT1_iilPiilS8_bb.has_indirect_call, 0
	.section	.AMDGPU.csdata,"",@progbits
; Kernel info:
; codeLenInByte = 17816
; TotalNumSgprs: 23
; NumVgprs: 130
; NumAgprs: 0
; TotalNumVgprs: 130
; ScratchSize: 176
; MemoryBound: 0
; FloatMode: 240
; IeeeMode: 1
; LDSByteSize: 324 bytes/workgroup (compile time only)
; SGPRBlocks: 2
; VGPRBlocks: 16
; NumSGPRsForWavesPerEU: 23
; NumVGPRsForWavesPerEU: 130
; AccumOffset: 132
; Occupancy: 3
; WaveLimiterHint : 1
; COMPUTE_PGM_RSRC2:SCRATCH_EN: 1
; COMPUTE_PGM_RSRC2:USER_SGPR: 2
; COMPUTE_PGM_RSRC2:TRAP_HANDLER: 0
; COMPUTE_PGM_RSRC2:TGID_X_EN: 1
; COMPUTE_PGM_RSRC2:TGID_Y_EN: 0
; COMPUTE_PGM_RSRC2:TGID_Z_EN: 0
; COMPUTE_PGM_RSRC2:TIDIG_COMP_CNT: 0
; COMPUTE_PGM_RSRC3_GFX90A:ACCUM_OFFSET: 32
; COMPUTE_PGM_RSRC3_GFX90A:TG_SPLIT: 0
	.section	.text._ZN9rocsolver6v33100L18getri_kernel_smallILi21E19rocblas_complex_numIfEPKPS3_EEvT1_iilPiilS8_bb,"axG",@progbits,_ZN9rocsolver6v33100L18getri_kernel_smallILi21E19rocblas_complex_numIfEPKPS3_EEvT1_iilPiilS8_bb,comdat
	.globl	_ZN9rocsolver6v33100L18getri_kernel_smallILi21E19rocblas_complex_numIfEPKPS3_EEvT1_iilPiilS8_bb ; -- Begin function _ZN9rocsolver6v33100L18getri_kernel_smallILi21E19rocblas_complex_numIfEPKPS3_EEvT1_iilPiilS8_bb
	.p2align	8
	.type	_ZN9rocsolver6v33100L18getri_kernel_smallILi21E19rocblas_complex_numIfEPKPS3_EEvT1_iilPiilS8_bb,@function
_ZN9rocsolver6v33100L18getri_kernel_smallILi21E19rocblas_complex_numIfEPKPS3_EEvT1_iilPiilS8_bb: ; @_ZN9rocsolver6v33100L18getri_kernel_smallILi21E19rocblas_complex_numIfEPKPS3_EEvT1_iilPiilS8_bb
; %bb.0:
	v_cmp_gt_u32_e32 vcc, 21, v0
	s_and_saveexec_b64 s[4:5], vcc
	s_cbranch_execz .LBB84_98
; %bb.1:
	s_load_dword s14, s[0:1], 0x38
	s_load_dwordx2 s[8:9], s[0:1], 0x0
	s_load_dwordx4 s[4:7], s[0:1], 0x28
	s_waitcnt lgkmcnt(0)
	s_bitcmp1_b32 s14, 8
	s_cselect_b64 s[10:11], -1, 0
	s_ashr_i32 s3, s2, 31
	s_lshl_b64 s[12:13], s[2:3], 3
	s_add_u32 s8, s8, s12
	s_addc_u32 s9, s9, s13
	s_load_dwordx2 s[12:13], s[8:9], 0x0
	s_bfe_u32 s8, s14, 0x10008
	s_cmp_eq_u32 s8, 0
                                        ; implicit-def: $sgpr8_sgpr9
	s_cbranch_scc1 .LBB84_3
; %bb.2:
	s_load_dword s8, s[0:1], 0x20
	s_load_dwordx2 s[14:15], s[0:1], 0x18
	s_mul_i32 s9, s4, s3
	s_mul_hi_u32 s16, s4, s2
	s_add_i32 s16, s16, s9
	s_mul_i32 s5, s5, s2
	s_add_i32 s5, s16, s5
	s_mul_i32 s4, s4, s2
	s_waitcnt lgkmcnt(0)
	s_ashr_i32 s9, s8, 31
	s_lshl_b64 s[4:5], s[4:5], 2
	s_add_u32 s14, s14, s4
	s_addc_u32 s15, s15, s5
	s_lshl_b64 s[4:5], s[8:9], 2
	s_add_u32 s8, s14, s4
	s_addc_u32 s9, s15, s5
.LBB84_3:
	s_load_dwordx2 s[4:5], s[0:1], 0x8
	s_load_dword s14, s[0:1], 0x38
	v_lshlrev_b32_e32 v44, 3, v0
	v_mov_b32_e32 v45, 0
	s_waitcnt lgkmcnt(0)
	s_ashr_i32 s1, s4, 31
	s_mov_b32 s0, s4
	s_lshl_b64 s[0:1], s[0:1], 3
	s_add_u32 s0, s12, s0
	s_addc_u32 s1, s13, s1
	v_lshl_add_u64 v[2:3], s[0:1], 0, v[44:45]
	flat_load_dwordx2 v[6:7], v[2:3]
	s_mov_b32 s12, s5
	s_ashr_i32 s13, s5, 31
	v_lshl_add_u64 v[4:5], s[12:13], 3, v[2:3]
	s_add_i32 s4, s5, s5
	v_add_u32_e32 v10, s4, v0
	v_ashrrev_i32_e32 v11, 31, v10
	s_bitcmp0_b32 s14, 0
	s_waitcnt vmcnt(0) lgkmcnt(0)
	scratch_store_dwordx2 off, v[6:7], off
	flat_load_dwordx2 v[8:9], v[4:5]
	v_lshl_add_u64 v[6:7], v[10:11], 3, s[0:1]
	v_add_u32_e32 v10, s5, v10
	v_ashrrev_i32_e32 v11, 31, v10
	v_add_u32_e32 v14, s5, v10
	v_ashrrev_i32_e32 v15, 31, v14
	s_waitcnt vmcnt(0) lgkmcnt(0)
	scratch_store_dwordx2 off, v[8:9], off offset:8
	flat_load_dwordx2 v[12:13], v[6:7]
	v_lshl_add_u64 v[8:9], v[10:11], 3, s[0:1]
	v_lshl_add_u64 v[10:11], v[14:15], 3, s[0:1]
	v_add_u32_e32 v14, s5, v14
	v_ashrrev_i32_e32 v15, 31, v14
	v_add_u32_e32 v18, s5, v14
	v_ashrrev_i32_e32 v19, 31, v18
	s_waitcnt vmcnt(0) lgkmcnt(0)
	scratch_store_dwordx2 off, v[12:13], off offset:16
	flat_load_dwordx2 v[12:13], v[8:9]
	s_waitcnt vmcnt(0) lgkmcnt(0)
	scratch_store_dwordx2 off, v[12:13], off offset:24
	flat_load_dwordx2 v[16:17], v[10:11]
	v_lshl_add_u64 v[12:13], v[14:15], 3, s[0:1]
	v_lshl_add_u64 v[14:15], v[18:19], 3, s[0:1]
	v_add_u32_e32 v18, s5, v18
	v_ashrrev_i32_e32 v19, 31, v18
	v_add_u32_e32 v22, s5, v18
	v_ashrrev_i32_e32 v23, 31, v22
	s_waitcnt vmcnt(0) lgkmcnt(0)
	scratch_store_dwordx2 off, v[16:17], off offset:32
	flat_load_dwordx2 v[16:17], v[12:13]
	;; [unrolled: 12-line block ×7, first 2 shown]
	s_waitcnt vmcnt(0) lgkmcnt(0)
	scratch_store_dwordx2 off, v[36:37], off offset:120
	flat_load_dwordx2 v[40:41], v[34:35]
	v_lshl_add_u64 v[36:37], v[38:39], 3, s[0:1]
	v_lshl_add_u64 v[38:39], v[42:43], 3, s[0:1]
	v_add_u32_e32 v42, s5, v42
	v_ashrrev_i32_e32 v43, 31, v42
	s_waitcnt vmcnt(0) lgkmcnt(0)
	scratch_store_dwordx2 off, v[40:41], off offset:128
	flat_load_dwordx2 v[40:41], v[36:37]
	s_waitcnt vmcnt(0) lgkmcnt(0)
	scratch_store_dwordx2 off, v[40:41], off offset:136
	flat_load_dwordx2 v[46:47], v[38:39]
	v_lshl_add_u64 v[40:41], v[42:43], 3, s[0:1]
	v_add_u32_e32 v42, s5, v42
	v_ashrrev_i32_e32 v43, 31, v42
	v_lshl_add_u64 v[42:43], v[42:43], 3, s[0:1]
	s_mov_b64 s[4:5], -1
	s_waitcnt vmcnt(0) lgkmcnt(0)
	scratch_store_dwordx2 off, v[46:47], off offset:144
	flat_load_dwordx2 v[46:47], v[40:41]
	s_waitcnt vmcnt(0) lgkmcnt(0)
	scratch_store_dwordx2 off, v[46:47], off offset:152
	flat_load_dwordx2 v[46:47], v[42:43]
	s_waitcnt vmcnt(0) lgkmcnt(0)
	scratch_store_dwordx2 off, v[46:47], off offset:160
	s_cbranch_scc1 .LBB84_96
; %bb.4:
	v_cmp_eq_u32_e64 s[0:1], 0, v0
	s_and_saveexec_b64 s[4:5], s[0:1]
; %bb.5:
	v_mov_b32_e32 v1, 0
	ds_write_b32 v1, v1 offset:168
; %bb.6:
	s_or_b64 exec, exec, s[4:5]
	s_waitcnt lgkmcnt(0)
	; wave barrier
	scratch_load_dwordx2 v[46:47], v44, off
	s_waitcnt vmcnt(0)
	v_cmp_eq_f32_e32 vcc, 0, v46
	v_cmp_eq_f32_e64 s[4:5], 0, v47
	s_and_b64 s[4:5], vcc, s[4:5]
	s_and_saveexec_b64 s[12:13], s[4:5]
	s_cbranch_execz .LBB84_10
; %bb.7:
	v_mov_b32_e32 v1, 0
	ds_read_b32 v46, v1 offset:168
	v_add_u32_e32 v45, 1, v0
	s_waitcnt lgkmcnt(0)
	v_readfirstlane_b32 s4, v46
	s_cmp_eq_u32 s4, 0
	s_cselect_b64 s[14:15], -1, 0
	v_cmp_gt_i32_e32 vcc, s4, v45
	s_or_b64 s[14:15], s[14:15], vcc
	s_and_b64 exec, exec, s[14:15]
	s_cbranch_execz .LBB84_10
; %bb.8:
	s_mov_b64 s[14:15], 0
	v_mov_b32_e32 v46, s4
.LBB84_9:                               ; =>This Inner Loop Header: Depth=1
	ds_cmpst_rtn_b32 v46, v1, v46, v45 offset:168
	s_waitcnt lgkmcnt(0)
	v_cmp_ne_u32_e32 vcc, 0, v46
	v_cmp_le_i32_e64 s[4:5], v46, v45
	s_and_b64 s[4:5], vcc, s[4:5]
	s_and_b64 s[4:5], exec, s[4:5]
	s_or_b64 s[14:15], s[4:5], s[14:15]
	s_andn2_b64 exec, exec, s[14:15]
	s_cbranch_execnz .LBB84_9
.LBB84_10:
	s_or_b64 exec, exec, s[12:13]
	v_mov_b32_e32 v45, 0
	; wave barrier
	ds_read_b32 v1, v45 offset:168
	s_and_saveexec_b64 s[4:5], s[0:1]
	s_cbranch_execz .LBB84_12
; %bb.11:
	s_lshl_b64 s[12:13], s[2:3], 2
	s_add_u32 s12, s6, s12
	s_addc_u32 s13, s7, s13
	s_waitcnt lgkmcnt(0)
	global_store_dword v45, v1, s[12:13]
.LBB84_12:
	s_or_b64 exec, exec, s[4:5]
	s_waitcnt lgkmcnt(0)
	v_cmp_ne_u32_e32 vcc, 0, v1
	s_mov_b64 s[4:5], 0
	s_cbranch_vccnz .LBB84_96
; %bb.13:
	v_mov_b32_e32 v45, v44
	scratch_load_dwordx2 v[46:47], v45, off
                                        ; implicit-def: $vgpr49
                                        ; implicit-def: $vgpr50
	s_waitcnt vmcnt(0)
	v_cmp_ngt_f32_e64 s[4:5], |v46|, |v47|
	s_and_saveexec_b64 s[12:13], s[4:5]
	s_xor_b64 s[4:5], exec, s[12:13]
	s_cbranch_execz .LBB84_15
; %bb.14:
	v_div_scale_f32 v1, s[12:13], v47, v47, v46
	v_rcp_f32_e32 v48, v1
	v_div_scale_f32 v49, vcc, v46, v47, v46
	v_fma_f32 v50, -v1, v48, 1.0
	v_fmac_f32_e32 v48, v50, v48
	v_mul_f32_e32 v50, v49, v48
	v_fma_f32 v51, -v1, v50, v49
	v_fmac_f32_e32 v50, v51, v48
	v_fma_f32 v1, -v1, v50, v49
	v_div_fmas_f32 v1, v1, v48, v50
	v_div_fixup_f32 v1, v1, v47, v46
	v_fmac_f32_e32 v47, v46, v1
	v_div_scale_f32 v46, s[12:13], v47, v47, -1.0
	v_rcp_f32_e32 v48, v46
	s_nop 0
	v_fma_f32 v49, -v46, v48, 1.0
	v_fmac_f32_e32 v48, v49, v48
	v_div_scale_f32 v49, vcc, -1.0, v47, -1.0
	v_mul_f32_e32 v50, v49, v48
	v_fma_f32 v51, -v46, v50, v49
	v_fmac_f32_e32 v50, v51, v48
	v_fma_f32 v46, -v46, v50, v49
	v_div_fmas_f32 v46, v46, v48, v50
	v_div_fixup_f32 v49, v46, v47, -1.0
	v_mul_f32_e32 v50, v1, v49
	v_xor_b32_e32 v48, 0x80000000, v50
                                        ; implicit-def: $vgpr46_vgpr47
.LBB84_15:
	s_andn2_saveexec_b64 s[4:5], s[4:5]
	s_cbranch_execz .LBB84_17
; %bb.16:
	v_div_scale_f32 v1, s[12:13], v46, v46, v47
	v_rcp_f32_e32 v48, v1
	v_div_scale_f32 v49, vcc, v47, v46, v47
	v_fma_f32 v50, -v1, v48, 1.0
	v_fmac_f32_e32 v48, v50, v48
	v_mul_f32_e32 v50, v49, v48
	v_fma_f32 v51, -v1, v50, v49
	v_fmac_f32_e32 v50, v51, v48
	v_fma_f32 v1, -v1, v50, v49
	v_div_fmas_f32 v1, v1, v48, v50
	v_div_fixup_f32 v1, v1, v46, v47
	v_fmac_f32_e32 v46, v47, v1
	v_div_scale_f32 v47, s[12:13], v46, v46, 1.0
	v_rcp_f32_e32 v48, v47
	s_nop 0
	v_fma_f32 v49, -v47, v48, 1.0
	v_fmac_f32_e32 v48, v49, v48
	v_div_scale_f32 v49, vcc, 1.0, v46, 1.0
	v_mul_f32_e32 v50, v49, v48
	v_fma_f32 v51, -v47, v50, v49
	v_fmac_f32_e32 v50, v51, v48
	v_fma_f32 v47, -v47, v50, v49
	v_div_fmas_f32 v47, v47, v48, v50
	v_div_fixup_f32 v48, v47, v46, 1.0
	v_xor_b32_e32 v50, 0x80000000, v48
	v_mul_f32_e64 v49, v1, -v48
.LBB84_17:
	s_or_b64 exec, exec, s[4:5]
	scratch_store_dwordx2 v45, v[48:49], off
	scratch_load_dwordx2 v[46:47], off, off offset:8
	v_xor_b32_e32 v51, 0x80000000, v49
	v_add_u32_e32 v1, 0xb0, v44
	s_waitcnt vmcnt(0)
	ds_write2_b64 v44, v[50:51], v[46:47] offset1:22
	s_waitcnt lgkmcnt(0)
	; wave barrier
	s_and_saveexec_b64 s[4:5], s[0:1]
	s_cbranch_execz .LBB84_19
; %bb.18:
	scratch_load_dwordx2 v[46:47], v45, off
	ds_read_b64 v[48:49], v1
	v_mov_b32_e32 v50, 0
	ds_read_b64 v[50:51], v50 offset:8
	s_waitcnt vmcnt(0) lgkmcnt(1)
	v_pk_mul_f32 v[52:53], v[48:49], v[46:47] op_sel:[1,1] op_sel_hi:[0,1]
	v_pk_fma_f32 v[54:55], v[48:49], v[46:47], v[52:53] neg_lo:[0,0,1] neg_hi:[0,0,1]
	v_pk_fma_f32 v[46:47], v[48:49], v[46:47], v[52:53] op_sel_hi:[1,0,1]
	s_nop 0
	v_mov_b32_e32 v55, v47
	v_pk_add_f32 v[46:47], v[54:55], 0 op_sel_hi:[1,0]
	s_waitcnt lgkmcnt(0)
	v_pk_mul_f32 v[48:49], v[46:47], v[50:51] op_sel:[1,1] op_sel_hi:[0,1]
	v_pk_fma_f32 v[52:53], v[46:47], v[50:51], v[48:49] neg_lo:[0,0,1] neg_hi:[0,0,1]
	v_pk_fma_f32 v[46:47], v[46:47], v[50:51], v[48:49] op_sel_hi:[1,0,1]
	s_nop 0
	v_mov_b32_e32 v53, v47
	scratch_store_dwordx2 off, v[52:53], off offset:8
.LBB84_19:
	s_or_b64 exec, exec, s[4:5]
	; wave barrier
	scratch_load_dwordx2 v[46:47], off, off offset:16
	v_cmp_gt_u32_e32 vcc, 2, v0
	s_waitcnt vmcnt(0)
	ds_write_b64 v1, v[46:47]
	s_waitcnt lgkmcnt(0)
	; wave barrier
	s_and_saveexec_b64 s[4:5], vcc
	s_cbranch_execz .LBB84_23
; %bb.20:
	scratch_load_dwordx2 v[46:47], v45, off
	ds_read_b64 v[48:49], v1
	s_waitcnt vmcnt(0) lgkmcnt(0)
	v_pk_mul_f32 v[50:51], v[48:49], v[46:47] op_sel:[1,1] op_sel_hi:[0,1]
	v_pk_fma_f32 v[52:53], v[48:49], v[46:47], v[50:51] neg_lo:[0,0,1] neg_hi:[0,0,1]
	v_pk_fma_f32 v[46:47], v[48:49], v[46:47], v[50:51] op_sel_hi:[1,0,1]
	s_nop 0
	v_mov_b32_e32 v53, v47
	v_pk_add_f32 v[46:47], v[52:53], 0 op_sel_hi:[1,0]
	s_and_saveexec_b64 s[12:13], s[0:1]
	s_cbranch_execz .LBB84_22
; %bb.21:
	scratch_load_dwordx2 v[48:49], off, off offset:8
	v_mov_b32_e32 v45, 0
	ds_read_b64 v[50:51], v45 offset:184
	s_waitcnt vmcnt(0) lgkmcnt(0)
	v_pk_mul_f32 v[52:53], v[50:51], v[48:49] op_sel:[1,1] op_sel_hi:[0,1]
	v_pk_fma_f32 v[54:55], v[50:51], v[48:49], v[52:53] neg_lo:[0,0,1] neg_hi:[0,0,1]
	v_pk_fma_f32 v[48:49], v[50:51], v[48:49], v[52:53] op_sel_hi:[1,0,1]
	s_nop 0
	v_mov_b32_e32 v55, v49
	v_pk_add_f32 v[46:47], v[46:47], v[54:55]
.LBB84_22:
	s_or_b64 exec, exec, s[12:13]
	v_mov_b32_e32 v45, 0
	ds_read_b64 v[48:49], v45 offset:16
	s_waitcnt lgkmcnt(0)
	v_pk_mul_f32 v[50:51], v[46:47], v[48:49] op_sel:[1,1] op_sel_hi:[0,1]
	v_pk_fma_f32 v[52:53], v[46:47], v[48:49], v[50:51] neg_lo:[0,0,1] neg_hi:[0,0,1]
	v_pk_fma_f32 v[46:47], v[46:47], v[48:49], v[50:51] op_sel_hi:[1,0,1]
	s_nop 0
	v_mov_b32_e32 v53, v47
	scratch_store_dwordx2 off, v[52:53], off offset:16
.LBB84_23:
	s_or_b64 exec, exec, s[4:5]
	; wave barrier
	scratch_load_dwordx2 v[46:47], off, off offset:24
	v_cmp_gt_u32_e32 vcc, 3, v0
	v_add_u32_e32 v48, -1, v0
	s_waitcnt vmcnt(0)
	ds_write_b64 v1, v[46:47]
	s_waitcnt lgkmcnt(0)
	; wave barrier
	s_and_saveexec_b64 s[0:1], vcc
	s_cbranch_execz .LBB84_27
; %bb.24:
	v_mov_b32_e32 v46, 0
	v_add_u32_e32 v45, -1, v0
	v_add_u32_e32 v49, 0xb0, v44
	v_mov_b32_e32 v50, v44
	s_mov_b64 s[4:5], 0
	v_mov_b32_e32 v47, v46
.LBB84_25:                              ; =>This Inner Loop Header: Depth=1
	scratch_load_dwordx2 v[52:53], v50, off
	ds_read_b64 v[54:55], v49
	v_add_u32_e32 v45, 1, v45
	v_cmp_lt_u32_e32 vcc, 1, v45
	v_add_u32_e32 v49, 8, v49
	v_add_u32_e32 v50, 8, v50
	s_or_b64 s[4:5], vcc, s[4:5]
	s_waitcnt vmcnt(0) lgkmcnt(0)
	v_pk_mul_f32 v[56:57], v[54:55], v[52:53] op_sel:[1,1] op_sel_hi:[0,1]
	v_pk_fma_f32 v[58:59], v[54:55], v[52:53], v[56:57] neg_lo:[0,0,1] neg_hi:[0,0,1]
	v_pk_fma_f32 v[52:53], v[54:55], v[52:53], v[56:57] op_sel_hi:[1,0,1]
	s_nop 0
	v_mov_b32_e32 v59, v53
	v_pk_add_f32 v[46:47], v[46:47], v[58:59]
	s_andn2_b64 exec, exec, s[4:5]
	s_cbranch_execnz .LBB84_25
; %bb.26:
	s_or_b64 exec, exec, s[4:5]
	v_mov_b32_e32 v45, 0
	ds_read_b64 v[50:51], v45 offset:24
	s_waitcnt lgkmcnt(0)
	v_pk_mul_f32 v[52:53], v[46:47], v[50:51] op_sel:[1,1] op_sel_hi:[0,1]
	v_pk_fma_f32 v[54:55], v[46:47], v[50:51], v[52:53] neg_lo:[0,0,1] neg_hi:[0,0,1]
	v_pk_fma_f32 v[46:47], v[46:47], v[50:51], v[52:53] op_sel_hi:[1,0,1]
	s_nop 0
	v_mov_b32_e32 v55, v47
	scratch_store_dwordx2 off, v[54:55], off offset:24
.LBB84_27:
	s_or_b64 exec, exec, s[0:1]
	; wave barrier
	scratch_load_dwordx2 v[46:47], off, off offset:32
	v_cmp_gt_u32_e32 vcc, 4, v0
	s_waitcnt vmcnt(0)
	ds_write_b64 v1, v[46:47]
	s_waitcnt lgkmcnt(0)
	; wave barrier
	s_and_saveexec_b64 s[0:1], vcc
	s_cbranch_execz .LBB84_31
; %bb.28:
	v_mov_b32_e32 v46, 0
	v_add_u32_e32 v45, -1, v0
	v_add_u32_e32 v49, 0xb0, v44
	v_mov_b32_e32 v50, v44
	s_mov_b64 s[4:5], 0
	v_mov_b32_e32 v47, v46
.LBB84_29:                              ; =>This Inner Loop Header: Depth=1
	scratch_load_dwordx2 v[52:53], v50, off
	ds_read_b64 v[54:55], v49
	v_add_u32_e32 v45, 1, v45
	v_cmp_lt_u32_e32 vcc, 2, v45
	v_add_u32_e32 v49, 8, v49
	v_add_u32_e32 v50, 8, v50
	s_or_b64 s[4:5], vcc, s[4:5]
	s_waitcnt vmcnt(0) lgkmcnt(0)
	v_pk_mul_f32 v[56:57], v[54:55], v[52:53] op_sel:[1,1] op_sel_hi:[0,1]
	v_pk_fma_f32 v[58:59], v[54:55], v[52:53], v[56:57] neg_lo:[0,0,1] neg_hi:[0,0,1]
	v_pk_fma_f32 v[52:53], v[54:55], v[52:53], v[56:57] op_sel_hi:[1,0,1]
	s_nop 0
	v_mov_b32_e32 v59, v53
	v_pk_add_f32 v[46:47], v[46:47], v[58:59]
	s_andn2_b64 exec, exec, s[4:5]
	s_cbranch_execnz .LBB84_29
; %bb.30:
	s_or_b64 exec, exec, s[4:5]
	v_mov_b32_e32 v45, 0
	ds_read_b64 v[50:51], v45 offset:32
	s_waitcnt lgkmcnt(0)
	v_pk_mul_f32 v[52:53], v[46:47], v[50:51] op_sel:[1,1] op_sel_hi:[0,1]
	v_pk_fma_f32 v[54:55], v[46:47], v[50:51], v[52:53] neg_lo:[0,0,1] neg_hi:[0,0,1]
	v_pk_fma_f32 v[46:47], v[46:47], v[50:51], v[52:53] op_sel_hi:[1,0,1]
	s_nop 0
	v_mov_b32_e32 v55, v47
	scratch_store_dwordx2 off, v[54:55], off offset:32
.LBB84_31:
	s_or_b64 exec, exec, s[0:1]
	; wave barrier
	scratch_load_dwordx2 v[46:47], off, off offset:40
	v_cmp_gt_u32_e32 vcc, 5, v0
	;; [unrolled: 46-line block ×16, first 2 shown]
	s_waitcnt vmcnt(0)
	ds_write_b64 v1, v[46:47]
	s_waitcnt lgkmcnt(0)
	; wave barrier
	s_and_saveexec_b64 s[0:1], vcc
	s_cbranch_execz .LBB84_91
; %bb.88:
	v_mov_b32_e32 v46, 0
	v_add_u32_e32 v45, -1, v0
	v_add_u32_e32 v49, 0xb0, v44
	v_mov_b32_e32 v50, v44
	s_mov_b64 s[4:5], 0
	v_mov_b32_e32 v47, v46
.LBB84_89:                              ; =>This Inner Loop Header: Depth=1
	scratch_load_dwordx2 v[52:53], v50, off
	ds_read_b64 v[54:55], v49
	v_add_u32_e32 v45, 1, v45
	v_cmp_lt_u32_e32 vcc, 17, v45
	v_add_u32_e32 v49, 8, v49
	v_add_u32_e32 v50, 8, v50
	s_or_b64 s[4:5], vcc, s[4:5]
	s_waitcnt vmcnt(0) lgkmcnt(0)
	v_pk_mul_f32 v[56:57], v[54:55], v[52:53] op_sel:[1,1] op_sel_hi:[0,1]
	v_pk_fma_f32 v[58:59], v[54:55], v[52:53], v[56:57] neg_lo:[0,0,1] neg_hi:[0,0,1]
	v_pk_fma_f32 v[52:53], v[54:55], v[52:53], v[56:57] op_sel_hi:[1,0,1]
	s_nop 0
	v_mov_b32_e32 v59, v53
	v_pk_add_f32 v[46:47], v[46:47], v[58:59]
	s_andn2_b64 exec, exec, s[4:5]
	s_cbranch_execnz .LBB84_89
; %bb.90:
	s_or_b64 exec, exec, s[4:5]
	v_mov_b32_e32 v45, 0
	ds_read_b64 v[50:51], v45 offset:152
	s_waitcnt lgkmcnt(0)
	v_pk_mul_f32 v[52:53], v[46:47], v[50:51] op_sel:[1,1] op_sel_hi:[0,1]
	v_pk_fma_f32 v[54:55], v[46:47], v[50:51], v[52:53] neg_lo:[0,0,1] neg_hi:[0,0,1]
	v_pk_fma_f32 v[46:47], v[46:47], v[50:51], v[52:53] op_sel_hi:[1,0,1]
	s_nop 0
	v_mov_b32_e32 v55, v47
	scratch_store_dwordx2 off, v[54:55], off offset:152
.LBB84_91:
	s_or_b64 exec, exec, s[0:1]
	; wave barrier
	scratch_load_dwordx2 v[46:47], off, off offset:160
	v_cmp_ne_u32_e32 vcc, 20, v0
	s_waitcnt vmcnt(0)
	ds_write_b64 v1, v[46:47]
	s_waitcnt lgkmcnt(0)
	; wave barrier
	s_and_saveexec_b64 s[0:1], vcc
	s_cbranch_execz .LBB84_95
; %bb.92:
	v_add_u32_e32 v1, 0xb0, v44
	v_mov_b32_e32 v46, v44
	v_mov_b32_e32 v44, 0
	s_mov_b64 s[4:5], 0
	v_mov_b32_e32 v45, v44
.LBB84_93:                              ; =>This Inner Loop Header: Depth=1
	scratch_load_dwordx2 v[50:51], v46, off
	ds_read_b64 v[52:53], v1
	v_add_u32_e32 v48, 1, v48
	v_cmp_lt_u32_e32 vcc, 18, v48
	v_add_u32_e32 v1, 8, v1
	v_add_u32_e32 v46, 8, v46
	s_or_b64 s[4:5], vcc, s[4:5]
	s_waitcnt vmcnt(0) lgkmcnt(0)
	v_pk_mul_f32 v[54:55], v[52:53], v[50:51] op_sel:[1,1] op_sel_hi:[0,1]
	v_pk_fma_f32 v[56:57], v[52:53], v[50:51], v[54:55] neg_lo:[0,0,1] neg_hi:[0,0,1]
	v_pk_fma_f32 v[50:51], v[52:53], v[50:51], v[54:55] op_sel_hi:[1,0,1]
	s_nop 0
	v_mov_b32_e32 v57, v51
	v_pk_add_f32 v[44:45], v[44:45], v[56:57]
	s_andn2_b64 exec, exec, s[4:5]
	s_cbranch_execnz .LBB84_93
; %bb.94:
	s_or_b64 exec, exec, s[4:5]
	v_mov_b32_e32 v1, 0
	ds_read_b64 v[46:47], v1 offset:160
	s_waitcnt lgkmcnt(0)
	v_pk_mul_f32 v[48:49], v[44:45], v[46:47] op_sel:[1,1] op_sel_hi:[0,1]
	v_pk_fma_f32 v[50:51], v[44:45], v[46:47], v[48:49] neg_lo:[0,0,1] neg_hi:[0,0,1]
	v_pk_fma_f32 v[44:45], v[44:45], v[46:47], v[48:49] op_sel_hi:[1,0,1]
	s_nop 0
	v_mov_b32_e32 v51, v45
	scratch_store_dwordx2 off, v[50:51], off offset:160
.LBB84_95:
	s_or_b64 exec, exec, s[0:1]
	s_mov_b64 s[4:5], -1
	; wave barrier
.LBB84_96:
	s_and_b64 vcc, exec, s[4:5]
	s_cbranch_vccz .LBB84_98
; %bb.97:
	s_lshl_b64 s[0:1], s[2:3], 2
	s_add_u32 s0, s6, s0
	s_addc_u32 s1, s7, s1
	v_mov_b32_e32 v1, 0
	global_load_dword v1, v1, s[0:1]
	s_waitcnt vmcnt(0)
	v_cmp_ne_u32_e32 vcc, 0, v1
	s_cbranch_vccz .LBB84_99
.LBB84_98:
	s_endpgm
.LBB84_99:
	v_mov_b32_e32 v1, 0xb0
	v_lshl_add_u32 v1, v0, 3, v1
	v_cmp_eq_u32_e32 vcc, 20, v0
	s_and_saveexec_b64 s[0:1], vcc
	s_cbranch_execz .LBB84_101
; %bb.100:
	scratch_load_dwordx2 v[44:45], off, off offset:152
	v_mov_b32_e32 v46, 0
	v_mov_b32_e32 v47, v46
	scratch_store_dwordx2 off, v[46:47], off offset:152
	s_waitcnt vmcnt(1)
	ds_write_b64 v1, v[44:45]
.LBB84_101:
	s_or_b64 exec, exec, s[0:1]
	s_waitcnt lgkmcnt(0)
	; wave barrier
	scratch_load_dwordx2 v[46:47], off, off offset:160
	scratch_load_dwordx2 v[48:49], off, off offset:152
	v_mov_b32_e32 v44, 0
	ds_read_b64 v[50:51], v44 offset:336
	v_cmp_lt_u32_e32 vcc, 18, v0
	s_waitcnt vmcnt(1) lgkmcnt(0)
	v_pk_mul_f32 v[52:53], v[50:51], v[46:47] op_sel:[1,1] op_sel_hi:[0,1]
	v_pk_fma_f32 v[54:55], v[50:51], v[46:47], v[52:53] neg_lo:[0,0,1] neg_hi:[0,0,1]
	v_pk_fma_f32 v[46:47], v[50:51], v[46:47], v[52:53] op_sel_hi:[1,0,1]
	s_nop 0
	v_mov_b32_e32 v55, v47
	v_pk_add_f32 v[46:47], v[54:55], 0 op_sel_hi:[1,0]
	s_waitcnt vmcnt(0)
	v_pk_add_f32 v[46:47], v[48:49], v[46:47] neg_lo:[0,1] neg_hi:[0,1]
	scratch_store_dwordx2 off, v[46:47], off offset:152
	s_and_saveexec_b64 s[0:1], vcc
	s_cbranch_execz .LBB84_103
; %bb.102:
	scratch_load_dwordx2 v[46:47], off, off offset:144
	v_mov_b32_e32 v45, v44
	scratch_store_dwordx2 off, v[44:45], off offset:144
	s_waitcnt vmcnt(1)
	ds_write_b64 v1, v[46:47]
.LBB84_103:
	s_or_b64 exec, exec, s[0:1]
	s_waitcnt lgkmcnt(0)
	; wave barrier
	scratch_load_dwordx4 v[46:49], off, off offset:152
	scratch_load_dwordx2 v[54:55], off, off offset:144
	ds_read2_b64 v[50:53], v44 offset0:41 offset1:42
	v_cmp_lt_u32_e32 vcc, 17, v0
	s_waitcnt vmcnt(1) lgkmcnt(0)
	v_pk_mul_f32 v[44:45], v[50:51], v[46:47] op_sel:[1,1] op_sel_hi:[0,1]
	v_mov_b32_e32 v56, v49
	v_pk_fma_f32 v[58:59], v[50:51], v[46:47], v[44:45] neg_lo:[0,0,1] neg_hi:[0,0,1]
	v_pk_fma_f32 v[44:45], v[50:51], v[46:47], v[44:45] op_sel_hi:[1,0,1]
	v_pk_mul_f32 v[46:47], v[52:53], v[56:57] op_sel:[1,0] op_sel_hi:[0,0]
	v_mov_b32_e32 v59, v45
	v_pk_fma_f32 v[44:45], v[52:53], v[48:49], v[46:47] neg_lo:[0,0,1] neg_hi:[0,0,1]
	v_pk_fma_f32 v[46:47], v[52:53], v[48:49], v[46:47] op_sel_hi:[1,0,1]
	v_pk_add_f32 v[48:49], v[58:59], 0 op_sel_hi:[1,0]
	v_mov_b32_e32 v45, v47
	v_pk_add_f32 v[44:45], v[48:49], v[44:45]
	s_waitcnt vmcnt(0)
	v_pk_add_f32 v[44:45], v[54:55], v[44:45] neg_lo:[0,1] neg_hi:[0,1]
	scratch_store_dwordx2 off, v[44:45], off offset:144
	s_and_saveexec_b64 s[0:1], vcc
	s_cbranch_execz .LBB84_105
; %bb.104:
	scratch_load_dwordx2 v[44:45], off, off offset:136
	v_mov_b32_e32 v46, 0
	v_mov_b32_e32 v47, v46
	scratch_store_dwordx2 off, v[46:47], off offset:136
	s_waitcnt vmcnt(1)
	ds_write_b64 v1, v[44:45]
.LBB84_105:
	s_or_b64 exec, exec, s[0:1]
	s_waitcnt lgkmcnt(0)
	; wave barrier
	scratch_load_dwordx4 v[46:49], off, off offset:144
	scratch_load_dwordx2 v[54:55], off, off offset:160
	scratch_load_dwordx2 v[56:57], off, off offset:136
	v_mov_b32_e32 v44, 0
	ds_read_b128 v[50:53], v44 offset:320
	ds_read_b64 v[58:59], v44 offset:336
	v_cmp_lt_u32_e32 vcc, 16, v0
	s_waitcnt vmcnt(2) lgkmcnt(1)
	v_pk_mul_f32 v[60:61], v[50:51], v[46:47] op_sel:[1,1] op_sel_hi:[0,1]
	v_mov_b32_e32 v62, v49
	v_pk_fma_f32 v[66:67], v[50:51], v[46:47], v[60:61] neg_lo:[0,0,1] neg_hi:[0,0,1]
	v_pk_fma_f32 v[46:47], v[50:51], v[46:47], v[60:61] op_sel_hi:[1,0,1]
	v_pk_mul_f32 v[50:51], v[52:53], v[62:63] op_sel:[1,0] op_sel_hi:[0,0]
	s_waitcnt vmcnt(1) lgkmcnt(0)
	v_pk_mul_f32 v[64:65], v[58:59], v[54:55] op_sel:[1,1] op_sel_hi:[0,1]
	v_mov_b32_e32 v67, v47
	v_pk_fma_f32 v[46:47], v[52:53], v[48:49], v[50:51] neg_lo:[0,0,1] neg_hi:[0,0,1]
	v_pk_fma_f32 v[48:49], v[52:53], v[48:49], v[50:51] op_sel_hi:[1,0,1]
	v_pk_fma_f32 v[60:61], v[58:59], v[54:55], v[64:65] neg_lo:[0,0,1] neg_hi:[0,0,1]
	v_pk_fma_f32 v[54:55], v[58:59], v[54:55], v[64:65] op_sel_hi:[1,0,1]
	v_pk_add_f32 v[50:51], v[66:67], 0 op_sel_hi:[1,0]
	v_mov_b32_e32 v47, v49
	v_mov_b32_e32 v61, v55
	v_pk_add_f32 v[46:47], v[50:51], v[46:47]
	s_nop 0
	v_pk_add_f32 v[46:47], v[46:47], v[60:61]
	s_waitcnt vmcnt(0)
	v_pk_add_f32 v[46:47], v[56:57], v[46:47] neg_lo:[0,1] neg_hi:[0,1]
	scratch_store_dwordx2 off, v[46:47], off offset:136
	s_and_saveexec_b64 s[0:1], vcc
	s_cbranch_execz .LBB84_107
; %bb.106:
	scratch_load_dwordx2 v[46:47], off, off offset:128
	v_mov_b32_e32 v45, v44
	scratch_store_dwordx2 off, v[44:45], off offset:128
	s_waitcnt vmcnt(1)
	ds_write_b64 v1, v[46:47]
.LBB84_107:
	s_or_b64 exec, exec, s[0:1]
	s_waitcnt lgkmcnt(0)
	; wave barrier
	scratch_load_dwordx4 v[46:49], off, off offset:136
	scratch_load_dwordx4 v[50:53], off, off offset:152
	scratch_load_dwordx2 v[62:63], off, off offset:128
	ds_read2_b64 v[54:57], v44 offset0:39 offset1:40
	ds_read2_b64 v[58:61], v44 offset0:41 offset1:42
	v_cmp_lt_u32_e32 vcc, 15, v0
	s_waitcnt vmcnt(2) lgkmcnt(1)
	v_pk_mul_f32 v[44:45], v[54:55], v[46:47] op_sel:[1,1] op_sel_hi:[0,1]
	v_mov_b32_e32 v64, v49
	s_waitcnt vmcnt(1) lgkmcnt(0)
	v_pk_mul_f32 v[66:67], v[58:59], v[50:51] op_sel:[1,1] op_sel_hi:[0,1]
	v_mov_b32_e32 v68, v53
	v_pk_fma_f32 v[70:71], v[54:55], v[46:47], v[44:45] neg_lo:[0,0,1] neg_hi:[0,0,1]
	v_pk_fma_f32 v[44:45], v[54:55], v[46:47], v[44:45] op_sel_hi:[1,0,1]
	v_pk_mul_f32 v[46:47], v[56:57], v[64:65] op_sel:[1,0] op_sel_hi:[0,0]
	v_pk_fma_f32 v[54:55], v[58:59], v[50:51], v[66:67] neg_lo:[0,0,1] neg_hi:[0,0,1]
	v_pk_fma_f32 v[50:51], v[58:59], v[50:51], v[66:67] op_sel_hi:[1,0,1]
	v_pk_mul_f32 v[58:59], v[60:61], v[68:69] op_sel:[1,0] op_sel_hi:[0,0]
	v_mov_b32_e32 v71, v45
	v_pk_fma_f32 v[44:45], v[56:57], v[48:49], v[46:47] neg_lo:[0,0,1] neg_hi:[0,0,1]
	v_pk_fma_f32 v[46:47], v[56:57], v[48:49], v[46:47] op_sel_hi:[1,0,1]
	v_mov_b32_e32 v55, v51
	v_pk_fma_f32 v[48:49], v[60:61], v[52:53], v[58:59] neg_lo:[0,0,1] neg_hi:[0,0,1]
	v_pk_fma_f32 v[50:51], v[60:61], v[52:53], v[58:59] op_sel_hi:[1,0,1]
	v_pk_add_f32 v[52:53], v[70:71], 0 op_sel_hi:[1,0]
	v_mov_b32_e32 v45, v47
	v_pk_add_f32 v[44:45], v[52:53], v[44:45]
	v_mov_b32_e32 v49, v51
	v_pk_add_f32 v[44:45], v[44:45], v[54:55]
	s_nop 0
	v_pk_add_f32 v[44:45], v[44:45], v[48:49]
	s_waitcnt vmcnt(0)
	v_pk_add_f32 v[44:45], v[62:63], v[44:45] neg_lo:[0,1] neg_hi:[0,1]
	scratch_store_dwordx2 off, v[44:45], off offset:128
	s_and_saveexec_b64 s[0:1], vcc
	s_cbranch_execz .LBB84_109
; %bb.108:
	scratch_load_dwordx2 v[44:45], off, off offset:120
	v_mov_b32_e32 v46, 0
	v_mov_b32_e32 v47, v46
	scratch_store_dwordx2 off, v[46:47], off offset:120
	s_waitcnt vmcnt(1)
	ds_write_b64 v1, v[44:45]
.LBB84_109:
	s_or_b64 exec, exec, s[0:1]
	s_waitcnt lgkmcnt(0)
	; wave barrier
	scratch_load_dwordx4 v[46:49], off, off offset:128
	scratch_load_dwordx4 v[50:53], off, off offset:144
	scratch_load_dwordx2 v[62:63], off, off offset:160
	scratch_load_dwordx2 v[64:65], off, off offset:120
	v_mov_b32_e32 v44, 0
	ds_read_b128 v[54:57], v44 offset:304
	ds_read_b128 v[58:61], v44 offset:320
	ds_read_b64 v[66:67], v44 offset:336
	v_cmp_lt_u32_e32 vcc, 14, v0
	s_waitcnt vmcnt(3) lgkmcnt(2)
	v_pk_mul_f32 v[68:69], v[54:55], v[46:47] op_sel:[1,1] op_sel_hi:[0,1]
	v_mov_b32_e32 v70, v49
	v_pk_fma_f32 v[78:79], v[54:55], v[46:47], v[68:69] neg_lo:[0,0,1] neg_hi:[0,0,1]
	v_pk_fma_f32 v[46:47], v[54:55], v[46:47], v[68:69] op_sel_hi:[1,0,1]
	v_pk_mul_f32 v[54:55], v[56:57], v[70:71] op_sel:[1,0] op_sel_hi:[0,0]
	s_waitcnt vmcnt(2) lgkmcnt(1)
	v_pk_mul_f32 v[72:73], v[58:59], v[50:51] op_sel:[1,1] op_sel_hi:[0,1]
	v_mov_b32_e32 v74, v53
	v_mov_b32_e32 v79, v47
	v_pk_fma_f32 v[46:47], v[56:57], v[48:49], v[54:55] neg_lo:[0,0,1] neg_hi:[0,0,1]
	v_pk_fma_f32 v[48:49], v[56:57], v[48:49], v[54:55] op_sel_hi:[1,0,1]
	v_pk_fma_f32 v[68:69], v[58:59], v[50:51], v[72:73] neg_lo:[0,0,1] neg_hi:[0,0,1]
	v_pk_fma_f32 v[50:51], v[58:59], v[50:51], v[72:73] op_sel_hi:[1,0,1]
	v_pk_mul_f32 v[58:59], v[60:61], v[74:75] op_sel:[1,0] op_sel_hi:[0,0]
	v_pk_add_f32 v[54:55], v[78:79], 0 op_sel_hi:[1,0]
	v_mov_b32_e32 v47, v49
	s_waitcnt vmcnt(1) lgkmcnt(0)
	v_pk_mul_f32 v[76:77], v[66:67], v[62:63] op_sel:[1,1] op_sel_hi:[0,1]
	v_mov_b32_e32 v69, v51
	v_pk_fma_f32 v[50:51], v[60:61], v[52:53], v[58:59] neg_lo:[0,0,1] neg_hi:[0,0,1]
	v_pk_fma_f32 v[52:53], v[60:61], v[52:53], v[58:59] op_sel_hi:[1,0,1]
	v_pk_add_f32 v[46:47], v[54:55], v[46:47]
	v_pk_fma_f32 v[70:71], v[66:67], v[62:63], v[76:77] neg_lo:[0,0,1] neg_hi:[0,0,1]
	v_pk_fma_f32 v[62:63], v[66:67], v[62:63], v[76:77] op_sel_hi:[1,0,1]
	v_mov_b32_e32 v51, v53
	v_pk_add_f32 v[46:47], v[46:47], v[68:69]
	v_mov_b32_e32 v71, v63
	v_pk_add_f32 v[46:47], v[46:47], v[50:51]
	s_nop 0
	v_pk_add_f32 v[46:47], v[46:47], v[70:71]
	s_waitcnt vmcnt(0)
	v_pk_add_f32 v[46:47], v[64:65], v[46:47] neg_lo:[0,1] neg_hi:[0,1]
	scratch_store_dwordx2 off, v[46:47], off offset:120
	s_and_saveexec_b64 s[0:1], vcc
	s_cbranch_execz .LBB84_111
; %bb.110:
	scratch_load_dwordx2 v[46:47], off, off offset:112
	v_mov_b32_e32 v45, v44
	scratch_store_dwordx2 off, v[44:45], off offset:112
	s_waitcnt vmcnt(1)
	ds_write_b64 v1, v[46:47]
.LBB84_111:
	s_or_b64 exec, exec, s[0:1]
	s_waitcnt lgkmcnt(0)
	; wave barrier
	scratch_load_dwordx4 v[46:49], off, off offset:120
	scratch_load_dwordx4 v[50:53], off, off offset:136
	;; [unrolled: 1-line block ×3, first 2 shown]
	scratch_load_dwordx2 v[70:71], off, off offset:112
	ds_read2_b64 v[58:61], v44 offset0:37 offset1:38
	ds_read2_b64 v[62:65], v44 offset0:39 offset1:40
	;; [unrolled: 1-line block ×3, first 2 shown]
	v_cmp_lt_u32_e32 vcc, 13, v0
	s_waitcnt vmcnt(3) lgkmcnt(2)
	v_pk_mul_f32 v[44:45], v[58:59], v[46:47] op_sel:[1,1] op_sel_hi:[0,1]
	v_mov_b32_e32 v72, v49
	s_waitcnt vmcnt(2) lgkmcnt(1)
	v_pk_mul_f32 v[74:75], v[62:63], v[50:51] op_sel:[1,1] op_sel_hi:[0,1]
	v_mov_b32_e32 v76, v53
	s_waitcnt vmcnt(1) lgkmcnt(0)
	v_pk_mul_f32 v[78:79], v[66:67], v[54:55] op_sel:[1,1] op_sel_hi:[0,1]
	v_mov_b32_e32 v80, v57
	v_pk_fma_f32 v[82:83], v[58:59], v[46:47], v[44:45] neg_lo:[0,0,1] neg_hi:[0,0,1]
	v_pk_fma_f32 v[44:45], v[58:59], v[46:47], v[44:45] op_sel_hi:[1,0,1]
	v_pk_mul_f32 v[46:47], v[60:61], v[72:73] op_sel:[1,0] op_sel_hi:[0,0]
	v_pk_fma_f32 v[58:59], v[62:63], v[50:51], v[74:75] neg_lo:[0,0,1] neg_hi:[0,0,1]
	v_pk_fma_f32 v[50:51], v[62:63], v[50:51], v[74:75] op_sel_hi:[1,0,1]
	v_pk_mul_f32 v[62:63], v[64:65], v[76:77] op_sel:[1,0] op_sel_hi:[0,0]
	;; [unrolled: 3-line block ×3, first 2 shown]
	v_mov_b32_e32 v83, v45
	v_pk_fma_f32 v[44:45], v[60:61], v[48:49], v[46:47] neg_lo:[0,0,1] neg_hi:[0,0,1]
	v_pk_fma_f32 v[46:47], v[60:61], v[48:49], v[46:47] op_sel_hi:[1,0,1]
	v_mov_b32_e32 v59, v51
	v_pk_fma_f32 v[48:49], v[64:65], v[52:53], v[62:63] neg_lo:[0,0,1] neg_hi:[0,0,1]
	v_pk_fma_f32 v[50:51], v[64:65], v[52:53], v[62:63] op_sel_hi:[1,0,1]
	;; [unrolled: 3-line block ×3, first 2 shown]
	v_pk_add_f32 v[56:57], v[82:83], 0 op_sel_hi:[1,0]
	v_mov_b32_e32 v45, v47
	v_pk_add_f32 v[44:45], v[56:57], v[44:45]
	v_mov_b32_e32 v49, v51
	v_pk_add_f32 v[44:45], v[44:45], v[58:59]
	;; [unrolled: 2-line block ×3, first 2 shown]
	s_nop 0
	v_pk_add_f32 v[44:45], v[44:45], v[72:73]
	s_nop 0
	v_pk_add_f32 v[44:45], v[44:45], v[52:53]
	s_waitcnt vmcnt(0)
	v_pk_add_f32 v[44:45], v[70:71], v[44:45] neg_lo:[0,1] neg_hi:[0,1]
	scratch_store_dwordx2 off, v[44:45], off offset:112
	s_and_saveexec_b64 s[0:1], vcc
	s_cbranch_execz .LBB84_113
; %bb.112:
	scratch_load_dwordx2 v[44:45], off, off offset:104
	v_mov_b32_e32 v46, 0
	v_mov_b32_e32 v47, v46
	scratch_store_dwordx2 off, v[46:47], off offset:104
	s_waitcnt vmcnt(1)
	ds_write_b64 v1, v[44:45]
.LBB84_113:
	s_or_b64 exec, exec, s[0:1]
	s_waitcnt lgkmcnt(0)
	; wave barrier
	scratch_load_dwordx4 v[46:49], off, off offset:112
	scratch_load_dwordx4 v[50:53], off, off offset:128
	;; [unrolled: 1-line block ×3, first 2 shown]
	scratch_load_dwordx2 v[70:71], off, off offset:160
	scratch_load_dwordx2 v[72:73], off, off offset:104
	v_mov_b32_e32 v44, 0
	ds_read_b128 v[58:61], v44 offset:288
	ds_read_b128 v[62:65], v44 offset:304
	;; [unrolled: 1-line block ×3, first 2 shown]
	ds_read_b64 v[74:75], v44 offset:336
	v_cmp_lt_u32_e32 vcc, 12, v0
	s_waitcnt vmcnt(4) lgkmcnt(3)
	v_pk_mul_f32 v[76:77], v[58:59], v[46:47] op_sel:[1,1] op_sel_hi:[0,1]
	v_mov_b32_e32 v78, v49
	v_pk_fma_f32 v[90:91], v[58:59], v[46:47], v[76:77] neg_lo:[0,0,1] neg_hi:[0,0,1]
	v_pk_fma_f32 v[46:47], v[58:59], v[46:47], v[76:77] op_sel_hi:[1,0,1]
	v_pk_mul_f32 v[58:59], v[60:61], v[78:79] op_sel:[1,0] op_sel_hi:[0,0]
	s_waitcnt vmcnt(3) lgkmcnt(2)
	v_pk_mul_f32 v[80:81], v[62:63], v[50:51] op_sel:[1,1] op_sel_hi:[0,1]
	v_mov_b32_e32 v82, v53
	v_mov_b32_e32 v91, v47
	v_pk_fma_f32 v[46:47], v[60:61], v[48:49], v[58:59] neg_lo:[0,0,1] neg_hi:[0,0,1]
	v_pk_fma_f32 v[48:49], v[60:61], v[48:49], v[58:59] op_sel_hi:[1,0,1]
	v_pk_fma_f32 v[76:77], v[62:63], v[50:51], v[80:81] neg_lo:[0,0,1] neg_hi:[0,0,1]
	v_pk_fma_f32 v[50:51], v[62:63], v[50:51], v[80:81] op_sel_hi:[1,0,1]
	v_pk_mul_f32 v[62:63], v[64:65], v[82:83] op_sel:[1,0] op_sel_hi:[0,0]
	v_pk_add_f32 v[58:59], v[90:91], 0 op_sel_hi:[1,0]
	v_mov_b32_e32 v47, v49
	s_waitcnt vmcnt(2) lgkmcnt(1)
	v_pk_mul_f32 v[84:85], v[66:67], v[54:55] op_sel:[1,1] op_sel_hi:[0,1]
	v_mov_b32_e32 v86, v57
	v_mov_b32_e32 v77, v51
	v_pk_fma_f32 v[50:51], v[64:65], v[52:53], v[62:63] neg_lo:[0,0,1] neg_hi:[0,0,1]
	v_pk_fma_f32 v[52:53], v[64:65], v[52:53], v[62:63] op_sel_hi:[1,0,1]
	v_pk_add_f32 v[46:47], v[58:59], v[46:47]
	v_pk_fma_f32 v[78:79], v[66:67], v[54:55], v[84:85] neg_lo:[0,0,1] neg_hi:[0,0,1]
	v_pk_fma_f32 v[54:55], v[66:67], v[54:55], v[84:85] op_sel_hi:[1,0,1]
	v_pk_mul_f32 v[66:67], v[68:69], v[86:87] op_sel:[1,0] op_sel_hi:[0,0]
	v_mov_b32_e32 v51, v53
	v_pk_add_f32 v[46:47], v[46:47], v[76:77]
	s_waitcnt vmcnt(1) lgkmcnt(0)
	v_pk_mul_f32 v[88:89], v[74:75], v[70:71] op_sel:[1,1] op_sel_hi:[0,1]
	v_mov_b32_e32 v79, v55
	v_pk_fma_f32 v[54:55], v[68:69], v[56:57], v[66:67] neg_lo:[0,0,1] neg_hi:[0,0,1]
	v_pk_fma_f32 v[56:57], v[68:69], v[56:57], v[66:67] op_sel_hi:[1,0,1]
	v_pk_add_f32 v[46:47], v[46:47], v[50:51]
	v_pk_fma_f32 v[80:81], v[74:75], v[70:71], v[88:89] neg_lo:[0,0,1] neg_hi:[0,0,1]
	v_pk_fma_f32 v[70:71], v[74:75], v[70:71], v[88:89] op_sel_hi:[1,0,1]
	v_mov_b32_e32 v55, v57
	v_pk_add_f32 v[46:47], v[46:47], v[78:79]
	v_mov_b32_e32 v81, v71
	v_pk_add_f32 v[46:47], v[46:47], v[54:55]
	s_nop 0
	v_pk_add_f32 v[46:47], v[46:47], v[80:81]
	s_waitcnt vmcnt(0)
	v_pk_add_f32 v[46:47], v[72:73], v[46:47] neg_lo:[0,1] neg_hi:[0,1]
	scratch_store_dwordx2 off, v[46:47], off offset:104
	s_and_saveexec_b64 s[0:1], vcc
	s_cbranch_execz .LBB84_115
; %bb.114:
	scratch_load_dwordx2 v[46:47], off, off offset:96
	v_mov_b32_e32 v45, v44
	scratch_store_dwordx2 off, v[44:45], off offset:96
	s_waitcnt vmcnt(1)
	ds_write_b64 v1, v[46:47]
.LBB84_115:
	s_or_b64 exec, exec, s[0:1]
	s_waitcnt lgkmcnt(0)
	; wave barrier
	scratch_load_dwordx4 v[46:49], off, off offset:104
	scratch_load_dwordx4 v[50:53], off, off offset:120
	;; [unrolled: 1-line block ×4, first 2 shown]
	scratch_load_dwordx2 v[78:79], off, off offset:96
	ds_read2_b64 v[62:65], v44 offset0:35 offset1:36
	ds_read2_b64 v[66:69], v44 offset0:37 offset1:38
	;; [unrolled: 1-line block ×4, first 2 shown]
	v_cmp_lt_u32_e32 vcc, 11, v0
	s_waitcnt vmcnt(4) lgkmcnt(3)
	v_pk_mul_f32 v[44:45], v[62:63], v[46:47] op_sel:[1,1] op_sel_hi:[0,1]
	v_mov_b32_e32 v80, v49
	s_waitcnt vmcnt(3) lgkmcnt(2)
	v_pk_mul_f32 v[82:83], v[66:67], v[50:51] op_sel:[1,1] op_sel_hi:[0,1]
	v_mov_b32_e32 v84, v53
	;; [unrolled: 3-line block ×4, first 2 shown]
	v_pk_fma_f32 v[94:95], v[62:63], v[46:47], v[44:45] neg_lo:[0,0,1] neg_hi:[0,0,1]
	v_pk_fma_f32 v[44:45], v[62:63], v[46:47], v[44:45] op_sel_hi:[1,0,1]
	v_pk_mul_f32 v[46:47], v[64:65], v[80:81] op_sel:[1,0] op_sel_hi:[0,0]
	v_pk_fma_f32 v[62:63], v[66:67], v[50:51], v[82:83] neg_lo:[0,0,1] neg_hi:[0,0,1]
	v_pk_fma_f32 v[50:51], v[66:67], v[50:51], v[82:83] op_sel_hi:[1,0,1]
	v_pk_mul_f32 v[66:67], v[68:69], v[84:85] op_sel:[1,0] op_sel_hi:[0,0]
	;; [unrolled: 3-line block ×4, first 2 shown]
	v_mov_b32_e32 v95, v45
	v_pk_fma_f32 v[44:45], v[64:65], v[48:49], v[46:47] neg_lo:[0,0,1] neg_hi:[0,0,1]
	v_pk_fma_f32 v[46:47], v[64:65], v[48:49], v[46:47] op_sel_hi:[1,0,1]
	v_mov_b32_e32 v63, v51
	v_pk_fma_f32 v[48:49], v[68:69], v[52:53], v[66:67] neg_lo:[0,0,1] neg_hi:[0,0,1]
	v_pk_fma_f32 v[50:51], v[68:69], v[52:53], v[66:67] op_sel_hi:[1,0,1]
	;; [unrolled: 3-line block ×4, first 2 shown]
	v_pk_add_f32 v[60:61], v[94:95], 0 op_sel_hi:[1,0]
	v_mov_b32_e32 v45, v47
	v_pk_add_f32 v[44:45], v[60:61], v[44:45]
	v_mov_b32_e32 v49, v51
	v_pk_add_f32 v[44:45], v[44:45], v[62:63]
	;; [unrolled: 2-line block ×4, first 2 shown]
	s_nop 0
	v_pk_add_f32 v[44:45], v[44:45], v[52:53]
	s_nop 0
	v_pk_add_f32 v[44:45], v[44:45], v[82:83]
	;; [unrolled: 2-line block ×3, first 2 shown]
	s_waitcnt vmcnt(0)
	v_pk_add_f32 v[44:45], v[78:79], v[44:45] neg_lo:[0,1] neg_hi:[0,1]
	scratch_store_dwordx2 off, v[44:45], off offset:96
	s_and_saveexec_b64 s[0:1], vcc
	s_cbranch_execz .LBB84_117
; %bb.116:
	scratch_load_dwordx2 v[44:45], off, off offset:88
	v_mov_b32_e32 v46, 0
	v_mov_b32_e32 v47, v46
	scratch_store_dwordx2 off, v[46:47], off offset:88
	s_waitcnt vmcnt(1)
	ds_write_b64 v1, v[44:45]
.LBB84_117:
	s_or_b64 exec, exec, s[0:1]
	s_waitcnt lgkmcnt(0)
	; wave barrier
	scratch_load_dwordx4 v[46:49], off, off offset:96
	scratch_load_dwordx4 v[50:53], off, off offset:112
	;; [unrolled: 1-line block ×4, first 2 shown]
	scratch_load_dwordx2 v[78:79], off, off offset:160
	scratch_load_dwordx2 v[80:81], off, off offset:88
	v_mov_b32_e32 v44, 0
	ds_read_b128 v[62:65], v44 offset:272
	ds_read_b128 v[66:69], v44 offset:288
	;; [unrolled: 1-line block ×4, first 2 shown]
	ds_read_b64 v[82:83], v44 offset:336
	v_cmp_lt_u32_e32 vcc, 10, v0
	s_waitcnt vmcnt(5) lgkmcnt(4)
	v_mul_f32_e32 v85, v62, v47
	v_mul_f32_e32 v45, v63, v47
	v_mov_b32_e32 v86, v49
	s_waitcnt vmcnt(4) lgkmcnt(3)
	v_pk_mul_f32 v[88:89], v[66:67], v[50:51] op_sel:[1,1] op_sel_hi:[0,1]
	v_mov_b32_e32 v90, v53
	s_waitcnt vmcnt(1) lgkmcnt(0)
	v_pk_mul_f32 v[100:101], v[82:83], v[78:79] op_sel:[1,1] op_sel_hi:[0,1]
	v_fmac_f32_e32 v85, v63, v46
	v_fma_f32 v84, v62, v46, -v45
	v_pk_mul_f32 v[46:47], v[64:65], v[86:87] op_sel:[1,0] op_sel_hi:[0,0]
	v_pk_fma_f32 v[62:63], v[66:67], v[50:51], v[88:89] neg_lo:[0,0,1] neg_hi:[0,0,1]
	v_pk_fma_f32 v[50:51], v[66:67], v[50:51], v[88:89] op_sel_hi:[1,0,1]
	v_pk_mul_f32 v[66:67], v[68:69], v[90:91] op_sel:[1,0] op_sel_hi:[0,0]
	v_pk_fma_f32 v[90:91], v[82:83], v[78:79], v[100:101] neg_lo:[0,0,1] neg_hi:[0,0,1]
	v_pk_fma_f32 v[78:79], v[82:83], v[78:79], v[100:101] op_sel_hi:[1,0,1]
	v_pk_add_f32 v[82:83], v[84:85], 0 op_sel_hi:[1,0]
	v_pk_fma_f32 v[84:85], v[64:65], v[48:49], v[46:47] neg_lo:[0,0,1] neg_hi:[0,0,1]
	v_pk_fma_f32 v[46:47], v[64:65], v[48:49], v[46:47] op_sel_hi:[1,0,1]
	v_pk_mul_f32 v[92:93], v[70:71], v[54:55] op_sel:[1,1] op_sel_hi:[0,1]
	v_mov_b32_e32 v85, v47
	v_mov_b32_e32 v94, v57
	v_mov_b32_e32 v63, v51
	v_pk_fma_f32 v[48:49], v[68:69], v[52:53], v[66:67] neg_lo:[0,0,1] neg_hi:[0,0,1]
	v_pk_fma_f32 v[50:51], v[68:69], v[52:53], v[66:67] op_sel_hi:[1,0,1]
	v_pk_add_f32 v[46:47], v[82:83], v[84:85]
	v_pk_fma_f32 v[86:87], v[70:71], v[54:55], v[92:93] neg_lo:[0,0,1] neg_hi:[0,0,1]
	v_pk_fma_f32 v[54:55], v[70:71], v[54:55], v[92:93] op_sel_hi:[1,0,1]
	v_pk_mul_f32 v[70:71], v[72:73], v[94:95] op_sel:[1,0] op_sel_hi:[0,0]
	v_mov_b32_e32 v49, v51
	v_pk_add_f32 v[46:47], v[46:47], v[62:63]
	v_pk_mul_f32 v[96:97], v[74:75], v[58:59] op_sel:[1,1] op_sel_hi:[0,1]
	v_mov_b32_e32 v98, v61
	v_mov_b32_e32 v87, v55
	v_pk_fma_f32 v[52:53], v[72:73], v[56:57], v[70:71] neg_lo:[0,0,1] neg_hi:[0,0,1]
	v_pk_fma_f32 v[54:55], v[72:73], v[56:57], v[70:71] op_sel_hi:[1,0,1]
	v_pk_add_f32 v[46:47], v[46:47], v[48:49]
	v_pk_fma_f32 v[88:89], v[74:75], v[58:59], v[96:97] neg_lo:[0,0,1] neg_hi:[0,0,1]
	v_pk_fma_f32 v[58:59], v[74:75], v[58:59], v[96:97] op_sel_hi:[1,0,1]
	v_pk_mul_f32 v[74:75], v[76:77], v[98:99] op_sel:[1,0] op_sel_hi:[0,0]
	v_mov_b32_e32 v53, v55
	v_pk_add_f32 v[46:47], v[46:47], v[86:87]
	v_mov_b32_e32 v89, v59
	v_pk_fma_f32 v[56:57], v[76:77], v[60:61], v[74:75] neg_lo:[0,0,1] neg_hi:[0,0,1]
	v_pk_fma_f32 v[58:59], v[76:77], v[60:61], v[74:75] op_sel_hi:[1,0,1]
	v_pk_add_f32 v[46:47], v[46:47], v[52:53]
	v_mov_b32_e32 v57, v59
	v_pk_add_f32 v[46:47], v[46:47], v[88:89]
	v_mov_b32_e32 v91, v79
	v_pk_add_f32 v[46:47], v[46:47], v[56:57]
	s_nop 0
	v_pk_add_f32 v[46:47], v[46:47], v[90:91]
	s_waitcnt vmcnt(0)
	v_pk_add_f32 v[46:47], v[80:81], v[46:47] neg_lo:[0,1] neg_hi:[0,1]
	scratch_store_dwordx2 off, v[46:47], off offset:88
	s_and_saveexec_b64 s[0:1], vcc
	s_cbranch_execz .LBB84_119
; %bb.118:
	scratch_load_dwordx2 v[46:47], off, off offset:80
	v_mov_b32_e32 v45, v44
	scratch_store_dwordx2 off, v[44:45], off offset:80
	s_waitcnt vmcnt(1)
	ds_write_b64 v1, v[46:47]
.LBB84_119:
	s_or_b64 exec, exec, s[0:1]
	s_waitcnt lgkmcnt(0)
	; wave barrier
	scratch_load_dwordx4 v[46:49], off, off offset:88
	scratch_load_dwordx4 v[50:53], off, off offset:104
	scratch_load_dwordx4 v[54:57], off, off offset:120
	scratch_load_dwordx4 v[58:61], off, off offset:136
	scratch_load_dwordx4 v[62:65], off, off offset:152
	scratch_load_dwordx2 v[86:87], off, off offset:80
	ds_read2_b64 v[66:69], v44 offset0:33 offset1:34
	ds_read2_b64 v[70:73], v44 offset0:35 offset1:36
	;; [unrolled: 1-line block ×5, first 2 shown]
	v_cmp_lt_u32_e32 vcc, 9, v0
	s_waitcnt vmcnt(5) lgkmcnt(4)
	v_mul_f32_e32 v45, v66, v47
	v_mul_f32_e32 v44, v67, v47
	;; [unrolled: 1-line block ×4, first 2 shown]
	s_waitcnt vmcnt(4) lgkmcnt(3)
	v_pk_mul_f32 v[90:91], v[70:71], v[50:51] op_sel:[1,1] op_sel_hi:[0,1]
	v_mov_b32_e32 v92, v53
	v_fmac_f32_e32 v45, v67, v46
	v_fma_f32 v44, v66, v46, -v44
	v_fmac_f32_e32 v89, v69, v48
	v_fma_f32 v88, v68, v48, -v47
	v_pk_fma_f32 v[46:47], v[70:71], v[50:51], v[90:91] neg_lo:[0,0,1] neg_hi:[0,0,1]
	v_pk_fma_f32 v[48:49], v[70:71], v[50:51], v[90:91] op_sel_hi:[1,0,1]
	v_pk_mul_f32 v[50:51], v[72:73], v[92:93] op_sel:[1,0] op_sel_hi:[0,0]
	v_pk_add_f32 v[44:45], v[44:45], 0 op_sel_hi:[1,0]
	s_waitcnt vmcnt(3) lgkmcnt(2)
	v_pk_mul_f32 v[94:95], v[74:75], v[54:55] op_sel:[1,1] op_sel_hi:[0,1]
	v_mov_b32_e32 v96, v57
	v_mov_b32_e32 v47, v49
	v_pk_fma_f32 v[48:49], v[72:73], v[52:53], v[50:51] neg_lo:[0,0,1] neg_hi:[0,0,1]
	v_pk_fma_f32 v[50:51], v[72:73], v[52:53], v[50:51] op_sel_hi:[1,0,1]
	v_pk_add_f32 v[44:45], v[44:45], v[88:89]
	v_pk_fma_f32 v[66:67], v[74:75], v[54:55], v[94:95] neg_lo:[0,0,1] neg_hi:[0,0,1]
	v_pk_fma_f32 v[54:55], v[74:75], v[54:55], v[94:95] op_sel_hi:[1,0,1]
	v_pk_mul_f32 v[68:69], v[76:77], v[96:97] op_sel:[1,0] op_sel_hi:[0,0]
	v_mov_b32_e32 v49, v51
	v_pk_add_f32 v[44:45], v[44:45], v[46:47]
	s_waitcnt vmcnt(2) lgkmcnt(1)
	v_pk_mul_f32 v[98:99], v[78:79], v[58:59] op_sel:[1,1] op_sel_hi:[0,1]
	v_mov_b32_e32 v100, v61
	v_mov_b32_e32 v67, v55
	v_pk_fma_f32 v[52:53], v[76:77], v[56:57], v[68:69] neg_lo:[0,0,1] neg_hi:[0,0,1]
	v_pk_fma_f32 v[54:55], v[76:77], v[56:57], v[68:69] op_sel_hi:[1,0,1]
	v_pk_add_f32 v[44:45], v[44:45], v[48:49]
	v_pk_fma_f32 v[70:71], v[78:79], v[58:59], v[98:99] neg_lo:[0,0,1] neg_hi:[0,0,1]
	v_pk_fma_f32 v[58:59], v[78:79], v[58:59], v[98:99] op_sel_hi:[1,0,1]
	v_pk_mul_f32 v[74:75], v[80:81], v[100:101] op_sel:[1,0] op_sel_hi:[0,0]
	v_mov_b32_e32 v53, v55
	v_pk_add_f32 v[44:45], v[44:45], v[66:67]
	;; [unrolled: 12-line block ×3, first 2 shown]
	v_mov_b32_e32 v79, v63
	v_pk_fma_f32 v[60:61], v[84:85], v[64:65], v[82:83] neg_lo:[0,0,1] neg_hi:[0,0,1]
	v_pk_fma_f32 v[62:63], v[84:85], v[64:65], v[82:83] op_sel_hi:[1,0,1]
	v_pk_add_f32 v[44:45], v[44:45], v[56:57]
	v_mov_b32_e32 v61, v63
	v_pk_add_f32 v[44:45], v[44:45], v[78:79]
	s_nop 0
	v_pk_add_f32 v[44:45], v[44:45], v[60:61]
	s_waitcnt vmcnt(0)
	v_pk_add_f32 v[44:45], v[86:87], v[44:45] neg_lo:[0,1] neg_hi:[0,1]
	scratch_store_dwordx2 off, v[44:45], off offset:80
	s_and_saveexec_b64 s[0:1], vcc
	s_cbranch_execz .LBB84_121
; %bb.120:
	scratch_load_dwordx2 v[44:45], off, off offset:72
	v_mov_b32_e32 v46, 0
	v_mov_b32_e32 v47, v46
	scratch_store_dwordx2 off, v[46:47], off offset:72
	s_waitcnt vmcnt(1)
	ds_write_b64 v1, v[44:45]
.LBB84_121:
	s_or_b64 exec, exec, s[0:1]
	s_waitcnt lgkmcnt(0)
	; wave barrier
	scratch_load_dwordx4 v[46:49], off, off offset:80
	scratch_load_dwordx4 v[50:53], off, off offset:96
	;; [unrolled: 1-line block ×5, first 2 shown]
	scratch_load_dwordx2 v[86:87], off, off offset:160
	scratch_load_dwordx2 v[88:89], off, off offset:72
	v_mov_b32_e32 v44, 0
	ds_read_b128 v[66:69], v44 offset:256
	ds_read_b128 v[70:73], v44 offset:272
	ds_read_b128 v[74:77], v44 offset:288
	ds_read_b128 v[78:81], v44 offset:304
	ds_read_b128 v[82:85], v44 offset:320
	ds_read_b64 v[90:91], v44 offset:336
	v_cmp_lt_u32_e32 vcc, 8, v0
	s_waitcnt vmcnt(6) lgkmcnt(5)
	v_mul_f32_e32 v45, v66, v47
	v_mul_f32_e32 v47, v67, v47
	;; [unrolled: 1-line block ×3, first 2 shown]
	s_waitcnt vmcnt(5) lgkmcnt(4)
	v_mul_f32_e32 v95, v70, v51
	v_mul_f32_e32 v49, v69, v49
	;; [unrolled: 1-line block ×3, first 2 shown]
	v_mov_b32_e32 v96, v53
	s_waitcnt vmcnt(3) lgkmcnt(2)
	v_pk_mul_f32 v[102:103], v[78:79], v[58:59] op_sel:[1,1] op_sel_hi:[0,1]
	s_waitcnt vmcnt(2) lgkmcnt(1)
	v_pk_mul_f32 v[106:107], v[82:83], v[62:63] op_sel:[1,1] op_sel_hi:[0,1]
	;; [unrolled: 2-line block ×3, first 2 shown]
	v_fmac_f32_e32 v45, v67, v46
	v_fma_f32 v97, v66, v46, -v47
	v_fmac_f32_e32 v93, v69, v48
	v_fmac_f32_e32 v95, v71, v50
	v_fma_f32 v92, v68, v48, -v49
	v_fma_f32 v94, v70, v50, -v51
	v_pk_mul_f32 v[46:47], v[72:73], v[96:97] op_sel:[1,0] op_sel_hi:[0,0]
	v_pk_fma_f32 v[66:67], v[78:79], v[58:59], v[102:103] neg_lo:[0,0,1] neg_hi:[0,0,1]
	v_pk_fma_f32 v[58:59], v[78:79], v[58:59], v[102:103] op_sel_hi:[1,0,1]
	v_pk_fma_f32 v[70:71], v[82:83], v[62:63], v[106:107] neg_lo:[0,0,1] neg_hi:[0,0,1]
	v_pk_fma_f32 v[62:63], v[82:83], v[62:63], v[106:107] op_sel_hi:[1,0,1]
	;; [unrolled: 2-line block ×3, first 2 shown]
	v_add_f32_e32 v87, 0, v45
	v_add_f32_e32 v86, 0, v97
	v_pk_mul_f32 v[98:99], v[74:75], v[54:55] op_sel:[1,1] op_sel_hi:[0,1]
	v_mov_b32_e32 v100, v57
	v_pk_fma_f32 v[90:91], v[72:73], v[52:53], v[46:47] neg_lo:[0,0,1] neg_hi:[0,0,1]
	v_pk_fma_f32 v[46:47], v[72:73], v[52:53], v[46:47] op_sel_hi:[1,0,1]
	v_mov_b32_e32 v71, v63
	v_pk_add_f32 v[62:63], v[86:87], v[92:93]
	v_pk_fma_f32 v[48:49], v[74:75], v[54:55], v[98:99] neg_lo:[0,0,1] neg_hi:[0,0,1]
	v_pk_fma_f32 v[50:51], v[74:75], v[54:55], v[98:99] op_sel_hi:[1,0,1]
	v_pk_mul_f32 v[54:55], v[76:77], v[100:101] op_sel:[1,0] op_sel_hi:[0,0]
	v_mov_b32_e32 v91, v47
	v_pk_add_f32 v[46:47], v[62:63], v[94:95]
	v_mov_b32_e32 v104, v61
	v_mov_b32_e32 v49, v51
	v_pk_fma_f32 v[50:51], v[76:77], v[56:57], v[54:55] neg_lo:[0,0,1] neg_hi:[0,0,1]
	v_pk_fma_f32 v[52:53], v[76:77], v[56:57], v[54:55] op_sel_hi:[1,0,1]
	v_pk_add_f32 v[46:47], v[46:47], v[90:91]
	v_pk_mul_f32 v[68:69], v[80:81], v[104:105] op_sel:[1,0] op_sel_hi:[0,0]
	v_mov_b32_e32 v51, v53
	v_pk_add_f32 v[46:47], v[46:47], v[48:49]
	v_mov_b32_e32 v108, v65
	v_mov_b32_e32 v67, v59
	v_pk_fma_f32 v[54:55], v[80:81], v[60:61], v[68:69] neg_lo:[0,0,1] neg_hi:[0,0,1]
	v_pk_fma_f32 v[56:57], v[80:81], v[60:61], v[68:69] op_sel_hi:[1,0,1]
	v_pk_add_f32 v[46:47], v[46:47], v[50:51]
	v_pk_mul_f32 v[74:75], v[84:85], v[108:109] op_sel:[1,0] op_sel_hi:[0,0]
	v_mov_b32_e32 v55, v57
	v_pk_add_f32 v[46:47], v[46:47], v[66:67]
	v_pk_fma_f32 v[58:59], v[84:85], v[64:65], v[74:75] neg_lo:[0,0,1] neg_hi:[0,0,1]
	v_pk_fma_f32 v[60:61], v[84:85], v[64:65], v[74:75] op_sel_hi:[1,0,1]
	v_pk_add_f32 v[46:47], v[46:47], v[54:55]
	v_mov_b32_e32 v59, v61
	v_pk_add_f32 v[46:47], v[46:47], v[70:71]
	v_mov_b32_e32 v79, v83
	v_pk_add_f32 v[46:47], v[46:47], v[58:59]
	s_nop 0
	v_pk_add_f32 v[46:47], v[46:47], v[78:79]
	s_waitcnt vmcnt(0)
	v_pk_add_f32 v[46:47], v[88:89], v[46:47] neg_lo:[0,1] neg_hi:[0,1]
	scratch_store_dwordx2 off, v[46:47], off offset:72
	s_and_saveexec_b64 s[0:1], vcc
	s_cbranch_execz .LBB84_123
; %bb.122:
	scratch_load_dwordx2 v[46:47], off, off offset:64
	v_mov_b32_e32 v45, v44
	scratch_store_dwordx2 off, v[44:45], off offset:64
	s_waitcnt vmcnt(1)
	ds_write_b64 v1, v[46:47]
.LBB84_123:
	s_or_b64 exec, exec, s[0:1]
	s_waitcnt lgkmcnt(0)
	; wave barrier
	scratch_load_dwordx4 v[46:49], off, off offset:72
	scratch_load_dwordx4 v[50:53], off, off offset:88
	;; [unrolled: 1-line block ×6, first 2 shown]
	scratch_load_dwordx2 v[94:95], off, off offset:64
	ds_read2_b64 v[70:73], v44 offset0:31 offset1:32
	ds_read2_b64 v[74:77], v44 offset0:33 offset1:34
	;; [unrolled: 1-line block ×6, first 2 shown]
	v_cmp_lt_u32_e32 vcc, 7, v0
	s_waitcnt vmcnt(6) lgkmcnt(5)
	v_mul_f32_e32 v101, v70, v47
	v_mul_f32_e32 v105, v72, v49
	s_waitcnt vmcnt(5) lgkmcnt(4)
	v_mul_f32_e32 v45, v74, v51
	v_mul_f32_e32 v44, v71, v47
	;; [unrolled: 1-line block ×4, first 2 shown]
	s_waitcnt vmcnt(1) lgkmcnt(0)
	v_pk_mul_f32 v[110:111], v[90:91], v[66:67] op_sel:[1,1] op_sel_hi:[0,1]
	v_pk_mul_f32 v[98:99], v[78:79], v[54:55] op_sel:[1,1] op_sel_hi:[0,1]
	v_fmac_f32_e32 v101, v71, v46
	v_fmac_f32_e32 v45, v75, v50
	v_fma_f32 v109, v70, v46, -v44
	v_fma_f32 v44, v74, v50, -v49
	v_pk_fma_f32 v[74:75], v[90:91], v[66:67], v[110:111] neg_lo:[0,0,1] neg_hi:[0,0,1]
	v_pk_fma_f32 v[66:67], v[90:91], v[66:67], v[110:111] op_sel_hi:[1,0,1]
	v_fmac_f32_e32 v105, v73, v48
	v_fma_f32 v113, v72, v48, -v47
	v_pk_fma_f32 v[46:47], v[78:79], v[54:55], v[98:99] neg_lo:[0,0,1] neg_hi:[0,0,1]
	v_pk_fma_f32 v[48:49], v[78:79], v[54:55], v[98:99] op_sel_hi:[1,0,1]
	v_add_f32_e32 v66, 0, v101
	v_add_f32_e32 v78, 0, v109
	v_mul_f32_e32 v97, v76, v53
	v_mul_f32_e32 v51, v77, v53
	v_mov_b32_e32 v100, v57
	v_mov_b32_e32 v75, v67
	v_add_f32_e32 v67, v66, v105
	v_add_f32_e32 v66, v78, v113
	v_fmac_f32_e32 v97, v77, v52
	v_fma_f32 v96, v76, v52, -v51
	v_pk_mul_f32 v[50:51], v[80:81], v[100:101] op_sel:[1,0] op_sel_hi:[0,0]
	v_pk_add_f32 v[44:45], v[66:67], v[44:45]
	v_pk_mul_f32 v[102:103], v[82:83], v[58:59] op_sel:[1,1] op_sel_hi:[0,1]
	v_mov_b32_e32 v104, v61
	v_mov_b32_e32 v47, v49
	v_pk_fma_f32 v[48:49], v[80:81], v[56:57], v[50:51] neg_lo:[0,0,1] neg_hi:[0,0,1]
	v_pk_fma_f32 v[50:51], v[80:81], v[56:57], v[50:51] op_sel_hi:[1,0,1]
	v_pk_add_f32 v[44:45], v[44:45], v[96:97]
	v_pk_fma_f32 v[52:53], v[82:83], v[58:59], v[102:103] neg_lo:[0,0,1] neg_hi:[0,0,1]
	v_pk_fma_f32 v[54:55], v[82:83], v[58:59], v[102:103] op_sel_hi:[1,0,1]
	v_pk_mul_f32 v[58:59], v[84:85], v[104:105] op_sel:[1,0] op_sel_hi:[0,0]
	v_mov_b32_e32 v49, v51
	v_pk_add_f32 v[44:45], v[44:45], v[46:47]
	v_pk_mul_f32 v[106:107], v[86:87], v[62:63] op_sel:[1,1] op_sel_hi:[0,1]
	v_mov_b32_e32 v108, v65
	v_mov_b32_e32 v53, v55
	v_pk_fma_f32 v[54:55], v[84:85], v[60:61], v[58:59] neg_lo:[0,0,1] neg_hi:[0,0,1]
	v_pk_fma_f32 v[56:57], v[84:85], v[60:61], v[58:59] op_sel_hi:[1,0,1]
	v_pk_add_f32 v[44:45], v[44:45], v[48:49]
	v_pk_fma_f32 v[70:71], v[86:87], v[62:63], v[106:107] neg_lo:[0,0,1] neg_hi:[0,0,1]
	v_pk_fma_f32 v[62:63], v[86:87], v[62:63], v[106:107] op_sel_hi:[1,0,1]
	v_pk_mul_f32 v[72:73], v[88:89], v[108:109] op_sel:[1,0] op_sel_hi:[0,0]
	v_mov_b32_e32 v55, v57
	v_pk_add_f32 v[44:45], v[44:45], v[52:53]
	v_mov_b32_e32 v112, v69
	v_mov_b32_e32 v71, v63
	v_pk_fma_f32 v[58:59], v[88:89], v[64:65], v[72:73] neg_lo:[0,0,1] neg_hi:[0,0,1]
	v_pk_fma_f32 v[60:61], v[88:89], v[64:65], v[72:73] op_sel_hi:[1,0,1]
	v_pk_add_f32 v[44:45], v[44:45], v[54:55]
	v_pk_mul_f32 v[76:77], v[92:93], v[112:113] op_sel:[1,0] op_sel_hi:[0,0]
	v_mov_b32_e32 v59, v61
	v_pk_add_f32 v[44:45], v[44:45], v[70:71]
	v_pk_fma_f32 v[62:63], v[92:93], v[68:69], v[76:77] neg_lo:[0,0,1] neg_hi:[0,0,1]
	v_pk_fma_f32 v[64:65], v[92:93], v[68:69], v[76:77] op_sel_hi:[1,0,1]
	v_pk_add_f32 v[44:45], v[44:45], v[58:59]
	v_mov_b32_e32 v63, v65
	v_pk_add_f32 v[44:45], v[44:45], v[74:75]
	s_nop 0
	v_pk_add_f32 v[44:45], v[44:45], v[62:63]
	s_waitcnt vmcnt(0)
	v_pk_add_f32 v[44:45], v[94:95], v[44:45] neg_lo:[0,1] neg_hi:[0,1]
	scratch_store_dwordx2 off, v[44:45], off offset:64
	s_and_saveexec_b64 s[0:1], vcc
	s_cbranch_execz .LBB84_125
; %bb.124:
	scratch_load_dwordx2 v[44:45], off, off offset:56
	v_mov_b32_e32 v46, 0
	v_mov_b32_e32 v47, v46
	scratch_store_dwordx2 off, v[46:47], off offset:56
	s_waitcnt vmcnt(1)
	ds_write_b64 v1, v[44:45]
.LBB84_125:
	s_or_b64 exec, exec, s[0:1]
	s_waitcnt lgkmcnt(0)
	; wave barrier
	scratch_load_dwordx4 v[46:49], off, off offset:64
	scratch_load_dwordx4 v[50:53], off, off offset:80
	;; [unrolled: 1-line block ×6, first 2 shown]
	scratch_load_dwordx2 v[94:95], off, off offset:160
	scratch_load_dwordx2 v[96:97], off, off offset:56
	v_mov_b32_e32 v44, 0
	ds_read_b128 v[70:73], v44 offset:240
	ds_read_b128 v[74:77], v44 offset:256
	;; [unrolled: 1-line block ×6, first 2 shown]
	ds_read_b64 v[98:99], v44 offset:336
	v_cmp_lt_u32_e32 vcc, 6, v0
	s_waitcnt vmcnt(7) lgkmcnt(6)
	v_mul_f32_e32 v105, v72, v49
	v_mul_f32_e32 v45, v70, v47
	s_waitcnt vmcnt(5) lgkmcnt(4)
	v_mul_f32_e32 v103, v78, v55
	v_mul_f32_e32 v47, v71, v47
	v_mov_b32_e32 v104, v57
	s_waitcnt vmcnt(2) lgkmcnt(1)
	v_pk_mul_f32 v[114:115], v[90:91], v[66:67] op_sel:[1,1] op_sel_hi:[0,1]
	v_fmac_f32_e32 v105, v73, v48
	v_mul_f32_e32 v49, v73, v49
	v_mul_f32_e32 v55, v79, v55
	v_fmac_f32_e32 v45, v71, v46
	v_fmac_f32_e32 v103, v79, v54
	v_fma_f32 v79, v70, v46, -v47
	v_pk_mul_f32 v[46:47], v[80:81], v[104:105] op_sel:[1,0] op_sel_hi:[0,0]
	v_pk_fma_f32 v[70:71], v[90:91], v[66:67], v[114:115] neg_lo:[0,0,1] neg_hi:[0,0,1]
	v_pk_fma_f32 v[66:67], v[90:91], v[66:67], v[114:115] op_sel_hi:[1,0,1]
	v_mul_f32_e32 v109, v74, v51
	v_mul_f32_e32 v51, v75, v51
	v_fma_f32 v113, v72, v48, -v49
	v_fma_f32 v102, v78, v54, -v55
	v_add_f32_e32 v45, 0, v45
	v_add_f32_e32 v66, 0, v79
	v_pk_fma_f32 v[78:79], v[80:81], v[56:57], v[46:47] neg_lo:[0,0,1] neg_hi:[0,0,1]
	v_pk_fma_f32 v[46:47], v[80:81], v[56:57], v[46:47] op_sel_hi:[1,0,1]
	v_mul_f32_e32 v101, v76, v53
	v_mul_f32_e32 v53, v77, v53
	v_fmac_f32_e32 v109, v75, v50
	v_fma_f32 v117, v74, v50, -v51
	v_add_f32_e32 v45, v45, v105
	v_add_f32_e32 v46, v66, v113
	v_fmac_f32_e32 v101, v77, v52
	v_fma_f32 v100, v76, v52, -v53
	v_mov_b32_e32 v79, v47
	v_add_f32_e32 v47, v45, v109
	v_add_f32_e32 v46, v46, v117
	v_pk_mul_f32 v[106:107], v[82:83], v[58:59] op_sel:[1,1] op_sel_hi:[0,1]
	v_mov_b32_e32 v108, v61
	v_pk_add_f32 v[46:47], v[46:47], v[100:101]
	v_pk_fma_f32 v[48:49], v[82:83], v[58:59], v[106:107] neg_lo:[0,0,1] neg_hi:[0,0,1]
	v_pk_fma_f32 v[50:51], v[82:83], v[58:59], v[106:107] op_sel_hi:[1,0,1]
	v_pk_mul_f32 v[52:53], v[84:85], v[108:109] op_sel:[1,0] op_sel_hi:[0,0]
	v_pk_add_f32 v[46:47], v[46:47], v[102:103]
	v_pk_mul_f32 v[110:111], v[86:87], v[62:63] op_sel:[1,1] op_sel_hi:[0,1]
	v_mov_b32_e32 v112, v65
	v_mov_b32_e32 v49, v51
	v_pk_fma_f32 v[50:51], v[84:85], v[60:61], v[52:53] neg_lo:[0,0,1] neg_hi:[0,0,1]
	v_pk_fma_f32 v[52:53], v[84:85], v[60:61], v[52:53] op_sel_hi:[1,0,1]
	v_pk_add_f32 v[46:47], v[46:47], v[78:79]
	v_pk_fma_f32 v[54:55], v[86:87], v[62:63], v[110:111] neg_lo:[0,0,1] neg_hi:[0,0,1]
	v_pk_fma_f32 v[58:59], v[86:87], v[62:63], v[110:111] op_sel_hi:[1,0,1]
	v_pk_mul_f32 v[62:63], v[88:89], v[112:113] op_sel:[1,0] op_sel_hi:[0,0]
	v_mov_b32_e32 v51, v53
	v_pk_add_f32 v[46:47], v[46:47], v[48:49]
	v_mov_b32_e32 v116, v69
	v_mov_b32_e32 v55, v59
	v_pk_fma_f32 v[56:57], v[88:89], v[64:65], v[62:63] neg_lo:[0,0,1] neg_hi:[0,0,1]
	v_pk_fma_f32 v[58:59], v[88:89], v[64:65], v[62:63] op_sel_hi:[1,0,1]
	v_pk_add_f32 v[46:47], v[46:47], v[50:51]
	v_pk_mul_f32 v[72:73], v[92:93], v[116:117] op_sel:[1,0] op_sel_hi:[0,0]
	v_mov_b32_e32 v57, v59
	v_pk_add_f32 v[46:47], v[46:47], v[54:55]
	s_waitcnt vmcnt(1) lgkmcnt(0)
	v_pk_mul_f32 v[118:119], v[98:99], v[94:95] op_sel:[1,1] op_sel_hi:[0,1]
	v_mov_b32_e32 v71, v67
	v_pk_fma_f32 v[60:61], v[92:93], v[68:69], v[72:73] neg_lo:[0,0,1] neg_hi:[0,0,1]
	v_pk_fma_f32 v[62:63], v[92:93], v[68:69], v[72:73] op_sel_hi:[1,0,1]
	v_pk_add_f32 v[46:47], v[46:47], v[56:57]
	v_pk_fma_f32 v[74:75], v[98:99], v[94:95], v[118:119] neg_lo:[0,0,1] neg_hi:[0,0,1]
	v_pk_fma_f32 v[76:77], v[98:99], v[94:95], v[118:119] op_sel_hi:[1,0,1]
	v_mov_b32_e32 v61, v63
	v_pk_add_f32 v[46:47], v[46:47], v[70:71]
	v_mov_b32_e32 v75, v77
	v_pk_add_f32 v[46:47], v[46:47], v[60:61]
	s_nop 0
	v_pk_add_f32 v[46:47], v[46:47], v[74:75]
	s_waitcnt vmcnt(0)
	v_pk_add_f32 v[46:47], v[96:97], v[46:47] neg_lo:[0,1] neg_hi:[0,1]
	scratch_store_dwordx2 off, v[46:47], off offset:56
	s_and_saveexec_b64 s[0:1], vcc
	s_cbranch_execz .LBB84_127
; %bb.126:
	scratch_load_dwordx2 v[46:47], off, off offset:48
	v_mov_b32_e32 v45, v44
	scratch_store_dwordx2 off, v[44:45], off offset:48
	s_waitcnt vmcnt(1)
	ds_write_b64 v1, v[46:47]
.LBB84_127:
	s_or_b64 exec, exec, s[0:1]
	s_waitcnt lgkmcnt(0)
	; wave barrier
	scratch_load_dwordx4 v[46:49], off, off offset:56
	scratch_load_dwordx4 v[50:53], off, off offset:72
	;; [unrolled: 1-line block ×7, first 2 shown]
	ds_read2_b64 v[74:77], v44 offset0:29 offset1:30
	ds_read2_b64 v[78:81], v44 offset0:31 offset1:32
	;; [unrolled: 1-line block ×6, first 2 shown]
	scratch_load_dwordx2 v[102:103], off, off offset:48
	ds_read2_b64 v[98:101], v44 offset0:41 offset1:42
	v_cmp_lt_u32_e32 vcc, 5, v0
	s_waitcnt vmcnt(7) lgkmcnt(6)
	v_mul_f32_e32 v109, v74, v47
	v_mul_f32_e32 v113, v76, v49
	s_waitcnt vmcnt(6) lgkmcnt(5)
	v_mul_f32_e32 v117, v78, v51
	v_mul_f32_e32 v121, v80, v53
	;; [unrolled: 3-line block ×3, first 2 shown]
	v_mul_f32_e32 v44, v75, v47
	v_mul_f32_e32 v47, v77, v49
	;; [unrolled: 1-line block ×6, first 2 shown]
	s_waitcnt vmcnt(4) lgkmcnt(3)
	v_pk_mul_f32 v[106:107], v[86:87], v[58:59] op_sel:[1,1] op_sel_hi:[0,1]
	v_mov_b32_e32 v108, v61
	s_waitcnt vmcnt(3) lgkmcnt(2)
	v_pk_mul_f32 v[110:111], v[90:91], v[62:63] op_sel:[1,1] op_sel_hi:[0,1]
	v_mov_b32_e32 v112, v65
	s_waitcnt vmcnt(1) lgkmcnt(0)
	v_pk_mul_f32 v[118:119], v[98:99], v[70:71] op_sel:[1,1] op_sel_hi:[0,1]
	v_fmac_f32_e32 v109, v75, v46
	v_fmac_f32_e32 v113, v77, v48
	;; [unrolled: 1-line block ×6, first 2 shown]
	v_fma_f32 v79, v74, v46, -v44
	v_fma_f32 v81, v76, v48, -v47
	;; [unrolled: 1-line block ×6, first 2 shown]
	v_pk_fma_f32 v[46:47], v[86:87], v[58:59], v[106:107] neg_lo:[0,0,1] neg_hi:[0,0,1]
	v_pk_fma_f32 v[48:49], v[86:87], v[58:59], v[106:107] op_sel_hi:[1,0,1]
	v_pk_mul_f32 v[50:51], v[88:89], v[108:109] op_sel:[1,0] op_sel_hi:[0,0]
	v_pk_fma_f32 v[52:53], v[90:91], v[62:63], v[110:111] neg_lo:[0,0,1] neg_hi:[0,0,1]
	v_pk_fma_f32 v[54:55], v[90:91], v[62:63], v[110:111] op_sel_hi:[1,0,1]
	v_pk_mul_f32 v[56:57], v[92:93], v[112:113] op_sel:[1,0] op_sel_hi:[0,0]
	v_pk_fma_f32 v[74:75], v[98:99], v[70:71], v[118:119] neg_lo:[0,0,1] neg_hi:[0,0,1]
	v_pk_fma_f32 v[70:71], v[98:99], v[70:71], v[118:119] op_sel_hi:[1,0,1]
	v_add_f32_e32 v79, 0, v79
	v_add_f32_e32 v70, 0, v109
	v_mov_b32_e32 v47, v49
	v_pk_fma_f32 v[48:49], v[88:89], v[60:61], v[50:51] neg_lo:[0,0,1] neg_hi:[0,0,1]
	v_pk_fma_f32 v[50:51], v[88:89], v[60:61], v[50:51] op_sel_hi:[1,0,1]
	v_mov_b32_e32 v53, v55
	v_pk_fma_f32 v[54:55], v[92:93], v[64:65], v[56:57] neg_lo:[0,0,1] neg_hi:[0,0,1]
	v_pk_fma_f32 v[56:57], v[92:93], v[64:65], v[56:57] op_sel_hi:[1,0,1]
	v_add_f32_e32 v50, v70, v113
	v_add_f32_e32 v56, v79, v81
	;; [unrolled: 1-line block ×4, first 2 shown]
	v_mov_b32_e32 v49, v51
	v_add_f32_e32 v51, v50, v121
	v_add_f32_e32 v50, v56, v80
	v_pk_add_f32 v[44:45], v[50:51], v[44:45]
	v_pk_mul_f32 v[114:115], v[94:95], v[66:67] op_sel:[1,1] op_sel_hi:[0,1]
	v_pk_add_f32 v[44:45], v[44:45], v[104:105]
	v_mov_b32_e32 v116, v69
	v_pk_add_f32 v[44:45], v[44:45], v[46:47]
	v_pk_fma_f32 v[58:59], v[94:95], v[66:67], v[114:115] neg_lo:[0,0,1] neg_hi:[0,0,1]
	v_pk_add_f32 v[44:45], v[44:45], v[48:49]
	v_pk_fma_f32 v[62:63], v[94:95], v[66:67], v[114:115] op_sel_hi:[1,0,1]
	v_pk_mul_f32 v[66:67], v[96:97], v[116:117] op_sel:[1,0] op_sel_hi:[0,0]
	v_mov_b32_e32 v55, v57
	v_pk_add_f32 v[44:45], v[44:45], v[52:53]
	v_mov_b32_e32 v120, v73
	v_mov_b32_e32 v59, v63
	v_pk_fma_f32 v[60:61], v[96:97], v[68:69], v[66:67] neg_lo:[0,0,1] neg_hi:[0,0,1]
	v_pk_fma_f32 v[62:63], v[96:97], v[68:69], v[66:67] op_sel_hi:[1,0,1]
	v_pk_add_f32 v[44:45], v[44:45], v[54:55]
	v_pk_mul_f32 v[76:77], v[100:101], v[120:121] op_sel:[1,0] op_sel_hi:[0,0]
	v_mov_b32_e32 v61, v63
	v_pk_add_f32 v[44:45], v[44:45], v[58:59]
	v_mov_b32_e32 v75, v71
	v_pk_fma_f32 v[64:65], v[100:101], v[72:73], v[76:77] neg_lo:[0,0,1] neg_hi:[0,0,1]
	v_pk_fma_f32 v[66:67], v[100:101], v[72:73], v[76:77] op_sel_hi:[1,0,1]
	v_pk_add_f32 v[44:45], v[44:45], v[60:61]
	v_mov_b32_e32 v65, v67
	v_pk_add_f32 v[44:45], v[44:45], v[74:75]
	s_nop 0
	v_pk_add_f32 v[44:45], v[44:45], v[64:65]
	s_waitcnt vmcnt(0)
	v_pk_add_f32 v[44:45], v[102:103], v[44:45] neg_lo:[0,1] neg_hi:[0,1]
	scratch_store_dwordx2 off, v[44:45], off offset:48
	s_and_saveexec_b64 s[0:1], vcc
	s_cbranch_execz .LBB84_129
; %bb.128:
	scratch_load_dwordx2 v[44:45], off, off offset:40
	v_mov_b32_e32 v46, 0
	v_mov_b32_e32 v47, v46
	scratch_store_dwordx2 off, v[46:47], off offset:40
	s_waitcnt vmcnt(1)
	ds_write_b64 v1, v[44:45]
.LBB84_129:
	s_or_b64 exec, exec, s[0:1]
	s_waitcnt lgkmcnt(0)
	; wave barrier
	scratch_load_dwordx4 v[46:49], off, off offset:48
	scratch_load_dwordx4 v[50:53], off, off offset:64
	;; [unrolled: 1-line block ×7, first 2 shown]
	scratch_load_dwordx2 v[102:103], off, off offset:160
	scratch_load_dwordx2 v[104:105], off, off offset:40
	v_mov_b32_e32 v44, 0
	ds_read_b128 v[74:77], v44 offset:224
	ds_read_b128 v[78:81], v44 offset:240
	ds_read_b128 v[82:85], v44 offset:256
	ds_read_b128 v[86:89], v44 offset:272
	ds_read_b128 v[90:93], v44 offset:288
	ds_read_b128 v[94:97], v44 offset:304
	ds_read_b128 v[98:101], v44 offset:320
	ds_read_b64 v[106:107], v44 offset:336
	v_cmp_lt_u32_e32 vcc, 4, v0
	s_waitcnt vmcnt(8) lgkmcnt(7)
	v_mul_f32_e32 v113, v76, v49
	v_mul_f32_e32 v45, v74, v47
	s_waitcnt vmcnt(7) lgkmcnt(6)
	v_mul_f32_e32 v117, v78, v51
	s_waitcnt vmcnt(6) lgkmcnt(5)
	v_mul_f32_e32 v125, v82, v55
	v_mul_f32_e32 v109, v84, v57
	;; [unrolled: 1-line block ×5, first 2 shown]
	s_waitcnt vmcnt(5)
	v_mov_b32_e32 v112, v61
	s_waitcnt vmcnt(3) lgkmcnt(2)
	v_pk_mul_f32 v[118:119], v[94:95], v[66:67] op_sel:[1,1] op_sel_hi:[0,1]
	s_waitcnt vmcnt(2) lgkmcnt(1)
	v_pk_mul_f32 v[122:123], v[98:99], v[70:71] op_sel:[1,1] op_sel_hi:[0,1]
	v_fmac_f32_e32 v113, v77, v48
	v_mul_f32_e32 v49, v77, v49
	v_mul_f32_e32 v51, v79, v51
	v_fmac_f32_e32 v45, v75, v46
	v_fmac_f32_e32 v117, v79, v50
	;; [unrolled: 1-line block ×4, first 2 shown]
	v_fma_f32 v74, v74, v46, -v47
	v_fma_f32 v79, v82, v54, -v55
	;; [unrolled: 1-line block ×3, first 2 shown]
	v_pk_mul_f32 v[46:47], v[88:89], v[112:113] op_sel:[1,0] op_sel_hi:[0,0]
	v_pk_fma_f32 v[54:55], v[94:95], v[66:67], v[118:119] neg_lo:[0,0,1] neg_hi:[0,0,1]
	v_pk_fma_f32 v[56:57], v[94:95], v[66:67], v[118:119] op_sel_hi:[1,0,1]
	v_pk_fma_f32 v[66:67], v[98:99], v[70:71], v[122:123] op_sel_hi:[1,0,1]
	v_fma_f32 v76, v76, v48, -v49
	v_add_f32_e32 v45, 0, v45
	v_add_f32_e32 v66, 0, v74
	v_pk_fma_f32 v[74:75], v[88:89], v[60:61], v[46:47] neg_lo:[0,0,1] neg_hi:[0,0,1]
	v_pk_fma_f32 v[46:47], v[88:89], v[60:61], v[46:47] op_sel_hi:[1,0,1]
	v_mul_f32_e32 v121, v80, v53
	v_mul_f32_e32 v53, v81, v53
	v_fma_f32 v77, v78, v50, -v51
	v_add_f32_e32 v45, v45, v113
	v_add_f32_e32 v46, v66, v76
	v_fmac_f32_e32 v121, v81, v52
	v_fma_f32 v78, v80, v52, -v53
	v_add_f32_e32 v45, v45, v117
	v_add_f32_e32 v46, v46, v77
	;; [unrolled: 1-line block ×4, first 2 shown]
	v_mul_f32_e32 v111, v86, v59
	v_mul_f32_e32 v59, v87, v59
	v_mov_b32_e32 v75, v47
	v_add_f32_e32 v47, v45, v125
	v_add_f32_e32 v46, v46, v79
	v_pk_mul_f32 v[114:115], v[90:91], v[62:63] op_sel:[1,1] op_sel_hi:[0,1]
	v_mov_b32_e32 v116, v65
	v_fmac_f32_e32 v111, v87, v58
	v_fma_f32 v110, v86, v58, -v59
	v_pk_add_f32 v[46:47], v[46:47], v[108:109]
	v_pk_fma_f32 v[48:49], v[90:91], v[62:63], v[114:115] neg_lo:[0,0,1] neg_hi:[0,0,1]
	v_pk_fma_f32 v[50:51], v[90:91], v[62:63], v[114:115] op_sel_hi:[1,0,1]
	v_pk_mul_f32 v[52:53], v[92:93], v[116:117] op_sel:[1,0] op_sel_hi:[0,0]
	v_pk_add_f32 v[46:47], v[46:47], v[110:111]
	v_mov_b32_e32 v120, v69
	v_mov_b32_e32 v49, v51
	v_pk_fma_f32 v[50:51], v[92:93], v[64:65], v[52:53] neg_lo:[0,0,1] neg_hi:[0,0,1]
	v_pk_fma_f32 v[52:53], v[92:93], v[64:65], v[52:53] op_sel_hi:[1,0,1]
	v_pk_add_f32 v[46:47], v[46:47], v[74:75]
	v_pk_mul_f32 v[58:59], v[96:97], v[120:121] op_sel:[1,0] op_sel_hi:[0,0]
	v_mov_b32_e32 v51, v53
	v_pk_add_f32 v[46:47], v[46:47], v[48:49]
	v_mov_b32_e32 v124, v73
	v_mov_b32_e32 v55, v57
	v_pk_fma_f32 v[56:57], v[96:97], v[68:69], v[58:59] neg_lo:[0,0,1] neg_hi:[0,0,1]
	v_pk_fma_f32 v[58:59], v[96:97], v[68:69], v[58:59] op_sel_hi:[1,0,1]
	v_pk_add_f32 v[46:47], v[46:47], v[50:51]
	v_pk_fma_f32 v[62:63], v[98:99], v[70:71], v[122:123] neg_lo:[0,0,1] neg_hi:[0,0,1]
	v_pk_mul_f32 v[70:71], v[100:101], v[124:125] op_sel:[1,0] op_sel_hi:[0,0]
	v_mov_b32_e32 v57, v59
	v_pk_add_f32 v[46:47], v[46:47], v[54:55]
	v_mov_b32_e32 v63, v67
	v_pk_add_f32 v[46:47], v[46:47], v[56:57]
	v_pk_fma_f32 v[48:49], v[100:101], v[72:73], v[70:71] neg_lo:[0,0,1] neg_hi:[0,0,1]
	v_pk_fma_f32 v[50:51], v[100:101], v[72:73], v[70:71] op_sel_hi:[1,0,1]
	v_pk_add_f32 v[46:47], v[46:47], v[62:63]
	v_mov_b32_e32 v49, v51
	v_pk_add_f32 v[46:47], v[46:47], v[48:49]
	s_waitcnt vmcnt(1) lgkmcnt(0)
	v_pk_mul_f32 v[48:49], v[106:107], v[102:103] op_sel:[1,1] op_sel_hi:[0,1]
	v_pk_fma_f32 v[50:51], v[106:107], v[102:103], v[48:49] neg_lo:[0,0,1] neg_hi:[0,0,1]
	v_pk_fma_f32 v[48:49], v[106:107], v[102:103], v[48:49] op_sel_hi:[1,0,1]
	s_nop 0
	v_mov_b32_e32 v51, v49
	v_pk_add_f32 v[46:47], v[46:47], v[50:51]
	s_waitcnt vmcnt(0)
	v_pk_add_f32 v[46:47], v[104:105], v[46:47] neg_lo:[0,1] neg_hi:[0,1]
	scratch_store_dwordx2 off, v[46:47], off offset:40
	s_and_saveexec_b64 s[0:1], vcc
	s_cbranch_execz .LBB84_131
; %bb.130:
	scratch_load_dwordx2 v[46:47], off, off offset:32
	v_mov_b32_e32 v45, v44
	scratch_store_dwordx2 off, v[44:45], off offset:32
	s_waitcnt vmcnt(1)
	ds_write_b64 v1, v[46:47]
.LBB84_131:
	s_or_b64 exec, exec, s[0:1]
	s_waitcnt lgkmcnt(0)
	; wave barrier
	scratch_load_dwordx4 v[46:49], off, off offset:40
	scratch_load_dwordx4 v[50:53], off, off offset:56
	;; [unrolled: 1-line block ×7, first 2 shown]
	ds_read2_b64 v[74:77], v44 offset0:27 offset1:28
	ds_read2_b64 v[78:81], v44 offset0:29 offset1:30
	;; [unrolled: 1-line block ×4, first 2 shown]
	scratch_load_dwordx4 v[90:93], off, off offset:152
	ds_read2_b64 v[94:97], v44 offset0:35 offset1:36
	ds_read2_b64 v[98:101], v44 offset0:37 offset1:38
	;; [unrolled: 1-line block ×4, first 2 shown]
	scratch_load_dwordx2 v[44:45], off, off offset:32
	v_cmp_lt_u32_e32 vcc, 3, v0
	s_waitcnt vmcnt(8) lgkmcnt(7)
	v_mul_f32_e32 v117, v74, v47
	v_mul_f32_e32 v121, v76, v49
	s_waitcnt vmcnt(7) lgkmcnt(6)
	v_mul_f32_e32 v125, v78, v51
	v_mul_f32_e32 v126, v80, v53
	;; [unrolled: 3-line block ×3, first 2 shown]
	v_mul_f32_e32 v47, v75, v47
	v_mul_f32_e32 v49, v77, v49
	;; [unrolled: 1-line block ×6, first 2 shown]
	s_waitcnt vmcnt(4) lgkmcnt(3)
	v_pk_mul_f32 v[114:115], v[94:95], v[62:63] op_sel:[1,1] op_sel_hi:[0,1]
	v_mov_b32_e32 v116, v65
	s_waitcnt vmcnt(3) lgkmcnt(2)
	v_pk_mul_f32 v[118:119], v[98:99], v[66:67] op_sel:[1,1] op_sel_hi:[0,1]
	v_mov_b32_e32 v120, v69
	v_fmac_f32_e32 v117, v75, v46
	v_fmac_f32_e32 v121, v77, v48
	;; [unrolled: 1-line block ×6, first 2 shown]
	v_fma_f32 v74, v74, v46, -v47
	v_fma_f32 v75, v76, v48, -v49
	;; [unrolled: 1-line block ×6, first 2 shown]
	v_pk_fma_f32 v[46:47], v[94:95], v[62:63], v[114:115] neg_lo:[0,0,1] neg_hi:[0,0,1]
	v_pk_fma_f32 v[48:49], v[94:95], v[62:63], v[114:115] op_sel_hi:[1,0,1]
	v_pk_mul_f32 v[50:51], v[96:97], v[116:117] op_sel:[1,0] op_sel_hi:[0,0]
	v_pk_fma_f32 v[52:53], v[98:99], v[66:67], v[118:119] neg_lo:[0,0,1] neg_hi:[0,0,1]
	v_pk_fma_f32 v[54:55], v[98:99], v[66:67], v[118:119] op_sel_hi:[1,0,1]
	v_pk_mul_f32 v[56:57], v[100:101], v[120:121] op_sel:[1,0] op_sel_hi:[0,0]
	v_add_f32_e32 v66, 0, v117
	v_add_f32_e32 v67, 0, v74
	v_mov_b32_e32 v47, v49
	v_pk_fma_f32 v[48:49], v[96:97], v[64:65], v[50:51] neg_lo:[0,0,1] neg_hi:[0,0,1]
	v_pk_fma_f32 v[50:51], v[96:97], v[64:65], v[50:51] op_sel_hi:[1,0,1]
	v_mov_b32_e32 v53, v55
	v_pk_fma_f32 v[54:55], v[100:101], v[68:69], v[56:57] neg_lo:[0,0,1] neg_hi:[0,0,1]
	v_pk_fma_f32 v[56:57], v[100:101], v[68:69], v[56:57] op_sel_hi:[1,0,1]
	v_add_f32_e32 v50, v66, v121
	v_add_f32_e32 v56, v67, v75
	v_mov_b32_e32 v49, v51
	v_add_f32_e32 v50, v50, v125
	v_add_f32_e32 v51, v56, v76
	;; [unrolled: 1-line block ×4, first 2 shown]
	v_mul_f32_e32 v111, v86, v59
	v_mul_f32_e32 v59, v87, v59
	v_add_f32_e32 v50, v50, v127
	v_add_f32_e32 v56, v51, v78
	v_mul_f32_e32 v113, v88, v61
	v_mul_f32_e32 v61, v89, v61
	v_fmac_f32_e32 v111, v87, v58
	v_fma_f32 v110, v86, v58, -v59
	v_add_f32_e32 v51, v50, v128
	v_add_f32_e32 v50, v56, v79
	v_fmac_f32_e32 v113, v89, v60
	v_fma_f32 v112, v88, v60, -v61
	v_pk_add_f32 v[50:51], v[50:51], v[110:111]
	s_waitcnt vmcnt(2) lgkmcnt(1)
	v_pk_mul_f32 v[122:123], v[102:103], v[70:71] op_sel:[1,1] op_sel_hi:[0,1]
	v_mov_b32_e32 v124, v73
	v_pk_add_f32 v[50:51], v[50:51], v[112:113]
	v_pk_fma_f32 v[58:59], v[102:103], v[70:71], v[122:123] neg_lo:[0,0,1] neg_hi:[0,0,1]
	v_pk_fma_f32 v[60:61], v[102:103], v[70:71], v[122:123] op_sel_hi:[1,0,1]
	v_pk_mul_f32 v[62:63], v[104:105], v[124:125] op_sel:[1,0] op_sel_hi:[0,0]
	v_pk_add_f32 v[46:47], v[50:51], v[46:47]
	v_mov_b32_e32 v59, v61
	v_pk_fma_f32 v[60:61], v[104:105], v[72:73], v[62:63] neg_lo:[0,0,1] neg_hi:[0,0,1]
	v_pk_add_f32 v[46:47], v[46:47], v[48:49]
	v_pk_fma_f32 v[48:49], v[104:105], v[72:73], v[62:63] op_sel_hi:[1,0,1]
	v_mov_b32_e32 v55, v57
	v_pk_add_f32 v[46:47], v[46:47], v[52:53]
	v_mov_b32_e32 v61, v49
	s_waitcnt vmcnt(1) lgkmcnt(0)
	v_pk_mul_f32 v[48:49], v[106:107], v[90:91] op_sel:[1,1] op_sel_hi:[0,1]
	v_pk_add_f32 v[46:47], v[46:47], v[54:55]
	v_pk_fma_f32 v[50:51], v[106:107], v[90:91], v[48:49] neg_lo:[0,0,1] neg_hi:[0,0,1]
	v_pk_fma_f32 v[48:49], v[106:107], v[90:91], v[48:49] op_sel_hi:[1,0,1]
	v_pk_add_f32 v[46:47], v[46:47], v[58:59]
	v_mov_b32_e32 v48, v93
	v_pk_add_f32 v[46:47], v[46:47], v[60:61]
	v_mov_b32_e32 v51, v49
	v_pk_mul_f32 v[48:49], v[108:109], v[48:49] op_sel:[1,0] op_sel_hi:[0,0]
	v_pk_add_f32 v[46:47], v[46:47], v[50:51]
	v_pk_fma_f32 v[50:51], v[108:109], v[92:93], v[48:49] neg_lo:[0,0,1] neg_hi:[0,0,1]
	v_pk_fma_f32 v[48:49], v[108:109], v[92:93], v[48:49] op_sel_hi:[1,0,1]
	s_nop 0
	v_mov_b32_e32 v51, v49
	v_pk_add_f32 v[46:47], v[46:47], v[50:51]
	s_waitcnt vmcnt(0)
	v_pk_add_f32 v[44:45], v[44:45], v[46:47] neg_lo:[0,1] neg_hi:[0,1]
	scratch_store_dwordx2 off, v[44:45], off offset:32
	s_and_saveexec_b64 s[0:1], vcc
	s_cbranch_execz .LBB84_133
; %bb.132:
	scratch_load_dwordx2 v[44:45], off, off offset:24
	v_mov_b32_e32 v46, 0
	v_mov_b32_e32 v47, v46
	scratch_store_dwordx2 off, v[46:47], off offset:24
	s_waitcnt vmcnt(1)
	ds_write_b64 v1, v[44:45]
.LBB84_133:
	s_or_b64 exec, exec, s[0:1]
	v_mov_b32_e32 v44, 0
	s_waitcnt lgkmcnt(0)
	; wave barrier
	ds_read_b128 v[46:49], v44 offset:208
	ds_read_b128 v[50:53], v44 offset:224
	;; [unrolled: 1-line block ×4, first 2 shown]
	scratch_load_dwordx4 v[62:65], off, off offset:32
	scratch_load_dwordx4 v[82:85], off, off offset:96
	v_cmp_lt_u32_e32 vcc, 2, v0
	s_waitcnt vmcnt(1) lgkmcnt(3)
	v_mul_f32_e32 v45, v46, v63
	v_fmac_f32_e32 v45, v47, v62
	v_mul_f32_e32 v66, v48, v65
	v_add_f32_e32 v45, 0, v45
	v_fmac_f32_e32 v66, v49, v64
	v_add_f32_e32 v45, v45, v66
	scratch_load_dwordx4 v[66:69], off, off offset:48
	s_waitcnt vmcnt(0) lgkmcnt(2)
	v_mul_f32_e32 v70, v50, v67
	v_fmac_f32_e32 v70, v51, v66
	v_add_f32_e32 v45, v45, v70
	v_mul_f32_e32 v70, v52, v69
	v_fmac_f32_e32 v70, v53, v68
	v_add_f32_e32 v45, v45, v70
	scratch_load_dwordx4 v[70:73], off, off offset:64
	s_waitcnt vmcnt(0) lgkmcnt(1)
	v_mul_f32_e32 v74, v54, v71
	v_fmac_f32_e32 v74, v55, v70
	v_add_f32_e32 v45, v45, v74
	v_mul_f32_e32 v74, v56, v73
	v_fmac_f32_e32 v74, v57, v72
	v_add_f32_e32 v45, v45, v74
	scratch_load_dwordx4 v[74:77], off, off offset:80
	s_waitcnt vmcnt(0) lgkmcnt(0)
	v_mul_f32_e32 v78, v58, v75
	v_fmac_f32_e32 v78, v59, v74
	v_add_f32_e32 v99, v45, v78
	ds_read_b128 v[78:81], v44 offset:272
	scratch_load_dwordx4 v[86:89], off, off offset:112
	scratch_load_dwordx4 v[90:93], off, off offset:128
	;; [unrolled: 1-line block ×3, first 2 shown]
	scratch_load_dwordx2 v[104:105], off, off offset:160
	v_mul_f32_e32 v45, v47, v63
	v_fma_f32 v45, v46, v62, -v45
	v_mul_f32_e32 v46, v49, v65
	v_add_f32_e32 v45, 0, v45
	v_fma_f32 v46, v48, v64, -v46
	v_add_f32_e32 v45, v45, v46
	v_mul_f32_e32 v46, v51, v67
	v_fma_f32 v46, v50, v66, -v46
	v_add_f32_e32 v45, v45, v46
	v_mul_f32_e32 v46, v53, v69
	v_fma_f32 v46, v52, v68, -v46
	v_add_f32_e32 v45, v45, v46
	v_mul_f32_e32 v46, v55, v71
	v_fma_f32 v46, v54, v70, -v46
	v_add_f32_e32 v45, v45, v46
	v_mul_f32_e32 v46, v57, v73
	v_fma_f32 v46, v56, v72, -v46
	v_add_f32_e32 v45, v45, v46
	v_mul_f32_e32 v46, v59, v75
	v_fma_f32 v46, v58, v74, -v46
	v_mul_f32_e32 v101, v60, v77
	v_add_f32_e32 v98, v45, v46
	v_mul_f32_e32 v45, v61, v77
	v_mov_b32_e32 v62, v85
	v_fmac_f32_e32 v101, v61, v76
	s_waitcnt lgkmcnt(0)
	v_mul_f32_e32 v103, v78, v83
	v_fma_f32 v100, v60, v76, -v45
	v_mul_f32_e32 v45, v79, v83
	ds_read_b128 v[46:49], v44 offset:288
	ds_read_b128 v[50:53], v44 offset:304
	;; [unrolled: 1-line block ×3, first 2 shown]
	ds_read_b64 v[58:59], v44 offset:336
	v_pk_mul_f32 v[62:63], v[80:81], v[62:63] op_sel:[1,0] op_sel_hi:[0,0]
	v_fmac_f32_e32 v103, v79, v82
	v_fma_f32 v102, v78, v82, -v45
	v_pk_add_f32 v[60:61], v[98:99], v[100:101]
	v_pk_fma_f32 v[64:65], v[80:81], v[84:85], v[62:63] neg_lo:[0,0,1] neg_hi:[0,0,1]
	v_pk_fma_f32 v[62:63], v[80:81], v[84:85], v[62:63] op_sel_hi:[1,0,1]
	v_pk_add_f32 v[60:61], v[60:61], v[102:103]
	v_mov_b32_e32 v65, v63
	v_pk_add_f32 v[60:61], v[60:61], v[64:65]
	s_waitcnt vmcnt(3) lgkmcnt(3)
	v_pk_mul_f32 v[62:63], v[46:47], v[86:87] op_sel:[1,1] op_sel_hi:[0,1]
	v_pk_fma_f32 v[64:65], v[46:47], v[86:87], v[62:63] neg_lo:[0,0,1] neg_hi:[0,0,1]
	v_pk_fma_f32 v[46:47], v[46:47], v[86:87], v[62:63] op_sel_hi:[1,0,1]
	s_nop 0
	v_mov_b32_e32 v65, v47
	v_pk_add_f32 v[46:47], v[60:61], v[64:65]
	v_mov_b32_e32 v60, v89
	v_pk_mul_f32 v[60:61], v[48:49], v[60:61] op_sel:[1,0] op_sel_hi:[0,0]
	v_pk_fma_f32 v[62:63], v[48:49], v[88:89], v[60:61] neg_lo:[0,0,1] neg_hi:[0,0,1]
	v_pk_fma_f32 v[48:49], v[48:49], v[88:89], v[60:61] op_sel_hi:[1,0,1]
	s_nop 0
	v_mov_b32_e32 v63, v49
	s_waitcnt vmcnt(2) lgkmcnt(2)
	v_pk_mul_f32 v[48:49], v[50:51], v[90:91] op_sel:[1,1] op_sel_hi:[0,1]
	v_pk_fma_f32 v[60:61], v[50:51], v[90:91], v[48:49] neg_lo:[0,0,1] neg_hi:[0,0,1]
	v_pk_fma_f32 v[48:49], v[50:51], v[90:91], v[48:49] op_sel_hi:[1,0,1]
	v_pk_add_f32 v[46:47], v[46:47], v[62:63]
	v_mov_b32_e32 v48, v93
	v_mov_b32_e32 v61, v49
	v_pk_mul_f32 v[48:49], v[52:53], v[48:49] op_sel:[1,0] op_sel_hi:[0,0]
	v_pk_fma_f32 v[50:51], v[52:53], v[92:93], v[48:49] neg_lo:[0,0,1] neg_hi:[0,0,1]
	v_pk_fma_f32 v[48:49], v[52:53], v[92:93], v[48:49] op_sel_hi:[1,0,1]
	v_pk_add_f32 v[46:47], v[46:47], v[60:61]
	v_mov_b32_e32 v51, v49
	s_waitcnt vmcnt(1) lgkmcnt(1)
	v_pk_mul_f32 v[48:49], v[54:55], v[94:95] op_sel:[1,1] op_sel_hi:[0,1]
	v_pk_add_f32 v[46:47], v[46:47], v[50:51]
	v_pk_fma_f32 v[50:51], v[54:55], v[94:95], v[48:49] neg_lo:[0,0,1] neg_hi:[0,0,1]
	v_pk_fma_f32 v[48:49], v[54:55], v[94:95], v[48:49] op_sel_hi:[1,0,1]
	s_nop 0
	v_mov_b32_e32 v48, v97
	v_mov_b32_e32 v51, v49
	v_pk_mul_f32 v[48:49], v[56:57], v[48:49] op_sel:[1,0] op_sel_hi:[0,0]
	v_pk_add_f32 v[46:47], v[46:47], v[50:51]
	v_pk_fma_f32 v[50:51], v[56:57], v[96:97], v[48:49] neg_lo:[0,0,1] neg_hi:[0,0,1]
	v_pk_fma_f32 v[48:49], v[56:57], v[96:97], v[48:49] op_sel_hi:[1,0,1]
	s_nop 0
	v_mov_b32_e32 v51, v49
	s_waitcnt vmcnt(0) lgkmcnt(0)
	v_pk_mul_f32 v[48:49], v[58:59], v[104:105] op_sel:[1,1] op_sel_hi:[0,1]
	v_pk_add_f32 v[46:47], v[46:47], v[50:51]
	v_pk_fma_f32 v[50:51], v[58:59], v[104:105], v[48:49] neg_lo:[0,0,1] neg_hi:[0,0,1]
	v_pk_fma_f32 v[48:49], v[58:59], v[104:105], v[48:49] op_sel_hi:[1,0,1]
	s_nop 0
	v_mov_b32_e32 v51, v49
	scratch_load_dwordx2 v[48:49], off, off offset:24
	v_pk_add_f32 v[46:47], v[46:47], v[50:51]
	s_waitcnt vmcnt(0)
	v_pk_add_f32 v[46:47], v[48:49], v[46:47] neg_lo:[0,1] neg_hi:[0,1]
	scratch_store_dwordx2 off, v[46:47], off offset:24
	s_and_saveexec_b64 s[0:1], vcc
	s_cbranch_execz .LBB84_135
; %bb.134:
	scratch_load_dwordx2 v[46:47], off, off offset:16
	v_mov_b32_e32 v45, v44
	scratch_store_dwordx2 off, v[44:45], off offset:16
	s_waitcnt vmcnt(1)
	ds_write_b64 v1, v[46:47]
.LBB84_135:
	s_or_b64 exec, exec, s[0:1]
	s_waitcnt lgkmcnt(0)
	; wave barrier
	scratch_load_dwordx4 v[50:53], off, off offset:24
	scratch_load_dwordx4 v[58:61], off, off offset:40
	;; [unrolled: 1-line block ×4, first 2 shown]
	ds_read2_b64 v[46:49], v44 offset0:25 offset1:26
	scratch_load_dwordx4 v[82:85], off, off offset:88
	v_cmp_lt_u32_e32 vcc, 1, v0
	s_waitcnt vmcnt(4) lgkmcnt(0)
	v_mul_f32_e32 v45, v46, v51
	v_fmac_f32_e32 v45, v47, v50
	v_mul_f32_e32 v54, v48, v53
	v_add_f32_e32 v45, 0, v45
	v_fmac_f32_e32 v54, v49, v52
	v_add_f32_e32 v45, v45, v54
	ds_read2_b64 v[54:57], v44 offset0:27 offset1:28
	s_waitcnt vmcnt(3) lgkmcnt(0)
	v_mul_f32_e32 v62, v54, v59
	v_fmac_f32_e32 v62, v55, v58
	v_add_f32_e32 v45, v45, v62
	v_mul_f32_e32 v62, v56, v61
	v_fmac_f32_e32 v62, v57, v60
	v_add_f32_e32 v45, v45, v62
	ds_read2_b64 v[62:65], v44 offset0:29 offset1:30
	s_waitcnt vmcnt(2) lgkmcnt(0)
	v_mul_f32_e32 v70, v62, v67
	v_fmac_f32_e32 v70, v63, v66
	v_add_f32_e32 v45, v45, v70
	v_mul_f32_e32 v70, v64, v69
	;; [unrolled: 8-line block ×3, first 2 shown]
	v_fmac_f32_e32 v78, v73, v76
	v_add_f32_e32 v103, v45, v78
	ds_read2_b64 v[78:81], v44 offset0:33 offset1:34
	scratch_load_dwordx4 v[86:89], off, off offset:104
	scratch_load_dwordx4 v[90:93], off, off offset:120
	;; [unrolled: 1-line block ×4, first 2 shown]
	v_mul_f32_e32 v45, v47, v51
	v_fma_f32 v45, v46, v50, -v45
	v_mul_f32_e32 v46, v49, v53
	v_add_f32_e32 v45, 0, v45
	v_fma_f32 v46, v48, v52, -v46
	v_add_f32_e32 v45, v45, v46
	v_mul_f32_e32 v46, v55, v59
	v_fma_f32 v46, v54, v58, -v46
	v_add_f32_e32 v45, v45, v46
	v_mul_f32_e32 v46, v57, v61
	;; [unrolled: 3-line block ×6, first 2 shown]
	v_fma_f32 v46, v72, v76, -v46
	v_add_f32_e32 v102, v45, v46
	ds_read2_b64 v[46:49], v44 offset0:35 offset1:36
	ds_read2_b64 v[50:53], v44 offset0:37 offset1:38
	;; [unrolled: 1-line block ×4, first 2 shown]
	s_waitcnt vmcnt(4) lgkmcnt(4)
	v_mul_f32_e32 v105, v78, v83
	v_mul_f32_e32 v45, v79, v83
	v_fmac_f32_e32 v105, v79, v82
	v_mul_f32_e32 v107, v80, v85
	v_fma_f32 v104, v78, v82, -v45
	v_mul_f32_e32 v45, v81, v85
	v_fmac_f32_e32 v107, v81, v84
	v_fma_f32 v106, v80, v84, -v45
	v_pk_add_f32 v[44:45], v[102:103], v[104:105]
	s_waitcnt vmcnt(3) lgkmcnt(3)
	v_pk_mul_f32 v[62:63], v[46:47], v[86:87] op_sel:[1,1] op_sel_hi:[0,1]
	v_pk_fma_f32 v[64:65], v[46:47], v[86:87], v[62:63] neg_lo:[0,0,1] neg_hi:[0,0,1]
	v_pk_fma_f32 v[46:47], v[46:47], v[86:87], v[62:63] op_sel_hi:[1,0,1]
	v_pk_add_f32 v[44:45], v[44:45], v[106:107]
	v_mov_b32_e32 v46, v89
	v_mov_b32_e32 v65, v47
	v_pk_mul_f32 v[46:47], v[48:49], v[46:47] op_sel:[1,0] op_sel_hi:[0,0]
	v_pk_fma_f32 v[62:63], v[48:49], v[88:89], v[46:47] neg_lo:[0,0,1] neg_hi:[0,0,1]
	v_pk_fma_f32 v[46:47], v[48:49], v[88:89], v[46:47] op_sel_hi:[1,0,1]
	v_pk_add_f32 v[44:45], v[44:45], v[64:65]
	v_mov_b32_e32 v63, v47
	s_waitcnt vmcnt(2) lgkmcnt(2)
	v_pk_mul_f32 v[46:47], v[50:51], v[90:91] op_sel:[1,1] op_sel_hi:[0,1]
	v_pk_fma_f32 v[48:49], v[50:51], v[90:91], v[46:47] neg_lo:[0,0,1] neg_hi:[0,0,1]
	v_pk_fma_f32 v[46:47], v[50:51], v[90:91], v[46:47] op_sel_hi:[1,0,1]
	v_pk_add_f32 v[44:45], v[44:45], v[62:63]
	v_mov_b32_e32 v46, v93
	v_mov_b32_e32 v49, v47
	v_pk_mul_f32 v[46:47], v[52:53], v[46:47] op_sel:[1,0] op_sel_hi:[0,0]
	v_pk_add_f32 v[44:45], v[44:45], v[48:49]
	v_pk_fma_f32 v[48:49], v[52:53], v[92:93], v[46:47] neg_lo:[0,0,1] neg_hi:[0,0,1]
	v_pk_fma_f32 v[46:47], v[52:53], v[92:93], v[46:47] op_sel_hi:[1,0,1]
	s_nop 0
	v_mov_b32_e32 v49, v47
	s_waitcnt vmcnt(1) lgkmcnt(1)
	v_pk_mul_f32 v[46:47], v[54:55], v[94:95] op_sel:[1,1] op_sel_hi:[0,1]
	v_pk_add_f32 v[44:45], v[44:45], v[48:49]
	v_pk_fma_f32 v[48:49], v[54:55], v[94:95], v[46:47] neg_lo:[0,0,1] neg_hi:[0,0,1]
	v_pk_fma_f32 v[46:47], v[54:55], v[94:95], v[46:47] op_sel_hi:[1,0,1]
	s_nop 0
	v_mov_b32_e32 v46, v97
	v_mov_b32_e32 v49, v47
	v_pk_mul_f32 v[46:47], v[56:57], v[46:47] op_sel:[1,0] op_sel_hi:[0,0]
	v_pk_add_f32 v[44:45], v[44:45], v[48:49]
	v_pk_fma_f32 v[48:49], v[56:57], v[96:97], v[46:47] neg_lo:[0,0,1] neg_hi:[0,0,1]
	v_pk_fma_f32 v[46:47], v[56:57], v[96:97], v[46:47] op_sel_hi:[1,0,1]
	s_nop 0
	v_mov_b32_e32 v49, v47
	s_waitcnt vmcnt(0) lgkmcnt(0)
	v_pk_mul_f32 v[46:47], v[58:59], v[98:99] op_sel:[1,1] op_sel_hi:[0,1]
	v_pk_add_f32 v[44:45], v[44:45], v[48:49]
	v_pk_fma_f32 v[48:49], v[58:59], v[98:99], v[46:47] neg_lo:[0,0,1] neg_hi:[0,0,1]
	v_pk_fma_f32 v[46:47], v[58:59], v[98:99], v[46:47] op_sel_hi:[1,0,1]
	s_nop 0
	v_mov_b32_e32 v46, v101
	v_mov_b32_e32 v49, v47
	v_pk_mul_f32 v[46:47], v[60:61], v[46:47] op_sel:[1,0] op_sel_hi:[0,0]
	v_pk_add_f32 v[44:45], v[44:45], v[48:49]
	v_pk_fma_f32 v[48:49], v[60:61], v[100:101], v[46:47] neg_lo:[0,0,1] neg_hi:[0,0,1]
	v_pk_fma_f32 v[46:47], v[60:61], v[100:101], v[46:47] op_sel_hi:[1,0,1]
	s_nop 0
	v_mov_b32_e32 v49, v47
	scratch_load_dwordx2 v[46:47], off, off offset:16
	v_pk_add_f32 v[44:45], v[44:45], v[48:49]
	s_waitcnt vmcnt(0)
	v_pk_add_f32 v[44:45], v[46:47], v[44:45] neg_lo:[0,1] neg_hi:[0,1]
	scratch_store_dwordx2 off, v[44:45], off offset:16
	s_and_saveexec_b64 s[0:1], vcc
	s_cbranch_execz .LBB84_137
; %bb.136:
	scratch_load_dwordx2 v[44:45], off, off offset:8
	v_mov_b32_e32 v46, 0
	v_mov_b32_e32 v47, v46
	scratch_store_dwordx2 off, v[46:47], off offset:8
	s_waitcnt vmcnt(1)
	ds_write_b64 v1, v[44:45]
.LBB84_137:
	s_or_b64 exec, exec, s[0:1]
	v_mov_b32_e32 v44, 0
	s_waitcnt lgkmcnt(0)
	; wave barrier
	ds_read_b128 v[46:49], v44 offset:192
	ds_read_b128 v[50:53], v44 offset:208
	;; [unrolled: 1-line block ×4, first 2 shown]
	scratch_load_dwordx4 v[62:65], off, off offset:16
	scratch_load_dwordx4 v[82:85], off, off offset:80
	v_cmp_ne_u32_e32 vcc, 0, v0
	scratch_load_dwordx4 v[90:93], off, off offset:96
	s_waitcnt vmcnt(2) lgkmcnt(3)
	v_mul_f32_e32 v45, v46, v63
	v_fmac_f32_e32 v45, v47, v62
	v_mul_f32_e32 v66, v48, v65
	v_add_f32_e32 v45, 0, v45
	v_fmac_f32_e32 v66, v49, v64
	v_add_f32_e32 v45, v45, v66
	scratch_load_dwordx4 v[66:69], off, off offset:32
	s_waitcnt vmcnt(0) lgkmcnt(2)
	v_mul_f32_e32 v70, v50, v67
	v_fmac_f32_e32 v70, v51, v66
	v_add_f32_e32 v45, v45, v70
	v_mul_f32_e32 v70, v52, v69
	v_fmac_f32_e32 v70, v53, v68
	v_add_f32_e32 v45, v45, v70
	scratch_load_dwordx4 v[70:73], off, off offset:48
	s_waitcnt vmcnt(0) lgkmcnt(1)
	v_mul_f32_e32 v74, v54, v71
	v_fmac_f32_e32 v74, v55, v70
	v_add_f32_e32 v45, v45, v74
	v_mul_f32_e32 v74, v56, v73
	;; [unrolled: 8-line block ×3, first 2 shown]
	v_fmac_f32_e32 v78, v61, v76
	v_add_f32_e32 v45, v45, v78
	ds_read_b128 v[78:81], v44 offset:256
	s_waitcnt lgkmcnt(0)
	v_mul_f32_e32 v86, v78, v83
	v_fmac_f32_e32 v86, v79, v82
	v_add_f32_e32 v107, v45, v86
	ds_read_b128 v[86:89], v44 offset:272
	scratch_load_dwordx4 v[94:97], off, off offset:112
	scratch_load_dwordx4 v[98:101], off, off offset:128
	;; [unrolled: 1-line block ×3, first 2 shown]
	scratch_load_dwordx2 v[112:113], off, off offset:160
	v_mul_f32_e32 v45, v47, v63
	v_fma_f32 v45, v46, v62, -v45
	v_mul_f32_e32 v46, v49, v65
	v_add_f32_e32 v45, 0, v45
	v_fma_f32 v46, v48, v64, -v46
	v_add_f32_e32 v45, v45, v46
	v_mul_f32_e32 v46, v51, v67
	v_fma_f32 v46, v50, v66, -v46
	v_add_f32_e32 v45, v45, v46
	v_mul_f32_e32 v46, v53, v69
	;; [unrolled: 3-line block ×7, first 2 shown]
	v_fma_f32 v46, v78, v82, -v46
	v_mul_f32_e32 v109, v80, v85
	v_add_f32_e32 v106, v45, v46
	v_mul_f32_e32 v45, v81, v85
	v_mov_b32_e32 v62, v93
	v_fmac_f32_e32 v109, v81, v84
	s_waitcnt lgkmcnt(0)
	v_mul_f32_e32 v111, v86, v91
	v_fma_f32 v108, v80, v84, -v45
	v_mul_f32_e32 v45, v87, v91
	ds_read_b128 v[46:49], v44 offset:288
	ds_read_b128 v[50:53], v44 offset:304
	;; [unrolled: 1-line block ×3, first 2 shown]
	ds_read_b64 v[58:59], v44 offset:336
	v_pk_mul_f32 v[62:63], v[88:89], v[62:63] op_sel:[1,0] op_sel_hi:[0,0]
	v_fmac_f32_e32 v111, v87, v90
	v_fma_f32 v110, v86, v90, -v45
	v_pk_add_f32 v[60:61], v[106:107], v[108:109]
	v_pk_fma_f32 v[64:65], v[88:89], v[92:93], v[62:63] neg_lo:[0,0,1] neg_hi:[0,0,1]
	v_pk_fma_f32 v[62:63], v[88:89], v[92:93], v[62:63] op_sel_hi:[1,0,1]
	v_pk_add_f32 v[60:61], v[60:61], v[110:111]
	v_mov_b32_e32 v65, v63
	v_pk_add_f32 v[60:61], v[60:61], v[64:65]
	s_waitcnt vmcnt(3) lgkmcnt(3)
	v_pk_mul_f32 v[62:63], v[46:47], v[94:95] op_sel:[1,1] op_sel_hi:[0,1]
	v_pk_fma_f32 v[64:65], v[46:47], v[94:95], v[62:63] neg_lo:[0,0,1] neg_hi:[0,0,1]
	v_pk_fma_f32 v[46:47], v[46:47], v[94:95], v[62:63] op_sel_hi:[1,0,1]
	s_nop 0
	v_mov_b32_e32 v65, v47
	v_pk_add_f32 v[46:47], v[60:61], v[64:65]
	v_mov_b32_e32 v60, v97
	v_pk_mul_f32 v[60:61], v[48:49], v[60:61] op_sel:[1,0] op_sel_hi:[0,0]
	v_pk_fma_f32 v[62:63], v[48:49], v[96:97], v[60:61] neg_lo:[0,0,1] neg_hi:[0,0,1]
	v_pk_fma_f32 v[48:49], v[48:49], v[96:97], v[60:61] op_sel_hi:[1,0,1]
	s_nop 0
	v_mov_b32_e32 v63, v49
	s_waitcnt vmcnt(2) lgkmcnt(2)
	v_pk_mul_f32 v[48:49], v[50:51], v[98:99] op_sel:[1,1] op_sel_hi:[0,1]
	v_pk_fma_f32 v[60:61], v[50:51], v[98:99], v[48:49] neg_lo:[0,0,1] neg_hi:[0,0,1]
	v_pk_fma_f32 v[48:49], v[50:51], v[98:99], v[48:49] op_sel_hi:[1,0,1]
	v_pk_add_f32 v[46:47], v[46:47], v[62:63]
	v_mov_b32_e32 v48, v101
	v_mov_b32_e32 v61, v49
	v_pk_mul_f32 v[48:49], v[52:53], v[48:49] op_sel:[1,0] op_sel_hi:[0,0]
	v_pk_fma_f32 v[50:51], v[52:53], v[100:101], v[48:49] neg_lo:[0,0,1] neg_hi:[0,0,1]
	v_pk_fma_f32 v[48:49], v[52:53], v[100:101], v[48:49] op_sel_hi:[1,0,1]
	v_pk_add_f32 v[46:47], v[46:47], v[60:61]
	v_mov_b32_e32 v51, v49
	s_waitcnt vmcnt(1) lgkmcnt(1)
	v_pk_mul_f32 v[48:49], v[54:55], v[102:103] op_sel:[1,1] op_sel_hi:[0,1]
	v_pk_add_f32 v[46:47], v[46:47], v[50:51]
	v_pk_fma_f32 v[50:51], v[54:55], v[102:103], v[48:49] neg_lo:[0,0,1] neg_hi:[0,0,1]
	v_pk_fma_f32 v[48:49], v[54:55], v[102:103], v[48:49] op_sel_hi:[1,0,1]
	s_nop 0
	v_mov_b32_e32 v48, v105
	v_mov_b32_e32 v51, v49
	v_pk_mul_f32 v[48:49], v[56:57], v[48:49] op_sel:[1,0] op_sel_hi:[0,0]
	v_pk_add_f32 v[46:47], v[46:47], v[50:51]
	v_pk_fma_f32 v[50:51], v[56:57], v[104:105], v[48:49] neg_lo:[0,0,1] neg_hi:[0,0,1]
	v_pk_fma_f32 v[48:49], v[56:57], v[104:105], v[48:49] op_sel_hi:[1,0,1]
	s_nop 0
	v_mov_b32_e32 v51, v49
	s_waitcnt vmcnt(0) lgkmcnt(0)
	v_pk_mul_f32 v[48:49], v[58:59], v[112:113] op_sel:[1,1] op_sel_hi:[0,1]
	v_pk_add_f32 v[46:47], v[46:47], v[50:51]
	v_pk_fma_f32 v[50:51], v[58:59], v[112:113], v[48:49] neg_lo:[0,0,1] neg_hi:[0,0,1]
	v_pk_fma_f32 v[48:49], v[58:59], v[112:113], v[48:49] op_sel_hi:[1,0,1]
	s_nop 0
	v_mov_b32_e32 v51, v49
	scratch_load_dwordx2 v[48:49], off, off offset:8
	v_pk_add_f32 v[46:47], v[46:47], v[50:51]
	s_waitcnt vmcnt(0)
	v_pk_add_f32 v[46:47], v[48:49], v[46:47] neg_lo:[0,1] neg_hi:[0,1]
	scratch_store_dwordx2 off, v[46:47], off offset:8
	s_and_saveexec_b64 s[0:1], vcc
	s_cbranch_execz .LBB84_139
; %bb.138:
	scratch_load_dwordx2 v[46:47], off, off
	v_mov_b32_e32 v45, v44
	scratch_store_dwordx2 off, v[44:45], off
	s_waitcnt vmcnt(1)
	ds_write_b64 v1, v[46:47]
.LBB84_139:
	s_or_b64 exec, exec, s[0:1]
	s_waitcnt lgkmcnt(0)
	; wave barrier
	scratch_load_dwordx4 v[50:53], off, off offset:8
	scratch_load_dwordx4 v[58:61], off, off offset:24
	;; [unrolled: 1-line block ×6, first 2 shown]
	ds_read2_b64 v[46:49], v44 offset0:23 offset1:24
	ds_read2_b64 v[54:57], v44 offset0:25 offset1:26
	;; [unrolled: 1-line block ×6, first 2 shown]
	scratch_load_dwordx4 v[94:97], off, off offset:104
	scratch_load_dwordx4 v[98:101], off, off offset:120
	;; [unrolled: 1-line block ×4, first 2 shown]
	s_and_b64 vcc, exec, s[10:11]
	s_waitcnt vmcnt(9) lgkmcnt(5)
	v_mul_f32_e32 v0, v46, v51
	v_fmac_f32_e32 v0, v47, v50
	v_mul_f32_e32 v1, v48, v53
	v_add_f32_e32 v0, 0, v0
	v_fmac_f32_e32 v1, v49, v52
	v_add_f32_e32 v0, v0, v1
	s_waitcnt vmcnt(8) lgkmcnt(4)
	v_mul_f32_e32 v1, v54, v59
	v_fmac_f32_e32 v1, v55, v58
	v_add_f32_e32 v0, v0, v1
	v_mul_f32_e32 v1, v56, v61
	v_fmac_f32_e32 v1, v57, v60
	v_add_f32_e32 v0, v0, v1
	s_waitcnt vmcnt(7) lgkmcnt(3)
	v_mul_f32_e32 v1, v62, v67
	v_fmac_f32_e32 v1, v63, v66
	v_add_f32_e32 v0, v0, v1
	v_mul_f32_e32 v1, v64, v69
	;; [unrolled: 7-line block ×4, first 2 shown]
	v_fmac_f32_e32 v1, v81, v84
	v_add_f32_e32 v1, v0, v1
	v_mul_f32_e32 v0, v47, v51
	v_fma_f32 v0, v46, v50, -v0
	v_mul_f32_e32 v45, v49, v53
	v_add_f32_e32 v0, 0, v0
	v_fma_f32 v45, v48, v52, -v45
	v_add_f32_e32 v0, v0, v45
	v_mul_f32_e32 v45, v55, v59
	v_fma_f32 v45, v54, v58, -v45
	v_add_f32_e32 v0, v0, v45
	v_mul_f32_e32 v45, v57, v61
	;; [unrolled: 3-line block ×8, first 2 shown]
	v_fma_f32 v45, v80, v84, -v45
	v_add_f32_e32 v0, v0, v45
	s_waitcnt vmcnt(4) lgkmcnt(0)
	v_mul_f32_e32 v45, v87, v91
	ds_read2_b64 v[46:49], v44 offset0:35 offset1:36
	ds_read2_b64 v[50:53], v44 offset0:37 offset1:38
	;; [unrolled: 1-line block ×4, first 2 shown]
	v_fma_f32 v110, v86, v90, -v45
	v_mul_f32_e32 v45, v89, v93
	v_fma_f32 v112, v88, v92, -v45
	s_waitcnt vmcnt(3) lgkmcnt(3)
	v_pk_mul_f32 v[44:45], v[46:47], v[94:95] op_sel:[1,1] op_sel_hi:[0,1]
	v_mul_f32_e32 v111, v86, v91
	v_pk_fma_f32 v[62:63], v[46:47], v[94:95], v[44:45] neg_lo:[0,0,1] neg_hi:[0,0,1]
	v_pk_fma_f32 v[44:45], v[46:47], v[94:95], v[44:45] op_sel_hi:[1,0,1]
	v_fmac_f32_e32 v111, v87, v90
	v_mul_f32_e32 v113, v88, v93
	v_mov_b32_e32 v44, v97
	v_fmac_f32_e32 v113, v89, v92
	v_pk_add_f32 v[0:1], v[0:1], v[110:111]
	v_mov_b32_e32 v63, v45
	v_pk_mul_f32 v[44:45], v[48:49], v[44:45] op_sel:[1,0] op_sel_hi:[0,0]
	v_pk_add_f32 v[0:1], v[0:1], v[112:113]
	v_pk_fma_f32 v[46:47], v[48:49], v[96:97], v[44:45] neg_lo:[0,0,1] neg_hi:[0,0,1]
	v_pk_fma_f32 v[44:45], v[48:49], v[96:97], v[44:45] op_sel_hi:[1,0,1]
	v_pk_add_f32 v[0:1], v[0:1], v[62:63]
	v_mov_b32_e32 v47, v45
	s_waitcnt vmcnt(2) lgkmcnt(2)
	v_pk_mul_f32 v[44:45], v[50:51], v[98:99] op_sel:[1,1] op_sel_hi:[0,1]
	v_pk_add_f32 v[0:1], v[0:1], v[46:47]
	v_pk_fma_f32 v[46:47], v[50:51], v[98:99], v[44:45] neg_lo:[0,0,1] neg_hi:[0,0,1]
	v_pk_fma_f32 v[44:45], v[50:51], v[98:99], v[44:45] op_sel_hi:[1,0,1]
	s_nop 0
	v_mov_b32_e32 v44, v101
	v_mov_b32_e32 v47, v45
	v_pk_mul_f32 v[44:45], v[52:53], v[44:45] op_sel:[1,0] op_sel_hi:[0,0]
	v_pk_add_f32 v[0:1], v[0:1], v[46:47]
	v_pk_fma_f32 v[46:47], v[52:53], v[100:101], v[44:45] neg_lo:[0,0,1] neg_hi:[0,0,1]
	v_pk_fma_f32 v[44:45], v[52:53], v[100:101], v[44:45] op_sel_hi:[1,0,1]
	s_nop 0
	v_mov_b32_e32 v47, v45
	s_waitcnt vmcnt(1) lgkmcnt(1)
	v_pk_mul_f32 v[44:45], v[54:55], v[102:103] op_sel:[1,1] op_sel_hi:[0,1]
	v_pk_add_f32 v[0:1], v[0:1], v[46:47]
	v_pk_fma_f32 v[46:47], v[54:55], v[102:103], v[44:45] neg_lo:[0,0,1] neg_hi:[0,0,1]
	v_pk_fma_f32 v[44:45], v[54:55], v[102:103], v[44:45] op_sel_hi:[1,0,1]
	s_nop 0
	v_mov_b32_e32 v44, v105
	v_mov_b32_e32 v47, v45
	v_pk_mul_f32 v[44:45], v[56:57], v[44:45] op_sel:[1,0] op_sel_hi:[0,0]
	v_pk_add_f32 v[0:1], v[0:1], v[46:47]
	v_pk_fma_f32 v[46:47], v[56:57], v[104:105], v[44:45] neg_lo:[0,0,1] neg_hi:[0,0,1]
	v_pk_fma_f32 v[44:45], v[56:57], v[104:105], v[44:45] op_sel_hi:[1,0,1]
	s_nop 0
	;; [unrolled: 14-line block ×3, first 2 shown]
	v_mov_b32_e32 v47, v45
	scratch_load_dwordx2 v[44:45], off, off
	v_pk_add_f32 v[0:1], v[0:1], v[46:47]
	s_waitcnt vmcnt(0)
	v_pk_add_f32 v[0:1], v[44:45], v[0:1] neg_lo:[0,1] neg_hi:[0,1]
	scratch_store_dwordx2 off, v[0:1], off
	s_cbranch_vccz .LBB84_180
; %bb.140:
	v_mov_b32_e32 v0, 0
	global_load_dword v1, v0, s[8:9] offset:76
	s_waitcnt vmcnt(0)
	v_readfirstlane_b32 s0, v1
	s_add_i32 s0, s0, -1
	s_cmp_lg_u32 s0, 19
	s_cbranch_scc0 .LBB84_142
; %bb.141:
	s_lshl_b32 s0, s0, 3
	s_nop 0
	scratch_load_dwordx2 v[44:45], off, s0
	scratch_load_dwordx2 v[46:47], off, off offset:152
	s_waitcnt vmcnt(1)
	scratch_store_dwordx2 off, v[44:45], off offset:152
	s_waitcnt vmcnt(1)
	scratch_store_dwordx2 off, v[46:47], s0
.LBB84_142:
	global_load_dword v0, v0, s[8:9] offset:72
	s_waitcnt vmcnt(0)
	v_readfirstlane_b32 s0, v0
	s_add_i32 s0, s0, -1
	s_cmp_eq_u32 s0, 18
	s_cbranch_scc1 .LBB84_144
; %bb.143:
	s_lshl_b32 s0, s0, 3
	s_nop 0
	scratch_load_dwordx2 v[0:1], off, s0
	scratch_load_dwordx2 v[44:45], off, off offset:144
	s_waitcnt vmcnt(1)
	scratch_store_dwordx2 off, v[0:1], off offset:144
	s_waitcnt vmcnt(1)
	scratch_store_dwordx2 off, v[44:45], s0
.LBB84_144:
	v_mov_b32_e32 v0, 0
	global_load_dword v1, v0, s[8:9] offset:68
	s_waitcnt vmcnt(0)
	v_readfirstlane_b32 s0, v1
	s_add_i32 s0, s0, -1
	s_cmp_eq_u32 s0, 17
	s_cbranch_scc1 .LBB84_146
; %bb.145:
	s_lshl_b32 s0, s0, 3
	s_nop 0
	scratch_load_dwordx2 v[44:45], off, s0
	scratch_load_dwordx2 v[46:47], off, off offset:136
	s_waitcnt vmcnt(1)
	scratch_store_dwordx2 off, v[44:45], off offset:136
	s_waitcnt vmcnt(1)
	scratch_store_dwordx2 off, v[46:47], s0
.LBB84_146:
	global_load_dword v0, v0, s[8:9] offset:64
	s_waitcnt vmcnt(0)
	v_readfirstlane_b32 s0, v0
	s_add_i32 s0, s0, -1
	s_cmp_eq_u32 s0, 16
	s_cbranch_scc1 .LBB84_148
; %bb.147:
	s_lshl_b32 s0, s0, 3
	s_nop 0
	scratch_load_dwordx2 v[0:1], off, s0
	scratch_load_dwordx2 v[44:45], off, off offset:128
	s_waitcnt vmcnt(1)
	scratch_store_dwordx2 off, v[0:1], off offset:128
	s_waitcnt vmcnt(1)
	scratch_store_dwordx2 off, v[44:45], s0
.LBB84_148:
	v_mov_b32_e32 v0, 0
	global_load_dword v1, v0, s[8:9] offset:60
	s_waitcnt vmcnt(0)
	v_readfirstlane_b32 s0, v1
	s_add_i32 s0, s0, -1
	s_cmp_eq_u32 s0, 15
	s_cbranch_scc1 .LBB84_150
; %bb.149:
	s_lshl_b32 s0, s0, 3
	s_nop 0
	scratch_load_dwordx2 v[44:45], off, s0
	scratch_load_dwordx2 v[46:47], off, off offset:120
	s_waitcnt vmcnt(1)
	scratch_store_dwordx2 off, v[44:45], off offset:120
	s_waitcnt vmcnt(1)
	scratch_store_dwordx2 off, v[46:47], s0
.LBB84_150:
	;; [unrolled: 33-line block ×9, first 2 shown]
	global_load_dword v44, v0, s[8:9]
	s_nop 0
	scratch_load_dwordx2 v[0:1], off, off
	s_waitcnt vmcnt(1)
	v_readfirstlane_b32 s0, v44
	s_add_i32 s0, s0, -1
	s_cmp_eq_u32 s0, 0
	s_cbranch_scc1 .LBB84_180
; %bb.179:
	s_lshl_b32 s0, s0, 3
	s_nop 0
	scratch_load_dwordx2 v[44:45], off, s0
	s_waitcnt vmcnt(0)
	scratch_store_dwordx2 off, v[44:45], off
	scratch_store_dwordx2 off, v[0:1], s0
	scratch_load_dwordx2 v[0:1], off, off
.LBB84_180:
	s_waitcnt vmcnt(0)
	flat_store_dwordx2 v[2:3], v[0:1]
	scratch_load_dwordx2 v[0:1], off, off offset:8
	s_waitcnt vmcnt(0)
	flat_store_dwordx2 v[4:5], v[0:1]
	scratch_load_dwordx2 v[0:1], off, off offset:16
	;; [unrolled: 3-line block ×20, first 2 shown]
	s_waitcnt vmcnt(0)
	flat_store_dwordx2 v[42:43], v[0:1]
	s_endpgm
	.section	.rodata,"a",@progbits
	.p2align	6, 0x0
	.amdhsa_kernel _ZN9rocsolver6v33100L18getri_kernel_smallILi21E19rocblas_complex_numIfEPKPS3_EEvT1_iilPiilS8_bb
		.amdhsa_group_segment_fixed_size 344
		.amdhsa_private_segment_fixed_size 176
		.amdhsa_kernarg_size 60
		.amdhsa_user_sgpr_count 2
		.amdhsa_user_sgpr_dispatch_ptr 0
		.amdhsa_user_sgpr_queue_ptr 0
		.amdhsa_user_sgpr_kernarg_segment_ptr 1
		.amdhsa_user_sgpr_dispatch_id 0
		.amdhsa_user_sgpr_kernarg_preload_length 0
		.amdhsa_user_sgpr_kernarg_preload_offset 0
		.amdhsa_user_sgpr_private_segment_size 0
		.amdhsa_uses_dynamic_stack 0
		.amdhsa_enable_private_segment 1
		.amdhsa_system_sgpr_workgroup_id_x 1
		.amdhsa_system_sgpr_workgroup_id_y 0
		.amdhsa_system_sgpr_workgroup_id_z 0
		.amdhsa_system_sgpr_workgroup_info 0
		.amdhsa_system_vgpr_workitem_id 0
		.amdhsa_next_free_vgpr 129
		.amdhsa_next_free_sgpr 17
		.amdhsa_accum_offset 132
		.amdhsa_reserve_vcc 1
		.amdhsa_float_round_mode_32 0
		.amdhsa_float_round_mode_16_64 0
		.amdhsa_float_denorm_mode_32 3
		.amdhsa_float_denorm_mode_16_64 3
		.amdhsa_dx10_clamp 1
		.amdhsa_ieee_mode 1
		.amdhsa_fp16_overflow 0
		.amdhsa_tg_split 0
		.amdhsa_exception_fp_ieee_invalid_op 0
		.amdhsa_exception_fp_denorm_src 0
		.amdhsa_exception_fp_ieee_div_zero 0
		.amdhsa_exception_fp_ieee_overflow 0
		.amdhsa_exception_fp_ieee_underflow 0
		.amdhsa_exception_fp_ieee_inexact 0
		.amdhsa_exception_int_div_zero 0
	.end_amdhsa_kernel
	.section	.text._ZN9rocsolver6v33100L18getri_kernel_smallILi21E19rocblas_complex_numIfEPKPS3_EEvT1_iilPiilS8_bb,"axG",@progbits,_ZN9rocsolver6v33100L18getri_kernel_smallILi21E19rocblas_complex_numIfEPKPS3_EEvT1_iilPiilS8_bb,comdat
.Lfunc_end84:
	.size	_ZN9rocsolver6v33100L18getri_kernel_smallILi21E19rocblas_complex_numIfEPKPS3_EEvT1_iilPiilS8_bb, .Lfunc_end84-_ZN9rocsolver6v33100L18getri_kernel_smallILi21E19rocblas_complex_numIfEPKPS3_EEvT1_iilPiilS8_bb
                                        ; -- End function
	.set _ZN9rocsolver6v33100L18getri_kernel_smallILi21E19rocblas_complex_numIfEPKPS3_EEvT1_iilPiilS8_bb.num_vgpr, 129
	.set _ZN9rocsolver6v33100L18getri_kernel_smallILi21E19rocblas_complex_numIfEPKPS3_EEvT1_iilPiilS8_bb.num_agpr, 0
	.set _ZN9rocsolver6v33100L18getri_kernel_smallILi21E19rocblas_complex_numIfEPKPS3_EEvT1_iilPiilS8_bb.numbered_sgpr, 17
	.set _ZN9rocsolver6v33100L18getri_kernel_smallILi21E19rocblas_complex_numIfEPKPS3_EEvT1_iilPiilS8_bb.num_named_barrier, 0
	.set _ZN9rocsolver6v33100L18getri_kernel_smallILi21E19rocblas_complex_numIfEPKPS3_EEvT1_iilPiilS8_bb.private_seg_size, 176
	.set _ZN9rocsolver6v33100L18getri_kernel_smallILi21E19rocblas_complex_numIfEPKPS3_EEvT1_iilPiilS8_bb.uses_vcc, 1
	.set _ZN9rocsolver6v33100L18getri_kernel_smallILi21E19rocblas_complex_numIfEPKPS3_EEvT1_iilPiilS8_bb.uses_flat_scratch, 0
	.set _ZN9rocsolver6v33100L18getri_kernel_smallILi21E19rocblas_complex_numIfEPKPS3_EEvT1_iilPiilS8_bb.has_dyn_sized_stack, 0
	.set _ZN9rocsolver6v33100L18getri_kernel_smallILi21E19rocblas_complex_numIfEPKPS3_EEvT1_iilPiilS8_bb.has_recursion, 0
	.set _ZN9rocsolver6v33100L18getri_kernel_smallILi21E19rocblas_complex_numIfEPKPS3_EEvT1_iilPiilS8_bb.has_indirect_call, 0
	.section	.AMDGPU.csdata,"",@progbits
; Kernel info:
; codeLenInByte = 19124
; TotalNumSgprs: 23
; NumVgprs: 129
; NumAgprs: 0
; TotalNumVgprs: 129
; ScratchSize: 176
; MemoryBound: 0
; FloatMode: 240
; IeeeMode: 1
; LDSByteSize: 344 bytes/workgroup (compile time only)
; SGPRBlocks: 2
; VGPRBlocks: 16
; NumSGPRsForWavesPerEU: 23
; NumVGPRsForWavesPerEU: 129
; AccumOffset: 132
; Occupancy: 3
; WaveLimiterHint : 1
; COMPUTE_PGM_RSRC2:SCRATCH_EN: 1
; COMPUTE_PGM_RSRC2:USER_SGPR: 2
; COMPUTE_PGM_RSRC2:TRAP_HANDLER: 0
; COMPUTE_PGM_RSRC2:TGID_X_EN: 1
; COMPUTE_PGM_RSRC2:TGID_Y_EN: 0
; COMPUTE_PGM_RSRC2:TGID_Z_EN: 0
; COMPUTE_PGM_RSRC2:TIDIG_COMP_CNT: 0
; COMPUTE_PGM_RSRC3_GFX90A:ACCUM_OFFSET: 32
; COMPUTE_PGM_RSRC3_GFX90A:TG_SPLIT: 0
	.section	.text._ZN9rocsolver6v33100L18getri_kernel_smallILi22E19rocblas_complex_numIfEPKPS3_EEvT1_iilPiilS8_bb,"axG",@progbits,_ZN9rocsolver6v33100L18getri_kernel_smallILi22E19rocblas_complex_numIfEPKPS3_EEvT1_iilPiilS8_bb,comdat
	.globl	_ZN9rocsolver6v33100L18getri_kernel_smallILi22E19rocblas_complex_numIfEPKPS3_EEvT1_iilPiilS8_bb ; -- Begin function _ZN9rocsolver6v33100L18getri_kernel_smallILi22E19rocblas_complex_numIfEPKPS3_EEvT1_iilPiilS8_bb
	.p2align	8
	.type	_ZN9rocsolver6v33100L18getri_kernel_smallILi22E19rocblas_complex_numIfEPKPS3_EEvT1_iilPiilS8_bb,@function
_ZN9rocsolver6v33100L18getri_kernel_smallILi22E19rocblas_complex_numIfEPKPS3_EEvT1_iilPiilS8_bb: ; @_ZN9rocsolver6v33100L18getri_kernel_smallILi22E19rocblas_complex_numIfEPKPS3_EEvT1_iilPiilS8_bb
; %bb.0:
	v_cmp_gt_u32_e32 vcc, 22, v0
	s_and_saveexec_b64 s[4:5], vcc
	s_cbranch_execz .LBB85_102
; %bb.1:
	s_load_dword s14, s[0:1], 0x38
	s_load_dwordx2 s[8:9], s[0:1], 0x0
	s_load_dwordx4 s[4:7], s[0:1], 0x28
	s_waitcnt lgkmcnt(0)
	s_bitcmp1_b32 s14, 8
	s_cselect_b64 s[10:11], -1, 0
	s_ashr_i32 s3, s2, 31
	s_lshl_b64 s[12:13], s[2:3], 3
	s_add_u32 s8, s8, s12
	s_addc_u32 s9, s9, s13
	s_load_dwordx2 s[12:13], s[8:9], 0x0
	s_bfe_u32 s8, s14, 0x10008
	s_cmp_eq_u32 s8, 0
                                        ; implicit-def: $sgpr8_sgpr9
	s_cbranch_scc1 .LBB85_3
; %bb.2:
	s_load_dword s8, s[0:1], 0x20
	s_load_dwordx2 s[14:15], s[0:1], 0x18
	s_mul_i32 s9, s4, s3
	s_mul_hi_u32 s16, s4, s2
	s_add_i32 s16, s16, s9
	s_mul_i32 s5, s5, s2
	s_add_i32 s5, s16, s5
	s_mul_i32 s4, s4, s2
	s_waitcnt lgkmcnt(0)
	s_ashr_i32 s9, s8, 31
	s_lshl_b64 s[4:5], s[4:5], 2
	s_add_u32 s14, s14, s4
	s_addc_u32 s15, s15, s5
	s_lshl_b64 s[4:5], s[8:9], 2
	s_add_u32 s8, s14, s4
	s_addc_u32 s9, s15, s5
.LBB85_3:
	s_load_dwordx2 s[4:5], s[0:1], 0x8
	s_load_dword s14, s[0:1], 0x38
	v_lshlrev_b32_e32 v46, 3, v0
	v_mov_b32_e32 v47, 0
	s_waitcnt lgkmcnt(0)
	s_ashr_i32 s1, s4, 31
	s_mov_b32 s0, s4
	s_lshl_b64 s[0:1], s[0:1], 3
	s_add_u32 s0, s12, s0
	s_addc_u32 s1, s13, s1
	v_lshl_add_u64 v[2:3], s[0:1], 0, v[46:47]
	flat_load_dwordx2 v[6:7], v[2:3]
	s_mov_b32 s12, s5
	s_ashr_i32 s13, s5, 31
	v_lshl_add_u64 v[4:5], s[12:13], 3, v[2:3]
	s_add_i32 s4, s5, s5
	v_add_u32_e32 v10, s4, v0
	v_ashrrev_i32_e32 v11, 31, v10
	s_bitcmp0_b32 s14, 0
	s_waitcnt vmcnt(0) lgkmcnt(0)
	scratch_store_dwordx2 off, v[6:7], off
	flat_load_dwordx2 v[8:9], v[4:5]
	v_lshl_add_u64 v[6:7], v[10:11], 3, s[0:1]
	v_add_u32_e32 v10, s5, v10
	v_ashrrev_i32_e32 v11, 31, v10
	v_add_u32_e32 v14, s5, v10
	v_ashrrev_i32_e32 v15, 31, v14
	s_waitcnt vmcnt(0) lgkmcnt(0)
	scratch_store_dwordx2 off, v[8:9], off offset:8
	flat_load_dwordx2 v[12:13], v[6:7]
	v_lshl_add_u64 v[8:9], v[10:11], 3, s[0:1]
	v_lshl_add_u64 v[10:11], v[14:15], 3, s[0:1]
	v_add_u32_e32 v14, s5, v14
	v_ashrrev_i32_e32 v15, 31, v14
	v_add_u32_e32 v18, s5, v14
	v_ashrrev_i32_e32 v19, 31, v18
	s_waitcnt vmcnt(0) lgkmcnt(0)
	scratch_store_dwordx2 off, v[12:13], off offset:16
	flat_load_dwordx2 v[12:13], v[8:9]
	s_waitcnt vmcnt(0) lgkmcnt(0)
	scratch_store_dwordx2 off, v[12:13], off offset:24
	flat_load_dwordx2 v[16:17], v[10:11]
	v_lshl_add_u64 v[12:13], v[14:15], 3, s[0:1]
	v_lshl_add_u64 v[14:15], v[18:19], 3, s[0:1]
	v_add_u32_e32 v18, s5, v18
	v_ashrrev_i32_e32 v19, 31, v18
	v_add_u32_e32 v22, s5, v18
	v_ashrrev_i32_e32 v23, 31, v22
	s_waitcnt vmcnt(0) lgkmcnt(0)
	scratch_store_dwordx2 off, v[16:17], off offset:32
	flat_load_dwordx2 v[16:17], v[12:13]
	;; [unrolled: 12-line block ×8, first 2 shown]
	s_waitcnt vmcnt(0) lgkmcnt(0)
	scratch_store_dwordx2 off, v[40:41], off offset:136
	flat_load_dwordx2 v[44:45], v[38:39]
	v_lshl_add_u64 v[40:41], v[42:43], 3, s[0:1]
	v_lshl_add_u64 v[42:43], v[48:49], 3, s[0:1]
	s_waitcnt vmcnt(0) lgkmcnt(0)
	scratch_store_dwordx2 off, v[44:45], off offset:144
	flat_load_dwordx2 v[44:45], v[40:41]
	s_waitcnt vmcnt(0) lgkmcnt(0)
	scratch_store_dwordx2 off, v[44:45], off offset:152
	flat_load_dwordx2 v[50:51], v[42:43]
	v_add_u32_e32 v44, s5, v48
	v_ashrrev_i32_e32 v45, 31, v44
	v_lshl_add_u64 v[44:45], v[44:45], 3, s[0:1]
	s_mov_b64 s[4:5], -1
	s_waitcnt vmcnt(0) lgkmcnt(0)
	scratch_store_dwordx2 off, v[50:51], off offset:160
	flat_load_dwordx2 v[48:49], v[44:45]
	s_waitcnt vmcnt(0) lgkmcnt(0)
	scratch_store_dwordx2 off, v[48:49], off offset:168
	s_cbranch_scc1 .LBB85_100
; %bb.4:
	v_cmp_eq_u32_e64 s[0:1], 0, v0
	s_and_saveexec_b64 s[4:5], s[0:1]
; %bb.5:
	v_mov_b32_e32 v1, 0
	ds_write_b32 v1, v1 offset:352
; %bb.6:
	s_or_b64 exec, exec, s[4:5]
	s_waitcnt lgkmcnt(0)
	; wave barrier
	scratch_load_dwordx2 v[48:49], v46, off
	s_waitcnt vmcnt(0)
	v_cmp_eq_f32_e32 vcc, 0, v48
	v_cmp_eq_f32_e64 s[4:5], 0, v49
	s_and_b64 s[4:5], vcc, s[4:5]
	s_and_saveexec_b64 s[12:13], s[4:5]
	s_cbranch_execz .LBB85_10
; %bb.7:
	v_mov_b32_e32 v1, 0
	ds_read_b32 v48, v1 offset:352
	v_add_u32_e32 v47, 1, v0
	s_waitcnt lgkmcnt(0)
	v_readfirstlane_b32 s4, v48
	s_cmp_eq_u32 s4, 0
	s_cselect_b64 s[14:15], -1, 0
	v_cmp_gt_i32_e32 vcc, s4, v47
	s_or_b64 s[14:15], s[14:15], vcc
	s_and_b64 exec, exec, s[14:15]
	s_cbranch_execz .LBB85_10
; %bb.8:
	s_mov_b64 s[14:15], 0
	v_mov_b32_e32 v48, s4
.LBB85_9:                               ; =>This Inner Loop Header: Depth=1
	ds_cmpst_rtn_b32 v48, v1, v48, v47 offset:352
	s_waitcnt lgkmcnt(0)
	v_cmp_ne_u32_e32 vcc, 0, v48
	v_cmp_le_i32_e64 s[4:5], v48, v47
	s_and_b64 s[4:5], vcc, s[4:5]
	s_and_b64 s[4:5], exec, s[4:5]
	s_or_b64 s[14:15], s[4:5], s[14:15]
	s_andn2_b64 exec, exec, s[14:15]
	s_cbranch_execnz .LBB85_9
.LBB85_10:
	s_or_b64 exec, exec, s[12:13]
	v_mov_b32_e32 v47, 0
	; wave barrier
	ds_read_b32 v1, v47 offset:352
	s_and_saveexec_b64 s[4:5], s[0:1]
	s_cbranch_execz .LBB85_12
; %bb.11:
	s_lshl_b64 s[12:13], s[2:3], 2
	s_add_u32 s12, s6, s12
	s_addc_u32 s13, s7, s13
	s_waitcnt lgkmcnt(0)
	global_store_dword v47, v1, s[12:13]
.LBB85_12:
	s_or_b64 exec, exec, s[4:5]
	s_waitcnt lgkmcnt(0)
	v_cmp_ne_u32_e32 vcc, 0, v1
	s_mov_b64 s[4:5], 0
	s_cbranch_vccnz .LBB85_100
; %bb.13:
	v_mov_b32_e32 v47, v46
	scratch_load_dwordx2 v[48:49], v47, off
                                        ; implicit-def: $vgpr51
                                        ; implicit-def: $vgpr52
	s_waitcnt vmcnt(0)
	v_cmp_ngt_f32_e64 s[4:5], |v48|, |v49|
	s_and_saveexec_b64 s[12:13], s[4:5]
	s_xor_b64 s[4:5], exec, s[12:13]
	s_cbranch_execz .LBB85_15
; %bb.14:
	v_div_scale_f32 v1, s[12:13], v49, v49, v48
	v_rcp_f32_e32 v50, v1
	v_div_scale_f32 v51, vcc, v48, v49, v48
	v_fma_f32 v52, -v1, v50, 1.0
	v_fmac_f32_e32 v50, v52, v50
	v_mul_f32_e32 v52, v51, v50
	v_fma_f32 v53, -v1, v52, v51
	v_fmac_f32_e32 v52, v53, v50
	v_fma_f32 v1, -v1, v52, v51
	v_div_fmas_f32 v1, v1, v50, v52
	v_div_fixup_f32 v1, v1, v49, v48
	v_fmac_f32_e32 v49, v48, v1
	v_div_scale_f32 v48, s[12:13], v49, v49, -1.0
	v_rcp_f32_e32 v50, v48
	s_nop 0
	v_fma_f32 v51, -v48, v50, 1.0
	v_fmac_f32_e32 v50, v51, v50
	v_div_scale_f32 v51, vcc, -1.0, v49, -1.0
	v_mul_f32_e32 v52, v51, v50
	v_fma_f32 v53, -v48, v52, v51
	v_fmac_f32_e32 v52, v53, v50
	v_fma_f32 v48, -v48, v52, v51
	v_div_fmas_f32 v48, v48, v50, v52
	v_div_fixup_f32 v51, v48, v49, -1.0
	v_mul_f32_e32 v52, v1, v51
	v_xor_b32_e32 v50, 0x80000000, v52
                                        ; implicit-def: $vgpr48_vgpr49
.LBB85_15:
	s_andn2_saveexec_b64 s[4:5], s[4:5]
	s_cbranch_execz .LBB85_17
; %bb.16:
	v_div_scale_f32 v1, s[12:13], v48, v48, v49
	v_rcp_f32_e32 v50, v1
	v_div_scale_f32 v51, vcc, v49, v48, v49
	v_fma_f32 v52, -v1, v50, 1.0
	v_fmac_f32_e32 v50, v52, v50
	v_mul_f32_e32 v52, v51, v50
	v_fma_f32 v53, -v1, v52, v51
	v_fmac_f32_e32 v52, v53, v50
	v_fma_f32 v1, -v1, v52, v51
	v_div_fmas_f32 v1, v1, v50, v52
	v_div_fixup_f32 v1, v1, v48, v49
	v_fmac_f32_e32 v48, v49, v1
	v_div_scale_f32 v49, s[12:13], v48, v48, 1.0
	v_rcp_f32_e32 v50, v49
	s_nop 0
	v_fma_f32 v51, -v49, v50, 1.0
	v_fmac_f32_e32 v50, v51, v50
	v_div_scale_f32 v51, vcc, 1.0, v48, 1.0
	v_mul_f32_e32 v52, v51, v50
	v_fma_f32 v53, -v49, v52, v51
	v_fmac_f32_e32 v52, v53, v50
	v_fma_f32 v49, -v49, v52, v51
	v_div_fmas_f32 v49, v49, v50, v52
	v_div_fixup_f32 v50, v49, v48, 1.0
	v_xor_b32_e32 v52, 0x80000000, v50
	v_mul_f32_e64 v51, v1, -v50
.LBB85_17:
	s_or_b64 exec, exec, s[4:5]
	scratch_store_dwordx2 v47, v[50:51], off
	scratch_load_dwordx2 v[48:49], off, off offset:8
	v_xor_b32_e32 v53, 0x80000000, v51
	v_add_u32_e32 v1, 0xb0, v46
	s_waitcnt vmcnt(0)
	ds_write2_b64 v46, v[52:53], v[48:49] offset1:22
	s_waitcnt lgkmcnt(0)
	; wave barrier
	s_and_saveexec_b64 s[4:5], s[0:1]
	s_cbranch_execz .LBB85_19
; %bb.18:
	scratch_load_dwordx2 v[48:49], v47, off
	ds_read_b64 v[50:51], v1
	v_mov_b32_e32 v52, 0
	ds_read_b64 v[52:53], v52 offset:8
	s_waitcnt vmcnt(0) lgkmcnt(1)
	v_pk_mul_f32 v[54:55], v[50:51], v[48:49] op_sel:[1,1] op_sel_hi:[0,1]
	v_pk_fma_f32 v[56:57], v[50:51], v[48:49], v[54:55] neg_lo:[0,0,1] neg_hi:[0,0,1]
	v_pk_fma_f32 v[48:49], v[50:51], v[48:49], v[54:55] op_sel_hi:[1,0,1]
	s_nop 0
	v_mov_b32_e32 v57, v49
	v_pk_add_f32 v[48:49], v[56:57], 0 op_sel_hi:[1,0]
	s_waitcnt lgkmcnt(0)
	v_pk_mul_f32 v[50:51], v[48:49], v[52:53] op_sel:[1,1] op_sel_hi:[0,1]
	v_pk_fma_f32 v[54:55], v[48:49], v[52:53], v[50:51] neg_lo:[0,0,1] neg_hi:[0,0,1]
	v_pk_fma_f32 v[48:49], v[48:49], v[52:53], v[50:51] op_sel_hi:[1,0,1]
	s_nop 0
	v_mov_b32_e32 v55, v49
	scratch_store_dwordx2 off, v[54:55], off offset:8
.LBB85_19:
	s_or_b64 exec, exec, s[4:5]
	; wave barrier
	scratch_load_dwordx2 v[48:49], off, off offset:16
	v_cmp_gt_u32_e32 vcc, 2, v0
	s_waitcnt vmcnt(0)
	ds_write_b64 v1, v[48:49]
	s_waitcnt lgkmcnt(0)
	; wave barrier
	s_and_saveexec_b64 s[4:5], vcc
	s_cbranch_execz .LBB85_23
; %bb.20:
	scratch_load_dwordx2 v[48:49], v47, off
	ds_read_b64 v[50:51], v1
	s_waitcnt vmcnt(0) lgkmcnt(0)
	v_pk_mul_f32 v[52:53], v[50:51], v[48:49] op_sel:[1,1] op_sel_hi:[0,1]
	v_pk_fma_f32 v[54:55], v[50:51], v[48:49], v[52:53] neg_lo:[0,0,1] neg_hi:[0,0,1]
	v_pk_fma_f32 v[48:49], v[50:51], v[48:49], v[52:53] op_sel_hi:[1,0,1]
	s_nop 0
	v_mov_b32_e32 v55, v49
	v_pk_add_f32 v[48:49], v[54:55], 0 op_sel_hi:[1,0]
	s_and_saveexec_b64 s[12:13], s[0:1]
	s_cbranch_execz .LBB85_22
; %bb.21:
	scratch_load_dwordx2 v[50:51], off, off offset:8
	v_mov_b32_e32 v47, 0
	ds_read_b64 v[52:53], v47 offset:184
	s_waitcnt vmcnt(0) lgkmcnt(0)
	v_pk_mul_f32 v[54:55], v[52:53], v[50:51] op_sel:[1,1] op_sel_hi:[0,1]
	v_pk_fma_f32 v[56:57], v[52:53], v[50:51], v[54:55] neg_lo:[0,0,1] neg_hi:[0,0,1]
	v_pk_fma_f32 v[50:51], v[52:53], v[50:51], v[54:55] op_sel_hi:[1,0,1]
	s_nop 0
	v_mov_b32_e32 v57, v51
	v_pk_add_f32 v[48:49], v[48:49], v[56:57]
.LBB85_22:
	s_or_b64 exec, exec, s[12:13]
	v_mov_b32_e32 v47, 0
	ds_read_b64 v[50:51], v47 offset:16
	s_waitcnt lgkmcnt(0)
	v_pk_mul_f32 v[52:53], v[48:49], v[50:51] op_sel:[1,1] op_sel_hi:[0,1]
	v_pk_fma_f32 v[54:55], v[48:49], v[50:51], v[52:53] neg_lo:[0,0,1] neg_hi:[0,0,1]
	v_pk_fma_f32 v[48:49], v[48:49], v[50:51], v[52:53] op_sel_hi:[1,0,1]
	s_nop 0
	v_mov_b32_e32 v55, v49
	scratch_store_dwordx2 off, v[54:55], off offset:16
.LBB85_23:
	s_or_b64 exec, exec, s[4:5]
	; wave barrier
	scratch_load_dwordx2 v[48:49], off, off offset:24
	v_cmp_gt_u32_e32 vcc, 3, v0
	v_add_u32_e32 v50, -1, v0
	s_waitcnt vmcnt(0)
	ds_write_b64 v1, v[48:49]
	s_waitcnt lgkmcnt(0)
	; wave barrier
	s_and_saveexec_b64 s[0:1], vcc
	s_cbranch_execz .LBB85_27
; %bb.24:
	v_mov_b32_e32 v48, 0
	v_add_u32_e32 v47, -1, v0
	v_add_u32_e32 v51, 0xb0, v46
	v_mov_b32_e32 v52, v46
	s_mov_b64 s[4:5], 0
	v_mov_b32_e32 v49, v48
.LBB85_25:                              ; =>This Inner Loop Header: Depth=1
	scratch_load_dwordx2 v[54:55], v52, off
	ds_read_b64 v[56:57], v51
	v_add_u32_e32 v47, 1, v47
	v_cmp_lt_u32_e32 vcc, 1, v47
	v_add_u32_e32 v51, 8, v51
	v_add_u32_e32 v52, 8, v52
	s_or_b64 s[4:5], vcc, s[4:5]
	s_waitcnt vmcnt(0) lgkmcnt(0)
	v_pk_mul_f32 v[58:59], v[56:57], v[54:55] op_sel:[1,1] op_sel_hi:[0,1]
	v_pk_fma_f32 v[60:61], v[56:57], v[54:55], v[58:59] neg_lo:[0,0,1] neg_hi:[0,0,1]
	v_pk_fma_f32 v[54:55], v[56:57], v[54:55], v[58:59] op_sel_hi:[1,0,1]
	s_nop 0
	v_mov_b32_e32 v61, v55
	v_pk_add_f32 v[48:49], v[48:49], v[60:61]
	s_andn2_b64 exec, exec, s[4:5]
	s_cbranch_execnz .LBB85_25
; %bb.26:
	s_or_b64 exec, exec, s[4:5]
	v_mov_b32_e32 v47, 0
	ds_read_b64 v[52:53], v47 offset:24
	s_waitcnt lgkmcnt(0)
	v_pk_mul_f32 v[54:55], v[48:49], v[52:53] op_sel:[1,1] op_sel_hi:[0,1]
	v_pk_fma_f32 v[56:57], v[48:49], v[52:53], v[54:55] neg_lo:[0,0,1] neg_hi:[0,0,1]
	v_pk_fma_f32 v[48:49], v[48:49], v[52:53], v[54:55] op_sel_hi:[1,0,1]
	s_nop 0
	v_mov_b32_e32 v57, v49
	scratch_store_dwordx2 off, v[56:57], off offset:24
.LBB85_27:
	s_or_b64 exec, exec, s[0:1]
	; wave barrier
	scratch_load_dwordx2 v[48:49], off, off offset:32
	v_cmp_gt_u32_e32 vcc, 4, v0
	s_waitcnt vmcnt(0)
	ds_write_b64 v1, v[48:49]
	s_waitcnt lgkmcnt(0)
	; wave barrier
	s_and_saveexec_b64 s[0:1], vcc
	s_cbranch_execz .LBB85_31
; %bb.28:
	v_mov_b32_e32 v48, 0
	v_add_u32_e32 v47, -1, v0
	v_add_u32_e32 v51, 0xb0, v46
	v_mov_b32_e32 v52, v46
	s_mov_b64 s[4:5], 0
	v_mov_b32_e32 v49, v48
.LBB85_29:                              ; =>This Inner Loop Header: Depth=1
	scratch_load_dwordx2 v[54:55], v52, off
	ds_read_b64 v[56:57], v51
	v_add_u32_e32 v47, 1, v47
	v_cmp_lt_u32_e32 vcc, 2, v47
	v_add_u32_e32 v51, 8, v51
	v_add_u32_e32 v52, 8, v52
	s_or_b64 s[4:5], vcc, s[4:5]
	s_waitcnt vmcnt(0) lgkmcnt(0)
	v_pk_mul_f32 v[58:59], v[56:57], v[54:55] op_sel:[1,1] op_sel_hi:[0,1]
	v_pk_fma_f32 v[60:61], v[56:57], v[54:55], v[58:59] neg_lo:[0,0,1] neg_hi:[0,0,1]
	v_pk_fma_f32 v[54:55], v[56:57], v[54:55], v[58:59] op_sel_hi:[1,0,1]
	s_nop 0
	v_mov_b32_e32 v61, v55
	v_pk_add_f32 v[48:49], v[48:49], v[60:61]
	s_andn2_b64 exec, exec, s[4:5]
	s_cbranch_execnz .LBB85_29
; %bb.30:
	s_or_b64 exec, exec, s[4:5]
	v_mov_b32_e32 v47, 0
	ds_read_b64 v[52:53], v47 offset:32
	s_waitcnt lgkmcnt(0)
	v_pk_mul_f32 v[54:55], v[48:49], v[52:53] op_sel:[1,1] op_sel_hi:[0,1]
	v_pk_fma_f32 v[56:57], v[48:49], v[52:53], v[54:55] neg_lo:[0,0,1] neg_hi:[0,0,1]
	v_pk_fma_f32 v[48:49], v[48:49], v[52:53], v[54:55] op_sel_hi:[1,0,1]
	s_nop 0
	v_mov_b32_e32 v57, v49
	scratch_store_dwordx2 off, v[56:57], off offset:32
.LBB85_31:
	s_or_b64 exec, exec, s[0:1]
	; wave barrier
	scratch_load_dwordx2 v[48:49], off, off offset:40
	v_cmp_gt_u32_e32 vcc, 5, v0
	;; [unrolled: 46-line block ×17, first 2 shown]
	s_waitcnt vmcnt(0)
	ds_write_b64 v1, v[48:49]
	s_waitcnt lgkmcnt(0)
	; wave barrier
	s_and_saveexec_b64 s[0:1], vcc
	s_cbranch_execz .LBB85_95
; %bb.92:
	v_mov_b32_e32 v48, 0
	v_add_u32_e32 v47, -1, v0
	v_add_u32_e32 v51, 0xb0, v46
	v_mov_b32_e32 v52, v46
	s_mov_b64 s[4:5], 0
	v_mov_b32_e32 v49, v48
.LBB85_93:                              ; =>This Inner Loop Header: Depth=1
	scratch_load_dwordx2 v[54:55], v52, off
	ds_read_b64 v[56:57], v51
	v_add_u32_e32 v47, 1, v47
	v_cmp_lt_u32_e32 vcc, 18, v47
	v_add_u32_e32 v51, 8, v51
	v_add_u32_e32 v52, 8, v52
	s_or_b64 s[4:5], vcc, s[4:5]
	s_waitcnt vmcnt(0) lgkmcnt(0)
	v_pk_mul_f32 v[58:59], v[56:57], v[54:55] op_sel:[1,1] op_sel_hi:[0,1]
	v_pk_fma_f32 v[60:61], v[56:57], v[54:55], v[58:59] neg_lo:[0,0,1] neg_hi:[0,0,1]
	v_pk_fma_f32 v[54:55], v[56:57], v[54:55], v[58:59] op_sel_hi:[1,0,1]
	s_nop 0
	v_mov_b32_e32 v61, v55
	v_pk_add_f32 v[48:49], v[48:49], v[60:61]
	s_andn2_b64 exec, exec, s[4:5]
	s_cbranch_execnz .LBB85_93
; %bb.94:
	s_or_b64 exec, exec, s[4:5]
	v_mov_b32_e32 v47, 0
	ds_read_b64 v[52:53], v47 offset:160
	s_waitcnt lgkmcnt(0)
	v_pk_mul_f32 v[54:55], v[48:49], v[52:53] op_sel:[1,1] op_sel_hi:[0,1]
	v_pk_fma_f32 v[56:57], v[48:49], v[52:53], v[54:55] neg_lo:[0,0,1] neg_hi:[0,0,1]
	v_pk_fma_f32 v[48:49], v[48:49], v[52:53], v[54:55] op_sel_hi:[1,0,1]
	s_nop 0
	v_mov_b32_e32 v57, v49
	scratch_store_dwordx2 off, v[56:57], off offset:160
.LBB85_95:
	s_or_b64 exec, exec, s[0:1]
	; wave barrier
	scratch_load_dwordx2 v[48:49], off, off offset:168
	v_cmp_ne_u32_e32 vcc, 21, v0
	s_waitcnt vmcnt(0)
	ds_write_b64 v1, v[48:49]
	s_waitcnt lgkmcnt(0)
	; wave barrier
	s_and_saveexec_b64 s[0:1], vcc
	s_cbranch_execz .LBB85_99
; %bb.96:
	v_add_u32_e32 v1, 0xb0, v46
	v_mov_b32_e32 v48, v46
	v_mov_b32_e32 v46, 0
	s_mov_b64 s[4:5], 0
	v_mov_b32_e32 v47, v46
.LBB85_97:                              ; =>This Inner Loop Header: Depth=1
	scratch_load_dwordx2 v[52:53], v48, off
	ds_read_b64 v[54:55], v1
	v_add_u32_e32 v50, 1, v50
	v_cmp_lt_u32_e32 vcc, 19, v50
	v_add_u32_e32 v1, 8, v1
	v_add_u32_e32 v48, 8, v48
	s_or_b64 s[4:5], vcc, s[4:5]
	s_waitcnt vmcnt(0) lgkmcnt(0)
	v_pk_mul_f32 v[56:57], v[54:55], v[52:53] op_sel:[1,1] op_sel_hi:[0,1]
	v_pk_fma_f32 v[58:59], v[54:55], v[52:53], v[56:57] neg_lo:[0,0,1] neg_hi:[0,0,1]
	v_pk_fma_f32 v[52:53], v[54:55], v[52:53], v[56:57] op_sel_hi:[1,0,1]
	s_nop 0
	v_mov_b32_e32 v59, v53
	v_pk_add_f32 v[46:47], v[46:47], v[58:59]
	s_andn2_b64 exec, exec, s[4:5]
	s_cbranch_execnz .LBB85_97
; %bb.98:
	s_or_b64 exec, exec, s[4:5]
	v_mov_b32_e32 v1, 0
	ds_read_b64 v[48:49], v1 offset:168
	s_waitcnt lgkmcnt(0)
	v_pk_mul_f32 v[50:51], v[46:47], v[48:49] op_sel:[1,1] op_sel_hi:[0,1]
	v_pk_fma_f32 v[52:53], v[46:47], v[48:49], v[50:51] neg_lo:[0,0,1] neg_hi:[0,0,1]
	v_pk_fma_f32 v[46:47], v[46:47], v[48:49], v[50:51] op_sel_hi:[1,0,1]
	s_nop 0
	v_mov_b32_e32 v53, v47
	scratch_store_dwordx2 off, v[52:53], off offset:168
.LBB85_99:
	s_or_b64 exec, exec, s[0:1]
	s_mov_b64 s[4:5], -1
	; wave barrier
.LBB85_100:
	s_and_b64 vcc, exec, s[4:5]
	s_cbranch_vccz .LBB85_102
; %bb.101:
	s_lshl_b64 s[0:1], s[2:3], 2
	s_add_u32 s0, s6, s0
	s_addc_u32 s1, s7, s1
	v_mov_b32_e32 v1, 0
	global_load_dword v1, v1, s[0:1]
	s_waitcnt vmcnt(0)
	v_cmp_ne_u32_e32 vcc, 0, v1
	s_cbranch_vccz .LBB85_103
.LBB85_102:
	s_endpgm
.LBB85_103:
	v_mov_b32_e32 v1, 0xb0
	v_lshl_add_u32 v1, v0, 3, v1
	v_cmp_eq_u32_e32 vcc, 21, v0
	s_and_saveexec_b64 s[0:1], vcc
	s_cbranch_execz .LBB85_105
; %bb.104:
	scratch_load_dwordx2 v[46:47], off, off offset:160
	v_mov_b32_e32 v48, 0
	v_mov_b32_e32 v49, v48
	scratch_store_dwordx2 off, v[48:49], off offset:160
	s_waitcnt vmcnt(1)
	ds_write_b64 v1, v[46:47]
.LBB85_105:
	s_or_b64 exec, exec, s[0:1]
	s_waitcnt lgkmcnt(0)
	; wave barrier
	scratch_load_dwordx2 v[48:49], off, off offset:168
	scratch_load_dwordx2 v[50:51], off, off offset:160
	v_mov_b32_e32 v46, 0
	ds_read_b64 v[52:53], v46 offset:344
	v_cmp_lt_u32_e32 vcc, 19, v0
	s_waitcnt vmcnt(1) lgkmcnt(0)
	v_pk_mul_f32 v[54:55], v[52:53], v[48:49] op_sel:[1,1] op_sel_hi:[0,1]
	v_pk_fma_f32 v[56:57], v[52:53], v[48:49], v[54:55] neg_lo:[0,0,1] neg_hi:[0,0,1]
	v_pk_fma_f32 v[48:49], v[52:53], v[48:49], v[54:55] op_sel_hi:[1,0,1]
	s_nop 0
	v_mov_b32_e32 v57, v49
	v_pk_add_f32 v[48:49], v[56:57], 0 op_sel_hi:[1,0]
	s_waitcnt vmcnt(0)
	v_pk_add_f32 v[48:49], v[50:51], v[48:49] neg_lo:[0,1] neg_hi:[0,1]
	scratch_store_dwordx2 off, v[48:49], off offset:160
	s_and_saveexec_b64 s[0:1], vcc
	s_cbranch_execz .LBB85_107
; %bb.106:
	scratch_load_dwordx2 v[48:49], off, off offset:152
	v_mov_b32_e32 v47, v46
	scratch_store_dwordx2 off, v[46:47], off offset:152
	s_waitcnt vmcnt(1)
	ds_write_b64 v1, v[48:49]
.LBB85_107:
	s_or_b64 exec, exec, s[0:1]
	s_waitcnt lgkmcnt(0)
	; wave barrier
	scratch_load_dwordx4 v[48:51], off, off offset:160
	scratch_load_dwordx2 v[56:57], off, off offset:152
	ds_read_b128 v[52:55], v46 offset:336
	v_cmp_lt_u32_e32 vcc, 18, v0
	s_waitcnt vmcnt(1) lgkmcnt(0)
	v_pk_mul_f32 v[46:47], v[52:53], v[48:49] op_sel:[1,1] op_sel_hi:[0,1]
	v_mov_b32_e32 v58, v51
	v_pk_fma_f32 v[60:61], v[52:53], v[48:49], v[46:47] neg_lo:[0,0,1] neg_hi:[0,0,1]
	v_pk_fma_f32 v[46:47], v[52:53], v[48:49], v[46:47] op_sel_hi:[1,0,1]
	v_pk_mul_f32 v[48:49], v[54:55], v[58:59] op_sel:[1,0] op_sel_hi:[0,0]
	v_mov_b32_e32 v61, v47
	v_pk_fma_f32 v[46:47], v[54:55], v[50:51], v[48:49] neg_lo:[0,0,1] neg_hi:[0,0,1]
	v_pk_fma_f32 v[48:49], v[54:55], v[50:51], v[48:49] op_sel_hi:[1,0,1]
	v_pk_add_f32 v[50:51], v[60:61], 0 op_sel_hi:[1,0]
	v_mov_b32_e32 v47, v49
	v_pk_add_f32 v[46:47], v[50:51], v[46:47]
	s_waitcnt vmcnt(0)
	v_pk_add_f32 v[46:47], v[56:57], v[46:47] neg_lo:[0,1] neg_hi:[0,1]
	scratch_store_dwordx2 off, v[46:47], off offset:152
	s_and_saveexec_b64 s[0:1], vcc
	s_cbranch_execz .LBB85_109
; %bb.108:
	scratch_load_dwordx2 v[46:47], off, off offset:144
	v_mov_b32_e32 v48, 0
	v_mov_b32_e32 v49, v48
	scratch_store_dwordx2 off, v[48:49], off offset:144
	s_waitcnt vmcnt(1)
	ds_write_b64 v1, v[46:47]
.LBB85_109:
	s_or_b64 exec, exec, s[0:1]
	s_waitcnt lgkmcnt(0)
	; wave barrier
	scratch_load_dwordx4 v[48:51], off, off offset:152
	scratch_load_dwordx2 v[56:57], off, off offset:168
	scratch_load_dwordx2 v[58:59], off, off offset:144
	v_mov_b32_e32 v46, 0
	ds_read2_b64 v[52:55], v46 offset0:41 offset1:42
	ds_read_b64 v[60:61], v46 offset:344
	v_cmp_lt_u32_e32 vcc, 17, v0
	s_waitcnt vmcnt(2) lgkmcnt(1)
	v_pk_mul_f32 v[62:63], v[52:53], v[48:49] op_sel:[1,1] op_sel_hi:[0,1]
	v_mov_b32_e32 v64, v51
	v_pk_fma_f32 v[68:69], v[52:53], v[48:49], v[62:63] neg_lo:[0,0,1] neg_hi:[0,0,1]
	v_pk_fma_f32 v[48:49], v[52:53], v[48:49], v[62:63] op_sel_hi:[1,0,1]
	v_pk_mul_f32 v[52:53], v[54:55], v[64:65] op_sel:[1,0] op_sel_hi:[0,0]
	s_waitcnt vmcnt(1) lgkmcnt(0)
	v_pk_mul_f32 v[66:67], v[60:61], v[56:57] op_sel:[1,1] op_sel_hi:[0,1]
	v_mov_b32_e32 v69, v49
	v_pk_fma_f32 v[48:49], v[54:55], v[50:51], v[52:53] neg_lo:[0,0,1] neg_hi:[0,0,1]
	v_pk_fma_f32 v[50:51], v[54:55], v[50:51], v[52:53] op_sel_hi:[1,0,1]
	v_pk_fma_f32 v[62:63], v[60:61], v[56:57], v[66:67] neg_lo:[0,0,1] neg_hi:[0,0,1]
	v_pk_fma_f32 v[56:57], v[60:61], v[56:57], v[66:67] op_sel_hi:[1,0,1]
	v_pk_add_f32 v[52:53], v[68:69], 0 op_sel_hi:[1,0]
	v_mov_b32_e32 v49, v51
	v_mov_b32_e32 v63, v57
	v_pk_add_f32 v[48:49], v[52:53], v[48:49]
	s_nop 0
	v_pk_add_f32 v[48:49], v[48:49], v[62:63]
	s_waitcnt vmcnt(0)
	v_pk_add_f32 v[48:49], v[58:59], v[48:49] neg_lo:[0,1] neg_hi:[0,1]
	scratch_store_dwordx2 off, v[48:49], off offset:144
	s_and_saveexec_b64 s[0:1], vcc
	s_cbranch_execz .LBB85_111
; %bb.110:
	scratch_load_dwordx2 v[48:49], off, off offset:136
	v_mov_b32_e32 v47, v46
	scratch_store_dwordx2 off, v[46:47], off offset:136
	s_waitcnt vmcnt(1)
	ds_write_b64 v1, v[48:49]
.LBB85_111:
	s_or_b64 exec, exec, s[0:1]
	s_waitcnt lgkmcnt(0)
	; wave barrier
	scratch_load_dwordx4 v[48:51], off, off offset:144
	scratch_load_dwordx4 v[52:55], off, off offset:160
	scratch_load_dwordx2 v[64:65], off, off offset:136
	ds_read_b128 v[56:59], v46 offset:320
	ds_read_b128 v[60:63], v46 offset:336
	v_cmp_lt_u32_e32 vcc, 16, v0
	s_waitcnt vmcnt(2) lgkmcnt(1)
	v_pk_mul_f32 v[46:47], v[56:57], v[48:49] op_sel:[1,1] op_sel_hi:[0,1]
	v_mov_b32_e32 v66, v51
	s_waitcnt vmcnt(1) lgkmcnt(0)
	v_pk_mul_f32 v[68:69], v[60:61], v[52:53] op_sel:[1,1] op_sel_hi:[0,1]
	v_mov_b32_e32 v70, v55
	v_pk_fma_f32 v[72:73], v[56:57], v[48:49], v[46:47] neg_lo:[0,0,1] neg_hi:[0,0,1]
	v_pk_fma_f32 v[46:47], v[56:57], v[48:49], v[46:47] op_sel_hi:[1,0,1]
	v_pk_mul_f32 v[48:49], v[58:59], v[66:67] op_sel:[1,0] op_sel_hi:[0,0]
	v_pk_fma_f32 v[56:57], v[60:61], v[52:53], v[68:69] neg_lo:[0,0,1] neg_hi:[0,0,1]
	v_pk_fma_f32 v[52:53], v[60:61], v[52:53], v[68:69] op_sel_hi:[1,0,1]
	v_pk_mul_f32 v[60:61], v[62:63], v[70:71] op_sel:[1,0] op_sel_hi:[0,0]
	v_mov_b32_e32 v73, v47
	v_pk_fma_f32 v[46:47], v[58:59], v[50:51], v[48:49] neg_lo:[0,0,1] neg_hi:[0,0,1]
	v_pk_fma_f32 v[48:49], v[58:59], v[50:51], v[48:49] op_sel_hi:[1,0,1]
	v_mov_b32_e32 v57, v53
	v_pk_fma_f32 v[50:51], v[62:63], v[54:55], v[60:61] neg_lo:[0,0,1] neg_hi:[0,0,1]
	v_pk_fma_f32 v[52:53], v[62:63], v[54:55], v[60:61] op_sel_hi:[1,0,1]
	v_pk_add_f32 v[54:55], v[72:73], 0 op_sel_hi:[1,0]
	v_mov_b32_e32 v47, v49
	v_pk_add_f32 v[46:47], v[54:55], v[46:47]
	v_mov_b32_e32 v51, v53
	v_pk_add_f32 v[46:47], v[46:47], v[56:57]
	s_nop 0
	v_pk_add_f32 v[46:47], v[46:47], v[50:51]
	s_waitcnt vmcnt(0)
	v_pk_add_f32 v[46:47], v[64:65], v[46:47] neg_lo:[0,1] neg_hi:[0,1]
	scratch_store_dwordx2 off, v[46:47], off offset:136
	s_and_saveexec_b64 s[0:1], vcc
	s_cbranch_execz .LBB85_113
; %bb.112:
	scratch_load_dwordx2 v[46:47], off, off offset:128
	v_mov_b32_e32 v48, 0
	v_mov_b32_e32 v49, v48
	scratch_store_dwordx2 off, v[48:49], off offset:128
	s_waitcnt vmcnt(1)
	ds_write_b64 v1, v[46:47]
.LBB85_113:
	s_or_b64 exec, exec, s[0:1]
	s_waitcnt lgkmcnt(0)
	; wave barrier
	scratch_load_dwordx4 v[48:51], off, off offset:136
	scratch_load_dwordx4 v[52:55], off, off offset:152
	scratch_load_dwordx2 v[64:65], off, off offset:168
	scratch_load_dwordx2 v[66:67], off, off offset:128
	v_mov_b32_e32 v46, 0
	ds_read2_b64 v[56:59], v46 offset0:39 offset1:40
	ds_read2_b64 v[60:63], v46 offset0:41 offset1:42
	ds_read_b64 v[68:69], v46 offset:344
	v_cmp_lt_u32_e32 vcc, 15, v0
	s_waitcnt vmcnt(3) lgkmcnt(2)
	v_pk_mul_f32 v[70:71], v[56:57], v[48:49] op_sel:[1,1] op_sel_hi:[0,1]
	v_mov_b32_e32 v72, v51
	v_pk_fma_f32 v[80:81], v[56:57], v[48:49], v[70:71] neg_lo:[0,0,1] neg_hi:[0,0,1]
	v_pk_fma_f32 v[48:49], v[56:57], v[48:49], v[70:71] op_sel_hi:[1,0,1]
	v_pk_mul_f32 v[56:57], v[58:59], v[72:73] op_sel:[1,0] op_sel_hi:[0,0]
	s_waitcnt vmcnt(2) lgkmcnt(1)
	v_pk_mul_f32 v[74:75], v[60:61], v[52:53] op_sel:[1,1] op_sel_hi:[0,1]
	v_mov_b32_e32 v76, v55
	v_mov_b32_e32 v81, v49
	v_pk_fma_f32 v[48:49], v[58:59], v[50:51], v[56:57] neg_lo:[0,0,1] neg_hi:[0,0,1]
	v_pk_fma_f32 v[50:51], v[58:59], v[50:51], v[56:57] op_sel_hi:[1,0,1]
	v_pk_fma_f32 v[70:71], v[60:61], v[52:53], v[74:75] neg_lo:[0,0,1] neg_hi:[0,0,1]
	v_pk_fma_f32 v[52:53], v[60:61], v[52:53], v[74:75] op_sel_hi:[1,0,1]
	v_pk_mul_f32 v[60:61], v[62:63], v[76:77] op_sel:[1,0] op_sel_hi:[0,0]
	v_pk_add_f32 v[56:57], v[80:81], 0 op_sel_hi:[1,0]
	v_mov_b32_e32 v49, v51
	s_waitcnt vmcnt(1) lgkmcnt(0)
	v_pk_mul_f32 v[78:79], v[68:69], v[64:65] op_sel:[1,1] op_sel_hi:[0,1]
	v_mov_b32_e32 v71, v53
	v_pk_fma_f32 v[52:53], v[62:63], v[54:55], v[60:61] neg_lo:[0,0,1] neg_hi:[0,0,1]
	v_pk_fma_f32 v[54:55], v[62:63], v[54:55], v[60:61] op_sel_hi:[1,0,1]
	v_pk_add_f32 v[48:49], v[56:57], v[48:49]
	v_pk_fma_f32 v[72:73], v[68:69], v[64:65], v[78:79] neg_lo:[0,0,1] neg_hi:[0,0,1]
	v_pk_fma_f32 v[64:65], v[68:69], v[64:65], v[78:79] op_sel_hi:[1,0,1]
	v_mov_b32_e32 v53, v55
	v_pk_add_f32 v[48:49], v[48:49], v[70:71]
	v_mov_b32_e32 v73, v65
	v_pk_add_f32 v[48:49], v[48:49], v[52:53]
	s_nop 0
	v_pk_add_f32 v[48:49], v[48:49], v[72:73]
	s_waitcnt vmcnt(0)
	v_pk_add_f32 v[48:49], v[66:67], v[48:49] neg_lo:[0,1] neg_hi:[0,1]
	scratch_store_dwordx2 off, v[48:49], off offset:128
	s_and_saveexec_b64 s[0:1], vcc
	s_cbranch_execz .LBB85_115
; %bb.114:
	scratch_load_dwordx2 v[48:49], off, off offset:120
	v_mov_b32_e32 v47, v46
	scratch_store_dwordx2 off, v[46:47], off offset:120
	s_waitcnt vmcnt(1)
	ds_write_b64 v1, v[48:49]
.LBB85_115:
	s_or_b64 exec, exec, s[0:1]
	s_waitcnt lgkmcnt(0)
	; wave barrier
	scratch_load_dwordx4 v[48:51], off, off offset:128
	scratch_load_dwordx4 v[52:55], off, off offset:144
	;; [unrolled: 1-line block ×3, first 2 shown]
	scratch_load_dwordx2 v[72:73], off, off offset:120
	ds_read_b128 v[60:63], v46 offset:304
	ds_read_b128 v[64:67], v46 offset:320
	;; [unrolled: 1-line block ×3, first 2 shown]
	v_cmp_lt_u32_e32 vcc, 14, v0
	s_waitcnt vmcnt(3) lgkmcnt(2)
	v_pk_mul_f32 v[46:47], v[60:61], v[48:49] op_sel:[1,1] op_sel_hi:[0,1]
	v_mov_b32_e32 v74, v51
	s_waitcnt vmcnt(2) lgkmcnt(1)
	v_pk_mul_f32 v[76:77], v[64:65], v[52:53] op_sel:[1,1] op_sel_hi:[0,1]
	v_mov_b32_e32 v78, v55
	;; [unrolled: 3-line block ×3, first 2 shown]
	v_pk_fma_f32 v[84:85], v[60:61], v[48:49], v[46:47] neg_lo:[0,0,1] neg_hi:[0,0,1]
	v_pk_fma_f32 v[46:47], v[60:61], v[48:49], v[46:47] op_sel_hi:[1,0,1]
	v_pk_mul_f32 v[48:49], v[62:63], v[74:75] op_sel:[1,0] op_sel_hi:[0,0]
	v_pk_fma_f32 v[60:61], v[64:65], v[52:53], v[76:77] neg_lo:[0,0,1] neg_hi:[0,0,1]
	v_pk_fma_f32 v[52:53], v[64:65], v[52:53], v[76:77] op_sel_hi:[1,0,1]
	v_pk_mul_f32 v[64:65], v[66:67], v[78:79] op_sel:[1,0] op_sel_hi:[0,0]
	;; [unrolled: 3-line block ×3, first 2 shown]
	v_mov_b32_e32 v85, v47
	v_pk_fma_f32 v[46:47], v[62:63], v[50:51], v[48:49] neg_lo:[0,0,1] neg_hi:[0,0,1]
	v_pk_fma_f32 v[48:49], v[62:63], v[50:51], v[48:49] op_sel_hi:[1,0,1]
	v_mov_b32_e32 v61, v53
	v_pk_fma_f32 v[50:51], v[66:67], v[54:55], v[64:65] neg_lo:[0,0,1] neg_hi:[0,0,1]
	v_pk_fma_f32 v[52:53], v[66:67], v[54:55], v[64:65] op_sel_hi:[1,0,1]
	;; [unrolled: 3-line block ×3, first 2 shown]
	v_pk_add_f32 v[58:59], v[84:85], 0 op_sel_hi:[1,0]
	v_mov_b32_e32 v47, v49
	v_pk_add_f32 v[46:47], v[58:59], v[46:47]
	v_mov_b32_e32 v51, v53
	v_pk_add_f32 v[46:47], v[46:47], v[60:61]
	;; [unrolled: 2-line block ×3, first 2 shown]
	s_nop 0
	v_pk_add_f32 v[46:47], v[46:47], v[74:75]
	s_nop 0
	v_pk_add_f32 v[46:47], v[46:47], v[54:55]
	s_waitcnt vmcnt(0)
	v_pk_add_f32 v[46:47], v[72:73], v[46:47] neg_lo:[0,1] neg_hi:[0,1]
	scratch_store_dwordx2 off, v[46:47], off offset:120
	s_and_saveexec_b64 s[0:1], vcc
	s_cbranch_execz .LBB85_117
; %bb.116:
	scratch_load_dwordx2 v[46:47], off, off offset:112
	v_mov_b32_e32 v48, 0
	v_mov_b32_e32 v49, v48
	scratch_store_dwordx2 off, v[48:49], off offset:112
	s_waitcnt vmcnt(1)
	ds_write_b64 v1, v[46:47]
.LBB85_117:
	s_or_b64 exec, exec, s[0:1]
	s_waitcnt lgkmcnt(0)
	; wave barrier
	scratch_load_dwordx4 v[48:51], off, off offset:120
	scratch_load_dwordx4 v[52:55], off, off offset:136
	;; [unrolled: 1-line block ×3, first 2 shown]
	scratch_load_dwordx2 v[72:73], off, off offset:168
	scratch_load_dwordx2 v[74:75], off, off offset:112
	v_mov_b32_e32 v46, 0
	ds_read2_b64 v[60:63], v46 offset0:37 offset1:38
	ds_read2_b64 v[64:67], v46 offset0:39 offset1:40
	;; [unrolled: 1-line block ×3, first 2 shown]
	ds_read_b64 v[76:77], v46 offset:344
	v_cmp_lt_u32_e32 vcc, 13, v0
	s_waitcnt vmcnt(4) lgkmcnt(3)
	v_pk_mul_f32 v[78:79], v[60:61], v[48:49] op_sel:[1,1] op_sel_hi:[0,1]
	v_mov_b32_e32 v80, v51
	v_pk_fma_f32 v[92:93], v[60:61], v[48:49], v[78:79] neg_lo:[0,0,1] neg_hi:[0,0,1]
	v_pk_fma_f32 v[48:49], v[60:61], v[48:49], v[78:79] op_sel_hi:[1,0,1]
	v_pk_mul_f32 v[60:61], v[62:63], v[80:81] op_sel:[1,0] op_sel_hi:[0,0]
	s_waitcnt vmcnt(3) lgkmcnt(2)
	v_pk_mul_f32 v[82:83], v[64:65], v[52:53] op_sel:[1,1] op_sel_hi:[0,1]
	v_mov_b32_e32 v84, v55
	v_mov_b32_e32 v93, v49
	v_pk_fma_f32 v[48:49], v[62:63], v[50:51], v[60:61] neg_lo:[0,0,1] neg_hi:[0,0,1]
	v_pk_fma_f32 v[50:51], v[62:63], v[50:51], v[60:61] op_sel_hi:[1,0,1]
	v_pk_fma_f32 v[78:79], v[64:65], v[52:53], v[82:83] neg_lo:[0,0,1] neg_hi:[0,0,1]
	v_pk_fma_f32 v[52:53], v[64:65], v[52:53], v[82:83] op_sel_hi:[1,0,1]
	v_pk_mul_f32 v[64:65], v[66:67], v[84:85] op_sel:[1,0] op_sel_hi:[0,0]
	v_pk_add_f32 v[60:61], v[92:93], 0 op_sel_hi:[1,0]
	v_mov_b32_e32 v49, v51
	s_waitcnt vmcnt(2) lgkmcnt(1)
	v_pk_mul_f32 v[86:87], v[68:69], v[56:57] op_sel:[1,1] op_sel_hi:[0,1]
	v_mov_b32_e32 v88, v59
	v_mov_b32_e32 v79, v53
	v_pk_fma_f32 v[52:53], v[66:67], v[54:55], v[64:65] neg_lo:[0,0,1] neg_hi:[0,0,1]
	v_pk_fma_f32 v[54:55], v[66:67], v[54:55], v[64:65] op_sel_hi:[1,0,1]
	v_pk_add_f32 v[48:49], v[60:61], v[48:49]
	v_pk_fma_f32 v[80:81], v[68:69], v[56:57], v[86:87] neg_lo:[0,0,1] neg_hi:[0,0,1]
	v_pk_fma_f32 v[56:57], v[68:69], v[56:57], v[86:87] op_sel_hi:[1,0,1]
	v_pk_mul_f32 v[68:69], v[70:71], v[88:89] op_sel:[1,0] op_sel_hi:[0,0]
	v_mov_b32_e32 v53, v55
	v_pk_add_f32 v[48:49], v[48:49], v[78:79]
	s_waitcnt vmcnt(1) lgkmcnt(0)
	v_pk_mul_f32 v[90:91], v[76:77], v[72:73] op_sel:[1,1] op_sel_hi:[0,1]
	v_mov_b32_e32 v81, v57
	v_pk_fma_f32 v[56:57], v[70:71], v[58:59], v[68:69] neg_lo:[0,0,1] neg_hi:[0,0,1]
	v_pk_fma_f32 v[58:59], v[70:71], v[58:59], v[68:69] op_sel_hi:[1,0,1]
	v_pk_add_f32 v[48:49], v[48:49], v[52:53]
	v_pk_fma_f32 v[82:83], v[76:77], v[72:73], v[90:91] neg_lo:[0,0,1] neg_hi:[0,0,1]
	v_pk_fma_f32 v[72:73], v[76:77], v[72:73], v[90:91] op_sel_hi:[1,0,1]
	v_mov_b32_e32 v57, v59
	v_pk_add_f32 v[48:49], v[48:49], v[80:81]
	v_mov_b32_e32 v83, v73
	v_pk_add_f32 v[48:49], v[48:49], v[56:57]
	s_nop 0
	v_pk_add_f32 v[48:49], v[48:49], v[82:83]
	s_waitcnt vmcnt(0)
	v_pk_add_f32 v[48:49], v[74:75], v[48:49] neg_lo:[0,1] neg_hi:[0,1]
	scratch_store_dwordx2 off, v[48:49], off offset:112
	s_and_saveexec_b64 s[0:1], vcc
	s_cbranch_execz .LBB85_119
; %bb.118:
	scratch_load_dwordx2 v[48:49], off, off offset:104
	v_mov_b32_e32 v47, v46
	scratch_store_dwordx2 off, v[46:47], off offset:104
	s_waitcnt vmcnt(1)
	ds_write_b64 v1, v[48:49]
.LBB85_119:
	s_or_b64 exec, exec, s[0:1]
	s_waitcnt lgkmcnt(0)
	; wave barrier
	scratch_load_dwordx4 v[48:51], off, off offset:112
	scratch_load_dwordx4 v[52:55], off, off offset:128
	;; [unrolled: 1-line block ×4, first 2 shown]
	scratch_load_dwordx2 v[80:81], off, off offset:104
	ds_read_b128 v[64:67], v46 offset:288
	ds_read_b128 v[68:71], v46 offset:304
	;; [unrolled: 1-line block ×4, first 2 shown]
	v_cmp_lt_u32_e32 vcc, 12, v0
	s_waitcnt vmcnt(4) lgkmcnt(3)
	v_pk_mul_f32 v[46:47], v[64:65], v[48:49] op_sel:[1,1] op_sel_hi:[0,1]
	v_mov_b32_e32 v82, v51
	s_waitcnt vmcnt(3) lgkmcnt(2)
	v_pk_mul_f32 v[84:85], v[68:69], v[52:53] op_sel:[1,1] op_sel_hi:[0,1]
	v_mov_b32_e32 v86, v55
	s_waitcnt vmcnt(2) lgkmcnt(1)
	v_pk_mul_f32 v[88:89], v[72:73], v[56:57] op_sel:[1,1] op_sel_hi:[0,1]
	v_mov_b32_e32 v90, v59
	s_waitcnt vmcnt(1) lgkmcnt(0)
	v_pk_mul_f32 v[92:93], v[76:77], v[60:61] op_sel:[1,1] op_sel_hi:[0,1]
	v_mov_b32_e32 v94, v63
	v_pk_fma_f32 v[96:97], v[64:65], v[48:49], v[46:47] neg_lo:[0,0,1] neg_hi:[0,0,1]
	v_pk_fma_f32 v[46:47], v[64:65], v[48:49], v[46:47] op_sel_hi:[1,0,1]
	v_pk_mul_f32 v[48:49], v[66:67], v[82:83] op_sel:[1,0] op_sel_hi:[0,0]
	v_pk_fma_f32 v[64:65], v[68:69], v[52:53], v[84:85] neg_lo:[0,0,1] neg_hi:[0,0,1]
	v_pk_fma_f32 v[52:53], v[68:69], v[52:53], v[84:85] op_sel_hi:[1,0,1]
	v_pk_mul_f32 v[68:69], v[70:71], v[86:87] op_sel:[1,0] op_sel_hi:[0,0]
	;; [unrolled: 3-line block ×4, first 2 shown]
	v_mov_b32_e32 v97, v47
	v_pk_fma_f32 v[46:47], v[66:67], v[50:51], v[48:49] neg_lo:[0,0,1] neg_hi:[0,0,1]
	v_pk_fma_f32 v[48:49], v[66:67], v[50:51], v[48:49] op_sel_hi:[1,0,1]
	v_mov_b32_e32 v65, v53
	v_pk_fma_f32 v[50:51], v[70:71], v[54:55], v[68:69] neg_lo:[0,0,1] neg_hi:[0,0,1]
	v_pk_fma_f32 v[52:53], v[70:71], v[54:55], v[68:69] op_sel_hi:[1,0,1]
	;; [unrolled: 3-line block ×4, first 2 shown]
	v_pk_add_f32 v[62:63], v[96:97], 0 op_sel_hi:[1,0]
	v_mov_b32_e32 v47, v49
	v_pk_add_f32 v[46:47], v[62:63], v[46:47]
	v_mov_b32_e32 v51, v53
	v_pk_add_f32 v[46:47], v[46:47], v[64:65]
	;; [unrolled: 2-line block ×4, first 2 shown]
	s_nop 0
	v_pk_add_f32 v[46:47], v[46:47], v[54:55]
	s_nop 0
	v_pk_add_f32 v[46:47], v[46:47], v[84:85]
	s_nop 0
	v_pk_add_f32 v[46:47], v[46:47], v[58:59]
	s_waitcnt vmcnt(0)
	v_pk_add_f32 v[46:47], v[80:81], v[46:47] neg_lo:[0,1] neg_hi:[0,1]
	scratch_store_dwordx2 off, v[46:47], off offset:104
	s_and_saveexec_b64 s[0:1], vcc
	s_cbranch_execz .LBB85_121
; %bb.120:
	scratch_load_dwordx2 v[46:47], off, off offset:96
	v_mov_b32_e32 v48, 0
	v_mov_b32_e32 v49, v48
	scratch_store_dwordx2 off, v[48:49], off offset:96
	s_waitcnt vmcnt(1)
	ds_write_b64 v1, v[46:47]
.LBB85_121:
	s_or_b64 exec, exec, s[0:1]
	s_waitcnt lgkmcnt(0)
	; wave barrier
	scratch_load_dwordx4 v[48:51], off, off offset:104
	scratch_load_dwordx4 v[52:55], off, off offset:120
	;; [unrolled: 1-line block ×4, first 2 shown]
	scratch_load_dwordx2 v[80:81], off, off offset:168
	scratch_load_dwordx2 v[82:83], off, off offset:96
	v_mov_b32_e32 v46, 0
	ds_read2_b64 v[64:67], v46 offset0:35 offset1:36
	ds_read2_b64 v[68:71], v46 offset0:37 offset1:38
	;; [unrolled: 1-line block ×4, first 2 shown]
	ds_read_b64 v[84:85], v46 offset:344
	v_cmp_lt_u32_e32 vcc, 11, v0
	s_waitcnt vmcnt(5) lgkmcnt(4)
	v_mul_f32_e32 v87, v64, v49
	v_mul_f32_e32 v47, v65, v49
	v_mov_b32_e32 v88, v51
	s_waitcnt vmcnt(4) lgkmcnt(3)
	v_pk_mul_f32 v[90:91], v[68:69], v[52:53] op_sel:[1,1] op_sel_hi:[0,1]
	v_mov_b32_e32 v92, v55
	s_waitcnt vmcnt(1) lgkmcnt(0)
	v_pk_mul_f32 v[102:103], v[84:85], v[80:81] op_sel:[1,1] op_sel_hi:[0,1]
	v_fmac_f32_e32 v87, v65, v48
	v_fma_f32 v86, v64, v48, -v47
	v_pk_mul_f32 v[48:49], v[66:67], v[88:89] op_sel:[1,0] op_sel_hi:[0,0]
	v_pk_fma_f32 v[64:65], v[68:69], v[52:53], v[90:91] neg_lo:[0,0,1] neg_hi:[0,0,1]
	v_pk_fma_f32 v[52:53], v[68:69], v[52:53], v[90:91] op_sel_hi:[1,0,1]
	v_pk_mul_f32 v[68:69], v[70:71], v[92:93] op_sel:[1,0] op_sel_hi:[0,0]
	v_pk_fma_f32 v[92:93], v[84:85], v[80:81], v[102:103] neg_lo:[0,0,1] neg_hi:[0,0,1]
	v_pk_fma_f32 v[80:81], v[84:85], v[80:81], v[102:103] op_sel_hi:[1,0,1]
	v_pk_add_f32 v[84:85], v[86:87], 0 op_sel_hi:[1,0]
	v_pk_fma_f32 v[86:87], v[66:67], v[50:51], v[48:49] neg_lo:[0,0,1] neg_hi:[0,0,1]
	v_pk_fma_f32 v[48:49], v[66:67], v[50:51], v[48:49] op_sel_hi:[1,0,1]
	v_pk_mul_f32 v[94:95], v[72:73], v[56:57] op_sel:[1,1] op_sel_hi:[0,1]
	v_mov_b32_e32 v87, v49
	v_mov_b32_e32 v96, v59
	;; [unrolled: 1-line block ×3, first 2 shown]
	v_pk_fma_f32 v[50:51], v[70:71], v[54:55], v[68:69] neg_lo:[0,0,1] neg_hi:[0,0,1]
	v_pk_fma_f32 v[52:53], v[70:71], v[54:55], v[68:69] op_sel_hi:[1,0,1]
	v_pk_add_f32 v[48:49], v[84:85], v[86:87]
	v_pk_fma_f32 v[88:89], v[72:73], v[56:57], v[94:95] neg_lo:[0,0,1] neg_hi:[0,0,1]
	v_pk_fma_f32 v[56:57], v[72:73], v[56:57], v[94:95] op_sel_hi:[1,0,1]
	v_pk_mul_f32 v[72:73], v[74:75], v[96:97] op_sel:[1,0] op_sel_hi:[0,0]
	v_mov_b32_e32 v51, v53
	v_pk_add_f32 v[48:49], v[48:49], v[64:65]
	v_pk_mul_f32 v[98:99], v[76:77], v[60:61] op_sel:[1,1] op_sel_hi:[0,1]
	v_mov_b32_e32 v100, v63
	v_mov_b32_e32 v89, v57
	v_pk_fma_f32 v[54:55], v[74:75], v[58:59], v[72:73] neg_lo:[0,0,1] neg_hi:[0,0,1]
	v_pk_fma_f32 v[56:57], v[74:75], v[58:59], v[72:73] op_sel_hi:[1,0,1]
	v_pk_add_f32 v[48:49], v[48:49], v[50:51]
	v_pk_fma_f32 v[90:91], v[76:77], v[60:61], v[98:99] neg_lo:[0,0,1] neg_hi:[0,0,1]
	v_pk_fma_f32 v[60:61], v[76:77], v[60:61], v[98:99] op_sel_hi:[1,0,1]
	v_pk_mul_f32 v[76:77], v[78:79], v[100:101] op_sel:[1,0] op_sel_hi:[0,0]
	v_mov_b32_e32 v55, v57
	v_pk_add_f32 v[48:49], v[48:49], v[88:89]
	v_mov_b32_e32 v91, v61
	v_pk_fma_f32 v[58:59], v[78:79], v[62:63], v[76:77] neg_lo:[0,0,1] neg_hi:[0,0,1]
	v_pk_fma_f32 v[60:61], v[78:79], v[62:63], v[76:77] op_sel_hi:[1,0,1]
	v_pk_add_f32 v[48:49], v[48:49], v[54:55]
	v_mov_b32_e32 v59, v61
	v_pk_add_f32 v[48:49], v[48:49], v[90:91]
	v_mov_b32_e32 v93, v81
	v_pk_add_f32 v[48:49], v[48:49], v[58:59]
	s_nop 0
	v_pk_add_f32 v[48:49], v[48:49], v[92:93]
	s_waitcnt vmcnt(0)
	v_pk_add_f32 v[48:49], v[82:83], v[48:49] neg_lo:[0,1] neg_hi:[0,1]
	scratch_store_dwordx2 off, v[48:49], off offset:96
	s_and_saveexec_b64 s[0:1], vcc
	s_cbranch_execz .LBB85_123
; %bb.122:
	scratch_load_dwordx2 v[48:49], off, off offset:88
	v_mov_b32_e32 v47, v46
	scratch_store_dwordx2 off, v[46:47], off offset:88
	s_waitcnt vmcnt(1)
	ds_write_b64 v1, v[48:49]
.LBB85_123:
	s_or_b64 exec, exec, s[0:1]
	s_waitcnt lgkmcnt(0)
	; wave barrier
	scratch_load_dwordx4 v[48:51], off, off offset:96
	scratch_load_dwordx4 v[52:55], off, off offset:112
	;; [unrolled: 1-line block ×5, first 2 shown]
	scratch_load_dwordx2 v[88:89], off, off offset:88
	ds_read_b128 v[68:71], v46 offset:272
	ds_read_b128 v[72:75], v46 offset:288
	;; [unrolled: 1-line block ×5, first 2 shown]
	v_cmp_lt_u32_e32 vcc, 10, v0
	s_waitcnt vmcnt(5) lgkmcnt(4)
	v_mul_f32_e32 v47, v68, v49
	v_mul_f32_e32 v46, v69, v49
	;; [unrolled: 1-line block ×4, first 2 shown]
	s_waitcnt vmcnt(4) lgkmcnt(3)
	v_pk_mul_f32 v[92:93], v[72:73], v[52:53] op_sel:[1,1] op_sel_hi:[0,1]
	v_mov_b32_e32 v94, v55
	v_fmac_f32_e32 v47, v69, v48
	v_fma_f32 v46, v68, v48, -v46
	v_fmac_f32_e32 v91, v71, v50
	v_fma_f32 v90, v70, v50, -v49
	v_pk_fma_f32 v[48:49], v[72:73], v[52:53], v[92:93] neg_lo:[0,0,1] neg_hi:[0,0,1]
	v_pk_fma_f32 v[50:51], v[72:73], v[52:53], v[92:93] op_sel_hi:[1,0,1]
	v_pk_mul_f32 v[52:53], v[74:75], v[94:95] op_sel:[1,0] op_sel_hi:[0,0]
	v_pk_add_f32 v[46:47], v[46:47], 0 op_sel_hi:[1,0]
	s_waitcnt vmcnt(3) lgkmcnt(2)
	v_pk_mul_f32 v[96:97], v[76:77], v[56:57] op_sel:[1,1] op_sel_hi:[0,1]
	v_mov_b32_e32 v98, v59
	v_mov_b32_e32 v49, v51
	v_pk_fma_f32 v[50:51], v[74:75], v[54:55], v[52:53] neg_lo:[0,0,1] neg_hi:[0,0,1]
	v_pk_fma_f32 v[52:53], v[74:75], v[54:55], v[52:53] op_sel_hi:[1,0,1]
	v_pk_add_f32 v[46:47], v[46:47], v[90:91]
	v_pk_fma_f32 v[68:69], v[76:77], v[56:57], v[96:97] neg_lo:[0,0,1] neg_hi:[0,0,1]
	v_pk_fma_f32 v[56:57], v[76:77], v[56:57], v[96:97] op_sel_hi:[1,0,1]
	v_pk_mul_f32 v[70:71], v[78:79], v[98:99] op_sel:[1,0] op_sel_hi:[0,0]
	v_mov_b32_e32 v51, v53
	v_pk_add_f32 v[46:47], v[46:47], v[48:49]
	s_waitcnt vmcnt(2) lgkmcnt(1)
	v_pk_mul_f32 v[100:101], v[80:81], v[60:61] op_sel:[1,1] op_sel_hi:[0,1]
	v_mov_b32_e32 v102, v63
	v_mov_b32_e32 v69, v57
	v_pk_fma_f32 v[54:55], v[78:79], v[58:59], v[70:71] neg_lo:[0,0,1] neg_hi:[0,0,1]
	v_pk_fma_f32 v[56:57], v[78:79], v[58:59], v[70:71] op_sel_hi:[1,0,1]
	v_pk_add_f32 v[46:47], v[46:47], v[50:51]
	v_pk_fma_f32 v[72:73], v[80:81], v[60:61], v[100:101] neg_lo:[0,0,1] neg_hi:[0,0,1]
	v_pk_fma_f32 v[60:61], v[80:81], v[60:61], v[100:101] op_sel_hi:[1,0,1]
	v_pk_mul_f32 v[76:77], v[82:83], v[102:103] op_sel:[1,0] op_sel_hi:[0,0]
	v_mov_b32_e32 v55, v57
	v_pk_add_f32 v[46:47], v[46:47], v[68:69]
	;; [unrolled: 12-line block ×3, first 2 shown]
	v_mov_b32_e32 v81, v65
	v_pk_fma_f32 v[62:63], v[86:87], v[66:67], v[84:85] neg_lo:[0,0,1] neg_hi:[0,0,1]
	v_pk_fma_f32 v[64:65], v[86:87], v[66:67], v[84:85] op_sel_hi:[1,0,1]
	v_pk_add_f32 v[46:47], v[46:47], v[58:59]
	v_mov_b32_e32 v63, v65
	v_pk_add_f32 v[46:47], v[46:47], v[80:81]
	s_nop 0
	v_pk_add_f32 v[46:47], v[46:47], v[62:63]
	s_waitcnt vmcnt(0)
	v_pk_add_f32 v[46:47], v[88:89], v[46:47] neg_lo:[0,1] neg_hi:[0,1]
	scratch_store_dwordx2 off, v[46:47], off offset:88
	s_and_saveexec_b64 s[0:1], vcc
	s_cbranch_execz .LBB85_125
; %bb.124:
	scratch_load_dwordx2 v[46:47], off, off offset:80
	v_mov_b32_e32 v48, 0
	v_mov_b32_e32 v49, v48
	scratch_store_dwordx2 off, v[48:49], off offset:80
	s_waitcnt vmcnt(1)
	ds_write_b64 v1, v[46:47]
.LBB85_125:
	s_or_b64 exec, exec, s[0:1]
	s_waitcnt lgkmcnt(0)
	; wave barrier
	scratch_load_dwordx4 v[48:51], off, off offset:88
	scratch_load_dwordx4 v[52:55], off, off offset:104
	;; [unrolled: 1-line block ×5, first 2 shown]
	scratch_load_dwordx2 v[88:89], off, off offset:168
	scratch_load_dwordx2 v[90:91], off, off offset:80
	v_mov_b32_e32 v46, 0
	ds_read2_b64 v[68:71], v46 offset0:33 offset1:34
	ds_read2_b64 v[72:75], v46 offset0:35 offset1:36
	;; [unrolled: 1-line block ×5, first 2 shown]
	ds_read_b64 v[92:93], v46 offset:344
	v_cmp_lt_u32_e32 vcc, 9, v0
	s_waitcnt vmcnt(6) lgkmcnt(5)
	v_mul_f32_e32 v47, v68, v49
	v_mul_f32_e32 v49, v69, v49
	;; [unrolled: 1-line block ×3, first 2 shown]
	s_waitcnt vmcnt(5) lgkmcnt(4)
	v_mul_f32_e32 v97, v72, v53
	v_mul_f32_e32 v51, v71, v51
	;; [unrolled: 1-line block ×3, first 2 shown]
	v_mov_b32_e32 v98, v55
	s_waitcnt vmcnt(3) lgkmcnt(2)
	v_pk_mul_f32 v[104:105], v[80:81], v[60:61] op_sel:[1,1] op_sel_hi:[0,1]
	s_waitcnt vmcnt(2) lgkmcnt(1)
	v_pk_mul_f32 v[108:109], v[84:85], v[64:65] op_sel:[1,1] op_sel_hi:[0,1]
	;; [unrolled: 2-line block ×3, first 2 shown]
	v_fmac_f32_e32 v47, v69, v48
	v_fma_f32 v99, v68, v48, -v49
	v_fmac_f32_e32 v95, v71, v50
	v_fmac_f32_e32 v97, v73, v52
	v_fma_f32 v94, v70, v50, -v51
	v_fma_f32 v96, v72, v52, -v53
	v_pk_mul_f32 v[48:49], v[74:75], v[98:99] op_sel:[1,0] op_sel_hi:[0,0]
	v_pk_fma_f32 v[68:69], v[80:81], v[60:61], v[104:105] neg_lo:[0,0,1] neg_hi:[0,0,1]
	v_pk_fma_f32 v[60:61], v[80:81], v[60:61], v[104:105] op_sel_hi:[1,0,1]
	v_pk_fma_f32 v[72:73], v[84:85], v[64:65], v[108:109] neg_lo:[0,0,1] neg_hi:[0,0,1]
	v_pk_fma_f32 v[64:65], v[84:85], v[64:65], v[108:109] op_sel_hi:[1,0,1]
	;; [unrolled: 2-line block ×3, first 2 shown]
	v_add_f32_e32 v89, 0, v47
	v_add_f32_e32 v88, 0, v99
	v_pk_mul_f32 v[100:101], v[76:77], v[56:57] op_sel:[1,1] op_sel_hi:[0,1]
	v_mov_b32_e32 v102, v59
	v_pk_fma_f32 v[92:93], v[74:75], v[54:55], v[48:49] neg_lo:[0,0,1] neg_hi:[0,0,1]
	v_pk_fma_f32 v[48:49], v[74:75], v[54:55], v[48:49] op_sel_hi:[1,0,1]
	v_mov_b32_e32 v73, v65
	v_pk_add_f32 v[64:65], v[88:89], v[94:95]
	v_pk_fma_f32 v[50:51], v[76:77], v[56:57], v[100:101] neg_lo:[0,0,1] neg_hi:[0,0,1]
	v_pk_fma_f32 v[52:53], v[76:77], v[56:57], v[100:101] op_sel_hi:[1,0,1]
	v_pk_mul_f32 v[56:57], v[78:79], v[102:103] op_sel:[1,0] op_sel_hi:[0,0]
	v_mov_b32_e32 v93, v49
	v_pk_add_f32 v[48:49], v[64:65], v[96:97]
	v_mov_b32_e32 v106, v63
	v_mov_b32_e32 v51, v53
	v_pk_fma_f32 v[52:53], v[78:79], v[58:59], v[56:57] neg_lo:[0,0,1] neg_hi:[0,0,1]
	v_pk_fma_f32 v[54:55], v[78:79], v[58:59], v[56:57] op_sel_hi:[1,0,1]
	v_pk_add_f32 v[48:49], v[48:49], v[92:93]
	v_pk_mul_f32 v[70:71], v[82:83], v[106:107] op_sel:[1,0] op_sel_hi:[0,0]
	v_mov_b32_e32 v53, v55
	v_pk_add_f32 v[48:49], v[48:49], v[50:51]
	v_mov_b32_e32 v110, v67
	v_mov_b32_e32 v69, v61
	v_pk_fma_f32 v[56:57], v[82:83], v[62:63], v[70:71] neg_lo:[0,0,1] neg_hi:[0,0,1]
	v_pk_fma_f32 v[58:59], v[82:83], v[62:63], v[70:71] op_sel_hi:[1,0,1]
	v_pk_add_f32 v[48:49], v[48:49], v[52:53]
	v_pk_mul_f32 v[76:77], v[86:87], v[110:111] op_sel:[1,0] op_sel_hi:[0,0]
	v_mov_b32_e32 v57, v59
	v_pk_add_f32 v[48:49], v[48:49], v[68:69]
	v_pk_fma_f32 v[60:61], v[86:87], v[66:67], v[76:77] neg_lo:[0,0,1] neg_hi:[0,0,1]
	v_pk_fma_f32 v[62:63], v[86:87], v[66:67], v[76:77] op_sel_hi:[1,0,1]
	v_pk_add_f32 v[48:49], v[48:49], v[56:57]
	v_mov_b32_e32 v61, v63
	v_pk_add_f32 v[48:49], v[48:49], v[72:73]
	v_mov_b32_e32 v81, v85
	v_pk_add_f32 v[48:49], v[48:49], v[60:61]
	s_nop 0
	v_pk_add_f32 v[48:49], v[48:49], v[80:81]
	s_waitcnt vmcnt(0)
	v_pk_add_f32 v[48:49], v[90:91], v[48:49] neg_lo:[0,1] neg_hi:[0,1]
	scratch_store_dwordx2 off, v[48:49], off offset:80
	s_and_saveexec_b64 s[0:1], vcc
	s_cbranch_execz .LBB85_127
; %bb.126:
	scratch_load_dwordx2 v[48:49], off, off offset:72
	v_mov_b32_e32 v47, v46
	scratch_store_dwordx2 off, v[46:47], off offset:72
	s_waitcnt vmcnt(1)
	ds_write_b64 v1, v[48:49]
.LBB85_127:
	s_or_b64 exec, exec, s[0:1]
	s_waitcnt lgkmcnt(0)
	; wave barrier
	scratch_load_dwordx4 v[48:51], off, off offset:80
	scratch_load_dwordx4 v[52:55], off, off offset:96
	;; [unrolled: 1-line block ×6, first 2 shown]
	scratch_load_dwordx2 v[96:97], off, off offset:72
	ds_read_b128 v[72:75], v46 offset:256
	ds_read_b128 v[76:79], v46 offset:272
	;; [unrolled: 1-line block ×6, first 2 shown]
	v_cmp_lt_u32_e32 vcc, 8, v0
	s_waitcnt vmcnt(6) lgkmcnt(5)
	v_mul_f32_e32 v103, v72, v49
	v_mul_f32_e32 v107, v74, v51
	s_waitcnt vmcnt(5) lgkmcnt(4)
	v_mul_f32_e32 v47, v76, v53
	v_mul_f32_e32 v46, v73, v49
	;; [unrolled: 1-line block ×4, first 2 shown]
	s_waitcnt vmcnt(1) lgkmcnt(0)
	v_pk_mul_f32 v[112:113], v[92:93], v[68:69] op_sel:[1,1] op_sel_hi:[0,1]
	v_pk_mul_f32 v[100:101], v[80:81], v[56:57] op_sel:[1,1] op_sel_hi:[0,1]
	v_fmac_f32_e32 v103, v73, v48
	v_fmac_f32_e32 v47, v77, v52
	v_fma_f32 v111, v72, v48, -v46
	v_fma_f32 v46, v76, v52, -v51
	v_pk_fma_f32 v[76:77], v[92:93], v[68:69], v[112:113] neg_lo:[0,0,1] neg_hi:[0,0,1]
	v_pk_fma_f32 v[68:69], v[92:93], v[68:69], v[112:113] op_sel_hi:[1,0,1]
	v_fmac_f32_e32 v107, v75, v50
	v_fma_f32 v115, v74, v50, -v49
	v_pk_fma_f32 v[48:49], v[80:81], v[56:57], v[100:101] neg_lo:[0,0,1] neg_hi:[0,0,1]
	v_pk_fma_f32 v[50:51], v[80:81], v[56:57], v[100:101] op_sel_hi:[1,0,1]
	v_add_f32_e32 v68, 0, v103
	v_add_f32_e32 v80, 0, v111
	v_mul_f32_e32 v99, v78, v55
	v_mul_f32_e32 v53, v79, v55
	v_mov_b32_e32 v102, v59
	v_mov_b32_e32 v77, v69
	v_add_f32_e32 v69, v68, v107
	v_add_f32_e32 v68, v80, v115
	v_fmac_f32_e32 v99, v79, v54
	v_fma_f32 v98, v78, v54, -v53
	v_pk_mul_f32 v[52:53], v[82:83], v[102:103] op_sel:[1,0] op_sel_hi:[0,0]
	v_pk_add_f32 v[46:47], v[68:69], v[46:47]
	v_pk_mul_f32 v[104:105], v[84:85], v[60:61] op_sel:[1,1] op_sel_hi:[0,1]
	v_mov_b32_e32 v106, v63
	v_mov_b32_e32 v49, v51
	v_pk_fma_f32 v[50:51], v[82:83], v[58:59], v[52:53] neg_lo:[0,0,1] neg_hi:[0,0,1]
	v_pk_fma_f32 v[52:53], v[82:83], v[58:59], v[52:53] op_sel_hi:[1,0,1]
	v_pk_add_f32 v[46:47], v[46:47], v[98:99]
	v_pk_fma_f32 v[54:55], v[84:85], v[60:61], v[104:105] neg_lo:[0,0,1] neg_hi:[0,0,1]
	v_pk_fma_f32 v[56:57], v[84:85], v[60:61], v[104:105] op_sel_hi:[1,0,1]
	v_pk_mul_f32 v[60:61], v[86:87], v[106:107] op_sel:[1,0] op_sel_hi:[0,0]
	v_mov_b32_e32 v51, v53
	v_pk_add_f32 v[46:47], v[46:47], v[48:49]
	v_pk_mul_f32 v[108:109], v[88:89], v[64:65] op_sel:[1,1] op_sel_hi:[0,1]
	v_mov_b32_e32 v110, v67
	v_mov_b32_e32 v55, v57
	v_pk_fma_f32 v[56:57], v[86:87], v[62:63], v[60:61] neg_lo:[0,0,1] neg_hi:[0,0,1]
	v_pk_fma_f32 v[58:59], v[86:87], v[62:63], v[60:61] op_sel_hi:[1,0,1]
	v_pk_add_f32 v[46:47], v[46:47], v[50:51]
	v_pk_fma_f32 v[72:73], v[88:89], v[64:65], v[108:109] neg_lo:[0,0,1] neg_hi:[0,0,1]
	v_pk_fma_f32 v[64:65], v[88:89], v[64:65], v[108:109] op_sel_hi:[1,0,1]
	v_pk_mul_f32 v[74:75], v[90:91], v[110:111] op_sel:[1,0] op_sel_hi:[0,0]
	v_mov_b32_e32 v57, v59
	v_pk_add_f32 v[46:47], v[46:47], v[54:55]
	v_mov_b32_e32 v114, v71
	v_mov_b32_e32 v73, v65
	v_pk_fma_f32 v[60:61], v[90:91], v[66:67], v[74:75] neg_lo:[0,0,1] neg_hi:[0,0,1]
	v_pk_fma_f32 v[62:63], v[90:91], v[66:67], v[74:75] op_sel_hi:[1,0,1]
	v_pk_add_f32 v[46:47], v[46:47], v[56:57]
	v_pk_mul_f32 v[78:79], v[94:95], v[114:115] op_sel:[1,0] op_sel_hi:[0,0]
	v_mov_b32_e32 v61, v63
	v_pk_add_f32 v[46:47], v[46:47], v[72:73]
	v_pk_fma_f32 v[64:65], v[94:95], v[70:71], v[78:79] neg_lo:[0,0,1] neg_hi:[0,0,1]
	v_pk_fma_f32 v[66:67], v[94:95], v[70:71], v[78:79] op_sel_hi:[1,0,1]
	v_pk_add_f32 v[46:47], v[46:47], v[60:61]
	v_mov_b32_e32 v65, v67
	v_pk_add_f32 v[46:47], v[46:47], v[76:77]
	s_nop 0
	v_pk_add_f32 v[46:47], v[46:47], v[64:65]
	s_waitcnt vmcnt(0)
	v_pk_add_f32 v[46:47], v[96:97], v[46:47] neg_lo:[0,1] neg_hi:[0,1]
	scratch_store_dwordx2 off, v[46:47], off offset:72
	s_and_saveexec_b64 s[0:1], vcc
	s_cbranch_execz .LBB85_129
; %bb.128:
	scratch_load_dwordx2 v[46:47], off, off offset:64
	v_mov_b32_e32 v48, 0
	v_mov_b32_e32 v49, v48
	scratch_store_dwordx2 off, v[48:49], off offset:64
	s_waitcnt vmcnt(1)
	ds_write_b64 v1, v[46:47]
.LBB85_129:
	s_or_b64 exec, exec, s[0:1]
	s_waitcnt lgkmcnt(0)
	; wave barrier
	scratch_load_dwordx4 v[48:51], off, off offset:72
	scratch_load_dwordx4 v[52:55], off, off offset:88
	;; [unrolled: 1-line block ×6, first 2 shown]
	scratch_load_dwordx2 v[96:97], off, off offset:168
	scratch_load_dwordx2 v[98:99], off, off offset:64
	v_mov_b32_e32 v46, 0
	ds_read2_b64 v[72:75], v46 offset0:31 offset1:32
	ds_read2_b64 v[76:79], v46 offset0:33 offset1:34
	;; [unrolled: 1-line block ×6, first 2 shown]
	ds_read_b64 v[100:101], v46 offset:344
	v_cmp_lt_u32_e32 vcc, 7, v0
	s_waitcnt vmcnt(7) lgkmcnt(6)
	v_mul_f32_e32 v107, v74, v51
	v_mul_f32_e32 v47, v72, v49
	s_waitcnt vmcnt(5) lgkmcnt(4)
	v_mul_f32_e32 v105, v80, v57
	v_mul_f32_e32 v49, v73, v49
	v_mov_b32_e32 v106, v59
	s_waitcnt vmcnt(2) lgkmcnt(1)
	v_pk_mul_f32 v[116:117], v[92:93], v[68:69] op_sel:[1,1] op_sel_hi:[0,1]
	v_fmac_f32_e32 v107, v75, v50
	v_mul_f32_e32 v51, v75, v51
	v_mul_f32_e32 v57, v81, v57
	v_fmac_f32_e32 v47, v73, v48
	v_fmac_f32_e32 v105, v81, v56
	v_fma_f32 v81, v72, v48, -v49
	v_pk_mul_f32 v[48:49], v[82:83], v[106:107] op_sel:[1,0] op_sel_hi:[0,0]
	v_pk_fma_f32 v[72:73], v[92:93], v[68:69], v[116:117] neg_lo:[0,0,1] neg_hi:[0,0,1]
	v_pk_fma_f32 v[68:69], v[92:93], v[68:69], v[116:117] op_sel_hi:[1,0,1]
	v_mul_f32_e32 v111, v76, v53
	v_mul_f32_e32 v53, v77, v53
	v_fma_f32 v115, v74, v50, -v51
	v_fma_f32 v104, v80, v56, -v57
	v_add_f32_e32 v47, 0, v47
	v_add_f32_e32 v68, 0, v81
	v_pk_fma_f32 v[80:81], v[82:83], v[58:59], v[48:49] neg_lo:[0,0,1] neg_hi:[0,0,1]
	v_pk_fma_f32 v[48:49], v[82:83], v[58:59], v[48:49] op_sel_hi:[1,0,1]
	v_mul_f32_e32 v103, v78, v55
	v_mul_f32_e32 v55, v79, v55
	v_fmac_f32_e32 v111, v77, v52
	v_fma_f32 v119, v76, v52, -v53
	v_add_f32_e32 v47, v47, v107
	v_add_f32_e32 v48, v68, v115
	v_fmac_f32_e32 v103, v79, v54
	v_fma_f32 v102, v78, v54, -v55
	v_mov_b32_e32 v81, v49
	v_add_f32_e32 v49, v47, v111
	v_add_f32_e32 v48, v48, v119
	v_pk_mul_f32 v[108:109], v[84:85], v[60:61] op_sel:[1,1] op_sel_hi:[0,1]
	v_mov_b32_e32 v110, v63
	v_pk_add_f32 v[48:49], v[48:49], v[102:103]
	v_pk_fma_f32 v[50:51], v[84:85], v[60:61], v[108:109] neg_lo:[0,0,1] neg_hi:[0,0,1]
	v_pk_fma_f32 v[52:53], v[84:85], v[60:61], v[108:109] op_sel_hi:[1,0,1]
	v_pk_mul_f32 v[54:55], v[86:87], v[110:111] op_sel:[1,0] op_sel_hi:[0,0]
	v_pk_add_f32 v[48:49], v[48:49], v[104:105]
	v_pk_mul_f32 v[112:113], v[88:89], v[64:65] op_sel:[1,1] op_sel_hi:[0,1]
	v_mov_b32_e32 v114, v67
	v_mov_b32_e32 v51, v53
	v_pk_fma_f32 v[52:53], v[86:87], v[62:63], v[54:55] neg_lo:[0,0,1] neg_hi:[0,0,1]
	v_pk_fma_f32 v[54:55], v[86:87], v[62:63], v[54:55] op_sel_hi:[1,0,1]
	v_pk_add_f32 v[48:49], v[48:49], v[80:81]
	v_pk_fma_f32 v[56:57], v[88:89], v[64:65], v[112:113] neg_lo:[0,0,1] neg_hi:[0,0,1]
	v_pk_fma_f32 v[60:61], v[88:89], v[64:65], v[112:113] op_sel_hi:[1,0,1]
	v_pk_mul_f32 v[64:65], v[90:91], v[114:115] op_sel:[1,0] op_sel_hi:[0,0]
	v_mov_b32_e32 v53, v55
	v_pk_add_f32 v[48:49], v[48:49], v[50:51]
	v_mov_b32_e32 v118, v71
	v_mov_b32_e32 v57, v61
	v_pk_fma_f32 v[58:59], v[90:91], v[66:67], v[64:65] neg_lo:[0,0,1] neg_hi:[0,0,1]
	v_pk_fma_f32 v[60:61], v[90:91], v[66:67], v[64:65] op_sel_hi:[1,0,1]
	v_pk_add_f32 v[48:49], v[48:49], v[52:53]
	v_pk_mul_f32 v[74:75], v[94:95], v[118:119] op_sel:[1,0] op_sel_hi:[0,0]
	v_mov_b32_e32 v59, v61
	v_pk_add_f32 v[48:49], v[48:49], v[56:57]
	s_waitcnt vmcnt(1) lgkmcnt(0)
	v_pk_mul_f32 v[120:121], v[100:101], v[96:97] op_sel:[1,1] op_sel_hi:[0,1]
	v_mov_b32_e32 v73, v69
	v_pk_fma_f32 v[62:63], v[94:95], v[70:71], v[74:75] neg_lo:[0,0,1] neg_hi:[0,0,1]
	v_pk_fma_f32 v[64:65], v[94:95], v[70:71], v[74:75] op_sel_hi:[1,0,1]
	v_pk_add_f32 v[48:49], v[48:49], v[58:59]
	v_pk_fma_f32 v[76:77], v[100:101], v[96:97], v[120:121] neg_lo:[0,0,1] neg_hi:[0,0,1]
	v_pk_fma_f32 v[78:79], v[100:101], v[96:97], v[120:121] op_sel_hi:[1,0,1]
	v_mov_b32_e32 v63, v65
	v_pk_add_f32 v[48:49], v[48:49], v[72:73]
	v_mov_b32_e32 v77, v79
	v_pk_add_f32 v[48:49], v[48:49], v[62:63]
	s_nop 0
	v_pk_add_f32 v[48:49], v[48:49], v[76:77]
	s_waitcnt vmcnt(0)
	v_pk_add_f32 v[48:49], v[98:99], v[48:49] neg_lo:[0,1] neg_hi:[0,1]
	scratch_store_dwordx2 off, v[48:49], off offset:64
	s_and_saveexec_b64 s[0:1], vcc
	s_cbranch_execz .LBB85_131
; %bb.130:
	scratch_load_dwordx2 v[48:49], off, off offset:56
	v_mov_b32_e32 v47, v46
	scratch_store_dwordx2 off, v[46:47], off offset:56
	s_waitcnt vmcnt(1)
	ds_write_b64 v1, v[48:49]
.LBB85_131:
	s_or_b64 exec, exec, s[0:1]
	s_waitcnt lgkmcnt(0)
	; wave barrier
	scratch_load_dwordx4 v[48:51], off, off offset:64
	scratch_load_dwordx4 v[52:55], off, off offset:80
	scratch_load_dwordx4 v[56:59], off, off offset:96
	scratch_load_dwordx4 v[60:63], off, off offset:112
	scratch_load_dwordx4 v[64:67], off, off offset:128
	scratch_load_dwordx4 v[68:71], off, off offset:144
	scratch_load_dwordx4 v[72:75], off, off offset:160
	ds_read_b128 v[76:79], v46 offset:240
	ds_read_b128 v[80:83], v46 offset:256
	;; [unrolled: 1-line block ×6, first 2 shown]
	scratch_load_dwordx2 v[104:105], off, off offset:56
	ds_read_b128 v[100:103], v46 offset:336
	v_cmp_lt_u32_e32 vcc, 6, v0
	s_waitcnt vmcnt(7) lgkmcnt(6)
	v_mul_f32_e32 v111, v76, v49
	v_mul_f32_e32 v115, v78, v51
	s_waitcnt vmcnt(6) lgkmcnt(5)
	v_mul_f32_e32 v119, v80, v53
	v_mul_f32_e32 v123, v82, v55
	;; [unrolled: 3-line block ×3, first 2 shown]
	v_mul_f32_e32 v46, v77, v49
	v_mul_f32_e32 v49, v79, v51
	;; [unrolled: 1-line block ×6, first 2 shown]
	s_waitcnt vmcnt(4) lgkmcnt(3)
	v_pk_mul_f32 v[108:109], v[88:89], v[60:61] op_sel:[1,1] op_sel_hi:[0,1]
	v_mov_b32_e32 v110, v63
	s_waitcnt vmcnt(3) lgkmcnt(2)
	v_pk_mul_f32 v[112:113], v[92:93], v[64:65] op_sel:[1,1] op_sel_hi:[0,1]
	v_mov_b32_e32 v114, v67
	s_waitcnt vmcnt(1) lgkmcnt(0)
	v_pk_mul_f32 v[120:121], v[100:101], v[72:73] op_sel:[1,1] op_sel_hi:[0,1]
	v_fmac_f32_e32 v111, v77, v48
	v_fmac_f32_e32 v115, v79, v50
	;; [unrolled: 1-line block ×6, first 2 shown]
	v_fma_f32 v81, v76, v48, -v46
	v_fma_f32 v83, v78, v50, -v49
	;; [unrolled: 1-line block ×6, first 2 shown]
	v_pk_fma_f32 v[48:49], v[88:89], v[60:61], v[108:109] neg_lo:[0,0,1] neg_hi:[0,0,1]
	v_pk_fma_f32 v[50:51], v[88:89], v[60:61], v[108:109] op_sel_hi:[1,0,1]
	v_pk_mul_f32 v[52:53], v[90:91], v[110:111] op_sel:[1,0] op_sel_hi:[0,0]
	v_pk_fma_f32 v[54:55], v[92:93], v[64:65], v[112:113] neg_lo:[0,0,1] neg_hi:[0,0,1]
	v_pk_fma_f32 v[56:57], v[92:93], v[64:65], v[112:113] op_sel_hi:[1,0,1]
	v_pk_mul_f32 v[58:59], v[94:95], v[114:115] op_sel:[1,0] op_sel_hi:[0,0]
	v_pk_fma_f32 v[76:77], v[100:101], v[72:73], v[120:121] neg_lo:[0,0,1] neg_hi:[0,0,1]
	v_pk_fma_f32 v[72:73], v[100:101], v[72:73], v[120:121] op_sel_hi:[1,0,1]
	v_add_f32_e32 v81, 0, v81
	v_add_f32_e32 v72, 0, v111
	v_mov_b32_e32 v49, v51
	v_pk_fma_f32 v[50:51], v[90:91], v[62:63], v[52:53] neg_lo:[0,0,1] neg_hi:[0,0,1]
	v_pk_fma_f32 v[52:53], v[90:91], v[62:63], v[52:53] op_sel_hi:[1,0,1]
	v_mov_b32_e32 v55, v57
	v_pk_fma_f32 v[56:57], v[94:95], v[66:67], v[58:59] neg_lo:[0,0,1] neg_hi:[0,0,1]
	v_pk_fma_f32 v[58:59], v[94:95], v[66:67], v[58:59] op_sel_hi:[1,0,1]
	v_add_f32_e32 v52, v72, v115
	v_add_f32_e32 v58, v81, v83
	;; [unrolled: 1-line block ×4, first 2 shown]
	v_mov_b32_e32 v51, v53
	v_add_f32_e32 v53, v52, v123
	v_add_f32_e32 v52, v58, v82
	v_pk_add_f32 v[46:47], v[52:53], v[46:47]
	v_pk_mul_f32 v[116:117], v[96:97], v[68:69] op_sel:[1,1] op_sel_hi:[0,1]
	v_pk_add_f32 v[46:47], v[46:47], v[106:107]
	v_mov_b32_e32 v118, v71
	v_pk_add_f32 v[46:47], v[46:47], v[48:49]
	v_pk_fma_f32 v[60:61], v[96:97], v[68:69], v[116:117] neg_lo:[0,0,1] neg_hi:[0,0,1]
	v_pk_add_f32 v[46:47], v[46:47], v[50:51]
	v_pk_fma_f32 v[64:65], v[96:97], v[68:69], v[116:117] op_sel_hi:[1,0,1]
	v_pk_mul_f32 v[68:69], v[98:99], v[118:119] op_sel:[1,0] op_sel_hi:[0,0]
	v_mov_b32_e32 v57, v59
	v_pk_add_f32 v[46:47], v[46:47], v[54:55]
	v_mov_b32_e32 v122, v75
	v_mov_b32_e32 v61, v65
	v_pk_fma_f32 v[62:63], v[98:99], v[70:71], v[68:69] neg_lo:[0,0,1] neg_hi:[0,0,1]
	v_pk_fma_f32 v[64:65], v[98:99], v[70:71], v[68:69] op_sel_hi:[1,0,1]
	v_pk_add_f32 v[46:47], v[46:47], v[56:57]
	v_pk_mul_f32 v[78:79], v[102:103], v[122:123] op_sel:[1,0] op_sel_hi:[0,0]
	v_mov_b32_e32 v63, v65
	v_pk_add_f32 v[46:47], v[46:47], v[60:61]
	v_mov_b32_e32 v77, v73
	v_pk_fma_f32 v[66:67], v[102:103], v[74:75], v[78:79] neg_lo:[0,0,1] neg_hi:[0,0,1]
	v_pk_fma_f32 v[68:69], v[102:103], v[74:75], v[78:79] op_sel_hi:[1,0,1]
	v_pk_add_f32 v[46:47], v[46:47], v[62:63]
	v_mov_b32_e32 v67, v69
	v_pk_add_f32 v[46:47], v[46:47], v[76:77]
	s_nop 0
	v_pk_add_f32 v[46:47], v[46:47], v[66:67]
	s_waitcnt vmcnt(0)
	v_pk_add_f32 v[46:47], v[104:105], v[46:47] neg_lo:[0,1] neg_hi:[0,1]
	scratch_store_dwordx2 off, v[46:47], off offset:56
	s_and_saveexec_b64 s[0:1], vcc
	s_cbranch_execz .LBB85_133
; %bb.132:
	scratch_load_dwordx2 v[46:47], off, off offset:48
	v_mov_b32_e32 v48, 0
	v_mov_b32_e32 v49, v48
	scratch_store_dwordx2 off, v[48:49], off offset:48
	s_waitcnt vmcnt(1)
	ds_write_b64 v1, v[46:47]
.LBB85_133:
	s_or_b64 exec, exec, s[0:1]
	s_waitcnt lgkmcnt(0)
	; wave barrier
	scratch_load_dwordx4 v[48:51], off, off offset:56
	scratch_load_dwordx4 v[52:55], off, off offset:72
	;; [unrolled: 1-line block ×7, first 2 shown]
	scratch_load_dwordx2 v[104:105], off, off offset:168
	scratch_load_dwordx2 v[106:107], off, off offset:48
	v_mov_b32_e32 v46, 0
	ds_read2_b64 v[76:79], v46 offset0:29 offset1:30
	ds_read2_b64 v[80:83], v46 offset0:31 offset1:32
	ds_read2_b64 v[84:87], v46 offset0:33 offset1:34
	ds_read2_b64 v[88:91], v46 offset0:35 offset1:36
	ds_read2_b64 v[92:95], v46 offset0:37 offset1:38
	ds_read2_b64 v[96:99], v46 offset0:39 offset1:40
	ds_read2_b64 v[100:103], v46 offset0:41 offset1:42
	ds_read_b64 v[108:109], v46 offset:344
	v_cmp_lt_u32_e32 vcc, 5, v0
	s_waitcnt vmcnt(8) lgkmcnt(7)
	v_mul_f32_e32 v115, v78, v51
	v_mul_f32_e32 v47, v76, v49
	s_waitcnt vmcnt(7) lgkmcnt(6)
	v_mul_f32_e32 v119, v80, v53
	s_waitcnt vmcnt(6) lgkmcnt(5)
	v_mul_f32_e32 v127, v84, v57
	v_mul_f32_e32 v111, v86, v59
	;; [unrolled: 1-line block ×5, first 2 shown]
	s_waitcnt vmcnt(5)
	v_mov_b32_e32 v114, v63
	s_waitcnt vmcnt(3) lgkmcnt(2)
	v_pk_mul_f32 v[120:121], v[96:97], v[68:69] op_sel:[1,1] op_sel_hi:[0,1]
	s_waitcnt vmcnt(2) lgkmcnt(1)
	v_pk_mul_f32 v[124:125], v[100:101], v[72:73] op_sel:[1,1] op_sel_hi:[0,1]
	v_fmac_f32_e32 v115, v79, v50
	v_mul_f32_e32 v51, v79, v51
	v_mul_f32_e32 v53, v81, v53
	v_fmac_f32_e32 v47, v77, v48
	v_fmac_f32_e32 v119, v81, v52
	;; [unrolled: 1-line block ×4, first 2 shown]
	v_fma_f32 v76, v76, v48, -v49
	v_fma_f32 v81, v84, v56, -v57
	;; [unrolled: 1-line block ×3, first 2 shown]
	v_pk_mul_f32 v[48:49], v[90:91], v[114:115] op_sel:[1,0] op_sel_hi:[0,0]
	v_pk_fma_f32 v[56:57], v[96:97], v[68:69], v[120:121] neg_lo:[0,0,1] neg_hi:[0,0,1]
	v_pk_fma_f32 v[58:59], v[96:97], v[68:69], v[120:121] op_sel_hi:[1,0,1]
	v_pk_fma_f32 v[68:69], v[100:101], v[72:73], v[124:125] op_sel_hi:[1,0,1]
	v_fma_f32 v78, v78, v50, -v51
	v_add_f32_e32 v47, 0, v47
	v_add_f32_e32 v68, 0, v76
	v_pk_fma_f32 v[76:77], v[90:91], v[62:63], v[48:49] neg_lo:[0,0,1] neg_hi:[0,0,1]
	v_pk_fma_f32 v[48:49], v[90:91], v[62:63], v[48:49] op_sel_hi:[1,0,1]
	v_mul_f32_e32 v123, v82, v55
	v_mul_f32_e32 v55, v83, v55
	v_fma_f32 v79, v80, v52, -v53
	v_add_f32_e32 v47, v47, v115
	v_add_f32_e32 v48, v68, v78
	v_fmac_f32_e32 v123, v83, v54
	v_fma_f32 v80, v82, v54, -v55
	v_add_f32_e32 v47, v47, v119
	v_add_f32_e32 v48, v48, v79
	v_add_f32_e32 v47, v47, v123
	v_add_f32_e32 v48, v48, v80
	v_mul_f32_e32 v113, v88, v61
	v_mul_f32_e32 v61, v89, v61
	v_mov_b32_e32 v77, v49
	v_add_f32_e32 v49, v47, v127
	v_add_f32_e32 v48, v48, v81
	v_pk_mul_f32 v[116:117], v[92:93], v[64:65] op_sel:[1,1] op_sel_hi:[0,1]
	v_mov_b32_e32 v118, v67
	v_fmac_f32_e32 v113, v89, v60
	v_fma_f32 v112, v88, v60, -v61
	v_pk_add_f32 v[48:49], v[48:49], v[110:111]
	v_pk_fma_f32 v[50:51], v[92:93], v[64:65], v[116:117] neg_lo:[0,0,1] neg_hi:[0,0,1]
	v_pk_fma_f32 v[52:53], v[92:93], v[64:65], v[116:117] op_sel_hi:[1,0,1]
	v_pk_mul_f32 v[54:55], v[94:95], v[118:119] op_sel:[1,0] op_sel_hi:[0,0]
	v_pk_add_f32 v[48:49], v[48:49], v[112:113]
	v_mov_b32_e32 v122, v71
	v_mov_b32_e32 v51, v53
	v_pk_fma_f32 v[52:53], v[94:95], v[66:67], v[54:55] neg_lo:[0,0,1] neg_hi:[0,0,1]
	v_pk_fma_f32 v[54:55], v[94:95], v[66:67], v[54:55] op_sel_hi:[1,0,1]
	v_pk_add_f32 v[48:49], v[48:49], v[76:77]
	v_pk_mul_f32 v[60:61], v[98:99], v[122:123] op_sel:[1,0] op_sel_hi:[0,0]
	v_mov_b32_e32 v53, v55
	v_pk_add_f32 v[48:49], v[48:49], v[50:51]
	v_mov_b32_e32 v126, v75
	v_mov_b32_e32 v57, v59
	v_pk_fma_f32 v[58:59], v[98:99], v[70:71], v[60:61] neg_lo:[0,0,1] neg_hi:[0,0,1]
	v_pk_fma_f32 v[60:61], v[98:99], v[70:71], v[60:61] op_sel_hi:[1,0,1]
	v_pk_add_f32 v[48:49], v[48:49], v[52:53]
	v_pk_fma_f32 v[64:65], v[100:101], v[72:73], v[124:125] neg_lo:[0,0,1] neg_hi:[0,0,1]
	v_pk_mul_f32 v[72:73], v[102:103], v[126:127] op_sel:[1,0] op_sel_hi:[0,0]
	v_mov_b32_e32 v59, v61
	v_pk_add_f32 v[48:49], v[48:49], v[56:57]
	v_mov_b32_e32 v65, v69
	v_pk_add_f32 v[48:49], v[48:49], v[58:59]
	v_pk_fma_f32 v[50:51], v[102:103], v[74:75], v[72:73] neg_lo:[0,0,1] neg_hi:[0,0,1]
	v_pk_fma_f32 v[52:53], v[102:103], v[74:75], v[72:73] op_sel_hi:[1,0,1]
	v_pk_add_f32 v[48:49], v[48:49], v[64:65]
	v_mov_b32_e32 v51, v53
	v_pk_add_f32 v[48:49], v[48:49], v[50:51]
	s_waitcnt vmcnt(1) lgkmcnt(0)
	v_pk_mul_f32 v[50:51], v[108:109], v[104:105] op_sel:[1,1] op_sel_hi:[0,1]
	v_pk_fma_f32 v[52:53], v[108:109], v[104:105], v[50:51] neg_lo:[0,0,1] neg_hi:[0,0,1]
	v_pk_fma_f32 v[50:51], v[108:109], v[104:105], v[50:51] op_sel_hi:[1,0,1]
	s_nop 0
	v_mov_b32_e32 v53, v51
	v_pk_add_f32 v[48:49], v[48:49], v[52:53]
	s_waitcnt vmcnt(0)
	v_pk_add_f32 v[48:49], v[106:107], v[48:49] neg_lo:[0,1] neg_hi:[0,1]
	scratch_store_dwordx2 off, v[48:49], off offset:48
	s_and_saveexec_b64 s[0:1], vcc
	s_cbranch_execz .LBB85_135
; %bb.134:
	scratch_load_dwordx2 v[48:49], off, off offset:40
	v_mov_b32_e32 v47, v46
	scratch_store_dwordx2 off, v[46:47], off offset:40
	s_waitcnt vmcnt(1)
	ds_write_b64 v1, v[48:49]
.LBB85_135:
	s_or_b64 exec, exec, s[0:1]
	s_waitcnt lgkmcnt(0)
	; wave barrier
	ds_read_b128 v[48:51], v46 offset:224
	ds_read_b128 v[52:55], v46 offset:240
	;; [unrolled: 1-line block ×4, first 2 shown]
	scratch_load_dwordx4 v[64:67], off, off offset:48
	v_cmp_lt_u32_e32 vcc, 4, v0
	s_waitcnt vmcnt(0) lgkmcnt(3)
	v_mul_f32_e32 v47, v48, v65
	v_fmac_f32_e32 v47, v49, v64
	v_mul_f32_e32 v68, v50, v67
	v_add_f32_e32 v47, 0, v47
	v_fmac_f32_e32 v68, v51, v66
	v_add_f32_e32 v47, v47, v68
	scratch_load_dwordx4 v[68:71], off, off offset:64
	s_waitcnt vmcnt(0) lgkmcnt(2)
	v_mul_f32_e32 v72, v52, v69
	v_fmac_f32_e32 v72, v53, v68
	v_add_f32_e32 v47, v47, v72
	v_mul_f32_e32 v72, v54, v71
	v_fmac_f32_e32 v72, v55, v70
	v_add_f32_e32 v47, v47, v72
	scratch_load_dwordx4 v[72:75], off, off offset:80
	s_waitcnt vmcnt(0) lgkmcnt(1)
	v_mul_f32_e32 v76, v56, v73
	v_fmac_f32_e32 v76, v57, v72
	v_add_f32_e32 v47, v47, v76
	v_mul_f32_e32 v76, v58, v75
	v_fmac_f32_e32 v76, v59, v74
	v_add_f32_e32 v97, v47, v76
	scratch_load_dwordx4 v[76:79], off, off offset:96
	scratch_load_dwordx4 v[80:83], off, off offset:112
	;; [unrolled: 1-line block ×5, first 2 shown]
	v_mul_f32_e32 v47, v49, v65
	v_fma_f32 v47, v48, v64, -v47
	v_mul_f32_e32 v48, v51, v67
	v_add_f32_e32 v47, 0, v47
	v_fma_f32 v48, v50, v66, -v48
	v_add_f32_e32 v47, v47, v48
	v_mul_f32_e32 v48, v53, v69
	v_fma_f32 v48, v52, v68, -v48
	v_add_f32_e32 v47, v47, v48
	v_mul_f32_e32 v48, v55, v71
	;; [unrolled: 3-line block ×4, first 2 shown]
	v_fma_f32 v48, v58, v74, -v48
	v_add_f32_e32 v96, v47, v48
	s_waitcnt vmcnt(4) lgkmcnt(0)
	v_mul_f32_e32 v47, v61, v77
	v_mul_f32_e32 v99, v60, v77
	;; [unrolled: 1-line block ×3, first 2 shown]
	v_fma_f32 v98, v60, v76, -v47
	v_mul_f32_e32 v47, v63, v79
	v_fmac_f32_e32 v99, v61, v76
	v_fmac_f32_e32 v101, v63, v78
	v_fma_f32 v100, v62, v78, -v47
	ds_read_b128 v[48:51], v46 offset:288
	ds_read_b128 v[52:55], v46 offset:304
	;; [unrolled: 1-line block ×4, first 2 shown]
	v_pk_add_f32 v[46:47], v[96:97], v[98:99]
	s_waitcnt vmcnt(3) lgkmcnt(3)
	v_pk_mul_f32 v[64:65], v[48:49], v[80:81] op_sel:[1,1] op_sel_hi:[0,1]
	v_pk_fma_f32 v[66:67], v[48:49], v[80:81], v[64:65] neg_lo:[0,0,1] neg_hi:[0,0,1]
	v_pk_fma_f32 v[48:49], v[48:49], v[80:81], v[64:65] op_sel_hi:[1,0,1]
	v_pk_add_f32 v[46:47], v[46:47], v[100:101]
	v_mov_b32_e32 v48, v83
	v_mov_b32_e32 v67, v49
	v_pk_mul_f32 v[48:49], v[50:51], v[48:49] op_sel:[1,0] op_sel_hi:[0,0]
	v_pk_fma_f32 v[64:65], v[50:51], v[82:83], v[48:49] neg_lo:[0,0,1] neg_hi:[0,0,1]
	v_pk_fma_f32 v[48:49], v[50:51], v[82:83], v[48:49] op_sel_hi:[1,0,1]
	v_pk_add_f32 v[46:47], v[46:47], v[66:67]
	v_mov_b32_e32 v65, v49
	s_waitcnt vmcnt(2) lgkmcnt(2)
	v_pk_mul_f32 v[48:49], v[52:53], v[84:85] op_sel:[1,1] op_sel_hi:[0,1]
	v_pk_fma_f32 v[50:51], v[52:53], v[84:85], v[48:49] neg_lo:[0,0,1] neg_hi:[0,0,1]
	v_pk_fma_f32 v[48:49], v[52:53], v[84:85], v[48:49] op_sel_hi:[1,0,1]
	v_pk_add_f32 v[46:47], v[46:47], v[64:65]
	v_mov_b32_e32 v48, v87
	v_mov_b32_e32 v51, v49
	v_pk_mul_f32 v[48:49], v[54:55], v[48:49] op_sel:[1,0] op_sel_hi:[0,0]
	v_pk_add_f32 v[46:47], v[46:47], v[50:51]
	v_pk_fma_f32 v[50:51], v[54:55], v[86:87], v[48:49] neg_lo:[0,0,1] neg_hi:[0,0,1]
	v_pk_fma_f32 v[48:49], v[54:55], v[86:87], v[48:49] op_sel_hi:[1,0,1]
	s_nop 0
	v_mov_b32_e32 v51, v49
	s_waitcnt vmcnt(1) lgkmcnt(1)
	v_pk_mul_f32 v[48:49], v[56:57], v[88:89] op_sel:[1,1] op_sel_hi:[0,1]
	v_pk_add_f32 v[46:47], v[46:47], v[50:51]
	v_pk_fma_f32 v[50:51], v[56:57], v[88:89], v[48:49] neg_lo:[0,0,1] neg_hi:[0,0,1]
	v_pk_fma_f32 v[48:49], v[56:57], v[88:89], v[48:49] op_sel_hi:[1,0,1]
	s_nop 0
	v_mov_b32_e32 v48, v91
	v_mov_b32_e32 v51, v49
	v_pk_mul_f32 v[48:49], v[58:59], v[48:49] op_sel:[1,0] op_sel_hi:[0,0]
	v_pk_add_f32 v[46:47], v[46:47], v[50:51]
	v_pk_fma_f32 v[50:51], v[58:59], v[90:91], v[48:49] neg_lo:[0,0,1] neg_hi:[0,0,1]
	v_pk_fma_f32 v[48:49], v[58:59], v[90:91], v[48:49] op_sel_hi:[1,0,1]
	s_nop 0
	v_mov_b32_e32 v51, v49
	s_waitcnt vmcnt(0) lgkmcnt(0)
	v_pk_mul_f32 v[48:49], v[60:61], v[92:93] op_sel:[1,1] op_sel_hi:[0,1]
	v_pk_add_f32 v[46:47], v[46:47], v[50:51]
	v_pk_fma_f32 v[50:51], v[60:61], v[92:93], v[48:49] neg_lo:[0,0,1] neg_hi:[0,0,1]
	v_pk_fma_f32 v[48:49], v[60:61], v[92:93], v[48:49] op_sel_hi:[1,0,1]
	s_nop 0
	v_mov_b32_e32 v48, v95
	v_mov_b32_e32 v51, v49
	v_pk_mul_f32 v[48:49], v[62:63], v[48:49] op_sel:[1,0] op_sel_hi:[0,0]
	v_pk_add_f32 v[46:47], v[46:47], v[50:51]
	v_pk_fma_f32 v[50:51], v[62:63], v[94:95], v[48:49] neg_lo:[0,0,1] neg_hi:[0,0,1]
	v_pk_fma_f32 v[48:49], v[62:63], v[94:95], v[48:49] op_sel_hi:[1,0,1]
	s_nop 0
	v_mov_b32_e32 v51, v49
	scratch_load_dwordx2 v[48:49], off, off offset:40
	v_pk_add_f32 v[46:47], v[46:47], v[50:51]
	s_waitcnt vmcnt(0)
	v_pk_add_f32 v[46:47], v[48:49], v[46:47] neg_lo:[0,1] neg_hi:[0,1]
	scratch_store_dwordx2 off, v[46:47], off offset:40
	s_and_saveexec_b64 s[0:1], vcc
	s_cbranch_execz .LBB85_137
; %bb.136:
	scratch_load_dwordx2 v[46:47], off, off offset:32
	v_mov_b32_e32 v48, 0
	v_mov_b32_e32 v49, v48
	scratch_store_dwordx2 off, v[48:49], off offset:32
	s_waitcnt vmcnt(1)
	ds_write_b64 v1, v[46:47]
.LBB85_137:
	s_or_b64 exec, exec, s[0:1]
	s_waitcnt lgkmcnt(0)
	; wave barrier
	scratch_load_dwordx4 v[52:55], off, off offset:40
	scratch_load_dwordx4 v[60:63], off, off offset:56
	;; [unrolled: 1-line block ×4, first 2 shown]
	v_mov_b32_e32 v46, 0
	ds_read2_b64 v[48:51], v46 offset0:27 offset1:28
	scratch_load_dwordx4 v[84:87], off, off offset:104
	v_cmp_lt_u32_e32 vcc, 3, v0
	s_waitcnt vmcnt(4) lgkmcnt(0)
	v_mul_f32_e32 v47, v48, v53
	v_fmac_f32_e32 v47, v49, v52
	v_mul_f32_e32 v56, v50, v55
	v_add_f32_e32 v47, 0, v47
	v_fmac_f32_e32 v56, v51, v54
	v_add_f32_e32 v47, v47, v56
	ds_read2_b64 v[56:59], v46 offset0:29 offset1:30
	s_waitcnt vmcnt(3) lgkmcnt(0)
	v_mul_f32_e32 v64, v56, v61
	v_fmac_f32_e32 v64, v57, v60
	v_add_f32_e32 v47, v47, v64
	v_mul_f32_e32 v64, v58, v63
	v_fmac_f32_e32 v64, v59, v62
	v_add_f32_e32 v47, v47, v64
	ds_read2_b64 v[64:67], v46 offset0:31 offset1:32
	s_waitcnt vmcnt(2) lgkmcnt(0)
	v_mul_f32_e32 v72, v64, v69
	v_fmac_f32_e32 v72, v65, v68
	v_add_f32_e32 v47, v47, v72
	v_mul_f32_e32 v72, v66, v71
	v_fmac_f32_e32 v72, v67, v70
	v_add_f32_e32 v47, v47, v72
	ds_read2_b64 v[72:75], v46 offset0:33 offset1:34
	s_waitcnt vmcnt(1) lgkmcnt(0)
	v_mul_f32_e32 v80, v72, v77
	v_fmac_f32_e32 v80, v73, v76
	v_add_f32_e32 v101, v47, v80
	ds_read2_b64 v[80:83], v46 offset0:35 offset1:36
	scratch_load_dwordx4 v[88:91], off, off offset:120
	scratch_load_dwordx4 v[92:95], off, off offset:136
	;; [unrolled: 1-line block ×3, first 2 shown]
	scratch_load_dwordx2 v[106:107], off, off offset:168
	v_mul_f32_e32 v47, v49, v53
	v_fma_f32 v47, v48, v52, -v47
	v_mul_f32_e32 v48, v51, v55
	v_add_f32_e32 v47, 0, v47
	v_fma_f32 v48, v50, v54, -v48
	v_add_f32_e32 v47, v47, v48
	v_mul_f32_e32 v48, v57, v61
	v_fma_f32 v48, v56, v60, -v48
	v_add_f32_e32 v47, v47, v48
	v_mul_f32_e32 v48, v59, v63
	;; [unrolled: 3-line block ×5, first 2 shown]
	v_fma_f32 v48, v72, v76, -v48
	v_mul_f32_e32 v103, v74, v79
	v_add_f32_e32 v100, v47, v48
	v_mul_f32_e32 v47, v75, v79
	s_waitcnt vmcnt(4)
	v_mov_b32_e32 v64, v87
	v_fmac_f32_e32 v103, v75, v78
	s_waitcnt lgkmcnt(0)
	v_mul_f32_e32 v105, v80, v85
	v_fma_f32 v102, v74, v78, -v47
	v_mul_f32_e32 v47, v81, v85
	ds_read2_b64 v[48:51], v46 offset0:37 offset1:38
	ds_read2_b64 v[52:55], v46 offset0:39 offset1:40
	;; [unrolled: 1-line block ×3, first 2 shown]
	ds_read_b64 v[60:61], v46 offset:344
	v_pk_mul_f32 v[64:65], v[82:83], v[64:65] op_sel:[1,0] op_sel_hi:[0,0]
	v_fmac_f32_e32 v105, v81, v84
	v_fma_f32 v104, v80, v84, -v47
	v_pk_add_f32 v[62:63], v[100:101], v[102:103]
	v_pk_fma_f32 v[66:67], v[82:83], v[86:87], v[64:65] neg_lo:[0,0,1] neg_hi:[0,0,1]
	v_pk_fma_f32 v[64:65], v[82:83], v[86:87], v[64:65] op_sel_hi:[1,0,1]
	v_pk_add_f32 v[62:63], v[62:63], v[104:105]
	v_mov_b32_e32 v67, v65
	v_pk_add_f32 v[62:63], v[62:63], v[66:67]
	s_waitcnt vmcnt(3) lgkmcnt(3)
	v_pk_mul_f32 v[64:65], v[48:49], v[88:89] op_sel:[1,1] op_sel_hi:[0,1]
	v_pk_fma_f32 v[66:67], v[48:49], v[88:89], v[64:65] neg_lo:[0,0,1] neg_hi:[0,0,1]
	v_pk_fma_f32 v[48:49], v[48:49], v[88:89], v[64:65] op_sel_hi:[1,0,1]
	s_nop 0
	v_mov_b32_e32 v67, v49
	v_pk_add_f32 v[48:49], v[62:63], v[66:67]
	v_mov_b32_e32 v62, v91
	v_pk_mul_f32 v[62:63], v[50:51], v[62:63] op_sel:[1,0] op_sel_hi:[0,0]
	v_pk_fma_f32 v[64:65], v[50:51], v[90:91], v[62:63] neg_lo:[0,0,1] neg_hi:[0,0,1]
	v_pk_fma_f32 v[50:51], v[50:51], v[90:91], v[62:63] op_sel_hi:[1,0,1]
	s_nop 0
	v_mov_b32_e32 v65, v51
	s_waitcnt vmcnt(2) lgkmcnt(2)
	v_pk_mul_f32 v[50:51], v[52:53], v[92:93] op_sel:[1,1] op_sel_hi:[0,1]
	v_pk_fma_f32 v[62:63], v[52:53], v[92:93], v[50:51] neg_lo:[0,0,1] neg_hi:[0,0,1]
	v_pk_fma_f32 v[50:51], v[52:53], v[92:93], v[50:51] op_sel_hi:[1,0,1]
	v_pk_add_f32 v[48:49], v[48:49], v[64:65]
	v_mov_b32_e32 v50, v95
	v_mov_b32_e32 v63, v51
	v_pk_mul_f32 v[50:51], v[54:55], v[50:51] op_sel:[1,0] op_sel_hi:[0,0]
	v_pk_fma_f32 v[52:53], v[54:55], v[94:95], v[50:51] neg_lo:[0,0,1] neg_hi:[0,0,1]
	v_pk_fma_f32 v[50:51], v[54:55], v[94:95], v[50:51] op_sel_hi:[1,0,1]
	v_pk_add_f32 v[48:49], v[48:49], v[62:63]
	v_mov_b32_e32 v53, v51
	s_waitcnt vmcnt(1) lgkmcnt(1)
	v_pk_mul_f32 v[50:51], v[56:57], v[96:97] op_sel:[1,1] op_sel_hi:[0,1]
	v_pk_add_f32 v[48:49], v[48:49], v[52:53]
	v_pk_fma_f32 v[52:53], v[56:57], v[96:97], v[50:51] neg_lo:[0,0,1] neg_hi:[0,0,1]
	v_pk_fma_f32 v[50:51], v[56:57], v[96:97], v[50:51] op_sel_hi:[1,0,1]
	s_nop 0
	v_mov_b32_e32 v50, v99
	v_mov_b32_e32 v53, v51
	v_pk_mul_f32 v[50:51], v[58:59], v[50:51] op_sel:[1,0] op_sel_hi:[0,0]
	v_pk_add_f32 v[48:49], v[48:49], v[52:53]
	v_pk_fma_f32 v[52:53], v[58:59], v[98:99], v[50:51] neg_lo:[0,0,1] neg_hi:[0,0,1]
	v_pk_fma_f32 v[50:51], v[58:59], v[98:99], v[50:51] op_sel_hi:[1,0,1]
	s_nop 0
	v_mov_b32_e32 v53, v51
	s_waitcnt vmcnt(0) lgkmcnt(0)
	v_pk_mul_f32 v[50:51], v[60:61], v[106:107] op_sel:[1,1] op_sel_hi:[0,1]
	v_pk_add_f32 v[48:49], v[48:49], v[52:53]
	v_pk_fma_f32 v[52:53], v[60:61], v[106:107], v[50:51] neg_lo:[0,0,1] neg_hi:[0,0,1]
	v_pk_fma_f32 v[50:51], v[60:61], v[106:107], v[50:51] op_sel_hi:[1,0,1]
	s_nop 0
	v_mov_b32_e32 v53, v51
	scratch_load_dwordx2 v[50:51], off, off offset:32
	v_pk_add_f32 v[48:49], v[48:49], v[52:53]
	s_waitcnt vmcnt(0)
	v_pk_add_f32 v[48:49], v[50:51], v[48:49] neg_lo:[0,1] neg_hi:[0,1]
	scratch_store_dwordx2 off, v[48:49], off offset:32
	s_and_saveexec_b64 s[0:1], vcc
	s_cbranch_execz .LBB85_139
; %bb.138:
	scratch_load_dwordx2 v[48:49], off, off offset:24
	v_mov_b32_e32 v47, v46
	scratch_store_dwordx2 off, v[46:47], off offset:24
	s_waitcnt vmcnt(1)
	ds_write_b64 v1, v[48:49]
.LBB85_139:
	s_or_b64 exec, exec, s[0:1]
	s_waitcnt lgkmcnt(0)
	; wave barrier
	ds_read_b128 v[48:51], v46 offset:208
	ds_read_b128 v[52:55], v46 offset:224
	;; [unrolled: 1-line block ×4, first 2 shown]
	scratch_load_dwordx4 v[64:67], off, off offset:32
	scratch_load_dwordx4 v[84:87], off, off offset:96
	v_cmp_lt_u32_e32 vcc, 2, v0
	s_waitcnt vmcnt(1) lgkmcnt(3)
	v_mul_f32_e32 v47, v48, v65
	v_fmac_f32_e32 v47, v49, v64
	v_mul_f32_e32 v68, v50, v67
	v_add_f32_e32 v47, 0, v47
	v_fmac_f32_e32 v68, v51, v66
	v_add_f32_e32 v47, v47, v68
	scratch_load_dwordx4 v[68:71], off, off offset:48
	s_waitcnt vmcnt(0) lgkmcnt(2)
	v_mul_f32_e32 v72, v52, v69
	v_fmac_f32_e32 v72, v53, v68
	v_add_f32_e32 v47, v47, v72
	v_mul_f32_e32 v72, v54, v71
	v_fmac_f32_e32 v72, v55, v70
	v_add_f32_e32 v47, v47, v72
	scratch_load_dwordx4 v[72:75], off, off offset:64
	s_waitcnt vmcnt(0) lgkmcnt(1)
	v_mul_f32_e32 v76, v56, v73
	v_fmac_f32_e32 v76, v57, v72
	v_add_f32_e32 v47, v47, v76
	v_mul_f32_e32 v76, v58, v75
	;; [unrolled: 8-line block ×3, first 2 shown]
	v_fmac_f32_e32 v80, v63, v78
	v_add_f32_e32 v105, v47, v80
	ds_read_b128 v[80:83], v46 offset:272
	scratch_load_dwordx4 v[88:91], off, off offset:112
	scratch_load_dwordx4 v[92:95], off, off offset:128
	;; [unrolled: 1-line block ×4, first 2 shown]
	v_mul_f32_e32 v47, v49, v65
	v_fma_f32 v47, v48, v64, -v47
	v_mul_f32_e32 v48, v51, v67
	v_add_f32_e32 v47, 0, v47
	v_fma_f32 v48, v50, v66, -v48
	v_add_f32_e32 v47, v47, v48
	v_mul_f32_e32 v48, v53, v69
	v_fma_f32 v48, v52, v68, -v48
	v_add_f32_e32 v47, v47, v48
	v_mul_f32_e32 v48, v55, v71
	;; [unrolled: 3-line block ×6, first 2 shown]
	v_fma_f32 v48, v62, v78, -v48
	v_add_f32_e32 v104, v47, v48
	ds_read_b128 v[48:51], v46 offset:288
	ds_read_b128 v[52:55], v46 offset:304
	;; [unrolled: 1-line block ×4, first 2 shown]
	s_waitcnt lgkmcnt(4)
	v_mul_f32_e32 v107, v80, v85
	v_mul_f32_e32 v47, v81, v85
	v_fmac_f32_e32 v107, v81, v84
	v_mul_f32_e32 v109, v82, v87
	v_fma_f32 v106, v80, v84, -v47
	v_mul_f32_e32 v47, v83, v87
	v_fmac_f32_e32 v109, v83, v86
	v_fma_f32 v108, v82, v86, -v47
	v_pk_add_f32 v[46:47], v[104:105], v[106:107]
	s_waitcnt vmcnt(3) lgkmcnt(3)
	v_pk_mul_f32 v[64:65], v[48:49], v[88:89] op_sel:[1,1] op_sel_hi:[0,1]
	v_pk_fma_f32 v[66:67], v[48:49], v[88:89], v[64:65] neg_lo:[0,0,1] neg_hi:[0,0,1]
	v_pk_fma_f32 v[48:49], v[48:49], v[88:89], v[64:65] op_sel_hi:[1,0,1]
	v_pk_add_f32 v[46:47], v[46:47], v[108:109]
	v_mov_b32_e32 v48, v91
	v_mov_b32_e32 v67, v49
	v_pk_mul_f32 v[48:49], v[50:51], v[48:49] op_sel:[1,0] op_sel_hi:[0,0]
	v_pk_fma_f32 v[64:65], v[50:51], v[90:91], v[48:49] neg_lo:[0,0,1] neg_hi:[0,0,1]
	v_pk_fma_f32 v[48:49], v[50:51], v[90:91], v[48:49] op_sel_hi:[1,0,1]
	v_pk_add_f32 v[46:47], v[46:47], v[66:67]
	v_mov_b32_e32 v65, v49
	s_waitcnt vmcnt(2) lgkmcnt(2)
	v_pk_mul_f32 v[48:49], v[52:53], v[92:93] op_sel:[1,1] op_sel_hi:[0,1]
	v_pk_fma_f32 v[50:51], v[52:53], v[92:93], v[48:49] neg_lo:[0,0,1] neg_hi:[0,0,1]
	v_pk_fma_f32 v[48:49], v[52:53], v[92:93], v[48:49] op_sel_hi:[1,0,1]
	v_pk_add_f32 v[46:47], v[46:47], v[64:65]
	v_mov_b32_e32 v48, v95
	v_mov_b32_e32 v51, v49
	v_pk_mul_f32 v[48:49], v[54:55], v[48:49] op_sel:[1,0] op_sel_hi:[0,0]
	v_pk_add_f32 v[46:47], v[46:47], v[50:51]
	v_pk_fma_f32 v[50:51], v[54:55], v[94:95], v[48:49] neg_lo:[0,0,1] neg_hi:[0,0,1]
	v_pk_fma_f32 v[48:49], v[54:55], v[94:95], v[48:49] op_sel_hi:[1,0,1]
	s_nop 0
	v_mov_b32_e32 v51, v49
	s_waitcnt vmcnt(1) lgkmcnt(1)
	v_pk_mul_f32 v[48:49], v[56:57], v[96:97] op_sel:[1,1] op_sel_hi:[0,1]
	v_pk_add_f32 v[46:47], v[46:47], v[50:51]
	v_pk_fma_f32 v[50:51], v[56:57], v[96:97], v[48:49] neg_lo:[0,0,1] neg_hi:[0,0,1]
	v_pk_fma_f32 v[48:49], v[56:57], v[96:97], v[48:49] op_sel_hi:[1,0,1]
	s_nop 0
	v_mov_b32_e32 v48, v99
	v_mov_b32_e32 v51, v49
	v_pk_mul_f32 v[48:49], v[58:59], v[48:49] op_sel:[1,0] op_sel_hi:[0,0]
	v_pk_add_f32 v[46:47], v[46:47], v[50:51]
	v_pk_fma_f32 v[50:51], v[58:59], v[98:99], v[48:49] neg_lo:[0,0,1] neg_hi:[0,0,1]
	v_pk_fma_f32 v[48:49], v[58:59], v[98:99], v[48:49] op_sel_hi:[1,0,1]
	s_nop 0
	v_mov_b32_e32 v51, v49
	s_waitcnt vmcnt(0) lgkmcnt(0)
	v_pk_mul_f32 v[48:49], v[60:61], v[100:101] op_sel:[1,1] op_sel_hi:[0,1]
	v_pk_add_f32 v[46:47], v[46:47], v[50:51]
	v_pk_fma_f32 v[50:51], v[60:61], v[100:101], v[48:49] neg_lo:[0,0,1] neg_hi:[0,0,1]
	v_pk_fma_f32 v[48:49], v[60:61], v[100:101], v[48:49] op_sel_hi:[1,0,1]
	s_nop 0
	v_mov_b32_e32 v48, v103
	v_mov_b32_e32 v51, v49
	v_pk_mul_f32 v[48:49], v[62:63], v[48:49] op_sel:[1,0] op_sel_hi:[0,0]
	v_pk_add_f32 v[46:47], v[46:47], v[50:51]
	v_pk_fma_f32 v[50:51], v[62:63], v[102:103], v[48:49] neg_lo:[0,0,1] neg_hi:[0,0,1]
	v_pk_fma_f32 v[48:49], v[62:63], v[102:103], v[48:49] op_sel_hi:[1,0,1]
	s_nop 0
	v_mov_b32_e32 v51, v49
	scratch_load_dwordx2 v[48:49], off, off offset:24
	v_pk_add_f32 v[46:47], v[46:47], v[50:51]
	s_waitcnt vmcnt(0)
	v_pk_add_f32 v[46:47], v[48:49], v[46:47] neg_lo:[0,1] neg_hi:[0,1]
	scratch_store_dwordx2 off, v[46:47], off offset:24
	s_and_saveexec_b64 s[0:1], vcc
	s_cbranch_execz .LBB85_141
; %bb.140:
	scratch_load_dwordx2 v[46:47], off, off offset:16
	v_mov_b32_e32 v48, 0
	v_mov_b32_e32 v49, v48
	scratch_store_dwordx2 off, v[48:49], off offset:16
	s_waitcnt vmcnt(1)
	ds_write_b64 v1, v[46:47]
.LBB85_141:
	s_or_b64 exec, exec, s[0:1]
	s_waitcnt lgkmcnt(0)
	; wave barrier
	scratch_load_dwordx4 v[52:55], off, off offset:24
	scratch_load_dwordx4 v[60:63], off, off offset:40
	;; [unrolled: 1-line block ×6, first 2 shown]
	v_mov_b32_e32 v46, 0
	ds_read2_b64 v[48:51], v46 offset0:25 offset1:26
	v_cmp_lt_u32_e32 vcc, 1, v0
	s_waitcnt vmcnt(5) lgkmcnt(0)
	v_mul_f32_e32 v47, v48, v53
	v_fmac_f32_e32 v47, v49, v52
	v_mul_f32_e32 v56, v50, v55
	v_add_f32_e32 v47, 0, v47
	v_fmac_f32_e32 v56, v51, v54
	v_add_f32_e32 v47, v47, v56
	ds_read2_b64 v[56:59], v46 offset0:27 offset1:28
	s_waitcnt vmcnt(4) lgkmcnt(0)
	v_mul_f32_e32 v64, v56, v61
	v_fmac_f32_e32 v64, v57, v60
	v_add_f32_e32 v47, v47, v64
	v_mul_f32_e32 v64, v58, v63
	v_fmac_f32_e32 v64, v59, v62
	v_add_f32_e32 v47, v47, v64
	ds_read2_b64 v[64:67], v46 offset0:29 offset1:30
	s_waitcnt vmcnt(3) lgkmcnt(0)
	v_mul_f32_e32 v72, v64, v69
	v_fmac_f32_e32 v72, v65, v68
	v_add_f32_e32 v47, v47, v72
	v_mul_f32_e32 v72, v66, v71
	;; [unrolled: 8-line block ×3, first 2 shown]
	v_fmac_f32_e32 v80, v75, v78
	v_add_f32_e32 v47, v47, v80
	ds_read2_b64 v[80:83], v46 offset0:33 offset1:34
	s_waitcnt vmcnt(1) lgkmcnt(0)
	v_mul_f32_e32 v88, v80, v85
	v_fmac_f32_e32 v88, v81, v84
	v_add_f32_e32 v109, v47, v88
	ds_read2_b64 v[88:91], v46 offset0:35 offset1:36
	scratch_load_dwordx4 v[96:99], off, off offset:120
	scratch_load_dwordx4 v[100:103], off, off offset:136
	;; [unrolled: 1-line block ×3, first 2 shown]
	scratch_load_dwordx2 v[114:115], off, off offset:168
	v_mul_f32_e32 v47, v49, v53
	v_fma_f32 v47, v48, v52, -v47
	v_mul_f32_e32 v48, v51, v55
	v_add_f32_e32 v47, 0, v47
	v_fma_f32 v48, v50, v54, -v48
	v_add_f32_e32 v47, v47, v48
	v_mul_f32_e32 v48, v57, v61
	v_fma_f32 v48, v56, v60, -v48
	v_add_f32_e32 v47, v47, v48
	v_mul_f32_e32 v48, v59, v63
	;; [unrolled: 3-line block ×7, first 2 shown]
	v_fma_f32 v48, v80, v84, -v48
	v_mul_f32_e32 v111, v82, v87
	v_add_f32_e32 v108, v47, v48
	v_mul_f32_e32 v47, v83, v87
	s_waitcnt vmcnt(4)
	v_mov_b32_e32 v64, v95
	v_fmac_f32_e32 v111, v83, v86
	s_waitcnt lgkmcnt(0)
	v_mul_f32_e32 v113, v88, v93
	v_fma_f32 v110, v82, v86, -v47
	v_mul_f32_e32 v47, v89, v93
	ds_read2_b64 v[48:51], v46 offset0:37 offset1:38
	ds_read2_b64 v[52:55], v46 offset0:39 offset1:40
	;; [unrolled: 1-line block ×3, first 2 shown]
	ds_read_b64 v[60:61], v46 offset:344
	v_pk_mul_f32 v[64:65], v[90:91], v[64:65] op_sel:[1,0] op_sel_hi:[0,0]
	v_fmac_f32_e32 v113, v89, v92
	v_fma_f32 v112, v88, v92, -v47
	v_pk_add_f32 v[62:63], v[108:109], v[110:111]
	v_pk_fma_f32 v[66:67], v[90:91], v[94:95], v[64:65] neg_lo:[0,0,1] neg_hi:[0,0,1]
	v_pk_fma_f32 v[64:65], v[90:91], v[94:95], v[64:65] op_sel_hi:[1,0,1]
	v_pk_add_f32 v[62:63], v[62:63], v[112:113]
	v_mov_b32_e32 v67, v65
	v_pk_add_f32 v[62:63], v[62:63], v[66:67]
	s_waitcnt vmcnt(3) lgkmcnt(3)
	v_pk_mul_f32 v[64:65], v[48:49], v[96:97] op_sel:[1,1] op_sel_hi:[0,1]
	v_pk_fma_f32 v[66:67], v[48:49], v[96:97], v[64:65] neg_lo:[0,0,1] neg_hi:[0,0,1]
	v_pk_fma_f32 v[48:49], v[48:49], v[96:97], v[64:65] op_sel_hi:[1,0,1]
	s_nop 0
	v_mov_b32_e32 v67, v49
	v_pk_add_f32 v[48:49], v[62:63], v[66:67]
	v_mov_b32_e32 v62, v99
	v_pk_mul_f32 v[62:63], v[50:51], v[62:63] op_sel:[1,0] op_sel_hi:[0,0]
	v_pk_fma_f32 v[64:65], v[50:51], v[98:99], v[62:63] neg_lo:[0,0,1] neg_hi:[0,0,1]
	v_pk_fma_f32 v[50:51], v[50:51], v[98:99], v[62:63] op_sel_hi:[1,0,1]
	s_nop 0
	v_mov_b32_e32 v65, v51
	s_waitcnt vmcnt(2) lgkmcnt(2)
	v_pk_mul_f32 v[50:51], v[52:53], v[100:101] op_sel:[1,1] op_sel_hi:[0,1]
	v_pk_fma_f32 v[62:63], v[52:53], v[100:101], v[50:51] neg_lo:[0,0,1] neg_hi:[0,0,1]
	v_pk_fma_f32 v[50:51], v[52:53], v[100:101], v[50:51] op_sel_hi:[1,0,1]
	v_pk_add_f32 v[48:49], v[48:49], v[64:65]
	v_mov_b32_e32 v50, v103
	v_mov_b32_e32 v63, v51
	v_pk_mul_f32 v[50:51], v[54:55], v[50:51] op_sel:[1,0] op_sel_hi:[0,0]
	v_pk_fma_f32 v[52:53], v[54:55], v[102:103], v[50:51] neg_lo:[0,0,1] neg_hi:[0,0,1]
	v_pk_fma_f32 v[50:51], v[54:55], v[102:103], v[50:51] op_sel_hi:[1,0,1]
	v_pk_add_f32 v[48:49], v[48:49], v[62:63]
	v_mov_b32_e32 v53, v51
	s_waitcnt vmcnt(1) lgkmcnt(1)
	v_pk_mul_f32 v[50:51], v[56:57], v[104:105] op_sel:[1,1] op_sel_hi:[0,1]
	v_pk_add_f32 v[48:49], v[48:49], v[52:53]
	v_pk_fma_f32 v[52:53], v[56:57], v[104:105], v[50:51] neg_lo:[0,0,1] neg_hi:[0,0,1]
	v_pk_fma_f32 v[50:51], v[56:57], v[104:105], v[50:51] op_sel_hi:[1,0,1]
	s_nop 0
	v_mov_b32_e32 v50, v107
	v_mov_b32_e32 v53, v51
	v_pk_mul_f32 v[50:51], v[58:59], v[50:51] op_sel:[1,0] op_sel_hi:[0,0]
	v_pk_add_f32 v[48:49], v[48:49], v[52:53]
	v_pk_fma_f32 v[52:53], v[58:59], v[106:107], v[50:51] neg_lo:[0,0,1] neg_hi:[0,0,1]
	v_pk_fma_f32 v[50:51], v[58:59], v[106:107], v[50:51] op_sel_hi:[1,0,1]
	s_nop 0
	v_mov_b32_e32 v53, v51
	s_waitcnt vmcnt(0) lgkmcnt(0)
	v_pk_mul_f32 v[50:51], v[60:61], v[114:115] op_sel:[1,1] op_sel_hi:[0,1]
	v_pk_add_f32 v[48:49], v[48:49], v[52:53]
	v_pk_fma_f32 v[52:53], v[60:61], v[114:115], v[50:51] neg_lo:[0,0,1] neg_hi:[0,0,1]
	v_pk_fma_f32 v[50:51], v[60:61], v[114:115], v[50:51] op_sel_hi:[1,0,1]
	s_nop 0
	v_mov_b32_e32 v53, v51
	scratch_load_dwordx2 v[50:51], off, off offset:16
	v_pk_add_f32 v[48:49], v[48:49], v[52:53]
	s_waitcnt vmcnt(0)
	v_pk_add_f32 v[48:49], v[50:51], v[48:49] neg_lo:[0,1] neg_hi:[0,1]
	scratch_store_dwordx2 off, v[48:49], off offset:16
	s_and_saveexec_b64 s[0:1], vcc
	s_cbranch_execz .LBB85_143
; %bb.142:
	scratch_load_dwordx2 v[48:49], off, off offset:8
	v_mov_b32_e32 v47, v46
	scratch_store_dwordx2 off, v[46:47], off offset:8
	s_waitcnt vmcnt(1)
	ds_write_b64 v1, v[48:49]
.LBB85_143:
	s_or_b64 exec, exec, s[0:1]
	s_waitcnt lgkmcnt(0)
	; wave barrier
	ds_read_b128 v[48:51], v46 offset:192
	ds_read_b128 v[52:55], v46 offset:208
	ds_read_b128 v[56:59], v46 offset:224
	ds_read_b128 v[60:63], v46 offset:240
	scratch_load_dwordx4 v[64:67], off, off offset:16
	scratch_load_dwordx4 v[84:87], off, off offset:80
	v_cmp_ne_u32_e32 vcc, 0, v0
	scratch_load_dwordx4 v[92:95], off, off offset:96
	s_waitcnt vmcnt(2) lgkmcnt(3)
	v_mul_f32_e32 v47, v48, v65
	v_fmac_f32_e32 v47, v49, v64
	v_mul_f32_e32 v68, v50, v67
	v_add_f32_e32 v47, 0, v47
	v_fmac_f32_e32 v68, v51, v66
	v_add_f32_e32 v47, v47, v68
	scratch_load_dwordx4 v[68:71], off, off offset:32
	s_waitcnt vmcnt(0) lgkmcnt(2)
	v_mul_f32_e32 v72, v52, v69
	v_fmac_f32_e32 v72, v53, v68
	v_add_f32_e32 v47, v47, v72
	v_mul_f32_e32 v72, v54, v71
	v_fmac_f32_e32 v72, v55, v70
	v_add_f32_e32 v47, v47, v72
	scratch_load_dwordx4 v[72:75], off, off offset:48
	s_waitcnt vmcnt(0) lgkmcnt(1)
	v_mul_f32_e32 v76, v56, v73
	v_fmac_f32_e32 v76, v57, v72
	v_add_f32_e32 v47, v47, v76
	v_mul_f32_e32 v76, v58, v75
	;; [unrolled: 8-line block ×3, first 2 shown]
	v_fmac_f32_e32 v80, v63, v78
	v_add_f32_e32 v47, v47, v80
	ds_read_b128 v[80:83], v46 offset:256
	s_waitcnt lgkmcnt(0)
	v_mul_f32_e32 v88, v80, v85
	v_fmac_f32_e32 v88, v81, v84
	v_add_f32_e32 v47, v47, v88
	v_mul_f32_e32 v88, v82, v87
	v_fmac_f32_e32 v88, v83, v86
	v_add_f32_e32 v113, v47, v88
	ds_read_b128 v[88:91], v46 offset:272
	scratch_load_dwordx4 v[96:99], off, off offset:112
	scratch_load_dwordx4 v[100:103], off, off offset:128
	;; [unrolled: 1-line block ×4, first 2 shown]
	v_mul_f32_e32 v47, v49, v65
	v_fma_f32 v47, v48, v64, -v47
	v_mul_f32_e32 v48, v51, v67
	v_add_f32_e32 v47, 0, v47
	v_fma_f32 v48, v50, v66, -v48
	v_add_f32_e32 v47, v47, v48
	v_mul_f32_e32 v48, v53, v69
	v_fma_f32 v48, v52, v68, -v48
	v_add_f32_e32 v47, v47, v48
	v_mul_f32_e32 v48, v55, v71
	;; [unrolled: 3-line block ×8, first 2 shown]
	v_fma_f32 v48, v82, v86, -v48
	v_add_f32_e32 v112, v47, v48
	ds_read_b128 v[48:51], v46 offset:288
	ds_read_b128 v[52:55], v46 offset:304
	;; [unrolled: 1-line block ×4, first 2 shown]
	s_waitcnt lgkmcnt(4)
	v_mul_f32_e32 v115, v88, v93
	v_mul_f32_e32 v47, v89, v93
	v_fmac_f32_e32 v115, v89, v92
	v_mul_f32_e32 v117, v90, v95
	v_fma_f32 v114, v88, v92, -v47
	v_mul_f32_e32 v47, v91, v95
	v_fmac_f32_e32 v117, v91, v94
	v_fma_f32 v116, v90, v94, -v47
	v_pk_add_f32 v[46:47], v[112:113], v[114:115]
	s_waitcnt vmcnt(3) lgkmcnt(3)
	v_pk_mul_f32 v[64:65], v[48:49], v[96:97] op_sel:[1,1] op_sel_hi:[0,1]
	v_pk_fma_f32 v[66:67], v[48:49], v[96:97], v[64:65] neg_lo:[0,0,1] neg_hi:[0,0,1]
	v_pk_fma_f32 v[48:49], v[48:49], v[96:97], v[64:65] op_sel_hi:[1,0,1]
	v_pk_add_f32 v[46:47], v[46:47], v[116:117]
	v_mov_b32_e32 v48, v99
	v_mov_b32_e32 v67, v49
	v_pk_mul_f32 v[48:49], v[50:51], v[48:49] op_sel:[1,0] op_sel_hi:[0,0]
	v_pk_fma_f32 v[64:65], v[50:51], v[98:99], v[48:49] neg_lo:[0,0,1] neg_hi:[0,0,1]
	v_pk_fma_f32 v[48:49], v[50:51], v[98:99], v[48:49] op_sel_hi:[1,0,1]
	v_pk_add_f32 v[46:47], v[46:47], v[66:67]
	v_mov_b32_e32 v65, v49
	s_waitcnt vmcnt(2) lgkmcnt(2)
	v_pk_mul_f32 v[48:49], v[52:53], v[100:101] op_sel:[1,1] op_sel_hi:[0,1]
	v_pk_fma_f32 v[50:51], v[52:53], v[100:101], v[48:49] neg_lo:[0,0,1] neg_hi:[0,0,1]
	v_pk_fma_f32 v[48:49], v[52:53], v[100:101], v[48:49] op_sel_hi:[1,0,1]
	v_pk_add_f32 v[46:47], v[46:47], v[64:65]
	v_mov_b32_e32 v48, v103
	v_mov_b32_e32 v51, v49
	v_pk_mul_f32 v[48:49], v[54:55], v[48:49] op_sel:[1,0] op_sel_hi:[0,0]
	v_pk_add_f32 v[46:47], v[46:47], v[50:51]
	v_pk_fma_f32 v[50:51], v[54:55], v[102:103], v[48:49] neg_lo:[0,0,1] neg_hi:[0,0,1]
	v_pk_fma_f32 v[48:49], v[54:55], v[102:103], v[48:49] op_sel_hi:[1,0,1]
	s_nop 0
	v_mov_b32_e32 v51, v49
	s_waitcnt vmcnt(1) lgkmcnt(1)
	v_pk_mul_f32 v[48:49], v[56:57], v[104:105] op_sel:[1,1] op_sel_hi:[0,1]
	v_pk_add_f32 v[46:47], v[46:47], v[50:51]
	v_pk_fma_f32 v[50:51], v[56:57], v[104:105], v[48:49] neg_lo:[0,0,1] neg_hi:[0,0,1]
	v_pk_fma_f32 v[48:49], v[56:57], v[104:105], v[48:49] op_sel_hi:[1,0,1]
	s_nop 0
	v_mov_b32_e32 v48, v107
	v_mov_b32_e32 v51, v49
	v_pk_mul_f32 v[48:49], v[58:59], v[48:49] op_sel:[1,0] op_sel_hi:[0,0]
	v_pk_add_f32 v[46:47], v[46:47], v[50:51]
	v_pk_fma_f32 v[50:51], v[58:59], v[106:107], v[48:49] neg_lo:[0,0,1] neg_hi:[0,0,1]
	v_pk_fma_f32 v[48:49], v[58:59], v[106:107], v[48:49] op_sel_hi:[1,0,1]
	s_nop 0
	v_mov_b32_e32 v51, v49
	s_waitcnt vmcnt(0) lgkmcnt(0)
	v_pk_mul_f32 v[48:49], v[60:61], v[108:109] op_sel:[1,1] op_sel_hi:[0,1]
	v_pk_add_f32 v[46:47], v[46:47], v[50:51]
	v_pk_fma_f32 v[50:51], v[60:61], v[108:109], v[48:49] neg_lo:[0,0,1] neg_hi:[0,0,1]
	v_pk_fma_f32 v[48:49], v[60:61], v[108:109], v[48:49] op_sel_hi:[1,0,1]
	s_nop 0
	v_mov_b32_e32 v48, v111
	v_mov_b32_e32 v51, v49
	v_pk_mul_f32 v[48:49], v[62:63], v[48:49] op_sel:[1,0] op_sel_hi:[0,0]
	v_pk_add_f32 v[46:47], v[46:47], v[50:51]
	v_pk_fma_f32 v[50:51], v[62:63], v[110:111], v[48:49] neg_lo:[0,0,1] neg_hi:[0,0,1]
	v_pk_fma_f32 v[48:49], v[62:63], v[110:111], v[48:49] op_sel_hi:[1,0,1]
	s_nop 0
	v_mov_b32_e32 v51, v49
	scratch_load_dwordx2 v[48:49], off, off offset:8
	v_pk_add_f32 v[46:47], v[46:47], v[50:51]
	s_waitcnt vmcnt(0)
	v_pk_add_f32 v[46:47], v[48:49], v[46:47] neg_lo:[0,1] neg_hi:[0,1]
	scratch_store_dwordx2 off, v[46:47], off offset:8
	s_and_saveexec_b64 s[0:1], vcc
	s_cbranch_execz .LBB85_145
; %bb.144:
	scratch_load_dwordx2 v[46:47], off, off
	v_mov_b32_e32 v48, 0
	v_mov_b32_e32 v49, v48
	scratch_store_dwordx2 off, v[48:49], off
	s_waitcnt vmcnt(1)
	ds_write_b64 v1, v[46:47]
.LBB85_145:
	s_or_b64 exec, exec, s[0:1]
	s_waitcnt lgkmcnt(0)
	; wave barrier
	scratch_load_dwordx4 v[52:55], off, off offset:8
	scratch_load_dwordx4 v[60:63], off, off offset:24
	;; [unrolled: 1-line block ×7, first 2 shown]
	v_mov_b32_e32 v46, 0
	ds_read2_b64 v[48:51], v46 offset0:23 offset1:24
	ds_read2_b64 v[56:59], v46 offset0:25 offset1:26
	;; [unrolled: 1-line block ×7, first 2 shown]
	scratch_load_dwordx4 v[104:107], off, off offset:120
	scratch_load_dwordx4 v[108:111], off, off offset:136
	scratch_load_dwordx4 v[112:115], off, off offset:152
	scratch_load_dwordx2 v[120:121], off, off offset:168
	s_and_b64 vcc, exec, s[10:11]
	s_waitcnt vmcnt(10) lgkmcnt(6)
	v_mul_f32_e32 v0, v48, v53
	v_fmac_f32_e32 v0, v49, v52
	v_mul_f32_e32 v1, v50, v55
	v_add_f32_e32 v0, 0, v0
	v_fmac_f32_e32 v1, v51, v54
	v_add_f32_e32 v0, v0, v1
	s_waitcnt vmcnt(9) lgkmcnt(5)
	v_mul_f32_e32 v1, v56, v61
	v_fmac_f32_e32 v1, v57, v60
	v_add_f32_e32 v0, v0, v1
	v_mul_f32_e32 v1, v58, v63
	v_fmac_f32_e32 v1, v59, v62
	v_add_f32_e32 v0, v0, v1
	s_waitcnt vmcnt(8) lgkmcnt(4)
	v_mul_f32_e32 v1, v64, v69
	v_fmac_f32_e32 v1, v65, v68
	v_add_f32_e32 v0, v0, v1
	v_mul_f32_e32 v1, v66, v71
	;; [unrolled: 7-line block ×5, first 2 shown]
	v_fma_f32 v0, v48, v52, -v0
	v_mul_f32_e32 v47, v51, v55
	v_add_f32_e32 v0, 0, v0
	v_fma_f32 v47, v50, v54, -v47
	v_add_f32_e32 v0, v0, v47
	v_mul_f32_e32 v47, v57, v61
	v_fma_f32 v47, v56, v60, -v47
	v_add_f32_e32 v0, v0, v47
	v_mul_f32_e32 v47, v59, v63
	;; [unrolled: 3-line block ×9, first 2 shown]
	v_fma_f32 v47, v88, v92, -v47
	v_mul_f32_e32 v117, v90, v95
	v_add_f32_e32 v0, v0, v47
	v_mul_f32_e32 v47, v91, v95
	s_waitcnt vmcnt(4)
	v_mov_b32_e32 v62, v103
	v_fmac_f32_e32 v117, v91, v94
	s_waitcnt lgkmcnt(0)
	v_mul_f32_e32 v119, v96, v101
	v_fma_f32 v116, v90, v94, -v47
	v_mul_f32_e32 v47, v97, v101
	ds_read2_b64 v[48:51], v46 offset0:37 offset1:38
	ds_read2_b64 v[52:55], v46 offset0:39 offset1:40
	;; [unrolled: 1-line block ×3, first 2 shown]
	ds_read_b64 v[60:61], v46 offset:344
	v_pk_mul_f32 v[62:63], v[98:99], v[62:63] op_sel:[1,0] op_sel_hi:[0,0]
	v_fmac_f32_e32 v119, v97, v100
	v_fma_f32 v118, v96, v100, -v47
	v_pk_add_f32 v[0:1], v[0:1], v[116:117]
	v_pk_fma_f32 v[64:65], v[98:99], v[102:103], v[62:63] neg_lo:[0,0,1] neg_hi:[0,0,1]
	v_pk_fma_f32 v[62:63], v[98:99], v[102:103], v[62:63] op_sel_hi:[1,0,1]
	v_pk_add_f32 v[0:1], v[0:1], v[118:119]
	v_mov_b32_e32 v65, v63
	s_waitcnt vmcnt(3) lgkmcnt(3)
	v_pk_mul_f32 v[62:63], v[48:49], v[104:105] op_sel:[1,1] op_sel_hi:[0,1]
	v_pk_add_f32 v[0:1], v[0:1], v[64:65]
	v_pk_fma_f32 v[64:65], v[48:49], v[104:105], v[62:63] neg_lo:[0,0,1] neg_hi:[0,0,1]
	v_pk_fma_f32 v[48:49], v[48:49], v[104:105], v[62:63] op_sel_hi:[1,0,1]
	s_nop 0
	v_mov_b32_e32 v48, v107
	v_mov_b32_e32 v65, v49
	v_pk_mul_f32 v[48:49], v[50:51], v[48:49] op_sel:[1,0] op_sel_hi:[0,0]
	v_pk_fma_f32 v[62:63], v[50:51], v[106:107], v[48:49] neg_lo:[0,0,1] neg_hi:[0,0,1]
	v_pk_fma_f32 v[48:49], v[50:51], v[106:107], v[48:49] op_sel_hi:[1,0,1]
	v_pk_add_f32 v[0:1], v[0:1], v[64:65]
	v_mov_b32_e32 v63, v49
	s_waitcnt vmcnt(2) lgkmcnt(2)
	v_pk_mul_f32 v[48:49], v[52:53], v[108:109] op_sel:[1,1] op_sel_hi:[0,1]
	v_pk_fma_f32 v[50:51], v[52:53], v[108:109], v[48:49] neg_lo:[0,0,1] neg_hi:[0,0,1]
	v_pk_fma_f32 v[48:49], v[52:53], v[108:109], v[48:49] op_sel_hi:[1,0,1]
	v_pk_add_f32 v[0:1], v[0:1], v[62:63]
	v_mov_b32_e32 v48, v111
	v_mov_b32_e32 v51, v49
	v_pk_mul_f32 v[48:49], v[54:55], v[48:49] op_sel:[1,0] op_sel_hi:[0,0]
	v_pk_add_f32 v[0:1], v[0:1], v[50:51]
	v_pk_fma_f32 v[50:51], v[54:55], v[110:111], v[48:49] neg_lo:[0,0,1] neg_hi:[0,0,1]
	v_pk_fma_f32 v[48:49], v[54:55], v[110:111], v[48:49] op_sel_hi:[1,0,1]
	s_nop 0
	v_mov_b32_e32 v51, v49
	s_waitcnt vmcnt(1) lgkmcnt(1)
	v_pk_mul_f32 v[48:49], v[56:57], v[112:113] op_sel:[1,1] op_sel_hi:[0,1]
	v_pk_add_f32 v[0:1], v[0:1], v[50:51]
	v_pk_fma_f32 v[50:51], v[56:57], v[112:113], v[48:49] neg_lo:[0,0,1] neg_hi:[0,0,1]
	v_pk_fma_f32 v[48:49], v[56:57], v[112:113], v[48:49] op_sel_hi:[1,0,1]
	s_nop 0
	v_mov_b32_e32 v48, v115
	v_mov_b32_e32 v51, v49
	v_pk_mul_f32 v[48:49], v[58:59], v[48:49] op_sel:[1,0] op_sel_hi:[0,0]
	v_pk_add_f32 v[0:1], v[0:1], v[50:51]
	v_pk_fma_f32 v[50:51], v[58:59], v[114:115], v[48:49] neg_lo:[0,0,1] neg_hi:[0,0,1]
	v_pk_fma_f32 v[48:49], v[58:59], v[114:115], v[48:49] op_sel_hi:[1,0,1]
	s_nop 0
	v_mov_b32_e32 v51, v49
	s_waitcnt vmcnt(0) lgkmcnt(0)
	v_pk_mul_f32 v[48:49], v[60:61], v[120:121] op_sel:[1,1] op_sel_hi:[0,1]
	v_pk_add_f32 v[0:1], v[0:1], v[50:51]
	v_pk_fma_f32 v[50:51], v[60:61], v[120:121], v[48:49] neg_lo:[0,0,1] neg_hi:[0,0,1]
	v_pk_fma_f32 v[48:49], v[60:61], v[120:121], v[48:49] op_sel_hi:[1,0,1]
	s_nop 0
	v_mov_b32_e32 v51, v49
	scratch_load_dwordx2 v[48:49], off, off
	v_pk_add_f32 v[0:1], v[0:1], v[50:51]
	s_waitcnt vmcnt(0)
	v_pk_add_f32 v[0:1], v[48:49], v[0:1] neg_lo:[0,1] neg_hi:[0,1]
	scratch_store_dwordx2 off, v[0:1], off
	s_cbranch_vccz .LBB85_188
; %bb.146:
	global_load_dword v0, v46, s[8:9] offset:80
	s_waitcnt vmcnt(0)
	v_readfirstlane_b32 s0, v0
	s_add_i32 s0, s0, -1
	s_cmp_lg_u32 s0, 20
	s_cbranch_scc0 .LBB85_148
; %bb.147:
	s_lshl_b32 s0, s0, 3
	s_nop 0
	scratch_load_dwordx2 v[0:1], off, s0
	scratch_load_dwordx2 v[46:47], off, off offset:160
	s_waitcnt vmcnt(1)
	scratch_store_dwordx2 off, v[0:1], off offset:160
	s_waitcnt vmcnt(1)
	scratch_store_dwordx2 off, v[46:47], s0
.LBB85_148:
	v_mov_b32_e32 v0, 0
	global_load_dword v1, v0, s[8:9] offset:76
	s_waitcnt vmcnt(0)
	v_readfirstlane_b32 s0, v1
	s_add_i32 s0, s0, -1
	s_cmp_eq_u32 s0, 19
	s_cbranch_scc1 .LBB85_150
; %bb.149:
	s_lshl_b32 s0, s0, 3
	s_nop 0
	scratch_load_dwordx2 v[46:47], off, s0
	scratch_load_dwordx2 v[48:49], off, off offset:152
	s_waitcnt vmcnt(1)
	scratch_store_dwordx2 off, v[46:47], off offset:152
	s_waitcnt vmcnt(1)
	scratch_store_dwordx2 off, v[48:49], s0
.LBB85_150:
	global_load_dword v0, v0, s[8:9] offset:72
	s_waitcnt vmcnt(0)
	v_readfirstlane_b32 s0, v0
	s_add_i32 s0, s0, -1
	s_cmp_eq_u32 s0, 18
	s_cbranch_scc1 .LBB85_152
; %bb.151:
	s_lshl_b32 s0, s0, 3
	s_nop 0
	scratch_load_dwordx2 v[0:1], off, s0
	scratch_load_dwordx2 v[46:47], off, off offset:144
	s_waitcnt vmcnt(1)
	scratch_store_dwordx2 off, v[0:1], off offset:144
	s_waitcnt vmcnt(1)
	scratch_store_dwordx2 off, v[46:47], s0
.LBB85_152:
	v_mov_b32_e32 v0, 0
	global_load_dword v1, v0, s[8:9] offset:68
	s_waitcnt vmcnt(0)
	v_readfirstlane_b32 s0, v1
	s_add_i32 s0, s0, -1
	s_cmp_eq_u32 s0, 17
	s_cbranch_scc1 .LBB85_154
; %bb.153:
	s_lshl_b32 s0, s0, 3
	s_nop 0
	scratch_load_dwordx2 v[46:47], off, s0
	scratch_load_dwordx2 v[48:49], off, off offset:136
	s_waitcnt vmcnt(1)
	scratch_store_dwordx2 off, v[46:47], off offset:136
	s_waitcnt vmcnt(1)
	scratch_store_dwordx2 off, v[48:49], s0
.LBB85_154:
	global_load_dword v0, v0, s[8:9] offset:64
	s_waitcnt vmcnt(0)
	v_readfirstlane_b32 s0, v0
	s_add_i32 s0, s0, -1
	s_cmp_eq_u32 s0, 16
	s_cbranch_scc1 .LBB85_156
; %bb.155:
	s_lshl_b32 s0, s0, 3
	s_nop 0
	scratch_load_dwordx2 v[0:1], off, s0
	scratch_load_dwordx2 v[46:47], off, off offset:128
	s_waitcnt vmcnt(1)
	scratch_store_dwordx2 off, v[0:1], off offset:128
	s_waitcnt vmcnt(1)
	scratch_store_dwordx2 off, v[46:47], s0
.LBB85_156:
	;; [unrolled: 33-line block ×9, first 2 shown]
	v_mov_b32_e32 v0, 0
	global_load_dword v1, v0, s[8:9] offset:4
	s_waitcnt vmcnt(0)
	v_readfirstlane_b32 s0, v1
	s_add_i32 s0, s0, -1
	s_cmp_eq_u32 s0, 1
	s_cbranch_scc1 .LBB85_186
; %bb.185:
	s_lshl_b32 s0, s0, 3
	s_nop 0
	scratch_load_dwordx2 v[46:47], off, s0
	scratch_load_dwordx2 v[48:49], off, off offset:8
	s_waitcnt vmcnt(1)
	scratch_store_dwordx2 off, v[46:47], off offset:8
	s_waitcnt vmcnt(1)
	scratch_store_dwordx2 off, v[48:49], s0
.LBB85_186:
	global_load_dword v46, v0, s[8:9]
	s_nop 0
	scratch_load_dwordx2 v[0:1], off, off
	s_waitcnt vmcnt(1)
	v_readfirstlane_b32 s0, v46
	s_add_i32 s0, s0, -1
	s_cmp_eq_u32 s0, 0
	s_cbranch_scc1 .LBB85_188
; %bb.187:
	s_lshl_b32 s0, s0, 3
	s_nop 0
	scratch_load_dwordx2 v[46:47], off, s0
	s_waitcnt vmcnt(0)
	scratch_store_dwordx2 off, v[46:47], off
	scratch_store_dwordx2 off, v[0:1], s0
	scratch_load_dwordx2 v[0:1], off, off
.LBB85_188:
	s_waitcnt vmcnt(0)
	flat_store_dwordx2 v[2:3], v[0:1]
	scratch_load_dwordx2 v[0:1], off, off offset:8
	s_waitcnt vmcnt(0)
	flat_store_dwordx2 v[4:5], v[0:1]
	scratch_load_dwordx2 v[0:1], off, off offset:16
	;; [unrolled: 3-line block ×21, first 2 shown]
	s_waitcnt vmcnt(0)
	flat_store_dwordx2 v[44:45], v[0:1]
	s_endpgm
	.section	.rodata,"a",@progbits
	.p2align	6, 0x0
	.amdhsa_kernel _ZN9rocsolver6v33100L18getri_kernel_smallILi22E19rocblas_complex_numIfEPKPS3_EEvT1_iilPiilS8_bb
		.amdhsa_group_segment_fixed_size 356
		.amdhsa_private_segment_fixed_size 192
		.amdhsa_kernarg_size 60
		.amdhsa_user_sgpr_count 2
		.amdhsa_user_sgpr_dispatch_ptr 0
		.amdhsa_user_sgpr_queue_ptr 0
		.amdhsa_user_sgpr_kernarg_segment_ptr 1
		.amdhsa_user_sgpr_dispatch_id 0
		.amdhsa_user_sgpr_kernarg_preload_length 0
		.amdhsa_user_sgpr_kernarg_preload_offset 0
		.amdhsa_user_sgpr_private_segment_size 0
		.amdhsa_uses_dynamic_stack 0
		.amdhsa_enable_private_segment 1
		.amdhsa_system_sgpr_workgroup_id_x 1
		.amdhsa_system_sgpr_workgroup_id_y 0
		.amdhsa_system_sgpr_workgroup_id_z 0
		.amdhsa_system_sgpr_workgroup_info 0
		.amdhsa_system_vgpr_workitem_id 0
		.amdhsa_next_free_vgpr 128
		.amdhsa_next_free_sgpr 17
		.amdhsa_accum_offset 128
		.amdhsa_reserve_vcc 1
		.amdhsa_float_round_mode_32 0
		.amdhsa_float_round_mode_16_64 0
		.amdhsa_float_denorm_mode_32 3
		.amdhsa_float_denorm_mode_16_64 3
		.amdhsa_dx10_clamp 1
		.amdhsa_ieee_mode 1
		.amdhsa_fp16_overflow 0
		.amdhsa_tg_split 0
		.amdhsa_exception_fp_ieee_invalid_op 0
		.amdhsa_exception_fp_denorm_src 0
		.amdhsa_exception_fp_ieee_div_zero 0
		.amdhsa_exception_fp_ieee_overflow 0
		.amdhsa_exception_fp_ieee_underflow 0
		.amdhsa_exception_fp_ieee_inexact 0
		.amdhsa_exception_int_div_zero 0
	.end_amdhsa_kernel
	.section	.text._ZN9rocsolver6v33100L18getri_kernel_smallILi22E19rocblas_complex_numIfEPKPS3_EEvT1_iilPiilS8_bb,"axG",@progbits,_ZN9rocsolver6v33100L18getri_kernel_smallILi22E19rocblas_complex_numIfEPKPS3_EEvT1_iilPiilS8_bb,comdat
.Lfunc_end85:
	.size	_ZN9rocsolver6v33100L18getri_kernel_smallILi22E19rocblas_complex_numIfEPKPS3_EEvT1_iilPiilS8_bb, .Lfunc_end85-_ZN9rocsolver6v33100L18getri_kernel_smallILi22E19rocblas_complex_numIfEPKPS3_EEvT1_iilPiilS8_bb
                                        ; -- End function
	.set _ZN9rocsolver6v33100L18getri_kernel_smallILi22E19rocblas_complex_numIfEPKPS3_EEvT1_iilPiilS8_bb.num_vgpr, 128
	.set _ZN9rocsolver6v33100L18getri_kernel_smallILi22E19rocblas_complex_numIfEPKPS3_EEvT1_iilPiilS8_bb.num_agpr, 0
	.set _ZN9rocsolver6v33100L18getri_kernel_smallILi22E19rocblas_complex_numIfEPKPS3_EEvT1_iilPiilS8_bb.numbered_sgpr, 17
	.set _ZN9rocsolver6v33100L18getri_kernel_smallILi22E19rocblas_complex_numIfEPKPS3_EEvT1_iilPiilS8_bb.num_named_barrier, 0
	.set _ZN9rocsolver6v33100L18getri_kernel_smallILi22E19rocblas_complex_numIfEPKPS3_EEvT1_iilPiilS8_bb.private_seg_size, 192
	.set _ZN9rocsolver6v33100L18getri_kernel_smallILi22E19rocblas_complex_numIfEPKPS3_EEvT1_iilPiilS8_bb.uses_vcc, 1
	.set _ZN9rocsolver6v33100L18getri_kernel_smallILi22E19rocblas_complex_numIfEPKPS3_EEvT1_iilPiilS8_bb.uses_flat_scratch, 0
	.set _ZN9rocsolver6v33100L18getri_kernel_smallILi22E19rocblas_complex_numIfEPKPS3_EEvT1_iilPiilS8_bb.has_dyn_sized_stack, 0
	.set _ZN9rocsolver6v33100L18getri_kernel_smallILi22E19rocblas_complex_numIfEPKPS3_EEvT1_iilPiilS8_bb.has_recursion, 0
	.set _ZN9rocsolver6v33100L18getri_kernel_smallILi22E19rocblas_complex_numIfEPKPS3_EEvT1_iilPiilS8_bb.has_indirect_call, 0
	.section	.AMDGPU.csdata,"",@progbits
; Kernel info:
; codeLenInByte = 20496
; TotalNumSgprs: 23
; NumVgprs: 128
; NumAgprs: 0
; TotalNumVgprs: 128
; ScratchSize: 192
; MemoryBound: 0
; FloatMode: 240
; IeeeMode: 1
; LDSByteSize: 356 bytes/workgroup (compile time only)
; SGPRBlocks: 2
; VGPRBlocks: 15
; NumSGPRsForWavesPerEU: 23
; NumVGPRsForWavesPerEU: 128
; AccumOffset: 128
; Occupancy: 4
; WaveLimiterHint : 1
; COMPUTE_PGM_RSRC2:SCRATCH_EN: 1
; COMPUTE_PGM_RSRC2:USER_SGPR: 2
; COMPUTE_PGM_RSRC2:TRAP_HANDLER: 0
; COMPUTE_PGM_RSRC2:TGID_X_EN: 1
; COMPUTE_PGM_RSRC2:TGID_Y_EN: 0
; COMPUTE_PGM_RSRC2:TGID_Z_EN: 0
; COMPUTE_PGM_RSRC2:TIDIG_COMP_CNT: 0
; COMPUTE_PGM_RSRC3_GFX90A:ACCUM_OFFSET: 31
; COMPUTE_PGM_RSRC3_GFX90A:TG_SPLIT: 0
	.section	.text._ZN9rocsolver6v33100L18getri_kernel_smallILi23E19rocblas_complex_numIfEPKPS3_EEvT1_iilPiilS8_bb,"axG",@progbits,_ZN9rocsolver6v33100L18getri_kernel_smallILi23E19rocblas_complex_numIfEPKPS3_EEvT1_iilPiilS8_bb,comdat
	.globl	_ZN9rocsolver6v33100L18getri_kernel_smallILi23E19rocblas_complex_numIfEPKPS3_EEvT1_iilPiilS8_bb ; -- Begin function _ZN9rocsolver6v33100L18getri_kernel_smallILi23E19rocblas_complex_numIfEPKPS3_EEvT1_iilPiilS8_bb
	.p2align	8
	.type	_ZN9rocsolver6v33100L18getri_kernel_smallILi23E19rocblas_complex_numIfEPKPS3_EEvT1_iilPiilS8_bb,@function
_ZN9rocsolver6v33100L18getri_kernel_smallILi23E19rocblas_complex_numIfEPKPS3_EEvT1_iilPiilS8_bb: ; @_ZN9rocsolver6v33100L18getri_kernel_smallILi23E19rocblas_complex_numIfEPKPS3_EEvT1_iilPiilS8_bb
; %bb.0:
	v_cmp_gt_u32_e32 vcc, 23, v0
	s_and_saveexec_b64 s[4:5], vcc
	s_cbranch_execz .LBB86_106
; %bb.1:
	s_load_dword s14, s[0:1], 0x38
	s_load_dwordx2 s[8:9], s[0:1], 0x0
	s_load_dwordx4 s[4:7], s[0:1], 0x28
	s_waitcnt lgkmcnt(0)
	s_bitcmp1_b32 s14, 8
	s_cselect_b64 s[10:11], -1, 0
	s_ashr_i32 s3, s2, 31
	s_lshl_b64 s[12:13], s[2:3], 3
	s_add_u32 s8, s8, s12
	s_addc_u32 s9, s9, s13
	s_load_dwordx2 s[12:13], s[8:9], 0x0
	s_bfe_u32 s8, s14, 0x10008
	s_cmp_eq_u32 s8, 0
                                        ; implicit-def: $sgpr8_sgpr9
	s_cbranch_scc1 .LBB86_3
; %bb.2:
	s_load_dword s8, s[0:1], 0x20
	s_load_dwordx2 s[14:15], s[0:1], 0x18
	s_mul_i32 s9, s4, s3
	s_mul_hi_u32 s16, s4, s2
	s_add_i32 s16, s16, s9
	s_mul_i32 s5, s5, s2
	s_add_i32 s5, s16, s5
	s_mul_i32 s4, s4, s2
	s_waitcnt lgkmcnt(0)
	s_ashr_i32 s9, s8, 31
	s_lshl_b64 s[4:5], s[4:5], 2
	s_add_u32 s14, s14, s4
	s_addc_u32 s15, s15, s5
	s_lshl_b64 s[4:5], s[8:9], 2
	s_add_u32 s8, s14, s4
	s_addc_u32 s9, s15, s5
.LBB86_3:
	s_load_dwordx2 s[4:5], s[0:1], 0x8
	s_load_dword s14, s[0:1], 0x38
	v_lshlrev_b32_e32 v48, 3, v0
	v_mov_b32_e32 v49, 0
	s_waitcnt lgkmcnt(0)
	s_ashr_i32 s1, s4, 31
	s_mov_b32 s0, s4
	s_lshl_b64 s[0:1], s[0:1], 3
	s_add_u32 s0, s12, s0
	s_addc_u32 s1, s13, s1
	v_lshl_add_u64 v[2:3], s[0:1], 0, v[48:49]
	flat_load_dwordx2 v[6:7], v[2:3]
	s_mov_b32 s12, s5
	s_ashr_i32 s13, s5, 31
	v_lshl_add_u64 v[4:5], s[12:13], 3, v[2:3]
	s_add_i32 s4, s5, s5
	v_add_u32_e32 v10, s4, v0
	v_ashrrev_i32_e32 v11, 31, v10
	s_bitcmp0_b32 s14, 0
	s_waitcnt vmcnt(0) lgkmcnt(0)
	scratch_store_dwordx2 off, v[6:7], off
	flat_load_dwordx2 v[8:9], v[4:5]
	v_lshl_add_u64 v[6:7], v[10:11], 3, s[0:1]
	v_add_u32_e32 v10, s5, v10
	v_ashrrev_i32_e32 v11, 31, v10
	v_add_u32_e32 v14, s5, v10
	v_ashrrev_i32_e32 v15, 31, v14
	s_waitcnt vmcnt(0) lgkmcnt(0)
	scratch_store_dwordx2 off, v[8:9], off offset:8
	flat_load_dwordx2 v[12:13], v[6:7]
	v_lshl_add_u64 v[8:9], v[10:11], 3, s[0:1]
	v_lshl_add_u64 v[10:11], v[14:15], 3, s[0:1]
	v_add_u32_e32 v14, s5, v14
	v_ashrrev_i32_e32 v15, 31, v14
	v_add_u32_e32 v18, s5, v14
	v_ashrrev_i32_e32 v19, 31, v18
	s_waitcnt vmcnt(0) lgkmcnt(0)
	scratch_store_dwordx2 off, v[12:13], off offset:16
	flat_load_dwordx2 v[12:13], v[8:9]
	s_waitcnt vmcnt(0) lgkmcnt(0)
	scratch_store_dwordx2 off, v[12:13], off offset:24
	flat_load_dwordx2 v[16:17], v[10:11]
	v_lshl_add_u64 v[12:13], v[14:15], 3, s[0:1]
	v_lshl_add_u64 v[14:15], v[18:19], 3, s[0:1]
	v_add_u32_e32 v18, s5, v18
	v_ashrrev_i32_e32 v19, 31, v18
	v_add_u32_e32 v22, s5, v18
	v_ashrrev_i32_e32 v23, 31, v22
	s_waitcnt vmcnt(0) lgkmcnt(0)
	scratch_store_dwordx2 off, v[16:17], off offset:32
	flat_load_dwordx2 v[16:17], v[12:13]
	s_waitcnt vmcnt(0) lgkmcnt(0)
	scratch_store_dwordx2 off, v[16:17], off offset:40
	flat_load_dwordx2 v[20:21], v[14:15]
	v_lshl_add_u64 v[16:17], v[18:19], 3, s[0:1]
	v_lshl_add_u64 v[18:19], v[22:23], 3, s[0:1]
	v_add_u32_e32 v22, s5, v22
	v_ashrrev_i32_e32 v23, 31, v22
	v_add_u32_e32 v26, s5, v22
	v_ashrrev_i32_e32 v27, 31, v26
	s_waitcnt vmcnt(0) lgkmcnt(0)
	scratch_store_dwordx2 off, v[20:21], off offset:48
	flat_load_dwordx2 v[20:21], v[16:17]
	s_waitcnt vmcnt(0) lgkmcnt(0)
	scratch_store_dwordx2 off, v[20:21], off offset:56
	flat_load_dwordx2 v[24:25], v[18:19]
	v_lshl_add_u64 v[20:21], v[22:23], 3, s[0:1]
	v_lshl_add_u64 v[22:23], v[26:27], 3, s[0:1]
	v_add_u32_e32 v26, s5, v26
	v_ashrrev_i32_e32 v27, 31, v26
	v_add_u32_e32 v30, s5, v26
	v_ashrrev_i32_e32 v31, 31, v30
	s_waitcnt vmcnt(0) lgkmcnt(0)
	scratch_store_dwordx2 off, v[24:25], off offset:64
	flat_load_dwordx2 v[24:25], v[20:21]
	s_waitcnt vmcnt(0) lgkmcnt(0)
	scratch_store_dwordx2 off, v[24:25], off offset:72
	flat_load_dwordx2 v[28:29], v[22:23]
	v_lshl_add_u64 v[24:25], v[26:27], 3, s[0:1]
	v_lshl_add_u64 v[26:27], v[30:31], 3, s[0:1]
	v_add_u32_e32 v30, s5, v30
	v_ashrrev_i32_e32 v31, 31, v30
	v_add_u32_e32 v34, s5, v30
	v_ashrrev_i32_e32 v35, 31, v34
	s_waitcnt vmcnt(0) lgkmcnt(0)
	scratch_store_dwordx2 off, v[28:29], off offset:80
	flat_load_dwordx2 v[28:29], v[24:25]
	s_waitcnt vmcnt(0) lgkmcnt(0)
	scratch_store_dwordx2 off, v[28:29], off offset:88
	flat_load_dwordx2 v[32:33], v[26:27]
	v_lshl_add_u64 v[28:29], v[30:31], 3, s[0:1]
	v_lshl_add_u64 v[30:31], v[34:35], 3, s[0:1]
	v_add_u32_e32 v34, s5, v34
	v_ashrrev_i32_e32 v35, 31, v34
	v_add_u32_e32 v38, s5, v34
	v_ashrrev_i32_e32 v39, 31, v38
	s_waitcnt vmcnt(0) lgkmcnt(0)
	scratch_store_dwordx2 off, v[32:33], off offset:96
	flat_load_dwordx2 v[32:33], v[28:29]
	s_waitcnt vmcnt(0) lgkmcnt(0)
	scratch_store_dwordx2 off, v[32:33], off offset:104
	flat_load_dwordx2 v[36:37], v[30:31]
	v_lshl_add_u64 v[32:33], v[34:35], 3, s[0:1]
	v_lshl_add_u64 v[34:35], v[38:39], 3, s[0:1]
	v_add_u32_e32 v38, s5, v38
	v_ashrrev_i32_e32 v39, 31, v38
	v_add_u32_e32 v42, s5, v38
	v_ashrrev_i32_e32 v43, 31, v42
	s_waitcnt vmcnt(0) lgkmcnt(0)
	scratch_store_dwordx2 off, v[36:37], off offset:112
	flat_load_dwordx2 v[36:37], v[32:33]
	s_waitcnt vmcnt(0) lgkmcnt(0)
	scratch_store_dwordx2 off, v[36:37], off offset:120
	flat_load_dwordx2 v[40:41], v[34:35]
	v_lshl_add_u64 v[36:37], v[38:39], 3, s[0:1]
	v_lshl_add_u64 v[38:39], v[42:43], 3, s[0:1]
	v_add_u32_e32 v42, s5, v42
	v_ashrrev_i32_e32 v43, 31, v42
	v_add_u32_e32 v46, s5, v42
	v_ashrrev_i32_e32 v47, 31, v46
	s_waitcnt vmcnt(0) lgkmcnt(0)
	scratch_store_dwordx2 off, v[40:41], off offset:128
	flat_load_dwordx2 v[40:41], v[36:37]
	s_waitcnt vmcnt(0) lgkmcnt(0)
	scratch_store_dwordx2 off, v[40:41], off offset:136
	flat_load_dwordx2 v[44:45], v[38:39]
	v_lshl_add_u64 v[40:41], v[42:43], 3, s[0:1]
	v_lshl_add_u64 v[42:43], v[46:47], 3, s[0:1]
	v_add_u32_e32 v46, s5, v46
	v_ashrrev_i32_e32 v47, 31, v46
	s_waitcnt vmcnt(0) lgkmcnt(0)
	scratch_store_dwordx2 off, v[44:45], off offset:144
	flat_load_dwordx2 v[44:45], v[40:41]
	s_waitcnt vmcnt(0) lgkmcnt(0)
	scratch_store_dwordx2 off, v[44:45], off offset:152
	flat_load_dwordx2 v[50:51], v[42:43]
	v_lshl_add_u64 v[44:45], v[46:47], 3, s[0:1]
	v_add_u32_e32 v46, s5, v46
	v_ashrrev_i32_e32 v47, 31, v46
	v_lshl_add_u64 v[46:47], v[46:47], 3, s[0:1]
	s_mov_b64 s[4:5], -1
	s_waitcnt vmcnt(0) lgkmcnt(0)
	scratch_store_dwordx2 off, v[50:51], off offset:160
	flat_load_dwordx2 v[50:51], v[44:45]
	s_waitcnt vmcnt(0) lgkmcnt(0)
	scratch_store_dwordx2 off, v[50:51], off offset:168
	flat_load_dwordx2 v[50:51], v[46:47]
	s_waitcnt vmcnt(0) lgkmcnt(0)
	scratch_store_dwordx2 off, v[50:51], off offset:176
	s_cbranch_scc1 .LBB86_104
; %bb.4:
	v_cmp_eq_u32_e64 s[0:1], 0, v0
	s_and_saveexec_b64 s[4:5], s[0:1]
; %bb.5:
	v_mov_b32_e32 v1, 0
	ds_write_b32 v1, v1 offset:184
; %bb.6:
	s_or_b64 exec, exec, s[4:5]
	s_waitcnt lgkmcnt(0)
	; wave barrier
	scratch_load_dwordx2 v[50:51], v48, off
	s_waitcnt vmcnt(0)
	v_cmp_eq_f32_e32 vcc, 0, v50
	v_cmp_eq_f32_e64 s[4:5], 0, v51
	s_and_b64 s[4:5], vcc, s[4:5]
	s_and_saveexec_b64 s[12:13], s[4:5]
	s_cbranch_execz .LBB86_10
; %bb.7:
	v_mov_b32_e32 v1, 0
	ds_read_b32 v50, v1 offset:184
	v_add_u32_e32 v49, 1, v0
	s_waitcnt lgkmcnt(0)
	v_readfirstlane_b32 s4, v50
	s_cmp_eq_u32 s4, 0
	s_cselect_b64 s[14:15], -1, 0
	v_cmp_gt_i32_e32 vcc, s4, v49
	s_or_b64 s[14:15], s[14:15], vcc
	s_and_b64 exec, exec, s[14:15]
	s_cbranch_execz .LBB86_10
; %bb.8:
	s_mov_b64 s[14:15], 0
	v_mov_b32_e32 v50, s4
.LBB86_9:                               ; =>This Inner Loop Header: Depth=1
	ds_cmpst_rtn_b32 v50, v1, v50, v49 offset:184
	s_waitcnt lgkmcnt(0)
	v_cmp_ne_u32_e32 vcc, 0, v50
	v_cmp_le_i32_e64 s[4:5], v50, v49
	s_and_b64 s[4:5], vcc, s[4:5]
	s_and_b64 s[4:5], exec, s[4:5]
	s_or_b64 s[14:15], s[4:5], s[14:15]
	s_andn2_b64 exec, exec, s[14:15]
	s_cbranch_execnz .LBB86_9
.LBB86_10:
	s_or_b64 exec, exec, s[12:13]
	v_mov_b32_e32 v49, 0
	; wave barrier
	ds_read_b32 v1, v49 offset:184
	s_and_saveexec_b64 s[4:5], s[0:1]
	s_cbranch_execz .LBB86_12
; %bb.11:
	s_lshl_b64 s[12:13], s[2:3], 2
	s_add_u32 s12, s6, s12
	s_addc_u32 s13, s7, s13
	s_waitcnt lgkmcnt(0)
	global_store_dword v49, v1, s[12:13]
.LBB86_12:
	s_or_b64 exec, exec, s[4:5]
	s_waitcnt lgkmcnt(0)
	v_cmp_ne_u32_e32 vcc, 0, v1
	s_mov_b64 s[4:5], 0
	s_cbranch_vccnz .LBB86_104
; %bb.13:
	v_mov_b32_e32 v49, v48
	scratch_load_dwordx2 v[50:51], v49, off
                                        ; implicit-def: $vgpr53
                                        ; implicit-def: $vgpr54
	s_waitcnt vmcnt(0)
	v_cmp_ngt_f32_e64 s[4:5], |v50|, |v51|
	s_and_saveexec_b64 s[12:13], s[4:5]
	s_xor_b64 s[4:5], exec, s[12:13]
	s_cbranch_execz .LBB86_15
; %bb.14:
	v_div_scale_f32 v1, s[12:13], v51, v51, v50
	v_rcp_f32_e32 v52, v1
	v_div_scale_f32 v53, vcc, v50, v51, v50
	v_fma_f32 v54, -v1, v52, 1.0
	v_fmac_f32_e32 v52, v54, v52
	v_mul_f32_e32 v54, v53, v52
	v_fma_f32 v55, -v1, v54, v53
	v_fmac_f32_e32 v54, v55, v52
	v_fma_f32 v1, -v1, v54, v53
	v_div_fmas_f32 v1, v1, v52, v54
	v_div_fixup_f32 v1, v1, v51, v50
	v_fmac_f32_e32 v51, v50, v1
	v_div_scale_f32 v50, s[12:13], v51, v51, -1.0
	v_rcp_f32_e32 v52, v50
	s_nop 0
	v_fma_f32 v53, -v50, v52, 1.0
	v_fmac_f32_e32 v52, v53, v52
	v_div_scale_f32 v53, vcc, -1.0, v51, -1.0
	v_mul_f32_e32 v54, v53, v52
	v_fma_f32 v55, -v50, v54, v53
	v_fmac_f32_e32 v54, v55, v52
	v_fma_f32 v50, -v50, v54, v53
	v_div_fmas_f32 v50, v50, v52, v54
	v_div_fixup_f32 v53, v50, v51, -1.0
	v_mul_f32_e32 v54, v1, v53
	v_xor_b32_e32 v52, 0x80000000, v54
                                        ; implicit-def: $vgpr50_vgpr51
.LBB86_15:
	s_andn2_saveexec_b64 s[4:5], s[4:5]
	s_cbranch_execz .LBB86_17
; %bb.16:
	v_div_scale_f32 v1, s[12:13], v50, v50, v51
	v_rcp_f32_e32 v52, v1
	v_div_scale_f32 v53, vcc, v51, v50, v51
	v_fma_f32 v54, -v1, v52, 1.0
	v_fmac_f32_e32 v52, v54, v52
	v_mul_f32_e32 v54, v53, v52
	v_fma_f32 v55, -v1, v54, v53
	v_fmac_f32_e32 v54, v55, v52
	v_fma_f32 v1, -v1, v54, v53
	v_div_fmas_f32 v1, v1, v52, v54
	v_div_fixup_f32 v1, v1, v50, v51
	v_fmac_f32_e32 v50, v51, v1
	v_div_scale_f32 v51, s[12:13], v50, v50, 1.0
	v_rcp_f32_e32 v52, v51
	s_nop 0
	v_fma_f32 v53, -v51, v52, 1.0
	v_fmac_f32_e32 v52, v53, v52
	v_div_scale_f32 v53, vcc, 1.0, v50, 1.0
	v_mul_f32_e32 v54, v53, v52
	v_fma_f32 v55, -v51, v54, v53
	v_fmac_f32_e32 v54, v55, v52
	v_fma_f32 v51, -v51, v54, v53
	v_div_fmas_f32 v51, v51, v52, v54
	v_div_fixup_f32 v52, v51, v50, 1.0
	v_xor_b32_e32 v54, 0x80000000, v52
	v_mul_f32_e64 v53, v1, -v52
.LBB86_17:
	s_or_b64 exec, exec, s[4:5]
	scratch_store_dwordx2 v49, v[52:53], off
	scratch_load_dwordx2 v[50:51], off, off offset:8
	v_xor_b32_e32 v55, 0x80000000, v53
	v_add_u32_e32 v1, 0xc0, v48
	s_waitcnt vmcnt(0)
	ds_write2_b64 v48, v[54:55], v[50:51] offset1:24
	s_waitcnt lgkmcnt(0)
	; wave barrier
	s_and_saveexec_b64 s[4:5], s[0:1]
	s_cbranch_execz .LBB86_19
; %bb.18:
	scratch_load_dwordx2 v[50:51], v49, off
	ds_read_b64 v[52:53], v1
	v_mov_b32_e32 v54, 0
	ds_read_b64 v[54:55], v54 offset:8
	s_waitcnt vmcnt(0) lgkmcnt(1)
	v_pk_mul_f32 v[56:57], v[52:53], v[50:51] op_sel:[1,1] op_sel_hi:[0,1]
	v_pk_fma_f32 v[58:59], v[52:53], v[50:51], v[56:57] neg_lo:[0,0,1] neg_hi:[0,0,1]
	v_pk_fma_f32 v[50:51], v[52:53], v[50:51], v[56:57] op_sel_hi:[1,0,1]
	s_nop 0
	v_mov_b32_e32 v59, v51
	v_pk_add_f32 v[50:51], v[58:59], 0 op_sel_hi:[1,0]
	s_waitcnt lgkmcnt(0)
	v_pk_mul_f32 v[52:53], v[50:51], v[54:55] op_sel:[1,1] op_sel_hi:[0,1]
	v_pk_fma_f32 v[56:57], v[50:51], v[54:55], v[52:53] neg_lo:[0,0,1] neg_hi:[0,0,1]
	v_pk_fma_f32 v[50:51], v[50:51], v[54:55], v[52:53] op_sel_hi:[1,0,1]
	s_nop 0
	v_mov_b32_e32 v57, v51
	scratch_store_dwordx2 off, v[56:57], off offset:8
.LBB86_19:
	s_or_b64 exec, exec, s[4:5]
	; wave barrier
	scratch_load_dwordx2 v[50:51], off, off offset:16
	v_cmp_gt_u32_e32 vcc, 2, v0
	s_waitcnt vmcnt(0)
	ds_write_b64 v1, v[50:51]
	s_waitcnt lgkmcnt(0)
	; wave barrier
	s_and_saveexec_b64 s[4:5], vcc
	s_cbranch_execz .LBB86_23
; %bb.20:
	scratch_load_dwordx2 v[50:51], v49, off
	ds_read_b64 v[52:53], v1
	s_waitcnt vmcnt(0) lgkmcnt(0)
	v_pk_mul_f32 v[54:55], v[52:53], v[50:51] op_sel:[1,1] op_sel_hi:[0,1]
	v_pk_fma_f32 v[56:57], v[52:53], v[50:51], v[54:55] neg_lo:[0,0,1] neg_hi:[0,0,1]
	v_pk_fma_f32 v[50:51], v[52:53], v[50:51], v[54:55] op_sel_hi:[1,0,1]
	s_nop 0
	v_mov_b32_e32 v57, v51
	v_pk_add_f32 v[50:51], v[56:57], 0 op_sel_hi:[1,0]
	s_and_saveexec_b64 s[12:13], s[0:1]
	s_cbranch_execz .LBB86_22
; %bb.21:
	scratch_load_dwordx2 v[52:53], off, off offset:8
	v_mov_b32_e32 v49, 0
	ds_read_b64 v[54:55], v49 offset:200
	s_waitcnt vmcnt(0) lgkmcnt(0)
	v_pk_mul_f32 v[56:57], v[54:55], v[52:53] op_sel:[1,1] op_sel_hi:[0,1]
	v_pk_fma_f32 v[58:59], v[54:55], v[52:53], v[56:57] neg_lo:[0,0,1] neg_hi:[0,0,1]
	v_pk_fma_f32 v[52:53], v[54:55], v[52:53], v[56:57] op_sel_hi:[1,0,1]
	s_nop 0
	v_mov_b32_e32 v59, v53
	v_pk_add_f32 v[50:51], v[50:51], v[58:59]
.LBB86_22:
	s_or_b64 exec, exec, s[12:13]
	v_mov_b32_e32 v49, 0
	ds_read_b64 v[52:53], v49 offset:16
	s_waitcnt lgkmcnt(0)
	v_pk_mul_f32 v[54:55], v[50:51], v[52:53] op_sel:[1,1] op_sel_hi:[0,1]
	v_pk_fma_f32 v[56:57], v[50:51], v[52:53], v[54:55] neg_lo:[0,0,1] neg_hi:[0,0,1]
	v_pk_fma_f32 v[50:51], v[50:51], v[52:53], v[54:55] op_sel_hi:[1,0,1]
	s_nop 0
	v_mov_b32_e32 v57, v51
	scratch_store_dwordx2 off, v[56:57], off offset:16
.LBB86_23:
	s_or_b64 exec, exec, s[4:5]
	; wave barrier
	scratch_load_dwordx2 v[50:51], off, off offset:24
	v_cmp_gt_u32_e32 vcc, 3, v0
	v_add_u32_e32 v52, -1, v0
	s_waitcnt vmcnt(0)
	ds_write_b64 v1, v[50:51]
	s_waitcnt lgkmcnt(0)
	; wave barrier
	s_and_saveexec_b64 s[0:1], vcc
	s_cbranch_execz .LBB86_27
; %bb.24:
	v_mov_b32_e32 v50, 0
	v_add_u32_e32 v49, -1, v0
	v_add_u32_e32 v53, 0xc0, v48
	v_mov_b32_e32 v54, v48
	s_mov_b64 s[4:5], 0
	v_mov_b32_e32 v51, v50
.LBB86_25:                              ; =>This Inner Loop Header: Depth=1
	scratch_load_dwordx2 v[56:57], v54, off
	ds_read_b64 v[58:59], v53
	v_add_u32_e32 v49, 1, v49
	v_cmp_lt_u32_e32 vcc, 1, v49
	v_add_u32_e32 v53, 8, v53
	v_add_u32_e32 v54, 8, v54
	s_or_b64 s[4:5], vcc, s[4:5]
	s_waitcnt vmcnt(0) lgkmcnt(0)
	v_pk_mul_f32 v[60:61], v[58:59], v[56:57] op_sel:[1,1] op_sel_hi:[0,1]
	v_pk_fma_f32 v[62:63], v[58:59], v[56:57], v[60:61] neg_lo:[0,0,1] neg_hi:[0,0,1]
	v_pk_fma_f32 v[56:57], v[58:59], v[56:57], v[60:61] op_sel_hi:[1,0,1]
	s_nop 0
	v_mov_b32_e32 v63, v57
	v_pk_add_f32 v[50:51], v[50:51], v[62:63]
	s_andn2_b64 exec, exec, s[4:5]
	s_cbranch_execnz .LBB86_25
; %bb.26:
	s_or_b64 exec, exec, s[4:5]
	v_mov_b32_e32 v49, 0
	ds_read_b64 v[54:55], v49 offset:24
	s_waitcnt lgkmcnt(0)
	v_pk_mul_f32 v[56:57], v[50:51], v[54:55] op_sel:[1,1] op_sel_hi:[0,1]
	v_pk_fma_f32 v[58:59], v[50:51], v[54:55], v[56:57] neg_lo:[0,0,1] neg_hi:[0,0,1]
	v_pk_fma_f32 v[50:51], v[50:51], v[54:55], v[56:57] op_sel_hi:[1,0,1]
	s_nop 0
	v_mov_b32_e32 v59, v51
	scratch_store_dwordx2 off, v[58:59], off offset:24
.LBB86_27:
	s_or_b64 exec, exec, s[0:1]
	; wave barrier
	scratch_load_dwordx2 v[50:51], off, off offset:32
	v_cmp_gt_u32_e32 vcc, 4, v0
	s_waitcnt vmcnt(0)
	ds_write_b64 v1, v[50:51]
	s_waitcnt lgkmcnt(0)
	; wave barrier
	s_and_saveexec_b64 s[0:1], vcc
	s_cbranch_execz .LBB86_31
; %bb.28:
	v_mov_b32_e32 v50, 0
	v_add_u32_e32 v49, -1, v0
	v_add_u32_e32 v53, 0xc0, v48
	v_mov_b32_e32 v54, v48
	s_mov_b64 s[4:5], 0
	v_mov_b32_e32 v51, v50
.LBB86_29:                              ; =>This Inner Loop Header: Depth=1
	scratch_load_dwordx2 v[56:57], v54, off
	ds_read_b64 v[58:59], v53
	v_add_u32_e32 v49, 1, v49
	v_cmp_lt_u32_e32 vcc, 2, v49
	v_add_u32_e32 v53, 8, v53
	v_add_u32_e32 v54, 8, v54
	s_or_b64 s[4:5], vcc, s[4:5]
	s_waitcnt vmcnt(0) lgkmcnt(0)
	v_pk_mul_f32 v[60:61], v[58:59], v[56:57] op_sel:[1,1] op_sel_hi:[0,1]
	v_pk_fma_f32 v[62:63], v[58:59], v[56:57], v[60:61] neg_lo:[0,0,1] neg_hi:[0,0,1]
	v_pk_fma_f32 v[56:57], v[58:59], v[56:57], v[60:61] op_sel_hi:[1,0,1]
	s_nop 0
	v_mov_b32_e32 v63, v57
	v_pk_add_f32 v[50:51], v[50:51], v[62:63]
	s_andn2_b64 exec, exec, s[4:5]
	s_cbranch_execnz .LBB86_29
; %bb.30:
	s_or_b64 exec, exec, s[4:5]
	v_mov_b32_e32 v49, 0
	ds_read_b64 v[54:55], v49 offset:32
	s_waitcnt lgkmcnt(0)
	v_pk_mul_f32 v[56:57], v[50:51], v[54:55] op_sel:[1,1] op_sel_hi:[0,1]
	v_pk_fma_f32 v[58:59], v[50:51], v[54:55], v[56:57] neg_lo:[0,0,1] neg_hi:[0,0,1]
	v_pk_fma_f32 v[50:51], v[50:51], v[54:55], v[56:57] op_sel_hi:[1,0,1]
	s_nop 0
	v_mov_b32_e32 v59, v51
	scratch_store_dwordx2 off, v[58:59], off offset:32
.LBB86_31:
	s_or_b64 exec, exec, s[0:1]
	; wave barrier
	scratch_load_dwordx2 v[50:51], off, off offset:40
	v_cmp_gt_u32_e32 vcc, 5, v0
	;; [unrolled: 46-line block ×18, first 2 shown]
	s_waitcnt vmcnt(0)
	ds_write_b64 v1, v[50:51]
	s_waitcnt lgkmcnt(0)
	; wave barrier
	s_and_saveexec_b64 s[0:1], vcc
	s_cbranch_execz .LBB86_99
; %bb.96:
	v_mov_b32_e32 v50, 0
	v_add_u32_e32 v49, -1, v0
	v_add_u32_e32 v53, 0xc0, v48
	v_mov_b32_e32 v54, v48
	s_mov_b64 s[4:5], 0
	v_mov_b32_e32 v51, v50
.LBB86_97:                              ; =>This Inner Loop Header: Depth=1
	scratch_load_dwordx2 v[56:57], v54, off
	ds_read_b64 v[58:59], v53
	v_add_u32_e32 v49, 1, v49
	v_cmp_lt_u32_e32 vcc, 19, v49
	v_add_u32_e32 v53, 8, v53
	v_add_u32_e32 v54, 8, v54
	s_or_b64 s[4:5], vcc, s[4:5]
	s_waitcnt vmcnt(0) lgkmcnt(0)
	v_pk_mul_f32 v[60:61], v[58:59], v[56:57] op_sel:[1,1] op_sel_hi:[0,1]
	v_pk_fma_f32 v[62:63], v[58:59], v[56:57], v[60:61] neg_lo:[0,0,1] neg_hi:[0,0,1]
	v_pk_fma_f32 v[56:57], v[58:59], v[56:57], v[60:61] op_sel_hi:[1,0,1]
	s_nop 0
	v_mov_b32_e32 v63, v57
	v_pk_add_f32 v[50:51], v[50:51], v[62:63]
	s_andn2_b64 exec, exec, s[4:5]
	s_cbranch_execnz .LBB86_97
; %bb.98:
	s_or_b64 exec, exec, s[4:5]
	v_mov_b32_e32 v49, 0
	ds_read_b64 v[54:55], v49 offset:168
	s_waitcnt lgkmcnt(0)
	v_pk_mul_f32 v[56:57], v[50:51], v[54:55] op_sel:[1,1] op_sel_hi:[0,1]
	v_pk_fma_f32 v[58:59], v[50:51], v[54:55], v[56:57] neg_lo:[0,0,1] neg_hi:[0,0,1]
	v_pk_fma_f32 v[50:51], v[50:51], v[54:55], v[56:57] op_sel_hi:[1,0,1]
	s_nop 0
	v_mov_b32_e32 v59, v51
	scratch_store_dwordx2 off, v[58:59], off offset:168
.LBB86_99:
	s_or_b64 exec, exec, s[0:1]
	; wave barrier
	scratch_load_dwordx2 v[50:51], off, off offset:176
	v_cmp_ne_u32_e32 vcc, 22, v0
	s_waitcnt vmcnt(0)
	ds_write_b64 v1, v[50:51]
	s_waitcnt lgkmcnt(0)
	; wave barrier
	s_and_saveexec_b64 s[0:1], vcc
	s_cbranch_execz .LBB86_103
; %bb.100:
	v_add_u32_e32 v1, 0xc0, v48
	v_mov_b32_e32 v50, v48
	v_mov_b32_e32 v48, 0
	s_mov_b64 s[4:5], 0
	v_mov_b32_e32 v49, v48
.LBB86_101:                             ; =>This Inner Loop Header: Depth=1
	scratch_load_dwordx2 v[54:55], v50, off
	ds_read_b64 v[56:57], v1
	v_add_u32_e32 v52, 1, v52
	v_cmp_lt_u32_e32 vcc, 20, v52
	v_add_u32_e32 v1, 8, v1
	v_add_u32_e32 v50, 8, v50
	s_or_b64 s[4:5], vcc, s[4:5]
	s_waitcnt vmcnt(0) lgkmcnt(0)
	v_pk_mul_f32 v[58:59], v[56:57], v[54:55] op_sel:[1,1] op_sel_hi:[0,1]
	v_pk_fma_f32 v[60:61], v[56:57], v[54:55], v[58:59] neg_lo:[0,0,1] neg_hi:[0,0,1]
	v_pk_fma_f32 v[54:55], v[56:57], v[54:55], v[58:59] op_sel_hi:[1,0,1]
	s_nop 0
	v_mov_b32_e32 v61, v55
	v_pk_add_f32 v[48:49], v[48:49], v[60:61]
	s_andn2_b64 exec, exec, s[4:5]
	s_cbranch_execnz .LBB86_101
; %bb.102:
	s_or_b64 exec, exec, s[4:5]
	v_mov_b32_e32 v1, 0
	ds_read_b64 v[50:51], v1 offset:176
	s_waitcnt lgkmcnt(0)
	v_pk_mul_f32 v[52:53], v[48:49], v[50:51] op_sel:[1,1] op_sel_hi:[0,1]
	v_pk_fma_f32 v[54:55], v[48:49], v[50:51], v[52:53] neg_lo:[0,0,1] neg_hi:[0,0,1]
	v_pk_fma_f32 v[48:49], v[48:49], v[50:51], v[52:53] op_sel_hi:[1,0,1]
	s_nop 0
	v_mov_b32_e32 v55, v49
	scratch_store_dwordx2 off, v[54:55], off offset:176
.LBB86_103:
	s_or_b64 exec, exec, s[0:1]
	s_mov_b64 s[4:5], -1
	; wave barrier
.LBB86_104:
	s_and_b64 vcc, exec, s[4:5]
	s_cbranch_vccz .LBB86_106
; %bb.105:
	s_lshl_b64 s[0:1], s[2:3], 2
	s_add_u32 s0, s6, s0
	s_addc_u32 s1, s7, s1
	v_mov_b32_e32 v1, 0
	global_load_dword v1, v1, s[0:1]
	s_waitcnt vmcnt(0)
	v_cmp_ne_u32_e32 vcc, 0, v1
	s_cbranch_vccz .LBB86_107
.LBB86_106:
	s_endpgm
.LBB86_107:
	v_mov_b32_e32 v1, 0xc0
	v_lshl_add_u32 v1, v0, 3, v1
	v_cmp_eq_u32_e32 vcc, 22, v0
	s_and_saveexec_b64 s[0:1], vcc
	s_cbranch_execz .LBB86_109
; %bb.108:
	scratch_load_dwordx2 v[48:49], off, off offset:168
	v_mov_b32_e32 v50, 0
	v_mov_b32_e32 v51, v50
	scratch_store_dwordx2 off, v[50:51], off offset:168
	s_waitcnt vmcnt(1)
	ds_write_b64 v1, v[48:49]
.LBB86_109:
	s_or_b64 exec, exec, s[0:1]
	s_waitcnt lgkmcnt(0)
	; wave barrier
	scratch_load_dwordx2 v[50:51], off, off offset:176
	scratch_load_dwordx2 v[52:53], off, off offset:168
	v_mov_b32_e32 v48, 0
	ds_read_b64 v[54:55], v48 offset:368
	v_cmp_lt_u32_e32 vcc, 20, v0
	s_waitcnt vmcnt(1) lgkmcnt(0)
	v_pk_mul_f32 v[56:57], v[54:55], v[50:51] op_sel:[1,1] op_sel_hi:[0,1]
	v_pk_fma_f32 v[58:59], v[54:55], v[50:51], v[56:57] neg_lo:[0,0,1] neg_hi:[0,0,1]
	v_pk_fma_f32 v[50:51], v[54:55], v[50:51], v[56:57] op_sel_hi:[1,0,1]
	s_nop 0
	v_mov_b32_e32 v59, v51
	v_pk_add_f32 v[50:51], v[58:59], 0 op_sel_hi:[1,0]
	s_waitcnt vmcnt(0)
	v_pk_add_f32 v[50:51], v[52:53], v[50:51] neg_lo:[0,1] neg_hi:[0,1]
	scratch_store_dwordx2 off, v[50:51], off offset:168
	s_and_saveexec_b64 s[0:1], vcc
	s_cbranch_execz .LBB86_111
; %bb.110:
	scratch_load_dwordx2 v[50:51], off, off offset:160
	v_mov_b32_e32 v49, v48
	scratch_store_dwordx2 off, v[48:49], off offset:160
	s_waitcnt vmcnt(1)
	ds_write_b64 v1, v[50:51]
.LBB86_111:
	s_or_b64 exec, exec, s[0:1]
	s_waitcnt lgkmcnt(0)
	; wave barrier
	scratch_load_dwordx4 v[50:53], off, off offset:168
	scratch_load_dwordx2 v[58:59], off, off offset:160
	ds_read2_b64 v[54:57], v48 offset0:45 offset1:46
	v_cmp_lt_u32_e32 vcc, 19, v0
	s_waitcnt vmcnt(1) lgkmcnt(0)
	v_pk_mul_f32 v[48:49], v[54:55], v[50:51] op_sel:[1,1] op_sel_hi:[0,1]
	v_mov_b32_e32 v60, v53
	v_pk_fma_f32 v[62:63], v[54:55], v[50:51], v[48:49] neg_lo:[0,0,1] neg_hi:[0,0,1]
	v_pk_fma_f32 v[48:49], v[54:55], v[50:51], v[48:49] op_sel_hi:[1,0,1]
	v_pk_mul_f32 v[50:51], v[56:57], v[60:61] op_sel:[1,0] op_sel_hi:[0,0]
	v_mov_b32_e32 v63, v49
	v_pk_fma_f32 v[48:49], v[56:57], v[52:53], v[50:51] neg_lo:[0,0,1] neg_hi:[0,0,1]
	v_pk_fma_f32 v[50:51], v[56:57], v[52:53], v[50:51] op_sel_hi:[1,0,1]
	v_pk_add_f32 v[52:53], v[62:63], 0 op_sel_hi:[1,0]
	v_mov_b32_e32 v49, v51
	v_pk_add_f32 v[48:49], v[52:53], v[48:49]
	s_waitcnt vmcnt(0)
	v_pk_add_f32 v[48:49], v[58:59], v[48:49] neg_lo:[0,1] neg_hi:[0,1]
	scratch_store_dwordx2 off, v[48:49], off offset:160
	s_and_saveexec_b64 s[0:1], vcc
	s_cbranch_execz .LBB86_113
; %bb.112:
	scratch_load_dwordx2 v[48:49], off, off offset:152
	v_mov_b32_e32 v50, 0
	v_mov_b32_e32 v51, v50
	scratch_store_dwordx2 off, v[50:51], off offset:152
	s_waitcnt vmcnt(1)
	ds_write_b64 v1, v[48:49]
.LBB86_113:
	s_or_b64 exec, exec, s[0:1]
	s_waitcnt lgkmcnt(0)
	; wave barrier
	scratch_load_dwordx4 v[50:53], off, off offset:160
	scratch_load_dwordx2 v[58:59], off, off offset:176
	scratch_load_dwordx2 v[60:61], off, off offset:152
	v_mov_b32_e32 v48, 0
	ds_read_b128 v[54:57], v48 offset:352
	ds_read_b64 v[62:63], v48 offset:368
	v_cmp_lt_u32_e32 vcc, 18, v0
	s_waitcnt vmcnt(2) lgkmcnt(1)
	v_pk_mul_f32 v[64:65], v[54:55], v[50:51] op_sel:[1,1] op_sel_hi:[0,1]
	v_mov_b32_e32 v66, v53
	v_pk_fma_f32 v[70:71], v[54:55], v[50:51], v[64:65] neg_lo:[0,0,1] neg_hi:[0,0,1]
	v_pk_fma_f32 v[50:51], v[54:55], v[50:51], v[64:65] op_sel_hi:[1,0,1]
	v_pk_mul_f32 v[54:55], v[56:57], v[66:67] op_sel:[1,0] op_sel_hi:[0,0]
	s_waitcnt vmcnt(1) lgkmcnt(0)
	v_pk_mul_f32 v[68:69], v[62:63], v[58:59] op_sel:[1,1] op_sel_hi:[0,1]
	v_mov_b32_e32 v71, v51
	v_pk_fma_f32 v[50:51], v[56:57], v[52:53], v[54:55] neg_lo:[0,0,1] neg_hi:[0,0,1]
	v_pk_fma_f32 v[52:53], v[56:57], v[52:53], v[54:55] op_sel_hi:[1,0,1]
	v_pk_fma_f32 v[64:65], v[62:63], v[58:59], v[68:69] neg_lo:[0,0,1] neg_hi:[0,0,1]
	v_pk_fma_f32 v[58:59], v[62:63], v[58:59], v[68:69] op_sel_hi:[1,0,1]
	v_pk_add_f32 v[54:55], v[70:71], 0 op_sel_hi:[1,0]
	v_mov_b32_e32 v51, v53
	v_mov_b32_e32 v65, v59
	v_pk_add_f32 v[50:51], v[54:55], v[50:51]
	s_nop 0
	v_pk_add_f32 v[50:51], v[50:51], v[64:65]
	s_waitcnt vmcnt(0)
	v_pk_add_f32 v[50:51], v[60:61], v[50:51] neg_lo:[0,1] neg_hi:[0,1]
	scratch_store_dwordx2 off, v[50:51], off offset:152
	s_and_saveexec_b64 s[0:1], vcc
	s_cbranch_execz .LBB86_115
; %bb.114:
	scratch_load_dwordx2 v[50:51], off, off offset:144
	v_mov_b32_e32 v49, v48
	scratch_store_dwordx2 off, v[48:49], off offset:144
	s_waitcnt vmcnt(1)
	ds_write_b64 v1, v[50:51]
.LBB86_115:
	s_or_b64 exec, exec, s[0:1]
	s_waitcnt lgkmcnt(0)
	; wave barrier
	scratch_load_dwordx4 v[50:53], off, off offset:152
	scratch_load_dwordx4 v[54:57], off, off offset:168
	scratch_load_dwordx2 v[66:67], off, off offset:144
	ds_read2_b64 v[58:61], v48 offset0:43 offset1:44
	ds_read2_b64 v[62:65], v48 offset0:45 offset1:46
	v_cmp_lt_u32_e32 vcc, 17, v0
	s_waitcnt vmcnt(2) lgkmcnt(1)
	v_pk_mul_f32 v[48:49], v[58:59], v[50:51] op_sel:[1,1] op_sel_hi:[0,1]
	v_mov_b32_e32 v68, v53
	s_waitcnt vmcnt(1) lgkmcnt(0)
	v_pk_mul_f32 v[70:71], v[62:63], v[54:55] op_sel:[1,1] op_sel_hi:[0,1]
	v_mov_b32_e32 v72, v57
	v_pk_fma_f32 v[74:75], v[58:59], v[50:51], v[48:49] neg_lo:[0,0,1] neg_hi:[0,0,1]
	v_pk_fma_f32 v[48:49], v[58:59], v[50:51], v[48:49] op_sel_hi:[1,0,1]
	v_pk_mul_f32 v[50:51], v[60:61], v[68:69] op_sel:[1,0] op_sel_hi:[0,0]
	v_pk_fma_f32 v[58:59], v[62:63], v[54:55], v[70:71] neg_lo:[0,0,1] neg_hi:[0,0,1]
	v_pk_fma_f32 v[54:55], v[62:63], v[54:55], v[70:71] op_sel_hi:[1,0,1]
	v_pk_mul_f32 v[62:63], v[64:65], v[72:73] op_sel:[1,0] op_sel_hi:[0,0]
	v_mov_b32_e32 v75, v49
	v_pk_fma_f32 v[48:49], v[60:61], v[52:53], v[50:51] neg_lo:[0,0,1] neg_hi:[0,0,1]
	v_pk_fma_f32 v[50:51], v[60:61], v[52:53], v[50:51] op_sel_hi:[1,0,1]
	v_mov_b32_e32 v59, v55
	v_pk_fma_f32 v[52:53], v[64:65], v[56:57], v[62:63] neg_lo:[0,0,1] neg_hi:[0,0,1]
	v_pk_fma_f32 v[54:55], v[64:65], v[56:57], v[62:63] op_sel_hi:[1,0,1]
	v_pk_add_f32 v[56:57], v[74:75], 0 op_sel_hi:[1,0]
	v_mov_b32_e32 v49, v51
	v_pk_add_f32 v[48:49], v[56:57], v[48:49]
	v_mov_b32_e32 v53, v55
	v_pk_add_f32 v[48:49], v[48:49], v[58:59]
	s_nop 0
	v_pk_add_f32 v[48:49], v[48:49], v[52:53]
	s_waitcnt vmcnt(0)
	v_pk_add_f32 v[48:49], v[66:67], v[48:49] neg_lo:[0,1] neg_hi:[0,1]
	scratch_store_dwordx2 off, v[48:49], off offset:144
	s_and_saveexec_b64 s[0:1], vcc
	s_cbranch_execz .LBB86_117
; %bb.116:
	scratch_load_dwordx2 v[48:49], off, off offset:136
	v_mov_b32_e32 v50, 0
	v_mov_b32_e32 v51, v50
	scratch_store_dwordx2 off, v[50:51], off offset:136
	s_waitcnt vmcnt(1)
	ds_write_b64 v1, v[48:49]
.LBB86_117:
	s_or_b64 exec, exec, s[0:1]
	s_waitcnt lgkmcnt(0)
	; wave barrier
	scratch_load_dwordx4 v[50:53], off, off offset:144
	scratch_load_dwordx4 v[54:57], off, off offset:160
	scratch_load_dwordx2 v[66:67], off, off offset:176
	scratch_load_dwordx2 v[68:69], off, off offset:136
	v_mov_b32_e32 v48, 0
	ds_read_b128 v[58:61], v48 offset:336
	ds_read_b128 v[62:65], v48 offset:352
	ds_read_b64 v[70:71], v48 offset:368
	v_cmp_lt_u32_e32 vcc, 16, v0
	s_waitcnt vmcnt(3) lgkmcnt(2)
	v_pk_mul_f32 v[72:73], v[58:59], v[50:51] op_sel:[1,1] op_sel_hi:[0,1]
	v_mov_b32_e32 v74, v53
	v_pk_fma_f32 v[82:83], v[58:59], v[50:51], v[72:73] neg_lo:[0,0,1] neg_hi:[0,0,1]
	v_pk_fma_f32 v[50:51], v[58:59], v[50:51], v[72:73] op_sel_hi:[1,0,1]
	v_pk_mul_f32 v[58:59], v[60:61], v[74:75] op_sel:[1,0] op_sel_hi:[0,0]
	s_waitcnt vmcnt(2) lgkmcnt(1)
	v_pk_mul_f32 v[76:77], v[62:63], v[54:55] op_sel:[1,1] op_sel_hi:[0,1]
	v_mov_b32_e32 v78, v57
	v_mov_b32_e32 v83, v51
	v_pk_fma_f32 v[50:51], v[60:61], v[52:53], v[58:59] neg_lo:[0,0,1] neg_hi:[0,0,1]
	v_pk_fma_f32 v[52:53], v[60:61], v[52:53], v[58:59] op_sel_hi:[1,0,1]
	v_pk_fma_f32 v[72:73], v[62:63], v[54:55], v[76:77] neg_lo:[0,0,1] neg_hi:[0,0,1]
	v_pk_fma_f32 v[54:55], v[62:63], v[54:55], v[76:77] op_sel_hi:[1,0,1]
	v_pk_mul_f32 v[62:63], v[64:65], v[78:79] op_sel:[1,0] op_sel_hi:[0,0]
	v_pk_add_f32 v[58:59], v[82:83], 0 op_sel_hi:[1,0]
	v_mov_b32_e32 v51, v53
	s_waitcnt vmcnt(1) lgkmcnt(0)
	v_pk_mul_f32 v[80:81], v[70:71], v[66:67] op_sel:[1,1] op_sel_hi:[0,1]
	v_mov_b32_e32 v73, v55
	v_pk_fma_f32 v[54:55], v[64:65], v[56:57], v[62:63] neg_lo:[0,0,1] neg_hi:[0,0,1]
	v_pk_fma_f32 v[56:57], v[64:65], v[56:57], v[62:63] op_sel_hi:[1,0,1]
	v_pk_add_f32 v[50:51], v[58:59], v[50:51]
	v_pk_fma_f32 v[74:75], v[70:71], v[66:67], v[80:81] neg_lo:[0,0,1] neg_hi:[0,0,1]
	v_pk_fma_f32 v[66:67], v[70:71], v[66:67], v[80:81] op_sel_hi:[1,0,1]
	v_mov_b32_e32 v55, v57
	v_pk_add_f32 v[50:51], v[50:51], v[72:73]
	v_mov_b32_e32 v75, v67
	v_pk_add_f32 v[50:51], v[50:51], v[54:55]
	s_nop 0
	v_pk_add_f32 v[50:51], v[50:51], v[74:75]
	s_waitcnt vmcnt(0)
	v_pk_add_f32 v[50:51], v[68:69], v[50:51] neg_lo:[0,1] neg_hi:[0,1]
	scratch_store_dwordx2 off, v[50:51], off offset:136
	s_and_saveexec_b64 s[0:1], vcc
	s_cbranch_execz .LBB86_119
; %bb.118:
	scratch_load_dwordx2 v[50:51], off, off offset:128
	v_mov_b32_e32 v49, v48
	scratch_store_dwordx2 off, v[48:49], off offset:128
	s_waitcnt vmcnt(1)
	ds_write_b64 v1, v[50:51]
.LBB86_119:
	s_or_b64 exec, exec, s[0:1]
	s_waitcnt lgkmcnt(0)
	; wave barrier
	scratch_load_dwordx4 v[50:53], off, off offset:136
	scratch_load_dwordx4 v[54:57], off, off offset:152
	;; [unrolled: 1-line block ×3, first 2 shown]
	scratch_load_dwordx2 v[74:75], off, off offset:128
	ds_read2_b64 v[62:65], v48 offset0:41 offset1:42
	ds_read2_b64 v[66:69], v48 offset0:43 offset1:44
	;; [unrolled: 1-line block ×3, first 2 shown]
	v_cmp_lt_u32_e32 vcc, 15, v0
	s_waitcnt vmcnt(3) lgkmcnt(2)
	v_pk_mul_f32 v[48:49], v[62:63], v[50:51] op_sel:[1,1] op_sel_hi:[0,1]
	v_mov_b32_e32 v76, v53
	s_waitcnt vmcnt(2) lgkmcnt(1)
	v_pk_mul_f32 v[78:79], v[66:67], v[54:55] op_sel:[1,1] op_sel_hi:[0,1]
	v_mov_b32_e32 v80, v57
	s_waitcnt vmcnt(1) lgkmcnt(0)
	v_pk_mul_f32 v[82:83], v[70:71], v[58:59] op_sel:[1,1] op_sel_hi:[0,1]
	v_mov_b32_e32 v84, v61
	v_pk_fma_f32 v[86:87], v[62:63], v[50:51], v[48:49] neg_lo:[0,0,1] neg_hi:[0,0,1]
	v_pk_fma_f32 v[48:49], v[62:63], v[50:51], v[48:49] op_sel_hi:[1,0,1]
	v_pk_mul_f32 v[50:51], v[64:65], v[76:77] op_sel:[1,0] op_sel_hi:[0,0]
	v_pk_fma_f32 v[62:63], v[66:67], v[54:55], v[78:79] neg_lo:[0,0,1] neg_hi:[0,0,1]
	v_pk_fma_f32 v[54:55], v[66:67], v[54:55], v[78:79] op_sel_hi:[1,0,1]
	v_pk_mul_f32 v[66:67], v[68:69], v[80:81] op_sel:[1,0] op_sel_hi:[0,0]
	;; [unrolled: 3-line block ×3, first 2 shown]
	v_mov_b32_e32 v87, v49
	v_pk_fma_f32 v[48:49], v[64:65], v[52:53], v[50:51] neg_lo:[0,0,1] neg_hi:[0,0,1]
	v_pk_fma_f32 v[50:51], v[64:65], v[52:53], v[50:51] op_sel_hi:[1,0,1]
	v_mov_b32_e32 v63, v55
	v_pk_fma_f32 v[52:53], v[68:69], v[56:57], v[66:67] neg_lo:[0,0,1] neg_hi:[0,0,1]
	v_pk_fma_f32 v[54:55], v[68:69], v[56:57], v[66:67] op_sel_hi:[1,0,1]
	;; [unrolled: 3-line block ×3, first 2 shown]
	v_pk_add_f32 v[60:61], v[86:87], 0 op_sel_hi:[1,0]
	v_mov_b32_e32 v49, v51
	v_pk_add_f32 v[48:49], v[60:61], v[48:49]
	v_mov_b32_e32 v53, v55
	v_pk_add_f32 v[48:49], v[48:49], v[62:63]
	;; [unrolled: 2-line block ×3, first 2 shown]
	s_nop 0
	v_pk_add_f32 v[48:49], v[48:49], v[76:77]
	s_nop 0
	v_pk_add_f32 v[48:49], v[48:49], v[56:57]
	s_waitcnt vmcnt(0)
	v_pk_add_f32 v[48:49], v[74:75], v[48:49] neg_lo:[0,1] neg_hi:[0,1]
	scratch_store_dwordx2 off, v[48:49], off offset:128
	s_and_saveexec_b64 s[0:1], vcc
	s_cbranch_execz .LBB86_121
; %bb.120:
	scratch_load_dwordx2 v[48:49], off, off offset:120
	v_mov_b32_e32 v50, 0
	v_mov_b32_e32 v51, v50
	scratch_store_dwordx2 off, v[50:51], off offset:120
	s_waitcnt vmcnt(1)
	ds_write_b64 v1, v[48:49]
.LBB86_121:
	s_or_b64 exec, exec, s[0:1]
	s_waitcnt lgkmcnt(0)
	; wave barrier
	scratch_load_dwordx4 v[50:53], off, off offset:128
	scratch_load_dwordx4 v[54:57], off, off offset:144
	;; [unrolled: 1-line block ×3, first 2 shown]
	scratch_load_dwordx2 v[74:75], off, off offset:176
	scratch_load_dwordx2 v[76:77], off, off offset:120
	v_mov_b32_e32 v48, 0
	ds_read_b128 v[62:65], v48 offset:320
	ds_read_b128 v[66:69], v48 offset:336
	;; [unrolled: 1-line block ×3, first 2 shown]
	ds_read_b64 v[78:79], v48 offset:368
	v_cmp_lt_u32_e32 vcc, 14, v0
	s_waitcnt vmcnt(4) lgkmcnt(3)
	v_pk_mul_f32 v[80:81], v[62:63], v[50:51] op_sel:[1,1] op_sel_hi:[0,1]
	v_mov_b32_e32 v82, v53
	v_pk_fma_f32 v[94:95], v[62:63], v[50:51], v[80:81] neg_lo:[0,0,1] neg_hi:[0,0,1]
	v_pk_fma_f32 v[50:51], v[62:63], v[50:51], v[80:81] op_sel_hi:[1,0,1]
	v_pk_mul_f32 v[62:63], v[64:65], v[82:83] op_sel:[1,0] op_sel_hi:[0,0]
	s_waitcnt vmcnt(3) lgkmcnt(2)
	v_pk_mul_f32 v[84:85], v[66:67], v[54:55] op_sel:[1,1] op_sel_hi:[0,1]
	v_mov_b32_e32 v86, v57
	v_mov_b32_e32 v95, v51
	v_pk_fma_f32 v[50:51], v[64:65], v[52:53], v[62:63] neg_lo:[0,0,1] neg_hi:[0,0,1]
	v_pk_fma_f32 v[52:53], v[64:65], v[52:53], v[62:63] op_sel_hi:[1,0,1]
	v_pk_fma_f32 v[80:81], v[66:67], v[54:55], v[84:85] neg_lo:[0,0,1] neg_hi:[0,0,1]
	v_pk_fma_f32 v[54:55], v[66:67], v[54:55], v[84:85] op_sel_hi:[1,0,1]
	v_pk_mul_f32 v[66:67], v[68:69], v[86:87] op_sel:[1,0] op_sel_hi:[0,0]
	v_pk_add_f32 v[62:63], v[94:95], 0 op_sel_hi:[1,0]
	v_mov_b32_e32 v51, v53
	s_waitcnt vmcnt(2) lgkmcnt(1)
	v_pk_mul_f32 v[88:89], v[70:71], v[58:59] op_sel:[1,1] op_sel_hi:[0,1]
	v_mov_b32_e32 v90, v61
	v_mov_b32_e32 v81, v55
	v_pk_fma_f32 v[54:55], v[68:69], v[56:57], v[66:67] neg_lo:[0,0,1] neg_hi:[0,0,1]
	v_pk_fma_f32 v[56:57], v[68:69], v[56:57], v[66:67] op_sel_hi:[1,0,1]
	v_pk_add_f32 v[50:51], v[62:63], v[50:51]
	v_pk_fma_f32 v[82:83], v[70:71], v[58:59], v[88:89] neg_lo:[0,0,1] neg_hi:[0,0,1]
	v_pk_fma_f32 v[58:59], v[70:71], v[58:59], v[88:89] op_sel_hi:[1,0,1]
	v_pk_mul_f32 v[70:71], v[72:73], v[90:91] op_sel:[1,0] op_sel_hi:[0,0]
	v_mov_b32_e32 v55, v57
	v_pk_add_f32 v[50:51], v[50:51], v[80:81]
	s_waitcnt vmcnt(1) lgkmcnt(0)
	v_pk_mul_f32 v[92:93], v[78:79], v[74:75] op_sel:[1,1] op_sel_hi:[0,1]
	v_mov_b32_e32 v83, v59
	v_pk_fma_f32 v[58:59], v[72:73], v[60:61], v[70:71] neg_lo:[0,0,1] neg_hi:[0,0,1]
	v_pk_fma_f32 v[60:61], v[72:73], v[60:61], v[70:71] op_sel_hi:[1,0,1]
	v_pk_add_f32 v[50:51], v[50:51], v[54:55]
	v_pk_fma_f32 v[84:85], v[78:79], v[74:75], v[92:93] neg_lo:[0,0,1] neg_hi:[0,0,1]
	v_pk_fma_f32 v[74:75], v[78:79], v[74:75], v[92:93] op_sel_hi:[1,0,1]
	v_mov_b32_e32 v59, v61
	v_pk_add_f32 v[50:51], v[50:51], v[82:83]
	v_mov_b32_e32 v85, v75
	v_pk_add_f32 v[50:51], v[50:51], v[58:59]
	s_nop 0
	v_pk_add_f32 v[50:51], v[50:51], v[84:85]
	s_waitcnt vmcnt(0)
	v_pk_add_f32 v[50:51], v[76:77], v[50:51] neg_lo:[0,1] neg_hi:[0,1]
	scratch_store_dwordx2 off, v[50:51], off offset:120
	s_and_saveexec_b64 s[0:1], vcc
	s_cbranch_execz .LBB86_123
; %bb.122:
	scratch_load_dwordx2 v[50:51], off, off offset:112
	v_mov_b32_e32 v49, v48
	scratch_store_dwordx2 off, v[48:49], off offset:112
	s_waitcnt vmcnt(1)
	ds_write_b64 v1, v[50:51]
.LBB86_123:
	s_or_b64 exec, exec, s[0:1]
	s_waitcnt lgkmcnt(0)
	; wave barrier
	scratch_load_dwordx4 v[50:53], off, off offset:120
	scratch_load_dwordx4 v[54:57], off, off offset:136
	;; [unrolled: 1-line block ×4, first 2 shown]
	scratch_load_dwordx2 v[82:83], off, off offset:112
	ds_read2_b64 v[66:69], v48 offset0:39 offset1:40
	ds_read2_b64 v[70:73], v48 offset0:41 offset1:42
	ds_read2_b64 v[74:77], v48 offset0:43 offset1:44
	ds_read2_b64 v[78:81], v48 offset0:45 offset1:46
	v_cmp_lt_u32_e32 vcc, 13, v0
	s_waitcnt vmcnt(4) lgkmcnt(3)
	v_pk_mul_f32 v[48:49], v[66:67], v[50:51] op_sel:[1,1] op_sel_hi:[0,1]
	v_mov_b32_e32 v84, v53
	s_waitcnt vmcnt(3) lgkmcnt(2)
	v_pk_mul_f32 v[86:87], v[70:71], v[54:55] op_sel:[1,1] op_sel_hi:[0,1]
	v_mov_b32_e32 v88, v57
	;; [unrolled: 3-line block ×4, first 2 shown]
	v_pk_fma_f32 v[98:99], v[66:67], v[50:51], v[48:49] neg_lo:[0,0,1] neg_hi:[0,0,1]
	v_pk_fma_f32 v[48:49], v[66:67], v[50:51], v[48:49] op_sel_hi:[1,0,1]
	v_pk_mul_f32 v[50:51], v[68:69], v[84:85] op_sel:[1,0] op_sel_hi:[0,0]
	v_pk_fma_f32 v[66:67], v[70:71], v[54:55], v[86:87] neg_lo:[0,0,1] neg_hi:[0,0,1]
	v_pk_fma_f32 v[54:55], v[70:71], v[54:55], v[86:87] op_sel_hi:[1,0,1]
	v_pk_mul_f32 v[70:71], v[72:73], v[88:89] op_sel:[1,0] op_sel_hi:[0,0]
	;; [unrolled: 3-line block ×4, first 2 shown]
	v_mov_b32_e32 v99, v49
	v_pk_fma_f32 v[48:49], v[68:69], v[52:53], v[50:51] neg_lo:[0,0,1] neg_hi:[0,0,1]
	v_pk_fma_f32 v[50:51], v[68:69], v[52:53], v[50:51] op_sel_hi:[1,0,1]
	v_mov_b32_e32 v67, v55
	v_pk_fma_f32 v[52:53], v[72:73], v[56:57], v[70:71] neg_lo:[0,0,1] neg_hi:[0,0,1]
	v_pk_fma_f32 v[54:55], v[72:73], v[56:57], v[70:71] op_sel_hi:[1,0,1]
	;; [unrolled: 3-line block ×4, first 2 shown]
	v_pk_add_f32 v[64:65], v[98:99], 0 op_sel_hi:[1,0]
	v_mov_b32_e32 v49, v51
	v_pk_add_f32 v[48:49], v[64:65], v[48:49]
	v_mov_b32_e32 v53, v55
	v_pk_add_f32 v[48:49], v[48:49], v[66:67]
	;; [unrolled: 2-line block ×4, first 2 shown]
	s_nop 0
	v_pk_add_f32 v[48:49], v[48:49], v[56:57]
	s_nop 0
	v_pk_add_f32 v[48:49], v[48:49], v[86:87]
	s_nop 0
	v_pk_add_f32 v[48:49], v[48:49], v[60:61]
	s_waitcnt vmcnt(0)
	v_pk_add_f32 v[48:49], v[82:83], v[48:49] neg_lo:[0,1] neg_hi:[0,1]
	scratch_store_dwordx2 off, v[48:49], off offset:112
	s_and_saveexec_b64 s[0:1], vcc
	s_cbranch_execz .LBB86_125
; %bb.124:
	scratch_load_dwordx2 v[48:49], off, off offset:104
	v_mov_b32_e32 v50, 0
	v_mov_b32_e32 v51, v50
	scratch_store_dwordx2 off, v[50:51], off offset:104
	s_waitcnt vmcnt(1)
	ds_write_b64 v1, v[48:49]
.LBB86_125:
	s_or_b64 exec, exec, s[0:1]
	s_waitcnt lgkmcnt(0)
	; wave barrier
	scratch_load_dwordx4 v[50:53], off, off offset:112
	scratch_load_dwordx4 v[54:57], off, off offset:128
	;; [unrolled: 1-line block ×4, first 2 shown]
	scratch_load_dwordx2 v[82:83], off, off offset:176
	scratch_load_dwordx2 v[84:85], off, off offset:104
	v_mov_b32_e32 v48, 0
	ds_read_b128 v[66:69], v48 offset:304
	ds_read_b128 v[70:73], v48 offset:320
	;; [unrolled: 1-line block ×4, first 2 shown]
	ds_read_b64 v[86:87], v48 offset:368
	v_cmp_lt_u32_e32 vcc, 12, v0
	s_waitcnt vmcnt(5) lgkmcnt(4)
	v_mul_f32_e32 v89, v66, v51
	v_mul_f32_e32 v49, v67, v51
	v_mov_b32_e32 v90, v53
	s_waitcnt vmcnt(4) lgkmcnt(3)
	v_pk_mul_f32 v[92:93], v[70:71], v[54:55] op_sel:[1,1] op_sel_hi:[0,1]
	v_mov_b32_e32 v94, v57
	s_waitcnt vmcnt(1) lgkmcnt(0)
	v_pk_mul_f32 v[104:105], v[86:87], v[82:83] op_sel:[1,1] op_sel_hi:[0,1]
	v_fmac_f32_e32 v89, v67, v50
	v_fma_f32 v88, v66, v50, -v49
	v_pk_mul_f32 v[50:51], v[68:69], v[90:91] op_sel:[1,0] op_sel_hi:[0,0]
	v_pk_fma_f32 v[66:67], v[70:71], v[54:55], v[92:93] neg_lo:[0,0,1] neg_hi:[0,0,1]
	v_pk_fma_f32 v[54:55], v[70:71], v[54:55], v[92:93] op_sel_hi:[1,0,1]
	v_pk_mul_f32 v[70:71], v[72:73], v[94:95] op_sel:[1,0] op_sel_hi:[0,0]
	v_pk_fma_f32 v[94:95], v[86:87], v[82:83], v[104:105] neg_lo:[0,0,1] neg_hi:[0,0,1]
	v_pk_fma_f32 v[82:83], v[86:87], v[82:83], v[104:105] op_sel_hi:[1,0,1]
	v_pk_add_f32 v[86:87], v[88:89], 0 op_sel_hi:[1,0]
	v_pk_fma_f32 v[88:89], v[68:69], v[52:53], v[50:51] neg_lo:[0,0,1] neg_hi:[0,0,1]
	v_pk_fma_f32 v[50:51], v[68:69], v[52:53], v[50:51] op_sel_hi:[1,0,1]
	v_pk_mul_f32 v[96:97], v[74:75], v[58:59] op_sel:[1,1] op_sel_hi:[0,1]
	v_mov_b32_e32 v89, v51
	v_mov_b32_e32 v98, v61
	;; [unrolled: 1-line block ×3, first 2 shown]
	v_pk_fma_f32 v[52:53], v[72:73], v[56:57], v[70:71] neg_lo:[0,0,1] neg_hi:[0,0,1]
	v_pk_fma_f32 v[54:55], v[72:73], v[56:57], v[70:71] op_sel_hi:[1,0,1]
	v_pk_add_f32 v[50:51], v[86:87], v[88:89]
	v_pk_fma_f32 v[90:91], v[74:75], v[58:59], v[96:97] neg_lo:[0,0,1] neg_hi:[0,0,1]
	v_pk_fma_f32 v[58:59], v[74:75], v[58:59], v[96:97] op_sel_hi:[1,0,1]
	v_pk_mul_f32 v[74:75], v[76:77], v[98:99] op_sel:[1,0] op_sel_hi:[0,0]
	v_mov_b32_e32 v53, v55
	v_pk_add_f32 v[50:51], v[50:51], v[66:67]
	v_pk_mul_f32 v[100:101], v[78:79], v[62:63] op_sel:[1,1] op_sel_hi:[0,1]
	v_mov_b32_e32 v102, v65
	v_mov_b32_e32 v91, v59
	v_pk_fma_f32 v[56:57], v[76:77], v[60:61], v[74:75] neg_lo:[0,0,1] neg_hi:[0,0,1]
	v_pk_fma_f32 v[58:59], v[76:77], v[60:61], v[74:75] op_sel_hi:[1,0,1]
	v_pk_add_f32 v[50:51], v[50:51], v[52:53]
	v_pk_fma_f32 v[92:93], v[78:79], v[62:63], v[100:101] neg_lo:[0,0,1] neg_hi:[0,0,1]
	v_pk_fma_f32 v[62:63], v[78:79], v[62:63], v[100:101] op_sel_hi:[1,0,1]
	v_pk_mul_f32 v[78:79], v[80:81], v[102:103] op_sel:[1,0] op_sel_hi:[0,0]
	v_mov_b32_e32 v57, v59
	v_pk_add_f32 v[50:51], v[50:51], v[90:91]
	v_mov_b32_e32 v93, v63
	v_pk_fma_f32 v[60:61], v[80:81], v[64:65], v[78:79] neg_lo:[0,0,1] neg_hi:[0,0,1]
	v_pk_fma_f32 v[62:63], v[80:81], v[64:65], v[78:79] op_sel_hi:[1,0,1]
	v_pk_add_f32 v[50:51], v[50:51], v[56:57]
	v_mov_b32_e32 v61, v63
	v_pk_add_f32 v[50:51], v[50:51], v[92:93]
	v_mov_b32_e32 v95, v83
	v_pk_add_f32 v[50:51], v[50:51], v[60:61]
	s_nop 0
	v_pk_add_f32 v[50:51], v[50:51], v[94:95]
	s_waitcnt vmcnt(0)
	v_pk_add_f32 v[50:51], v[84:85], v[50:51] neg_lo:[0,1] neg_hi:[0,1]
	scratch_store_dwordx2 off, v[50:51], off offset:104
	s_and_saveexec_b64 s[0:1], vcc
	s_cbranch_execz .LBB86_127
; %bb.126:
	scratch_load_dwordx2 v[50:51], off, off offset:96
	v_mov_b32_e32 v49, v48
	scratch_store_dwordx2 off, v[48:49], off offset:96
	s_waitcnt vmcnt(1)
	ds_write_b64 v1, v[50:51]
.LBB86_127:
	s_or_b64 exec, exec, s[0:1]
	s_waitcnt lgkmcnt(0)
	; wave barrier
	scratch_load_dwordx4 v[50:53], off, off offset:104
	scratch_load_dwordx4 v[54:57], off, off offset:120
	;; [unrolled: 1-line block ×5, first 2 shown]
	scratch_load_dwordx2 v[90:91], off, off offset:96
	ds_read2_b64 v[70:73], v48 offset0:37 offset1:38
	ds_read2_b64 v[74:77], v48 offset0:39 offset1:40
	;; [unrolled: 1-line block ×5, first 2 shown]
	v_cmp_lt_u32_e32 vcc, 11, v0
	s_waitcnt vmcnt(5) lgkmcnt(4)
	v_mul_f32_e32 v49, v70, v51
	v_mul_f32_e32 v48, v71, v51
	;; [unrolled: 1-line block ×4, first 2 shown]
	s_waitcnt vmcnt(4) lgkmcnt(3)
	v_pk_mul_f32 v[94:95], v[74:75], v[54:55] op_sel:[1,1] op_sel_hi:[0,1]
	v_mov_b32_e32 v96, v57
	v_fmac_f32_e32 v49, v71, v50
	v_fma_f32 v48, v70, v50, -v48
	v_fmac_f32_e32 v93, v73, v52
	v_fma_f32 v92, v72, v52, -v51
	v_pk_fma_f32 v[50:51], v[74:75], v[54:55], v[94:95] neg_lo:[0,0,1] neg_hi:[0,0,1]
	v_pk_fma_f32 v[52:53], v[74:75], v[54:55], v[94:95] op_sel_hi:[1,0,1]
	v_pk_mul_f32 v[54:55], v[76:77], v[96:97] op_sel:[1,0] op_sel_hi:[0,0]
	v_pk_add_f32 v[48:49], v[48:49], 0 op_sel_hi:[1,0]
	s_waitcnt vmcnt(3) lgkmcnt(2)
	v_pk_mul_f32 v[98:99], v[78:79], v[58:59] op_sel:[1,1] op_sel_hi:[0,1]
	v_mov_b32_e32 v100, v61
	v_mov_b32_e32 v51, v53
	v_pk_fma_f32 v[52:53], v[76:77], v[56:57], v[54:55] neg_lo:[0,0,1] neg_hi:[0,0,1]
	v_pk_fma_f32 v[54:55], v[76:77], v[56:57], v[54:55] op_sel_hi:[1,0,1]
	v_pk_add_f32 v[48:49], v[48:49], v[92:93]
	v_pk_fma_f32 v[70:71], v[78:79], v[58:59], v[98:99] neg_lo:[0,0,1] neg_hi:[0,0,1]
	v_pk_fma_f32 v[58:59], v[78:79], v[58:59], v[98:99] op_sel_hi:[1,0,1]
	v_pk_mul_f32 v[72:73], v[80:81], v[100:101] op_sel:[1,0] op_sel_hi:[0,0]
	v_mov_b32_e32 v53, v55
	v_pk_add_f32 v[48:49], v[48:49], v[50:51]
	s_waitcnt vmcnt(2) lgkmcnt(1)
	v_pk_mul_f32 v[102:103], v[82:83], v[62:63] op_sel:[1,1] op_sel_hi:[0,1]
	v_mov_b32_e32 v104, v65
	v_mov_b32_e32 v71, v59
	v_pk_fma_f32 v[56:57], v[80:81], v[60:61], v[72:73] neg_lo:[0,0,1] neg_hi:[0,0,1]
	v_pk_fma_f32 v[58:59], v[80:81], v[60:61], v[72:73] op_sel_hi:[1,0,1]
	v_pk_add_f32 v[48:49], v[48:49], v[52:53]
	v_pk_fma_f32 v[74:75], v[82:83], v[62:63], v[102:103] neg_lo:[0,0,1] neg_hi:[0,0,1]
	v_pk_fma_f32 v[62:63], v[82:83], v[62:63], v[102:103] op_sel_hi:[1,0,1]
	v_pk_mul_f32 v[78:79], v[84:85], v[104:105] op_sel:[1,0] op_sel_hi:[0,0]
	v_mov_b32_e32 v57, v59
	v_pk_add_f32 v[48:49], v[48:49], v[70:71]
	;; [unrolled: 12-line block ×3, first 2 shown]
	v_mov_b32_e32 v83, v67
	v_pk_fma_f32 v[64:65], v[88:89], v[68:69], v[86:87] neg_lo:[0,0,1] neg_hi:[0,0,1]
	v_pk_fma_f32 v[66:67], v[88:89], v[68:69], v[86:87] op_sel_hi:[1,0,1]
	v_pk_add_f32 v[48:49], v[48:49], v[60:61]
	v_mov_b32_e32 v65, v67
	v_pk_add_f32 v[48:49], v[48:49], v[82:83]
	s_nop 0
	v_pk_add_f32 v[48:49], v[48:49], v[64:65]
	s_waitcnt vmcnt(0)
	v_pk_add_f32 v[48:49], v[90:91], v[48:49] neg_lo:[0,1] neg_hi:[0,1]
	scratch_store_dwordx2 off, v[48:49], off offset:96
	s_and_saveexec_b64 s[0:1], vcc
	s_cbranch_execz .LBB86_129
; %bb.128:
	scratch_load_dwordx2 v[48:49], off, off offset:88
	v_mov_b32_e32 v50, 0
	v_mov_b32_e32 v51, v50
	scratch_store_dwordx2 off, v[50:51], off offset:88
	s_waitcnt vmcnt(1)
	ds_write_b64 v1, v[48:49]
.LBB86_129:
	s_or_b64 exec, exec, s[0:1]
	s_waitcnt lgkmcnt(0)
	; wave barrier
	scratch_load_dwordx4 v[50:53], off, off offset:96
	scratch_load_dwordx4 v[54:57], off, off offset:112
	;; [unrolled: 1-line block ×5, first 2 shown]
	scratch_load_dwordx2 v[90:91], off, off offset:176
	scratch_load_dwordx2 v[92:93], off, off offset:88
	v_mov_b32_e32 v48, 0
	ds_read_b128 v[70:73], v48 offset:288
	ds_read_b128 v[74:77], v48 offset:304
	;; [unrolled: 1-line block ×5, first 2 shown]
	ds_read_b64 v[94:95], v48 offset:368
	v_cmp_lt_u32_e32 vcc, 10, v0
	s_waitcnt vmcnt(6) lgkmcnt(5)
	v_mul_f32_e32 v49, v70, v51
	v_mul_f32_e32 v51, v71, v51
	;; [unrolled: 1-line block ×3, first 2 shown]
	s_waitcnt vmcnt(5) lgkmcnt(4)
	v_mul_f32_e32 v99, v74, v55
	v_mul_f32_e32 v53, v73, v53
	;; [unrolled: 1-line block ×3, first 2 shown]
	v_mov_b32_e32 v100, v57
	s_waitcnt vmcnt(3) lgkmcnt(2)
	v_pk_mul_f32 v[106:107], v[82:83], v[62:63] op_sel:[1,1] op_sel_hi:[0,1]
	s_waitcnt vmcnt(2) lgkmcnt(1)
	v_pk_mul_f32 v[110:111], v[86:87], v[66:67] op_sel:[1,1] op_sel_hi:[0,1]
	;; [unrolled: 2-line block ×3, first 2 shown]
	v_fmac_f32_e32 v49, v71, v50
	v_fma_f32 v101, v70, v50, -v51
	v_fmac_f32_e32 v97, v73, v52
	v_fmac_f32_e32 v99, v75, v54
	v_fma_f32 v96, v72, v52, -v53
	v_fma_f32 v98, v74, v54, -v55
	v_pk_mul_f32 v[50:51], v[76:77], v[100:101] op_sel:[1,0] op_sel_hi:[0,0]
	v_pk_fma_f32 v[70:71], v[82:83], v[62:63], v[106:107] neg_lo:[0,0,1] neg_hi:[0,0,1]
	v_pk_fma_f32 v[62:63], v[82:83], v[62:63], v[106:107] op_sel_hi:[1,0,1]
	v_pk_fma_f32 v[74:75], v[86:87], v[66:67], v[110:111] neg_lo:[0,0,1] neg_hi:[0,0,1]
	v_pk_fma_f32 v[66:67], v[86:87], v[66:67], v[110:111] op_sel_hi:[1,0,1]
	;; [unrolled: 2-line block ×3, first 2 shown]
	v_add_f32_e32 v91, 0, v49
	v_add_f32_e32 v90, 0, v101
	v_pk_mul_f32 v[102:103], v[78:79], v[58:59] op_sel:[1,1] op_sel_hi:[0,1]
	v_mov_b32_e32 v104, v61
	v_pk_fma_f32 v[94:95], v[76:77], v[56:57], v[50:51] neg_lo:[0,0,1] neg_hi:[0,0,1]
	v_pk_fma_f32 v[50:51], v[76:77], v[56:57], v[50:51] op_sel_hi:[1,0,1]
	v_mov_b32_e32 v75, v67
	v_pk_add_f32 v[66:67], v[90:91], v[96:97]
	v_pk_fma_f32 v[52:53], v[78:79], v[58:59], v[102:103] neg_lo:[0,0,1] neg_hi:[0,0,1]
	v_pk_fma_f32 v[54:55], v[78:79], v[58:59], v[102:103] op_sel_hi:[1,0,1]
	v_pk_mul_f32 v[58:59], v[80:81], v[104:105] op_sel:[1,0] op_sel_hi:[0,0]
	v_mov_b32_e32 v95, v51
	v_pk_add_f32 v[50:51], v[66:67], v[98:99]
	v_mov_b32_e32 v108, v65
	v_mov_b32_e32 v53, v55
	v_pk_fma_f32 v[54:55], v[80:81], v[60:61], v[58:59] neg_lo:[0,0,1] neg_hi:[0,0,1]
	v_pk_fma_f32 v[56:57], v[80:81], v[60:61], v[58:59] op_sel_hi:[1,0,1]
	v_pk_add_f32 v[50:51], v[50:51], v[94:95]
	v_pk_mul_f32 v[72:73], v[84:85], v[108:109] op_sel:[1,0] op_sel_hi:[0,0]
	v_mov_b32_e32 v55, v57
	v_pk_add_f32 v[50:51], v[50:51], v[52:53]
	v_mov_b32_e32 v112, v69
	v_mov_b32_e32 v71, v63
	v_pk_fma_f32 v[58:59], v[84:85], v[64:65], v[72:73] neg_lo:[0,0,1] neg_hi:[0,0,1]
	v_pk_fma_f32 v[60:61], v[84:85], v[64:65], v[72:73] op_sel_hi:[1,0,1]
	v_pk_add_f32 v[50:51], v[50:51], v[54:55]
	v_pk_mul_f32 v[78:79], v[88:89], v[112:113] op_sel:[1,0] op_sel_hi:[0,0]
	v_mov_b32_e32 v59, v61
	v_pk_add_f32 v[50:51], v[50:51], v[70:71]
	v_pk_fma_f32 v[62:63], v[88:89], v[68:69], v[78:79] neg_lo:[0,0,1] neg_hi:[0,0,1]
	v_pk_fma_f32 v[64:65], v[88:89], v[68:69], v[78:79] op_sel_hi:[1,0,1]
	v_pk_add_f32 v[50:51], v[50:51], v[58:59]
	v_mov_b32_e32 v63, v65
	v_pk_add_f32 v[50:51], v[50:51], v[74:75]
	v_mov_b32_e32 v83, v87
	v_pk_add_f32 v[50:51], v[50:51], v[62:63]
	s_nop 0
	v_pk_add_f32 v[50:51], v[50:51], v[82:83]
	s_waitcnt vmcnt(0)
	v_pk_add_f32 v[50:51], v[92:93], v[50:51] neg_lo:[0,1] neg_hi:[0,1]
	scratch_store_dwordx2 off, v[50:51], off offset:88
	s_and_saveexec_b64 s[0:1], vcc
	s_cbranch_execz .LBB86_131
; %bb.130:
	scratch_load_dwordx2 v[50:51], off, off offset:80
	v_mov_b32_e32 v49, v48
	scratch_store_dwordx2 off, v[48:49], off offset:80
	s_waitcnt vmcnt(1)
	ds_write_b64 v1, v[50:51]
.LBB86_131:
	s_or_b64 exec, exec, s[0:1]
	s_waitcnt lgkmcnt(0)
	; wave barrier
	scratch_load_dwordx4 v[50:53], off, off offset:88
	scratch_load_dwordx4 v[54:57], off, off offset:104
	;; [unrolled: 1-line block ×6, first 2 shown]
	scratch_load_dwordx2 v[98:99], off, off offset:80
	ds_read2_b64 v[74:77], v48 offset0:35 offset1:36
	ds_read2_b64 v[78:81], v48 offset0:37 offset1:38
	;; [unrolled: 1-line block ×6, first 2 shown]
	v_cmp_lt_u32_e32 vcc, 9, v0
	s_waitcnt vmcnt(6) lgkmcnt(5)
	v_mul_f32_e32 v105, v74, v51
	v_mul_f32_e32 v109, v76, v53
	s_waitcnt vmcnt(5) lgkmcnt(4)
	v_mul_f32_e32 v49, v78, v55
	v_mul_f32_e32 v48, v75, v51
	;; [unrolled: 1-line block ×4, first 2 shown]
	s_waitcnt vmcnt(1) lgkmcnt(0)
	v_pk_mul_f32 v[114:115], v[94:95], v[70:71] op_sel:[1,1] op_sel_hi:[0,1]
	v_pk_mul_f32 v[102:103], v[82:83], v[58:59] op_sel:[1,1] op_sel_hi:[0,1]
	v_fmac_f32_e32 v105, v75, v50
	v_fmac_f32_e32 v49, v79, v54
	v_fma_f32 v113, v74, v50, -v48
	v_fma_f32 v48, v78, v54, -v53
	v_pk_fma_f32 v[78:79], v[94:95], v[70:71], v[114:115] neg_lo:[0,0,1] neg_hi:[0,0,1]
	v_pk_fma_f32 v[70:71], v[94:95], v[70:71], v[114:115] op_sel_hi:[1,0,1]
	v_fmac_f32_e32 v109, v77, v52
	v_fma_f32 v117, v76, v52, -v51
	v_pk_fma_f32 v[50:51], v[82:83], v[58:59], v[102:103] neg_lo:[0,0,1] neg_hi:[0,0,1]
	v_pk_fma_f32 v[52:53], v[82:83], v[58:59], v[102:103] op_sel_hi:[1,0,1]
	v_add_f32_e32 v70, 0, v105
	v_add_f32_e32 v82, 0, v113
	v_mul_f32_e32 v101, v80, v57
	v_mul_f32_e32 v55, v81, v57
	v_mov_b32_e32 v104, v61
	v_mov_b32_e32 v79, v71
	v_add_f32_e32 v71, v70, v109
	v_add_f32_e32 v70, v82, v117
	v_fmac_f32_e32 v101, v81, v56
	v_fma_f32 v100, v80, v56, -v55
	v_pk_mul_f32 v[54:55], v[84:85], v[104:105] op_sel:[1,0] op_sel_hi:[0,0]
	v_pk_add_f32 v[48:49], v[70:71], v[48:49]
	v_pk_mul_f32 v[106:107], v[86:87], v[62:63] op_sel:[1,1] op_sel_hi:[0,1]
	v_mov_b32_e32 v108, v65
	v_mov_b32_e32 v51, v53
	v_pk_fma_f32 v[52:53], v[84:85], v[60:61], v[54:55] neg_lo:[0,0,1] neg_hi:[0,0,1]
	v_pk_fma_f32 v[54:55], v[84:85], v[60:61], v[54:55] op_sel_hi:[1,0,1]
	v_pk_add_f32 v[48:49], v[48:49], v[100:101]
	v_pk_fma_f32 v[56:57], v[86:87], v[62:63], v[106:107] neg_lo:[0,0,1] neg_hi:[0,0,1]
	v_pk_fma_f32 v[58:59], v[86:87], v[62:63], v[106:107] op_sel_hi:[1,0,1]
	v_pk_mul_f32 v[62:63], v[88:89], v[108:109] op_sel:[1,0] op_sel_hi:[0,0]
	v_mov_b32_e32 v53, v55
	v_pk_add_f32 v[48:49], v[48:49], v[50:51]
	v_pk_mul_f32 v[110:111], v[90:91], v[66:67] op_sel:[1,1] op_sel_hi:[0,1]
	v_mov_b32_e32 v112, v69
	v_mov_b32_e32 v57, v59
	v_pk_fma_f32 v[58:59], v[88:89], v[64:65], v[62:63] neg_lo:[0,0,1] neg_hi:[0,0,1]
	v_pk_fma_f32 v[60:61], v[88:89], v[64:65], v[62:63] op_sel_hi:[1,0,1]
	v_pk_add_f32 v[48:49], v[48:49], v[52:53]
	v_pk_fma_f32 v[74:75], v[90:91], v[66:67], v[110:111] neg_lo:[0,0,1] neg_hi:[0,0,1]
	v_pk_fma_f32 v[66:67], v[90:91], v[66:67], v[110:111] op_sel_hi:[1,0,1]
	v_pk_mul_f32 v[76:77], v[92:93], v[112:113] op_sel:[1,0] op_sel_hi:[0,0]
	v_mov_b32_e32 v59, v61
	v_pk_add_f32 v[48:49], v[48:49], v[56:57]
	v_mov_b32_e32 v116, v73
	v_mov_b32_e32 v75, v67
	v_pk_fma_f32 v[62:63], v[92:93], v[68:69], v[76:77] neg_lo:[0,0,1] neg_hi:[0,0,1]
	v_pk_fma_f32 v[64:65], v[92:93], v[68:69], v[76:77] op_sel_hi:[1,0,1]
	v_pk_add_f32 v[48:49], v[48:49], v[58:59]
	v_pk_mul_f32 v[80:81], v[96:97], v[116:117] op_sel:[1,0] op_sel_hi:[0,0]
	v_mov_b32_e32 v63, v65
	v_pk_add_f32 v[48:49], v[48:49], v[74:75]
	v_pk_fma_f32 v[66:67], v[96:97], v[72:73], v[80:81] neg_lo:[0,0,1] neg_hi:[0,0,1]
	v_pk_fma_f32 v[68:69], v[96:97], v[72:73], v[80:81] op_sel_hi:[1,0,1]
	v_pk_add_f32 v[48:49], v[48:49], v[62:63]
	v_mov_b32_e32 v67, v69
	v_pk_add_f32 v[48:49], v[48:49], v[78:79]
	s_nop 0
	v_pk_add_f32 v[48:49], v[48:49], v[66:67]
	s_waitcnt vmcnt(0)
	v_pk_add_f32 v[48:49], v[98:99], v[48:49] neg_lo:[0,1] neg_hi:[0,1]
	scratch_store_dwordx2 off, v[48:49], off offset:80
	s_and_saveexec_b64 s[0:1], vcc
	s_cbranch_execz .LBB86_133
; %bb.132:
	scratch_load_dwordx2 v[48:49], off, off offset:72
	v_mov_b32_e32 v50, 0
	v_mov_b32_e32 v51, v50
	scratch_store_dwordx2 off, v[50:51], off offset:72
	s_waitcnt vmcnt(1)
	ds_write_b64 v1, v[48:49]
.LBB86_133:
	s_or_b64 exec, exec, s[0:1]
	s_waitcnt lgkmcnt(0)
	; wave barrier
	scratch_load_dwordx4 v[50:53], off, off offset:80
	scratch_load_dwordx4 v[54:57], off, off offset:96
	;; [unrolled: 1-line block ×6, first 2 shown]
	scratch_load_dwordx2 v[98:99], off, off offset:176
	scratch_load_dwordx2 v[100:101], off, off offset:72
	v_mov_b32_e32 v48, 0
	ds_read_b128 v[74:77], v48 offset:272
	ds_read_b128 v[78:81], v48 offset:288
	ds_read_b128 v[82:85], v48 offset:304
	ds_read_b128 v[86:89], v48 offset:320
	ds_read_b128 v[90:93], v48 offset:336
	ds_read_b128 v[94:97], v48 offset:352
	ds_read_b64 v[102:103], v48 offset:368
	v_cmp_lt_u32_e32 vcc, 8, v0
	s_waitcnt vmcnt(7) lgkmcnt(6)
	v_mul_f32_e32 v109, v76, v53
	v_mul_f32_e32 v49, v74, v51
	s_waitcnt vmcnt(5) lgkmcnt(4)
	v_mul_f32_e32 v107, v82, v59
	v_mul_f32_e32 v51, v75, v51
	v_mov_b32_e32 v108, v61
	s_waitcnt vmcnt(2) lgkmcnt(1)
	v_pk_mul_f32 v[118:119], v[94:95], v[70:71] op_sel:[1,1] op_sel_hi:[0,1]
	v_fmac_f32_e32 v109, v77, v52
	v_mul_f32_e32 v53, v77, v53
	v_mul_f32_e32 v59, v83, v59
	v_fmac_f32_e32 v49, v75, v50
	v_fmac_f32_e32 v107, v83, v58
	v_fma_f32 v83, v74, v50, -v51
	v_pk_mul_f32 v[50:51], v[84:85], v[108:109] op_sel:[1,0] op_sel_hi:[0,0]
	v_pk_fma_f32 v[74:75], v[94:95], v[70:71], v[118:119] neg_lo:[0,0,1] neg_hi:[0,0,1]
	v_pk_fma_f32 v[70:71], v[94:95], v[70:71], v[118:119] op_sel_hi:[1,0,1]
	v_mul_f32_e32 v113, v78, v55
	v_mul_f32_e32 v55, v79, v55
	v_fma_f32 v117, v76, v52, -v53
	v_fma_f32 v106, v82, v58, -v59
	v_add_f32_e32 v49, 0, v49
	v_add_f32_e32 v70, 0, v83
	v_pk_fma_f32 v[82:83], v[84:85], v[60:61], v[50:51] neg_lo:[0,0,1] neg_hi:[0,0,1]
	v_pk_fma_f32 v[50:51], v[84:85], v[60:61], v[50:51] op_sel_hi:[1,0,1]
	v_mul_f32_e32 v105, v80, v57
	v_mul_f32_e32 v57, v81, v57
	v_fmac_f32_e32 v113, v79, v54
	v_fma_f32 v121, v78, v54, -v55
	v_add_f32_e32 v49, v49, v109
	v_add_f32_e32 v50, v70, v117
	v_fmac_f32_e32 v105, v81, v56
	v_fma_f32 v104, v80, v56, -v57
	v_mov_b32_e32 v83, v51
	v_add_f32_e32 v51, v49, v113
	v_add_f32_e32 v50, v50, v121
	v_pk_mul_f32 v[110:111], v[86:87], v[62:63] op_sel:[1,1] op_sel_hi:[0,1]
	v_mov_b32_e32 v112, v65
	v_pk_add_f32 v[50:51], v[50:51], v[104:105]
	v_pk_fma_f32 v[52:53], v[86:87], v[62:63], v[110:111] neg_lo:[0,0,1] neg_hi:[0,0,1]
	v_pk_fma_f32 v[54:55], v[86:87], v[62:63], v[110:111] op_sel_hi:[1,0,1]
	v_pk_mul_f32 v[56:57], v[88:89], v[112:113] op_sel:[1,0] op_sel_hi:[0,0]
	v_pk_add_f32 v[50:51], v[50:51], v[106:107]
	v_pk_mul_f32 v[114:115], v[90:91], v[66:67] op_sel:[1,1] op_sel_hi:[0,1]
	v_mov_b32_e32 v116, v69
	v_mov_b32_e32 v53, v55
	v_pk_fma_f32 v[54:55], v[88:89], v[64:65], v[56:57] neg_lo:[0,0,1] neg_hi:[0,0,1]
	v_pk_fma_f32 v[56:57], v[88:89], v[64:65], v[56:57] op_sel_hi:[1,0,1]
	v_pk_add_f32 v[50:51], v[50:51], v[82:83]
	v_pk_fma_f32 v[58:59], v[90:91], v[66:67], v[114:115] neg_lo:[0,0,1] neg_hi:[0,0,1]
	v_pk_fma_f32 v[62:63], v[90:91], v[66:67], v[114:115] op_sel_hi:[1,0,1]
	v_pk_mul_f32 v[66:67], v[92:93], v[116:117] op_sel:[1,0] op_sel_hi:[0,0]
	v_mov_b32_e32 v55, v57
	v_pk_add_f32 v[50:51], v[50:51], v[52:53]
	v_mov_b32_e32 v120, v73
	v_mov_b32_e32 v59, v63
	v_pk_fma_f32 v[60:61], v[92:93], v[68:69], v[66:67] neg_lo:[0,0,1] neg_hi:[0,0,1]
	v_pk_fma_f32 v[62:63], v[92:93], v[68:69], v[66:67] op_sel_hi:[1,0,1]
	v_pk_add_f32 v[50:51], v[50:51], v[54:55]
	v_pk_mul_f32 v[76:77], v[96:97], v[120:121] op_sel:[1,0] op_sel_hi:[0,0]
	v_mov_b32_e32 v61, v63
	v_pk_add_f32 v[50:51], v[50:51], v[58:59]
	s_waitcnt vmcnt(1) lgkmcnt(0)
	v_pk_mul_f32 v[122:123], v[102:103], v[98:99] op_sel:[1,1] op_sel_hi:[0,1]
	v_mov_b32_e32 v75, v71
	v_pk_fma_f32 v[64:65], v[96:97], v[72:73], v[76:77] neg_lo:[0,0,1] neg_hi:[0,0,1]
	v_pk_fma_f32 v[66:67], v[96:97], v[72:73], v[76:77] op_sel_hi:[1,0,1]
	v_pk_add_f32 v[50:51], v[50:51], v[60:61]
	v_pk_fma_f32 v[78:79], v[102:103], v[98:99], v[122:123] neg_lo:[0,0,1] neg_hi:[0,0,1]
	v_pk_fma_f32 v[80:81], v[102:103], v[98:99], v[122:123] op_sel_hi:[1,0,1]
	v_mov_b32_e32 v65, v67
	v_pk_add_f32 v[50:51], v[50:51], v[74:75]
	v_mov_b32_e32 v79, v81
	v_pk_add_f32 v[50:51], v[50:51], v[64:65]
	s_nop 0
	v_pk_add_f32 v[50:51], v[50:51], v[78:79]
	s_waitcnt vmcnt(0)
	v_pk_add_f32 v[50:51], v[100:101], v[50:51] neg_lo:[0,1] neg_hi:[0,1]
	scratch_store_dwordx2 off, v[50:51], off offset:72
	s_and_saveexec_b64 s[0:1], vcc
	s_cbranch_execz .LBB86_135
; %bb.134:
	scratch_load_dwordx2 v[50:51], off, off offset:64
	v_mov_b32_e32 v49, v48
	scratch_store_dwordx2 off, v[48:49], off offset:64
	s_waitcnt vmcnt(1)
	ds_write_b64 v1, v[50:51]
.LBB86_135:
	s_or_b64 exec, exec, s[0:1]
	s_waitcnt lgkmcnt(0)
	; wave barrier
	scratch_load_dwordx4 v[50:53], off, off offset:72
	scratch_load_dwordx4 v[54:57], off, off offset:88
	;; [unrolled: 1-line block ×7, first 2 shown]
	ds_read2_b64 v[78:81], v48 offset0:33 offset1:34
	ds_read2_b64 v[82:85], v48 offset0:35 offset1:36
	;; [unrolled: 1-line block ×6, first 2 shown]
	scratch_load_dwordx2 v[106:107], off, off offset:64
	ds_read2_b64 v[102:105], v48 offset0:45 offset1:46
	v_cmp_lt_u32_e32 vcc, 7, v0
	s_waitcnt vmcnt(7) lgkmcnt(6)
	v_mul_f32_e32 v113, v78, v51
	v_mul_f32_e32 v117, v80, v53
	s_waitcnt vmcnt(6) lgkmcnt(5)
	v_mul_f32_e32 v121, v82, v55
	v_mul_f32_e32 v125, v84, v57
	;; [unrolled: 3-line block ×3, first 2 shown]
	v_mul_f32_e32 v48, v79, v51
	v_mul_f32_e32 v51, v81, v53
	;; [unrolled: 1-line block ×6, first 2 shown]
	s_waitcnt vmcnt(4) lgkmcnt(3)
	v_pk_mul_f32 v[110:111], v[90:91], v[62:63] op_sel:[1,1] op_sel_hi:[0,1]
	v_mov_b32_e32 v112, v65
	s_waitcnt vmcnt(3) lgkmcnt(2)
	v_pk_mul_f32 v[114:115], v[94:95], v[66:67] op_sel:[1,1] op_sel_hi:[0,1]
	v_mov_b32_e32 v116, v69
	s_waitcnt vmcnt(1) lgkmcnt(0)
	v_pk_mul_f32 v[122:123], v[102:103], v[74:75] op_sel:[1,1] op_sel_hi:[0,1]
	v_fmac_f32_e32 v113, v79, v50
	v_fmac_f32_e32 v117, v81, v52
	;; [unrolled: 1-line block ×6, first 2 shown]
	v_fma_f32 v83, v78, v50, -v48
	v_fma_f32 v85, v80, v52, -v51
	;; [unrolled: 1-line block ×6, first 2 shown]
	v_pk_fma_f32 v[50:51], v[90:91], v[62:63], v[110:111] neg_lo:[0,0,1] neg_hi:[0,0,1]
	v_pk_fma_f32 v[52:53], v[90:91], v[62:63], v[110:111] op_sel_hi:[1,0,1]
	v_pk_mul_f32 v[54:55], v[92:93], v[112:113] op_sel:[1,0] op_sel_hi:[0,0]
	v_pk_fma_f32 v[56:57], v[94:95], v[66:67], v[114:115] neg_lo:[0,0,1] neg_hi:[0,0,1]
	v_pk_fma_f32 v[58:59], v[94:95], v[66:67], v[114:115] op_sel_hi:[1,0,1]
	v_pk_mul_f32 v[60:61], v[96:97], v[116:117] op_sel:[1,0] op_sel_hi:[0,0]
	v_pk_fma_f32 v[78:79], v[102:103], v[74:75], v[122:123] neg_lo:[0,0,1] neg_hi:[0,0,1]
	v_pk_fma_f32 v[74:75], v[102:103], v[74:75], v[122:123] op_sel_hi:[1,0,1]
	v_add_f32_e32 v83, 0, v83
	v_add_f32_e32 v74, 0, v113
	v_mov_b32_e32 v51, v53
	v_pk_fma_f32 v[52:53], v[92:93], v[64:65], v[54:55] neg_lo:[0,0,1] neg_hi:[0,0,1]
	v_pk_fma_f32 v[54:55], v[92:93], v[64:65], v[54:55] op_sel_hi:[1,0,1]
	v_mov_b32_e32 v57, v59
	v_pk_fma_f32 v[58:59], v[96:97], v[68:69], v[60:61] neg_lo:[0,0,1] neg_hi:[0,0,1]
	v_pk_fma_f32 v[60:61], v[96:97], v[68:69], v[60:61] op_sel_hi:[1,0,1]
	v_add_f32_e32 v54, v74, v117
	v_add_f32_e32 v60, v83, v85
	v_add_f32_e32 v54, v54, v121
	v_add_f32_e32 v60, v60, v82
	v_mov_b32_e32 v53, v55
	v_add_f32_e32 v55, v54, v125
	v_add_f32_e32 v54, v60, v84
	v_pk_add_f32 v[48:49], v[54:55], v[48:49]
	v_pk_mul_f32 v[118:119], v[98:99], v[70:71] op_sel:[1,1] op_sel_hi:[0,1]
	v_pk_add_f32 v[48:49], v[48:49], v[108:109]
	v_mov_b32_e32 v120, v73
	v_pk_add_f32 v[48:49], v[48:49], v[50:51]
	v_pk_fma_f32 v[62:63], v[98:99], v[70:71], v[118:119] neg_lo:[0,0,1] neg_hi:[0,0,1]
	v_pk_add_f32 v[48:49], v[48:49], v[52:53]
	v_pk_fma_f32 v[66:67], v[98:99], v[70:71], v[118:119] op_sel_hi:[1,0,1]
	v_pk_mul_f32 v[70:71], v[100:101], v[120:121] op_sel:[1,0] op_sel_hi:[0,0]
	v_mov_b32_e32 v59, v61
	v_pk_add_f32 v[48:49], v[48:49], v[56:57]
	v_mov_b32_e32 v124, v77
	v_mov_b32_e32 v63, v67
	v_pk_fma_f32 v[64:65], v[100:101], v[72:73], v[70:71] neg_lo:[0,0,1] neg_hi:[0,0,1]
	v_pk_fma_f32 v[66:67], v[100:101], v[72:73], v[70:71] op_sel_hi:[1,0,1]
	v_pk_add_f32 v[48:49], v[48:49], v[58:59]
	v_pk_mul_f32 v[80:81], v[104:105], v[124:125] op_sel:[1,0] op_sel_hi:[0,0]
	v_mov_b32_e32 v65, v67
	v_pk_add_f32 v[48:49], v[48:49], v[62:63]
	v_mov_b32_e32 v79, v75
	v_pk_fma_f32 v[68:69], v[104:105], v[76:77], v[80:81] neg_lo:[0,0,1] neg_hi:[0,0,1]
	v_pk_fma_f32 v[70:71], v[104:105], v[76:77], v[80:81] op_sel_hi:[1,0,1]
	v_pk_add_f32 v[48:49], v[48:49], v[64:65]
	v_mov_b32_e32 v69, v71
	v_pk_add_f32 v[48:49], v[48:49], v[78:79]
	s_nop 0
	v_pk_add_f32 v[48:49], v[48:49], v[68:69]
	s_waitcnt vmcnt(0)
	v_pk_add_f32 v[48:49], v[106:107], v[48:49] neg_lo:[0,1] neg_hi:[0,1]
	scratch_store_dwordx2 off, v[48:49], off offset:64
	s_and_saveexec_b64 s[0:1], vcc
	s_cbranch_execz .LBB86_137
; %bb.136:
	scratch_load_dwordx2 v[48:49], off, off offset:56
	v_mov_b32_e32 v50, 0
	v_mov_b32_e32 v51, v50
	scratch_store_dwordx2 off, v[50:51], off offset:56
	s_waitcnt vmcnt(1)
	ds_write_b64 v1, v[48:49]
.LBB86_137:
	s_or_b64 exec, exec, s[0:1]
	s_waitcnt lgkmcnt(0)
	; wave barrier
	scratch_load_dwordx4 v[50:53], off, off offset:64
	scratch_load_dwordx4 v[54:57], off, off offset:80
	;; [unrolled: 1-line block ×7, first 2 shown]
	scratch_load_dwordx2 v[106:107], off, off offset:176
	scratch_load_dwordx2 v[108:109], off, off offset:56
	v_mov_b32_e32 v48, 0
	ds_read_b128 v[78:81], v48 offset:256
	ds_read_b128 v[82:85], v48 offset:272
	ds_read_b128 v[86:89], v48 offset:288
	ds_read_b128 v[90:93], v48 offset:304
	ds_read_b128 v[94:97], v48 offset:320
	ds_read_b128 v[98:101], v48 offset:336
	ds_read_b128 v[102:105], v48 offset:352
	ds_read_b64 v[110:111], v48 offset:368
	v_cmp_lt_u32_e32 vcc, 6, v0
	s_waitcnt vmcnt(8) lgkmcnt(7)
	v_mul_f32_e32 v117, v80, v53
	v_mul_f32_e32 v49, v78, v51
	s_waitcnt vmcnt(7) lgkmcnt(6)
	v_mul_f32_e32 v121, v82, v55
	s_waitcnt vmcnt(6) lgkmcnt(5)
	v_mul_f32_e32 v129, v86, v59
	v_mul_f32_e32 v113, v88, v61
	v_mul_f32_e32 v51, v79, v51
	v_mul_f32_e32 v59, v87, v59
	v_mul_f32_e32 v61, v89, v61
	s_waitcnt vmcnt(5)
	v_mov_b32_e32 v116, v65
	s_waitcnt vmcnt(3) lgkmcnt(2)
	v_pk_mul_f32 v[122:123], v[98:99], v[70:71] op_sel:[1,1] op_sel_hi:[0,1]
	s_waitcnt vmcnt(2) lgkmcnt(1)
	v_pk_mul_f32 v[126:127], v[102:103], v[74:75] op_sel:[1,1] op_sel_hi:[0,1]
	v_fmac_f32_e32 v117, v81, v52
	v_mul_f32_e32 v53, v81, v53
	v_mul_f32_e32 v55, v83, v55
	v_fmac_f32_e32 v49, v79, v50
	v_fmac_f32_e32 v121, v83, v54
	;; [unrolled: 1-line block ×4, first 2 shown]
	v_fma_f32 v78, v78, v50, -v51
	v_fma_f32 v83, v86, v58, -v59
	;; [unrolled: 1-line block ×3, first 2 shown]
	v_pk_mul_f32 v[50:51], v[92:93], v[116:117] op_sel:[1,0] op_sel_hi:[0,0]
	v_pk_fma_f32 v[58:59], v[98:99], v[70:71], v[122:123] neg_lo:[0,0,1] neg_hi:[0,0,1]
	v_pk_fma_f32 v[60:61], v[98:99], v[70:71], v[122:123] op_sel_hi:[1,0,1]
	v_pk_fma_f32 v[70:71], v[102:103], v[74:75], v[126:127] op_sel_hi:[1,0,1]
	v_fma_f32 v80, v80, v52, -v53
	v_add_f32_e32 v49, 0, v49
	v_add_f32_e32 v70, 0, v78
	v_pk_fma_f32 v[78:79], v[92:93], v[64:65], v[50:51] neg_lo:[0,0,1] neg_hi:[0,0,1]
	v_pk_fma_f32 v[50:51], v[92:93], v[64:65], v[50:51] op_sel_hi:[1,0,1]
	v_mul_f32_e32 v125, v84, v57
	v_mul_f32_e32 v57, v85, v57
	v_fma_f32 v81, v82, v54, -v55
	v_add_f32_e32 v49, v49, v117
	v_add_f32_e32 v50, v70, v80
	v_fmac_f32_e32 v125, v85, v56
	v_fma_f32 v82, v84, v56, -v57
	v_add_f32_e32 v49, v49, v121
	v_add_f32_e32 v50, v50, v81
	;; [unrolled: 1-line block ×4, first 2 shown]
	v_mul_f32_e32 v115, v90, v63
	v_mul_f32_e32 v63, v91, v63
	v_mov_b32_e32 v79, v51
	v_add_f32_e32 v51, v49, v129
	v_add_f32_e32 v50, v50, v83
	v_pk_mul_f32 v[118:119], v[94:95], v[66:67] op_sel:[1,1] op_sel_hi:[0,1]
	v_mov_b32_e32 v120, v69
	v_fmac_f32_e32 v115, v91, v62
	v_fma_f32 v114, v90, v62, -v63
	v_pk_add_f32 v[50:51], v[50:51], v[112:113]
	v_pk_fma_f32 v[52:53], v[94:95], v[66:67], v[118:119] neg_lo:[0,0,1] neg_hi:[0,0,1]
	v_pk_fma_f32 v[54:55], v[94:95], v[66:67], v[118:119] op_sel_hi:[1,0,1]
	v_pk_mul_f32 v[56:57], v[96:97], v[120:121] op_sel:[1,0] op_sel_hi:[0,0]
	v_pk_add_f32 v[50:51], v[50:51], v[114:115]
	v_mov_b32_e32 v124, v73
	v_mov_b32_e32 v53, v55
	v_pk_fma_f32 v[54:55], v[96:97], v[68:69], v[56:57] neg_lo:[0,0,1] neg_hi:[0,0,1]
	v_pk_fma_f32 v[56:57], v[96:97], v[68:69], v[56:57] op_sel_hi:[1,0,1]
	v_pk_add_f32 v[50:51], v[50:51], v[78:79]
	v_pk_mul_f32 v[62:63], v[100:101], v[124:125] op_sel:[1,0] op_sel_hi:[0,0]
	v_mov_b32_e32 v55, v57
	v_pk_add_f32 v[50:51], v[50:51], v[52:53]
	v_mov_b32_e32 v128, v77
	v_mov_b32_e32 v59, v61
	v_pk_fma_f32 v[60:61], v[100:101], v[72:73], v[62:63] neg_lo:[0,0,1] neg_hi:[0,0,1]
	v_pk_fma_f32 v[62:63], v[100:101], v[72:73], v[62:63] op_sel_hi:[1,0,1]
	v_pk_add_f32 v[50:51], v[50:51], v[54:55]
	v_pk_fma_f32 v[66:67], v[102:103], v[74:75], v[126:127] neg_lo:[0,0,1] neg_hi:[0,0,1]
	v_pk_mul_f32 v[74:75], v[104:105], v[128:129] op_sel:[1,0] op_sel_hi:[0,0]
	v_mov_b32_e32 v61, v63
	v_pk_add_f32 v[50:51], v[50:51], v[58:59]
	v_mov_b32_e32 v67, v71
	v_pk_add_f32 v[50:51], v[50:51], v[60:61]
	v_pk_fma_f32 v[52:53], v[104:105], v[76:77], v[74:75] neg_lo:[0,0,1] neg_hi:[0,0,1]
	v_pk_fma_f32 v[54:55], v[104:105], v[76:77], v[74:75] op_sel_hi:[1,0,1]
	v_pk_add_f32 v[50:51], v[50:51], v[66:67]
	v_mov_b32_e32 v53, v55
	v_pk_add_f32 v[50:51], v[50:51], v[52:53]
	s_waitcnt vmcnt(1) lgkmcnt(0)
	v_pk_mul_f32 v[52:53], v[110:111], v[106:107] op_sel:[1,1] op_sel_hi:[0,1]
	v_pk_fma_f32 v[54:55], v[110:111], v[106:107], v[52:53] neg_lo:[0,0,1] neg_hi:[0,0,1]
	v_pk_fma_f32 v[52:53], v[110:111], v[106:107], v[52:53] op_sel_hi:[1,0,1]
	s_nop 0
	v_mov_b32_e32 v55, v53
	v_pk_add_f32 v[50:51], v[50:51], v[54:55]
	s_waitcnt vmcnt(0)
	v_pk_add_f32 v[50:51], v[108:109], v[50:51] neg_lo:[0,1] neg_hi:[0,1]
	scratch_store_dwordx2 off, v[50:51], off offset:56
	s_and_saveexec_b64 s[0:1], vcc
	s_cbranch_execz .LBB86_139
; %bb.138:
	scratch_load_dwordx2 v[50:51], off, off offset:48
	v_mov_b32_e32 v49, v48
	scratch_store_dwordx2 off, v[48:49], off offset:48
	s_waitcnt vmcnt(1)
	ds_write_b64 v1, v[50:51]
.LBB86_139:
	s_or_b64 exec, exec, s[0:1]
	s_waitcnt lgkmcnt(0)
	; wave barrier
	scratch_load_dwordx4 v[54:57], off, off offset:56
	scratch_load_dwordx4 v[62:65], off, off offset:72
	;; [unrolled: 1-line block ×4, first 2 shown]
	ds_read2_b64 v[50:53], v48 offset0:31 offset1:32
	v_cmp_lt_u32_e32 vcc, 5, v0
	s_waitcnt vmcnt(3) lgkmcnt(0)
	v_mul_f32_e32 v49, v50, v55
	v_fmac_f32_e32 v49, v51, v54
	v_mul_f32_e32 v58, v52, v57
	v_add_f32_e32 v49, 0, v49
	v_fmac_f32_e32 v58, v53, v56
	v_add_f32_e32 v49, v49, v58
	ds_read2_b64 v[58:61], v48 offset0:33 offset1:34
	s_waitcnt vmcnt(2) lgkmcnt(0)
	v_mul_f32_e32 v66, v58, v63
	v_fmac_f32_e32 v66, v59, v62
	v_add_f32_e32 v49, v49, v66
	v_mul_f32_e32 v66, v60, v65
	v_fmac_f32_e32 v66, v61, v64
	v_add_f32_e32 v49, v49, v66
	ds_read2_b64 v[66:69], v48 offset0:35 offset1:36
	s_waitcnt vmcnt(1) lgkmcnt(0)
	v_mul_f32_e32 v74, v66, v71
	v_fmac_f32_e32 v74, v67, v70
	v_add_f32_e32 v49, v49, v74
	v_mul_f32_e32 v74, v68, v73
	v_fmac_f32_e32 v74, v69, v72
	v_add_f32_e32 v99, v49, v74
	ds_read2_b64 v[74:77], v48 offset0:37 offset1:38
	scratch_load_dwordx4 v[82:85], off, off offset:120
	scratch_load_dwordx4 v[86:89], off, off offset:136
	scratch_load_dwordx4 v[90:93], off, off offset:152
	scratch_load_dwordx4 v[94:97], off, off offset:168
	v_mul_f32_e32 v49, v51, v55
	v_fma_f32 v49, v50, v54, -v49
	v_mul_f32_e32 v50, v53, v57
	v_add_f32_e32 v49, 0, v49
	v_fma_f32 v50, v52, v56, -v50
	v_add_f32_e32 v49, v49, v50
	v_mul_f32_e32 v50, v59, v63
	v_fma_f32 v50, v58, v62, -v50
	v_add_f32_e32 v49, v49, v50
	v_mul_f32_e32 v50, v61, v65
	;; [unrolled: 3-line block ×4, first 2 shown]
	v_fma_f32 v50, v68, v72, -v50
	v_add_f32_e32 v98, v49, v50
	ds_read2_b64 v[50:53], v48 offset0:39 offset1:40
	ds_read2_b64 v[54:57], v48 offset0:41 offset1:42
	;; [unrolled: 1-line block ×4, first 2 shown]
	s_waitcnt vmcnt(4) lgkmcnt(4)
	v_mul_f32_e32 v101, v74, v79
	v_mul_f32_e32 v49, v75, v79
	v_fmac_f32_e32 v101, v75, v78
	v_mul_f32_e32 v103, v76, v81
	v_fma_f32 v100, v74, v78, -v49
	v_mul_f32_e32 v49, v77, v81
	v_fmac_f32_e32 v103, v77, v80
	v_fma_f32 v102, v76, v80, -v49
	v_pk_add_f32 v[48:49], v[98:99], v[100:101]
	s_waitcnt vmcnt(3) lgkmcnt(3)
	v_pk_mul_f32 v[66:67], v[50:51], v[82:83] op_sel:[1,1] op_sel_hi:[0,1]
	v_pk_fma_f32 v[68:69], v[50:51], v[82:83], v[66:67] neg_lo:[0,0,1] neg_hi:[0,0,1]
	v_pk_fma_f32 v[50:51], v[50:51], v[82:83], v[66:67] op_sel_hi:[1,0,1]
	v_pk_add_f32 v[48:49], v[48:49], v[102:103]
	v_mov_b32_e32 v50, v85
	v_mov_b32_e32 v69, v51
	v_pk_mul_f32 v[50:51], v[52:53], v[50:51] op_sel:[1,0] op_sel_hi:[0,0]
	v_pk_fma_f32 v[66:67], v[52:53], v[84:85], v[50:51] neg_lo:[0,0,1] neg_hi:[0,0,1]
	v_pk_fma_f32 v[50:51], v[52:53], v[84:85], v[50:51] op_sel_hi:[1,0,1]
	v_pk_add_f32 v[48:49], v[48:49], v[68:69]
	v_mov_b32_e32 v67, v51
	s_waitcnt vmcnt(2) lgkmcnt(2)
	v_pk_mul_f32 v[50:51], v[54:55], v[86:87] op_sel:[1,1] op_sel_hi:[0,1]
	v_pk_fma_f32 v[52:53], v[54:55], v[86:87], v[50:51] neg_lo:[0,0,1] neg_hi:[0,0,1]
	v_pk_fma_f32 v[50:51], v[54:55], v[86:87], v[50:51] op_sel_hi:[1,0,1]
	v_pk_add_f32 v[48:49], v[48:49], v[66:67]
	v_mov_b32_e32 v50, v89
	v_mov_b32_e32 v53, v51
	v_pk_mul_f32 v[50:51], v[56:57], v[50:51] op_sel:[1,0] op_sel_hi:[0,0]
	v_pk_add_f32 v[48:49], v[48:49], v[52:53]
	v_pk_fma_f32 v[52:53], v[56:57], v[88:89], v[50:51] neg_lo:[0,0,1] neg_hi:[0,0,1]
	v_pk_fma_f32 v[50:51], v[56:57], v[88:89], v[50:51] op_sel_hi:[1,0,1]
	s_nop 0
	v_mov_b32_e32 v53, v51
	s_waitcnt vmcnt(1) lgkmcnt(1)
	v_pk_mul_f32 v[50:51], v[58:59], v[90:91] op_sel:[1,1] op_sel_hi:[0,1]
	v_pk_add_f32 v[48:49], v[48:49], v[52:53]
	v_pk_fma_f32 v[52:53], v[58:59], v[90:91], v[50:51] neg_lo:[0,0,1] neg_hi:[0,0,1]
	v_pk_fma_f32 v[50:51], v[58:59], v[90:91], v[50:51] op_sel_hi:[1,0,1]
	s_nop 0
	v_mov_b32_e32 v50, v93
	v_mov_b32_e32 v53, v51
	v_pk_mul_f32 v[50:51], v[60:61], v[50:51] op_sel:[1,0] op_sel_hi:[0,0]
	v_pk_add_f32 v[48:49], v[48:49], v[52:53]
	v_pk_fma_f32 v[52:53], v[60:61], v[92:93], v[50:51] neg_lo:[0,0,1] neg_hi:[0,0,1]
	v_pk_fma_f32 v[50:51], v[60:61], v[92:93], v[50:51] op_sel_hi:[1,0,1]
	s_nop 0
	v_mov_b32_e32 v53, v51
	s_waitcnt vmcnt(0) lgkmcnt(0)
	v_pk_mul_f32 v[50:51], v[62:63], v[94:95] op_sel:[1,1] op_sel_hi:[0,1]
	v_pk_add_f32 v[48:49], v[48:49], v[52:53]
	v_pk_fma_f32 v[52:53], v[62:63], v[94:95], v[50:51] neg_lo:[0,0,1] neg_hi:[0,0,1]
	v_pk_fma_f32 v[50:51], v[62:63], v[94:95], v[50:51] op_sel_hi:[1,0,1]
	s_nop 0
	v_mov_b32_e32 v50, v97
	v_mov_b32_e32 v53, v51
	v_pk_mul_f32 v[50:51], v[64:65], v[50:51] op_sel:[1,0] op_sel_hi:[0,0]
	v_pk_add_f32 v[48:49], v[48:49], v[52:53]
	v_pk_fma_f32 v[52:53], v[64:65], v[96:97], v[50:51] neg_lo:[0,0,1] neg_hi:[0,0,1]
	v_pk_fma_f32 v[50:51], v[64:65], v[96:97], v[50:51] op_sel_hi:[1,0,1]
	s_nop 0
	v_mov_b32_e32 v53, v51
	scratch_load_dwordx2 v[50:51], off, off offset:48
	v_pk_add_f32 v[48:49], v[48:49], v[52:53]
	s_waitcnt vmcnt(0)
	v_pk_add_f32 v[48:49], v[50:51], v[48:49] neg_lo:[0,1] neg_hi:[0,1]
	scratch_store_dwordx2 off, v[48:49], off offset:48
	s_and_saveexec_b64 s[0:1], vcc
	s_cbranch_execz .LBB86_141
; %bb.140:
	scratch_load_dwordx2 v[48:49], off, off offset:40
	v_mov_b32_e32 v50, 0
	v_mov_b32_e32 v51, v50
	scratch_store_dwordx2 off, v[50:51], off offset:40
	s_waitcnt vmcnt(1)
	ds_write_b64 v1, v[48:49]
.LBB86_141:
	s_or_b64 exec, exec, s[0:1]
	v_mov_b32_e32 v48, 0
	s_waitcnt lgkmcnt(0)
	; wave barrier
	ds_read_b128 v[50:53], v48 offset:240
	ds_read_b128 v[54:57], v48 offset:256
	;; [unrolled: 1-line block ×4, first 2 shown]
	scratch_load_dwordx4 v[66:69], off, off offset:48
	scratch_load_dwordx4 v[86:89], off, off offset:112
	v_cmp_lt_u32_e32 vcc, 4, v0
	s_waitcnt vmcnt(1) lgkmcnt(3)
	v_mul_f32_e32 v49, v50, v67
	v_fmac_f32_e32 v49, v51, v66
	v_mul_f32_e32 v70, v52, v69
	v_add_f32_e32 v49, 0, v49
	v_fmac_f32_e32 v70, v53, v68
	v_add_f32_e32 v49, v49, v70
	scratch_load_dwordx4 v[70:73], off, off offset:64
	s_waitcnt vmcnt(0) lgkmcnt(2)
	v_mul_f32_e32 v74, v54, v71
	v_fmac_f32_e32 v74, v55, v70
	v_add_f32_e32 v49, v49, v74
	v_mul_f32_e32 v74, v56, v73
	v_fmac_f32_e32 v74, v57, v72
	v_add_f32_e32 v49, v49, v74
	scratch_load_dwordx4 v[74:77], off, off offset:80
	s_waitcnt vmcnt(0) lgkmcnt(1)
	v_mul_f32_e32 v78, v58, v75
	v_fmac_f32_e32 v78, v59, v74
	v_add_f32_e32 v49, v49, v78
	v_mul_f32_e32 v78, v60, v77
	v_fmac_f32_e32 v78, v61, v76
	v_add_f32_e32 v49, v49, v78
	scratch_load_dwordx4 v[78:81], off, off offset:96
	s_waitcnt vmcnt(0) lgkmcnt(0)
	v_mul_f32_e32 v82, v62, v79
	v_fmac_f32_e32 v82, v63, v78
	v_add_f32_e32 v103, v49, v82
	ds_read_b128 v[82:85], v48 offset:304
	scratch_load_dwordx4 v[90:93], off, off offset:128
	scratch_load_dwordx4 v[94:97], off, off offset:144
	;; [unrolled: 1-line block ×3, first 2 shown]
	scratch_load_dwordx2 v[108:109], off, off offset:176
	v_mul_f32_e32 v49, v51, v67
	v_fma_f32 v49, v50, v66, -v49
	v_mul_f32_e32 v50, v53, v69
	v_add_f32_e32 v49, 0, v49
	v_fma_f32 v50, v52, v68, -v50
	v_add_f32_e32 v49, v49, v50
	v_mul_f32_e32 v50, v55, v71
	v_fma_f32 v50, v54, v70, -v50
	v_add_f32_e32 v49, v49, v50
	v_mul_f32_e32 v50, v57, v73
	;; [unrolled: 3-line block ×5, first 2 shown]
	v_fma_f32 v50, v62, v78, -v50
	v_mul_f32_e32 v105, v64, v81
	v_add_f32_e32 v102, v49, v50
	v_mul_f32_e32 v49, v65, v81
	v_mov_b32_e32 v66, v89
	v_fmac_f32_e32 v105, v65, v80
	s_waitcnt lgkmcnt(0)
	v_mul_f32_e32 v107, v82, v87
	v_fma_f32 v104, v64, v80, -v49
	v_mul_f32_e32 v49, v83, v87
	ds_read_b128 v[50:53], v48 offset:320
	ds_read_b128 v[54:57], v48 offset:336
	;; [unrolled: 1-line block ×3, first 2 shown]
	ds_read_b64 v[62:63], v48 offset:368
	v_pk_mul_f32 v[66:67], v[84:85], v[66:67] op_sel:[1,0] op_sel_hi:[0,0]
	v_fmac_f32_e32 v107, v83, v86
	v_fma_f32 v106, v82, v86, -v49
	v_pk_add_f32 v[64:65], v[102:103], v[104:105]
	v_pk_fma_f32 v[68:69], v[84:85], v[88:89], v[66:67] neg_lo:[0,0,1] neg_hi:[0,0,1]
	v_pk_fma_f32 v[66:67], v[84:85], v[88:89], v[66:67] op_sel_hi:[1,0,1]
	v_pk_add_f32 v[64:65], v[64:65], v[106:107]
	v_mov_b32_e32 v69, v67
	v_pk_add_f32 v[64:65], v[64:65], v[68:69]
	s_waitcnt vmcnt(3) lgkmcnt(3)
	v_pk_mul_f32 v[66:67], v[50:51], v[90:91] op_sel:[1,1] op_sel_hi:[0,1]
	v_pk_fma_f32 v[68:69], v[50:51], v[90:91], v[66:67] neg_lo:[0,0,1] neg_hi:[0,0,1]
	v_pk_fma_f32 v[50:51], v[50:51], v[90:91], v[66:67] op_sel_hi:[1,0,1]
	s_nop 0
	v_mov_b32_e32 v69, v51
	v_pk_add_f32 v[50:51], v[64:65], v[68:69]
	v_mov_b32_e32 v64, v93
	v_pk_mul_f32 v[64:65], v[52:53], v[64:65] op_sel:[1,0] op_sel_hi:[0,0]
	v_pk_fma_f32 v[66:67], v[52:53], v[92:93], v[64:65] neg_lo:[0,0,1] neg_hi:[0,0,1]
	v_pk_fma_f32 v[52:53], v[52:53], v[92:93], v[64:65] op_sel_hi:[1,0,1]
	s_nop 0
	v_mov_b32_e32 v67, v53
	s_waitcnt vmcnt(2) lgkmcnt(2)
	v_pk_mul_f32 v[52:53], v[54:55], v[94:95] op_sel:[1,1] op_sel_hi:[0,1]
	v_pk_fma_f32 v[64:65], v[54:55], v[94:95], v[52:53] neg_lo:[0,0,1] neg_hi:[0,0,1]
	v_pk_fma_f32 v[52:53], v[54:55], v[94:95], v[52:53] op_sel_hi:[1,0,1]
	v_pk_add_f32 v[50:51], v[50:51], v[66:67]
	v_mov_b32_e32 v52, v97
	v_mov_b32_e32 v65, v53
	v_pk_mul_f32 v[52:53], v[56:57], v[52:53] op_sel:[1,0] op_sel_hi:[0,0]
	v_pk_fma_f32 v[54:55], v[56:57], v[96:97], v[52:53] neg_lo:[0,0,1] neg_hi:[0,0,1]
	v_pk_fma_f32 v[52:53], v[56:57], v[96:97], v[52:53] op_sel_hi:[1,0,1]
	v_pk_add_f32 v[50:51], v[50:51], v[64:65]
	v_mov_b32_e32 v55, v53
	s_waitcnt vmcnt(1) lgkmcnt(1)
	v_pk_mul_f32 v[52:53], v[58:59], v[98:99] op_sel:[1,1] op_sel_hi:[0,1]
	v_pk_add_f32 v[50:51], v[50:51], v[54:55]
	v_pk_fma_f32 v[54:55], v[58:59], v[98:99], v[52:53] neg_lo:[0,0,1] neg_hi:[0,0,1]
	v_pk_fma_f32 v[52:53], v[58:59], v[98:99], v[52:53] op_sel_hi:[1,0,1]
	s_nop 0
	v_mov_b32_e32 v52, v101
	v_mov_b32_e32 v55, v53
	v_pk_mul_f32 v[52:53], v[60:61], v[52:53] op_sel:[1,0] op_sel_hi:[0,0]
	v_pk_add_f32 v[50:51], v[50:51], v[54:55]
	v_pk_fma_f32 v[54:55], v[60:61], v[100:101], v[52:53] neg_lo:[0,0,1] neg_hi:[0,0,1]
	v_pk_fma_f32 v[52:53], v[60:61], v[100:101], v[52:53] op_sel_hi:[1,0,1]
	s_nop 0
	v_mov_b32_e32 v55, v53
	s_waitcnt vmcnt(0) lgkmcnt(0)
	v_pk_mul_f32 v[52:53], v[62:63], v[108:109] op_sel:[1,1] op_sel_hi:[0,1]
	v_pk_add_f32 v[50:51], v[50:51], v[54:55]
	v_pk_fma_f32 v[54:55], v[62:63], v[108:109], v[52:53] neg_lo:[0,0,1] neg_hi:[0,0,1]
	v_pk_fma_f32 v[52:53], v[62:63], v[108:109], v[52:53] op_sel_hi:[1,0,1]
	s_nop 0
	v_mov_b32_e32 v55, v53
	scratch_load_dwordx2 v[52:53], off, off offset:40
	v_pk_add_f32 v[50:51], v[50:51], v[54:55]
	s_waitcnt vmcnt(0)
	v_pk_add_f32 v[50:51], v[52:53], v[50:51] neg_lo:[0,1] neg_hi:[0,1]
	scratch_store_dwordx2 off, v[50:51], off offset:40
	s_and_saveexec_b64 s[0:1], vcc
	s_cbranch_execz .LBB86_143
; %bb.142:
	scratch_load_dwordx2 v[50:51], off, off offset:32
	v_mov_b32_e32 v49, v48
	scratch_store_dwordx2 off, v[48:49], off offset:32
	s_waitcnt vmcnt(1)
	ds_write_b64 v1, v[50:51]
.LBB86_143:
	s_or_b64 exec, exec, s[0:1]
	s_waitcnt lgkmcnt(0)
	; wave barrier
	scratch_load_dwordx4 v[54:57], off, off offset:40
	scratch_load_dwordx4 v[62:65], off, off offset:56
	;; [unrolled: 1-line block ×4, first 2 shown]
	ds_read2_b64 v[50:53], v48 offset0:29 offset1:30
	scratch_load_dwordx4 v[86:89], off, off offset:104
	v_cmp_lt_u32_e32 vcc, 3, v0
	s_waitcnt vmcnt(4) lgkmcnt(0)
	v_mul_f32_e32 v49, v50, v55
	v_fmac_f32_e32 v49, v51, v54
	v_mul_f32_e32 v58, v52, v57
	v_add_f32_e32 v49, 0, v49
	v_fmac_f32_e32 v58, v53, v56
	v_add_f32_e32 v49, v49, v58
	ds_read2_b64 v[58:61], v48 offset0:31 offset1:32
	s_waitcnt vmcnt(3) lgkmcnt(0)
	v_mul_f32_e32 v66, v58, v63
	v_fmac_f32_e32 v66, v59, v62
	v_add_f32_e32 v49, v49, v66
	v_mul_f32_e32 v66, v60, v65
	v_fmac_f32_e32 v66, v61, v64
	v_add_f32_e32 v49, v49, v66
	ds_read2_b64 v[66:69], v48 offset0:33 offset1:34
	s_waitcnt vmcnt(2) lgkmcnt(0)
	v_mul_f32_e32 v74, v66, v71
	v_fmac_f32_e32 v74, v67, v70
	v_add_f32_e32 v49, v49, v74
	v_mul_f32_e32 v74, v68, v73
	;; [unrolled: 8-line block ×3, first 2 shown]
	v_fmac_f32_e32 v82, v77, v80
	v_add_f32_e32 v107, v49, v82
	ds_read2_b64 v[82:85], v48 offset0:37 offset1:38
	scratch_load_dwordx4 v[90:93], off, off offset:120
	scratch_load_dwordx4 v[94:97], off, off offset:136
	;; [unrolled: 1-line block ×4, first 2 shown]
	v_mul_f32_e32 v49, v51, v55
	v_fma_f32 v49, v50, v54, -v49
	v_mul_f32_e32 v50, v53, v57
	v_add_f32_e32 v49, 0, v49
	v_fma_f32 v50, v52, v56, -v50
	v_add_f32_e32 v49, v49, v50
	v_mul_f32_e32 v50, v59, v63
	v_fma_f32 v50, v58, v62, -v50
	v_add_f32_e32 v49, v49, v50
	v_mul_f32_e32 v50, v61, v65
	;; [unrolled: 3-line block ×6, first 2 shown]
	v_fma_f32 v50, v76, v80, -v50
	v_add_f32_e32 v106, v49, v50
	ds_read2_b64 v[50:53], v48 offset0:39 offset1:40
	ds_read2_b64 v[54:57], v48 offset0:41 offset1:42
	;; [unrolled: 1-line block ×4, first 2 shown]
	s_waitcnt vmcnt(4) lgkmcnt(4)
	v_mul_f32_e32 v109, v82, v87
	v_mul_f32_e32 v49, v83, v87
	v_fmac_f32_e32 v109, v83, v86
	v_mul_f32_e32 v111, v84, v89
	v_fma_f32 v108, v82, v86, -v49
	v_mul_f32_e32 v49, v85, v89
	v_fmac_f32_e32 v111, v85, v88
	v_fma_f32 v110, v84, v88, -v49
	v_pk_add_f32 v[48:49], v[106:107], v[108:109]
	s_waitcnt vmcnt(3) lgkmcnt(3)
	v_pk_mul_f32 v[66:67], v[50:51], v[90:91] op_sel:[1,1] op_sel_hi:[0,1]
	v_pk_fma_f32 v[68:69], v[50:51], v[90:91], v[66:67] neg_lo:[0,0,1] neg_hi:[0,0,1]
	v_pk_fma_f32 v[50:51], v[50:51], v[90:91], v[66:67] op_sel_hi:[1,0,1]
	v_pk_add_f32 v[48:49], v[48:49], v[110:111]
	v_mov_b32_e32 v50, v93
	v_mov_b32_e32 v69, v51
	v_pk_mul_f32 v[50:51], v[52:53], v[50:51] op_sel:[1,0] op_sel_hi:[0,0]
	v_pk_fma_f32 v[66:67], v[52:53], v[92:93], v[50:51] neg_lo:[0,0,1] neg_hi:[0,0,1]
	v_pk_fma_f32 v[50:51], v[52:53], v[92:93], v[50:51] op_sel_hi:[1,0,1]
	v_pk_add_f32 v[48:49], v[48:49], v[68:69]
	v_mov_b32_e32 v67, v51
	s_waitcnt vmcnt(2) lgkmcnt(2)
	v_pk_mul_f32 v[50:51], v[54:55], v[94:95] op_sel:[1,1] op_sel_hi:[0,1]
	v_pk_fma_f32 v[52:53], v[54:55], v[94:95], v[50:51] neg_lo:[0,0,1] neg_hi:[0,0,1]
	v_pk_fma_f32 v[50:51], v[54:55], v[94:95], v[50:51] op_sel_hi:[1,0,1]
	v_pk_add_f32 v[48:49], v[48:49], v[66:67]
	v_mov_b32_e32 v50, v97
	v_mov_b32_e32 v53, v51
	v_pk_mul_f32 v[50:51], v[56:57], v[50:51] op_sel:[1,0] op_sel_hi:[0,0]
	v_pk_add_f32 v[48:49], v[48:49], v[52:53]
	v_pk_fma_f32 v[52:53], v[56:57], v[96:97], v[50:51] neg_lo:[0,0,1] neg_hi:[0,0,1]
	v_pk_fma_f32 v[50:51], v[56:57], v[96:97], v[50:51] op_sel_hi:[1,0,1]
	s_nop 0
	v_mov_b32_e32 v53, v51
	s_waitcnt vmcnt(1) lgkmcnt(1)
	v_pk_mul_f32 v[50:51], v[58:59], v[98:99] op_sel:[1,1] op_sel_hi:[0,1]
	v_pk_add_f32 v[48:49], v[48:49], v[52:53]
	v_pk_fma_f32 v[52:53], v[58:59], v[98:99], v[50:51] neg_lo:[0,0,1] neg_hi:[0,0,1]
	v_pk_fma_f32 v[50:51], v[58:59], v[98:99], v[50:51] op_sel_hi:[1,0,1]
	s_nop 0
	v_mov_b32_e32 v50, v101
	v_mov_b32_e32 v53, v51
	v_pk_mul_f32 v[50:51], v[60:61], v[50:51] op_sel:[1,0] op_sel_hi:[0,0]
	v_pk_add_f32 v[48:49], v[48:49], v[52:53]
	v_pk_fma_f32 v[52:53], v[60:61], v[100:101], v[50:51] neg_lo:[0,0,1] neg_hi:[0,0,1]
	v_pk_fma_f32 v[50:51], v[60:61], v[100:101], v[50:51] op_sel_hi:[1,0,1]
	s_nop 0
	v_mov_b32_e32 v53, v51
	s_waitcnt vmcnt(0) lgkmcnt(0)
	v_pk_mul_f32 v[50:51], v[62:63], v[102:103] op_sel:[1,1] op_sel_hi:[0,1]
	v_pk_add_f32 v[48:49], v[48:49], v[52:53]
	v_pk_fma_f32 v[52:53], v[62:63], v[102:103], v[50:51] neg_lo:[0,0,1] neg_hi:[0,0,1]
	v_pk_fma_f32 v[50:51], v[62:63], v[102:103], v[50:51] op_sel_hi:[1,0,1]
	s_nop 0
	v_mov_b32_e32 v50, v105
	v_mov_b32_e32 v53, v51
	v_pk_mul_f32 v[50:51], v[64:65], v[50:51] op_sel:[1,0] op_sel_hi:[0,0]
	v_pk_add_f32 v[48:49], v[48:49], v[52:53]
	v_pk_fma_f32 v[52:53], v[64:65], v[104:105], v[50:51] neg_lo:[0,0,1] neg_hi:[0,0,1]
	v_pk_fma_f32 v[50:51], v[64:65], v[104:105], v[50:51] op_sel_hi:[1,0,1]
	s_nop 0
	v_mov_b32_e32 v53, v51
	scratch_load_dwordx2 v[50:51], off, off offset:32
	v_pk_add_f32 v[48:49], v[48:49], v[52:53]
	s_waitcnt vmcnt(0)
	v_pk_add_f32 v[48:49], v[50:51], v[48:49] neg_lo:[0,1] neg_hi:[0,1]
	scratch_store_dwordx2 off, v[48:49], off offset:32
	s_and_saveexec_b64 s[0:1], vcc
	s_cbranch_execz .LBB86_145
; %bb.144:
	scratch_load_dwordx2 v[48:49], off, off offset:24
	v_mov_b32_e32 v50, 0
	v_mov_b32_e32 v51, v50
	scratch_store_dwordx2 off, v[50:51], off offset:24
	s_waitcnt vmcnt(1)
	ds_write_b64 v1, v[48:49]
.LBB86_145:
	s_or_b64 exec, exec, s[0:1]
	v_mov_b32_e32 v48, 0
	s_waitcnt lgkmcnt(0)
	; wave barrier
	ds_read_b128 v[50:53], v48 offset:224
	ds_read_b128 v[54:57], v48 offset:240
	;; [unrolled: 1-line block ×4, first 2 shown]
	scratch_load_dwordx4 v[66:69], off, off offset:32
	scratch_load_dwordx4 v[86:89], off, off offset:96
	v_cmp_lt_u32_e32 vcc, 2, v0
	scratch_load_dwordx4 v[94:97], off, off offset:112
	s_waitcnt vmcnt(2) lgkmcnt(3)
	v_mul_f32_e32 v49, v50, v67
	v_fmac_f32_e32 v49, v51, v66
	v_mul_f32_e32 v70, v52, v69
	v_add_f32_e32 v49, 0, v49
	v_fmac_f32_e32 v70, v53, v68
	v_add_f32_e32 v49, v49, v70
	scratch_load_dwordx4 v[70:73], off, off offset:48
	s_waitcnt vmcnt(0) lgkmcnt(2)
	v_mul_f32_e32 v74, v54, v71
	v_fmac_f32_e32 v74, v55, v70
	v_add_f32_e32 v49, v49, v74
	v_mul_f32_e32 v74, v56, v73
	v_fmac_f32_e32 v74, v57, v72
	v_add_f32_e32 v49, v49, v74
	scratch_load_dwordx4 v[74:77], off, off offset:64
	s_waitcnt vmcnt(0) lgkmcnt(1)
	v_mul_f32_e32 v78, v58, v75
	v_fmac_f32_e32 v78, v59, v74
	v_add_f32_e32 v49, v49, v78
	v_mul_f32_e32 v78, v60, v77
	;; [unrolled: 8-line block ×3, first 2 shown]
	v_fmac_f32_e32 v82, v65, v80
	v_add_f32_e32 v49, v49, v82
	ds_read_b128 v[82:85], v48 offset:288
	s_waitcnt lgkmcnt(0)
	v_mul_f32_e32 v90, v82, v87
	v_fmac_f32_e32 v90, v83, v86
	v_add_f32_e32 v111, v49, v90
	ds_read_b128 v[90:93], v48 offset:304
	scratch_load_dwordx4 v[98:101], off, off offset:128
	scratch_load_dwordx4 v[102:105], off, off offset:144
	;; [unrolled: 1-line block ×3, first 2 shown]
	scratch_load_dwordx2 v[116:117], off, off offset:176
	v_mul_f32_e32 v49, v51, v67
	v_fma_f32 v49, v50, v66, -v49
	v_mul_f32_e32 v50, v53, v69
	v_add_f32_e32 v49, 0, v49
	v_fma_f32 v50, v52, v68, -v50
	v_add_f32_e32 v49, v49, v50
	v_mul_f32_e32 v50, v55, v71
	v_fma_f32 v50, v54, v70, -v50
	v_add_f32_e32 v49, v49, v50
	v_mul_f32_e32 v50, v57, v73
	;; [unrolled: 3-line block ×7, first 2 shown]
	v_fma_f32 v50, v82, v86, -v50
	v_mul_f32_e32 v113, v84, v89
	v_add_f32_e32 v110, v49, v50
	v_mul_f32_e32 v49, v85, v89
	v_mov_b32_e32 v66, v97
	v_fmac_f32_e32 v113, v85, v88
	s_waitcnt lgkmcnt(0)
	v_mul_f32_e32 v115, v90, v95
	v_fma_f32 v112, v84, v88, -v49
	v_mul_f32_e32 v49, v91, v95
	ds_read_b128 v[50:53], v48 offset:320
	ds_read_b128 v[54:57], v48 offset:336
	;; [unrolled: 1-line block ×3, first 2 shown]
	ds_read_b64 v[62:63], v48 offset:368
	v_pk_mul_f32 v[66:67], v[92:93], v[66:67] op_sel:[1,0] op_sel_hi:[0,0]
	v_fmac_f32_e32 v115, v91, v94
	v_fma_f32 v114, v90, v94, -v49
	v_pk_add_f32 v[64:65], v[110:111], v[112:113]
	v_pk_fma_f32 v[68:69], v[92:93], v[96:97], v[66:67] neg_lo:[0,0,1] neg_hi:[0,0,1]
	v_pk_fma_f32 v[66:67], v[92:93], v[96:97], v[66:67] op_sel_hi:[1,0,1]
	v_pk_add_f32 v[64:65], v[64:65], v[114:115]
	v_mov_b32_e32 v69, v67
	v_pk_add_f32 v[64:65], v[64:65], v[68:69]
	s_waitcnt vmcnt(3) lgkmcnt(3)
	v_pk_mul_f32 v[66:67], v[50:51], v[98:99] op_sel:[1,1] op_sel_hi:[0,1]
	v_pk_fma_f32 v[68:69], v[50:51], v[98:99], v[66:67] neg_lo:[0,0,1] neg_hi:[0,0,1]
	v_pk_fma_f32 v[50:51], v[50:51], v[98:99], v[66:67] op_sel_hi:[1,0,1]
	s_nop 0
	v_mov_b32_e32 v69, v51
	v_pk_add_f32 v[50:51], v[64:65], v[68:69]
	v_mov_b32_e32 v64, v101
	v_pk_mul_f32 v[64:65], v[52:53], v[64:65] op_sel:[1,0] op_sel_hi:[0,0]
	v_pk_fma_f32 v[66:67], v[52:53], v[100:101], v[64:65] neg_lo:[0,0,1] neg_hi:[0,0,1]
	v_pk_fma_f32 v[52:53], v[52:53], v[100:101], v[64:65] op_sel_hi:[1,0,1]
	s_nop 0
	v_mov_b32_e32 v67, v53
	s_waitcnt vmcnt(2) lgkmcnt(2)
	v_pk_mul_f32 v[52:53], v[54:55], v[102:103] op_sel:[1,1] op_sel_hi:[0,1]
	v_pk_fma_f32 v[64:65], v[54:55], v[102:103], v[52:53] neg_lo:[0,0,1] neg_hi:[0,0,1]
	v_pk_fma_f32 v[52:53], v[54:55], v[102:103], v[52:53] op_sel_hi:[1,0,1]
	v_pk_add_f32 v[50:51], v[50:51], v[66:67]
	v_mov_b32_e32 v52, v105
	v_mov_b32_e32 v65, v53
	v_pk_mul_f32 v[52:53], v[56:57], v[52:53] op_sel:[1,0] op_sel_hi:[0,0]
	v_pk_fma_f32 v[54:55], v[56:57], v[104:105], v[52:53] neg_lo:[0,0,1] neg_hi:[0,0,1]
	v_pk_fma_f32 v[52:53], v[56:57], v[104:105], v[52:53] op_sel_hi:[1,0,1]
	v_pk_add_f32 v[50:51], v[50:51], v[64:65]
	v_mov_b32_e32 v55, v53
	s_waitcnt vmcnt(1) lgkmcnt(1)
	v_pk_mul_f32 v[52:53], v[58:59], v[106:107] op_sel:[1,1] op_sel_hi:[0,1]
	v_pk_add_f32 v[50:51], v[50:51], v[54:55]
	v_pk_fma_f32 v[54:55], v[58:59], v[106:107], v[52:53] neg_lo:[0,0,1] neg_hi:[0,0,1]
	v_pk_fma_f32 v[52:53], v[58:59], v[106:107], v[52:53] op_sel_hi:[1,0,1]
	s_nop 0
	v_mov_b32_e32 v52, v109
	v_mov_b32_e32 v55, v53
	v_pk_mul_f32 v[52:53], v[60:61], v[52:53] op_sel:[1,0] op_sel_hi:[0,0]
	v_pk_add_f32 v[50:51], v[50:51], v[54:55]
	v_pk_fma_f32 v[54:55], v[60:61], v[108:109], v[52:53] neg_lo:[0,0,1] neg_hi:[0,0,1]
	v_pk_fma_f32 v[52:53], v[60:61], v[108:109], v[52:53] op_sel_hi:[1,0,1]
	s_nop 0
	v_mov_b32_e32 v55, v53
	s_waitcnt vmcnt(0) lgkmcnt(0)
	v_pk_mul_f32 v[52:53], v[62:63], v[116:117] op_sel:[1,1] op_sel_hi:[0,1]
	v_pk_add_f32 v[50:51], v[50:51], v[54:55]
	v_pk_fma_f32 v[54:55], v[62:63], v[116:117], v[52:53] neg_lo:[0,0,1] neg_hi:[0,0,1]
	v_pk_fma_f32 v[52:53], v[62:63], v[116:117], v[52:53] op_sel_hi:[1,0,1]
	s_nop 0
	v_mov_b32_e32 v55, v53
	scratch_load_dwordx2 v[52:53], off, off offset:24
	v_pk_add_f32 v[50:51], v[50:51], v[54:55]
	s_waitcnt vmcnt(0)
	v_pk_add_f32 v[50:51], v[52:53], v[50:51] neg_lo:[0,1] neg_hi:[0,1]
	scratch_store_dwordx2 off, v[50:51], off offset:24
	s_and_saveexec_b64 s[0:1], vcc
	s_cbranch_execz .LBB86_147
; %bb.146:
	scratch_load_dwordx2 v[50:51], off, off offset:16
	v_mov_b32_e32 v49, v48
	scratch_store_dwordx2 off, v[48:49], off offset:16
	s_waitcnt vmcnt(1)
	ds_write_b64 v1, v[50:51]
.LBB86_147:
	s_or_b64 exec, exec, s[0:1]
	s_waitcnt lgkmcnt(0)
	; wave barrier
	scratch_load_dwordx4 v[54:57], off, off offset:24
	scratch_load_dwordx4 v[62:65], off, off offset:40
	;; [unrolled: 1-line block ×6, first 2 shown]
	ds_read2_b64 v[50:53], v48 offset0:27 offset1:28
	v_cmp_lt_u32_e32 vcc, 1, v0
	s_waitcnt vmcnt(5) lgkmcnt(0)
	v_mul_f32_e32 v49, v50, v55
	v_fmac_f32_e32 v49, v51, v54
	v_mul_f32_e32 v58, v52, v57
	v_add_f32_e32 v49, 0, v49
	v_fmac_f32_e32 v58, v53, v56
	v_add_f32_e32 v49, v49, v58
	ds_read2_b64 v[58:61], v48 offset0:29 offset1:30
	s_waitcnt vmcnt(4) lgkmcnt(0)
	v_mul_f32_e32 v66, v58, v63
	v_fmac_f32_e32 v66, v59, v62
	v_add_f32_e32 v49, v49, v66
	v_mul_f32_e32 v66, v60, v65
	v_fmac_f32_e32 v66, v61, v64
	v_add_f32_e32 v49, v49, v66
	ds_read2_b64 v[66:69], v48 offset0:31 offset1:32
	s_waitcnt vmcnt(3) lgkmcnt(0)
	v_mul_f32_e32 v74, v66, v71
	v_fmac_f32_e32 v74, v67, v70
	v_add_f32_e32 v49, v49, v74
	v_mul_f32_e32 v74, v68, v73
	;; [unrolled: 8-line block ×4, first 2 shown]
	v_fmac_f32_e32 v90, v85, v88
	v_add_f32_e32 v115, v49, v90
	ds_read2_b64 v[90:93], v48 offset0:37 offset1:38
	scratch_load_dwordx4 v[98:101], off, off offset:120
	scratch_load_dwordx4 v[102:105], off, off offset:136
	;; [unrolled: 1-line block ×4, first 2 shown]
	v_mul_f32_e32 v49, v51, v55
	v_fma_f32 v49, v50, v54, -v49
	v_mul_f32_e32 v50, v53, v57
	v_add_f32_e32 v49, 0, v49
	v_fma_f32 v50, v52, v56, -v50
	v_add_f32_e32 v49, v49, v50
	v_mul_f32_e32 v50, v59, v63
	v_fma_f32 v50, v58, v62, -v50
	v_add_f32_e32 v49, v49, v50
	v_mul_f32_e32 v50, v61, v65
	;; [unrolled: 3-line block ×8, first 2 shown]
	v_fma_f32 v50, v84, v88, -v50
	v_add_f32_e32 v114, v49, v50
	ds_read2_b64 v[50:53], v48 offset0:39 offset1:40
	ds_read2_b64 v[54:57], v48 offset0:41 offset1:42
	;; [unrolled: 1-line block ×4, first 2 shown]
	s_waitcnt vmcnt(4) lgkmcnt(4)
	v_mul_f32_e32 v117, v90, v95
	v_mul_f32_e32 v49, v91, v95
	v_fmac_f32_e32 v117, v91, v94
	v_mul_f32_e32 v119, v92, v97
	v_fma_f32 v116, v90, v94, -v49
	v_mul_f32_e32 v49, v93, v97
	v_fmac_f32_e32 v119, v93, v96
	v_fma_f32 v118, v92, v96, -v49
	v_pk_add_f32 v[48:49], v[114:115], v[116:117]
	s_waitcnt vmcnt(3) lgkmcnt(3)
	v_pk_mul_f32 v[66:67], v[50:51], v[98:99] op_sel:[1,1] op_sel_hi:[0,1]
	v_pk_fma_f32 v[68:69], v[50:51], v[98:99], v[66:67] neg_lo:[0,0,1] neg_hi:[0,0,1]
	v_pk_fma_f32 v[50:51], v[50:51], v[98:99], v[66:67] op_sel_hi:[1,0,1]
	v_pk_add_f32 v[48:49], v[48:49], v[118:119]
	v_mov_b32_e32 v50, v101
	v_mov_b32_e32 v69, v51
	v_pk_mul_f32 v[50:51], v[52:53], v[50:51] op_sel:[1,0] op_sel_hi:[0,0]
	v_pk_fma_f32 v[66:67], v[52:53], v[100:101], v[50:51] neg_lo:[0,0,1] neg_hi:[0,0,1]
	v_pk_fma_f32 v[50:51], v[52:53], v[100:101], v[50:51] op_sel_hi:[1,0,1]
	v_pk_add_f32 v[48:49], v[48:49], v[68:69]
	v_mov_b32_e32 v67, v51
	s_waitcnt vmcnt(2) lgkmcnt(2)
	v_pk_mul_f32 v[50:51], v[54:55], v[102:103] op_sel:[1,1] op_sel_hi:[0,1]
	v_pk_fma_f32 v[52:53], v[54:55], v[102:103], v[50:51] neg_lo:[0,0,1] neg_hi:[0,0,1]
	v_pk_fma_f32 v[50:51], v[54:55], v[102:103], v[50:51] op_sel_hi:[1,0,1]
	v_pk_add_f32 v[48:49], v[48:49], v[66:67]
	v_mov_b32_e32 v50, v105
	v_mov_b32_e32 v53, v51
	v_pk_mul_f32 v[50:51], v[56:57], v[50:51] op_sel:[1,0] op_sel_hi:[0,0]
	v_pk_add_f32 v[48:49], v[48:49], v[52:53]
	v_pk_fma_f32 v[52:53], v[56:57], v[104:105], v[50:51] neg_lo:[0,0,1] neg_hi:[0,0,1]
	v_pk_fma_f32 v[50:51], v[56:57], v[104:105], v[50:51] op_sel_hi:[1,0,1]
	s_nop 0
	v_mov_b32_e32 v53, v51
	s_waitcnt vmcnt(1) lgkmcnt(1)
	v_pk_mul_f32 v[50:51], v[58:59], v[106:107] op_sel:[1,1] op_sel_hi:[0,1]
	v_pk_add_f32 v[48:49], v[48:49], v[52:53]
	v_pk_fma_f32 v[52:53], v[58:59], v[106:107], v[50:51] neg_lo:[0,0,1] neg_hi:[0,0,1]
	v_pk_fma_f32 v[50:51], v[58:59], v[106:107], v[50:51] op_sel_hi:[1,0,1]
	s_nop 0
	v_mov_b32_e32 v50, v109
	v_mov_b32_e32 v53, v51
	v_pk_mul_f32 v[50:51], v[60:61], v[50:51] op_sel:[1,0] op_sel_hi:[0,0]
	v_pk_add_f32 v[48:49], v[48:49], v[52:53]
	v_pk_fma_f32 v[52:53], v[60:61], v[108:109], v[50:51] neg_lo:[0,0,1] neg_hi:[0,0,1]
	v_pk_fma_f32 v[50:51], v[60:61], v[108:109], v[50:51] op_sel_hi:[1,0,1]
	s_nop 0
	v_mov_b32_e32 v53, v51
	s_waitcnt vmcnt(0) lgkmcnt(0)
	v_pk_mul_f32 v[50:51], v[62:63], v[110:111] op_sel:[1,1] op_sel_hi:[0,1]
	v_pk_add_f32 v[48:49], v[48:49], v[52:53]
	v_pk_fma_f32 v[52:53], v[62:63], v[110:111], v[50:51] neg_lo:[0,0,1] neg_hi:[0,0,1]
	v_pk_fma_f32 v[50:51], v[62:63], v[110:111], v[50:51] op_sel_hi:[1,0,1]
	s_nop 0
	v_mov_b32_e32 v50, v113
	v_mov_b32_e32 v53, v51
	v_pk_mul_f32 v[50:51], v[64:65], v[50:51] op_sel:[1,0] op_sel_hi:[0,0]
	v_pk_add_f32 v[48:49], v[48:49], v[52:53]
	v_pk_fma_f32 v[52:53], v[64:65], v[112:113], v[50:51] neg_lo:[0,0,1] neg_hi:[0,0,1]
	v_pk_fma_f32 v[50:51], v[64:65], v[112:113], v[50:51] op_sel_hi:[1,0,1]
	s_nop 0
	v_mov_b32_e32 v53, v51
	scratch_load_dwordx2 v[50:51], off, off offset:16
	v_pk_add_f32 v[48:49], v[48:49], v[52:53]
	s_waitcnt vmcnt(0)
	v_pk_add_f32 v[48:49], v[50:51], v[48:49] neg_lo:[0,1] neg_hi:[0,1]
	scratch_store_dwordx2 off, v[48:49], off offset:16
	s_and_saveexec_b64 s[0:1], vcc
	s_cbranch_execz .LBB86_149
; %bb.148:
	scratch_load_dwordx2 v[48:49], off, off offset:8
	v_mov_b32_e32 v50, 0
	v_mov_b32_e32 v51, v50
	scratch_store_dwordx2 off, v[50:51], off offset:8
	s_waitcnt vmcnt(1)
	ds_write_b64 v1, v[48:49]
.LBB86_149:
	s_or_b64 exec, exec, s[0:1]
	v_mov_b32_e32 v48, 0
	s_waitcnt lgkmcnt(0)
	; wave barrier
	ds_read_b128 v[50:53], v48 offset:208
	ds_read_b128 v[54:57], v48 offset:224
	;; [unrolled: 1-line block ×4, first 2 shown]
	scratch_load_dwordx4 v[66:69], off, off offset:16
	scratch_load_dwordx4 v[86:89], off, off offset:80
	v_cmp_ne_u32_e32 vcc, 0, v0
	scratch_load_dwordx4 v[94:97], off, off offset:96
	scratch_load_dwordx4 v[102:105], off, off offset:112
	s_waitcnt vmcnt(3) lgkmcnt(3)
	v_mul_f32_e32 v49, v50, v67
	v_fmac_f32_e32 v49, v51, v66
	v_mul_f32_e32 v70, v52, v69
	v_add_f32_e32 v49, 0, v49
	v_fmac_f32_e32 v70, v53, v68
	v_add_f32_e32 v49, v49, v70
	scratch_load_dwordx4 v[70:73], off, off offset:32
	s_waitcnt vmcnt(0) lgkmcnt(2)
	v_mul_f32_e32 v74, v54, v71
	v_fmac_f32_e32 v74, v55, v70
	v_add_f32_e32 v49, v49, v74
	v_mul_f32_e32 v74, v56, v73
	v_fmac_f32_e32 v74, v57, v72
	v_add_f32_e32 v49, v49, v74
	scratch_load_dwordx4 v[74:77], off, off offset:48
	s_waitcnt vmcnt(0) lgkmcnt(1)
	v_mul_f32_e32 v78, v58, v75
	v_fmac_f32_e32 v78, v59, v74
	v_add_f32_e32 v49, v49, v78
	v_mul_f32_e32 v78, v60, v77
	;; [unrolled: 8-line block ×3, first 2 shown]
	v_fmac_f32_e32 v82, v65, v80
	v_add_f32_e32 v49, v49, v82
	ds_read_b128 v[82:85], v48 offset:272
	s_waitcnt lgkmcnt(0)
	v_mul_f32_e32 v90, v82, v87
	v_fmac_f32_e32 v90, v83, v86
	v_add_f32_e32 v49, v49, v90
	v_mul_f32_e32 v90, v84, v89
	v_fmac_f32_e32 v90, v85, v88
	v_add_f32_e32 v49, v49, v90
	ds_read_b128 v[90:93], v48 offset:288
	s_waitcnt lgkmcnt(0)
	v_mul_f32_e32 v98, v90, v95
	v_fmac_f32_e32 v98, v91, v94
	v_add_f32_e32 v119, v49, v98
	ds_read_b128 v[98:101], v48 offset:304
	scratch_load_dwordx4 v[106:109], off, off offset:128
	scratch_load_dwordx4 v[110:113], off, off offset:144
	;; [unrolled: 1-line block ×3, first 2 shown]
	scratch_load_dwordx2 v[124:125], off, off offset:176
	v_mul_f32_e32 v49, v51, v67
	v_fma_f32 v49, v50, v66, -v49
	v_mul_f32_e32 v50, v53, v69
	v_add_f32_e32 v49, 0, v49
	v_fma_f32 v50, v52, v68, -v50
	v_add_f32_e32 v49, v49, v50
	v_mul_f32_e32 v50, v55, v71
	v_fma_f32 v50, v54, v70, -v50
	v_add_f32_e32 v49, v49, v50
	v_mul_f32_e32 v50, v57, v73
	;; [unrolled: 3-line block ×9, first 2 shown]
	v_fma_f32 v50, v90, v94, -v50
	v_mul_f32_e32 v121, v92, v97
	v_add_f32_e32 v118, v49, v50
	v_mul_f32_e32 v49, v93, v97
	v_mov_b32_e32 v66, v105
	v_fmac_f32_e32 v121, v93, v96
	s_waitcnt lgkmcnt(0)
	v_mul_f32_e32 v123, v98, v103
	v_fma_f32 v120, v92, v96, -v49
	v_mul_f32_e32 v49, v99, v103
	ds_read_b128 v[50:53], v48 offset:320
	ds_read_b128 v[54:57], v48 offset:336
	;; [unrolled: 1-line block ×3, first 2 shown]
	ds_read_b64 v[62:63], v48 offset:368
	v_pk_mul_f32 v[66:67], v[100:101], v[66:67] op_sel:[1,0] op_sel_hi:[0,0]
	v_fmac_f32_e32 v123, v99, v102
	v_fma_f32 v122, v98, v102, -v49
	v_pk_add_f32 v[64:65], v[118:119], v[120:121]
	v_pk_fma_f32 v[68:69], v[100:101], v[104:105], v[66:67] neg_lo:[0,0,1] neg_hi:[0,0,1]
	v_pk_fma_f32 v[66:67], v[100:101], v[104:105], v[66:67] op_sel_hi:[1,0,1]
	v_pk_add_f32 v[64:65], v[64:65], v[122:123]
	v_mov_b32_e32 v69, v67
	v_pk_add_f32 v[64:65], v[64:65], v[68:69]
	s_waitcnt vmcnt(3) lgkmcnt(3)
	v_pk_mul_f32 v[66:67], v[50:51], v[106:107] op_sel:[1,1] op_sel_hi:[0,1]
	v_pk_fma_f32 v[68:69], v[50:51], v[106:107], v[66:67] neg_lo:[0,0,1] neg_hi:[0,0,1]
	v_pk_fma_f32 v[50:51], v[50:51], v[106:107], v[66:67] op_sel_hi:[1,0,1]
	s_nop 0
	v_mov_b32_e32 v69, v51
	v_pk_add_f32 v[50:51], v[64:65], v[68:69]
	v_mov_b32_e32 v64, v109
	v_pk_mul_f32 v[64:65], v[52:53], v[64:65] op_sel:[1,0] op_sel_hi:[0,0]
	v_pk_fma_f32 v[66:67], v[52:53], v[108:109], v[64:65] neg_lo:[0,0,1] neg_hi:[0,0,1]
	v_pk_fma_f32 v[52:53], v[52:53], v[108:109], v[64:65] op_sel_hi:[1,0,1]
	s_nop 0
	v_mov_b32_e32 v67, v53
	s_waitcnt vmcnt(2) lgkmcnt(2)
	v_pk_mul_f32 v[52:53], v[54:55], v[110:111] op_sel:[1,1] op_sel_hi:[0,1]
	v_pk_fma_f32 v[64:65], v[54:55], v[110:111], v[52:53] neg_lo:[0,0,1] neg_hi:[0,0,1]
	v_pk_fma_f32 v[52:53], v[54:55], v[110:111], v[52:53] op_sel_hi:[1,0,1]
	v_pk_add_f32 v[50:51], v[50:51], v[66:67]
	v_mov_b32_e32 v52, v113
	v_mov_b32_e32 v65, v53
	v_pk_mul_f32 v[52:53], v[56:57], v[52:53] op_sel:[1,0] op_sel_hi:[0,0]
	v_pk_fma_f32 v[54:55], v[56:57], v[112:113], v[52:53] neg_lo:[0,0,1] neg_hi:[0,0,1]
	v_pk_fma_f32 v[52:53], v[56:57], v[112:113], v[52:53] op_sel_hi:[1,0,1]
	v_pk_add_f32 v[50:51], v[50:51], v[64:65]
	v_mov_b32_e32 v55, v53
	s_waitcnt vmcnt(1) lgkmcnt(1)
	v_pk_mul_f32 v[52:53], v[58:59], v[114:115] op_sel:[1,1] op_sel_hi:[0,1]
	v_pk_add_f32 v[50:51], v[50:51], v[54:55]
	v_pk_fma_f32 v[54:55], v[58:59], v[114:115], v[52:53] neg_lo:[0,0,1] neg_hi:[0,0,1]
	v_pk_fma_f32 v[52:53], v[58:59], v[114:115], v[52:53] op_sel_hi:[1,0,1]
	s_nop 0
	v_mov_b32_e32 v52, v117
	v_mov_b32_e32 v55, v53
	v_pk_mul_f32 v[52:53], v[60:61], v[52:53] op_sel:[1,0] op_sel_hi:[0,0]
	v_pk_add_f32 v[50:51], v[50:51], v[54:55]
	v_pk_fma_f32 v[54:55], v[60:61], v[116:117], v[52:53] neg_lo:[0,0,1] neg_hi:[0,0,1]
	v_pk_fma_f32 v[52:53], v[60:61], v[116:117], v[52:53] op_sel_hi:[1,0,1]
	s_nop 0
	v_mov_b32_e32 v55, v53
	s_waitcnt vmcnt(0) lgkmcnt(0)
	v_pk_mul_f32 v[52:53], v[62:63], v[124:125] op_sel:[1,1] op_sel_hi:[0,1]
	v_pk_add_f32 v[50:51], v[50:51], v[54:55]
	v_pk_fma_f32 v[54:55], v[62:63], v[124:125], v[52:53] neg_lo:[0,0,1] neg_hi:[0,0,1]
	v_pk_fma_f32 v[52:53], v[62:63], v[124:125], v[52:53] op_sel_hi:[1,0,1]
	s_nop 0
	v_mov_b32_e32 v55, v53
	scratch_load_dwordx2 v[52:53], off, off offset:8
	v_pk_add_f32 v[50:51], v[50:51], v[54:55]
	s_waitcnt vmcnt(0)
	v_pk_add_f32 v[50:51], v[52:53], v[50:51] neg_lo:[0,1] neg_hi:[0,1]
	scratch_store_dwordx2 off, v[50:51], off offset:8
	s_and_saveexec_b64 s[0:1], vcc
	s_cbranch_execz .LBB86_151
; %bb.150:
	scratch_load_dwordx2 v[50:51], off, off
	v_mov_b32_e32 v49, v48
	scratch_store_dwordx2 off, v[48:49], off
	s_waitcnt vmcnt(1)
	ds_write_b64 v1, v[50:51]
.LBB86_151:
	s_or_b64 exec, exec, s[0:1]
	s_waitcnt lgkmcnt(0)
	; wave barrier
	scratch_load_dwordx4 v[54:57], off, off offset:8
	scratch_load_dwordx4 v[62:65], off, off offset:24
	;; [unrolled: 1-line block ×7, first 2 shown]
	ds_read2_b64 v[50:53], v48 offset0:25 offset1:26
	ds_read2_b64 v[58:61], v48 offset0:27 offset1:28
	;; [unrolled: 1-line block ×7, first 2 shown]
	scratch_load_dwordx4 v[106:109], off, off offset:120
	scratch_load_dwordx4 v[110:113], off, off offset:136
	;; [unrolled: 1-line block ×4, first 2 shown]
	s_and_b64 vcc, exec, s[10:11]
	s_waitcnt vmcnt(10) lgkmcnt(6)
	v_mul_f32_e32 v0, v50, v55
	v_fmac_f32_e32 v0, v51, v54
	v_mul_f32_e32 v1, v52, v57
	v_add_f32_e32 v0, 0, v0
	v_fmac_f32_e32 v1, v53, v56
	v_add_f32_e32 v0, v0, v1
	s_waitcnt vmcnt(9) lgkmcnt(5)
	v_mul_f32_e32 v1, v58, v63
	v_fmac_f32_e32 v1, v59, v62
	v_add_f32_e32 v0, v0, v1
	v_mul_f32_e32 v1, v60, v65
	v_fmac_f32_e32 v1, v61, v64
	v_add_f32_e32 v0, v0, v1
	s_waitcnt vmcnt(8) lgkmcnt(4)
	v_mul_f32_e32 v1, v66, v71
	v_fmac_f32_e32 v1, v67, v70
	v_add_f32_e32 v0, v0, v1
	v_mul_f32_e32 v1, v68, v73
	;; [unrolled: 7-line block ×5, first 2 shown]
	v_fmac_f32_e32 v1, v93, v96
	v_add_f32_e32 v1, v0, v1
	v_mul_f32_e32 v0, v51, v55
	v_fma_f32 v0, v50, v54, -v0
	v_mul_f32_e32 v49, v53, v57
	v_add_f32_e32 v0, 0, v0
	v_fma_f32 v49, v52, v56, -v49
	v_add_f32_e32 v0, v0, v49
	v_mul_f32_e32 v49, v59, v63
	v_fma_f32 v49, v58, v62, -v49
	v_add_f32_e32 v0, v0, v49
	v_mul_f32_e32 v49, v61, v65
	;; [unrolled: 3-line block ×10, first 2 shown]
	v_fma_f32 v49, v92, v96, -v49
	v_add_f32_e32 v0, v0, v49
	s_waitcnt vmcnt(4) lgkmcnt(0)
	v_mul_f32_e32 v49, v99, v103
	ds_read2_b64 v[50:53], v48 offset0:39 offset1:40
	ds_read2_b64 v[54:57], v48 offset0:41 offset1:42
	;; [unrolled: 1-line block ×4, first 2 shown]
	v_fma_f32 v122, v98, v102, -v49
	v_mul_f32_e32 v49, v101, v105
	v_fma_f32 v124, v100, v104, -v49
	s_waitcnt vmcnt(3) lgkmcnt(3)
	v_pk_mul_f32 v[48:49], v[50:51], v[106:107] op_sel:[1,1] op_sel_hi:[0,1]
	v_mul_f32_e32 v123, v98, v103
	v_pk_fma_f32 v[66:67], v[50:51], v[106:107], v[48:49] neg_lo:[0,0,1] neg_hi:[0,0,1]
	v_pk_fma_f32 v[48:49], v[50:51], v[106:107], v[48:49] op_sel_hi:[1,0,1]
	v_fmac_f32_e32 v123, v99, v102
	v_mul_f32_e32 v125, v100, v105
	v_mov_b32_e32 v48, v109
	v_fmac_f32_e32 v125, v101, v104
	v_pk_add_f32 v[0:1], v[0:1], v[122:123]
	v_mov_b32_e32 v67, v49
	v_pk_mul_f32 v[48:49], v[52:53], v[48:49] op_sel:[1,0] op_sel_hi:[0,0]
	v_pk_add_f32 v[0:1], v[0:1], v[124:125]
	v_pk_fma_f32 v[50:51], v[52:53], v[108:109], v[48:49] neg_lo:[0,0,1] neg_hi:[0,0,1]
	v_pk_fma_f32 v[48:49], v[52:53], v[108:109], v[48:49] op_sel_hi:[1,0,1]
	v_pk_add_f32 v[0:1], v[0:1], v[66:67]
	v_mov_b32_e32 v51, v49
	s_waitcnt vmcnt(2) lgkmcnt(2)
	v_pk_mul_f32 v[48:49], v[54:55], v[110:111] op_sel:[1,1] op_sel_hi:[0,1]
	v_pk_add_f32 v[0:1], v[0:1], v[50:51]
	v_pk_fma_f32 v[50:51], v[54:55], v[110:111], v[48:49] neg_lo:[0,0,1] neg_hi:[0,0,1]
	v_pk_fma_f32 v[48:49], v[54:55], v[110:111], v[48:49] op_sel_hi:[1,0,1]
	s_nop 0
	v_mov_b32_e32 v48, v113
	v_mov_b32_e32 v51, v49
	v_pk_mul_f32 v[48:49], v[56:57], v[48:49] op_sel:[1,0] op_sel_hi:[0,0]
	v_pk_add_f32 v[0:1], v[0:1], v[50:51]
	v_pk_fma_f32 v[50:51], v[56:57], v[112:113], v[48:49] neg_lo:[0,0,1] neg_hi:[0,0,1]
	v_pk_fma_f32 v[48:49], v[56:57], v[112:113], v[48:49] op_sel_hi:[1,0,1]
	s_nop 0
	v_mov_b32_e32 v51, v49
	s_waitcnt vmcnt(1) lgkmcnt(1)
	v_pk_mul_f32 v[48:49], v[58:59], v[114:115] op_sel:[1,1] op_sel_hi:[0,1]
	v_pk_add_f32 v[0:1], v[0:1], v[50:51]
	v_pk_fma_f32 v[50:51], v[58:59], v[114:115], v[48:49] neg_lo:[0,0,1] neg_hi:[0,0,1]
	v_pk_fma_f32 v[48:49], v[58:59], v[114:115], v[48:49] op_sel_hi:[1,0,1]
	s_nop 0
	v_mov_b32_e32 v48, v117
	v_mov_b32_e32 v51, v49
	v_pk_mul_f32 v[48:49], v[60:61], v[48:49] op_sel:[1,0] op_sel_hi:[0,0]
	v_pk_add_f32 v[0:1], v[0:1], v[50:51]
	v_pk_fma_f32 v[50:51], v[60:61], v[116:117], v[48:49] neg_lo:[0,0,1] neg_hi:[0,0,1]
	v_pk_fma_f32 v[48:49], v[60:61], v[116:117], v[48:49] op_sel_hi:[1,0,1]
	s_nop 0
	v_mov_b32_e32 v51, v49
	s_waitcnt vmcnt(0) lgkmcnt(0)
	v_pk_mul_f32 v[48:49], v[62:63], v[118:119] op_sel:[1,1] op_sel_hi:[0,1]
	v_pk_add_f32 v[0:1], v[0:1], v[50:51]
	v_pk_fma_f32 v[50:51], v[62:63], v[118:119], v[48:49] neg_lo:[0,0,1] neg_hi:[0,0,1]
	v_pk_fma_f32 v[48:49], v[62:63], v[118:119], v[48:49] op_sel_hi:[1,0,1]
	s_nop 0
	v_mov_b32_e32 v48, v121
	v_mov_b32_e32 v51, v49
	v_pk_mul_f32 v[48:49], v[64:65], v[48:49] op_sel:[1,0] op_sel_hi:[0,0]
	v_pk_add_f32 v[0:1], v[0:1], v[50:51]
	v_pk_fma_f32 v[50:51], v[64:65], v[120:121], v[48:49] neg_lo:[0,0,1] neg_hi:[0,0,1]
	v_pk_fma_f32 v[48:49], v[64:65], v[120:121], v[48:49] op_sel_hi:[1,0,1]
	s_nop 0
	v_mov_b32_e32 v51, v49
	scratch_load_dwordx2 v[48:49], off, off
	v_pk_add_f32 v[0:1], v[0:1], v[50:51]
	s_waitcnt vmcnt(0)
	v_pk_add_f32 v[0:1], v[48:49], v[0:1] neg_lo:[0,1] neg_hi:[0,1]
	scratch_store_dwordx2 off, v[0:1], off
	s_cbranch_vccz .LBB86_196
; %bb.152:
	v_mov_b32_e32 v0, 0
	global_load_dword v1, v0, s[8:9] offset:84
	s_waitcnt vmcnt(0)
	v_readfirstlane_b32 s0, v1
	s_add_i32 s0, s0, -1
	s_cmp_lg_u32 s0, 21
	s_cbranch_scc0 .LBB86_154
; %bb.153:
	s_lshl_b32 s0, s0, 3
	s_nop 0
	scratch_load_dwordx2 v[48:49], off, s0
	scratch_load_dwordx2 v[50:51], off, off offset:168
	s_waitcnt vmcnt(1)
	scratch_store_dwordx2 off, v[48:49], off offset:168
	s_waitcnt vmcnt(1)
	scratch_store_dwordx2 off, v[50:51], s0
.LBB86_154:
	global_load_dword v0, v0, s[8:9] offset:80
	s_waitcnt vmcnt(0)
	v_readfirstlane_b32 s0, v0
	s_add_i32 s0, s0, -1
	s_cmp_eq_u32 s0, 20
	s_cbranch_scc1 .LBB86_156
; %bb.155:
	s_lshl_b32 s0, s0, 3
	s_nop 0
	scratch_load_dwordx2 v[0:1], off, s0
	scratch_load_dwordx2 v[48:49], off, off offset:160
	s_waitcnt vmcnt(1)
	scratch_store_dwordx2 off, v[0:1], off offset:160
	s_waitcnt vmcnt(1)
	scratch_store_dwordx2 off, v[48:49], s0
.LBB86_156:
	v_mov_b32_e32 v0, 0
	global_load_dword v1, v0, s[8:9] offset:76
	s_waitcnt vmcnt(0)
	v_readfirstlane_b32 s0, v1
	s_add_i32 s0, s0, -1
	s_cmp_eq_u32 s0, 19
	s_cbranch_scc1 .LBB86_158
; %bb.157:
	s_lshl_b32 s0, s0, 3
	s_nop 0
	scratch_load_dwordx2 v[48:49], off, s0
	scratch_load_dwordx2 v[50:51], off, off offset:152
	s_waitcnt vmcnt(1)
	scratch_store_dwordx2 off, v[48:49], off offset:152
	s_waitcnt vmcnt(1)
	scratch_store_dwordx2 off, v[50:51], s0
.LBB86_158:
	global_load_dword v0, v0, s[8:9] offset:72
	s_waitcnt vmcnt(0)
	v_readfirstlane_b32 s0, v0
	s_add_i32 s0, s0, -1
	s_cmp_eq_u32 s0, 18
	s_cbranch_scc1 .LBB86_160
; %bb.159:
	s_lshl_b32 s0, s0, 3
	s_nop 0
	scratch_load_dwordx2 v[0:1], off, s0
	scratch_load_dwordx2 v[48:49], off, off offset:144
	s_waitcnt vmcnt(1)
	scratch_store_dwordx2 off, v[0:1], off offset:144
	s_waitcnt vmcnt(1)
	scratch_store_dwordx2 off, v[48:49], s0
.LBB86_160:
	v_mov_b32_e32 v0, 0
	global_load_dword v1, v0, s[8:9] offset:68
	s_waitcnt vmcnt(0)
	v_readfirstlane_b32 s0, v1
	s_add_i32 s0, s0, -1
	s_cmp_eq_u32 s0, 17
	s_cbranch_scc1 .LBB86_162
; %bb.161:
	s_lshl_b32 s0, s0, 3
	s_nop 0
	scratch_load_dwordx2 v[48:49], off, s0
	scratch_load_dwordx2 v[50:51], off, off offset:136
	s_waitcnt vmcnt(1)
	scratch_store_dwordx2 off, v[48:49], off offset:136
	s_waitcnt vmcnt(1)
	scratch_store_dwordx2 off, v[50:51], s0
.LBB86_162:
	;; [unrolled: 33-line block ×10, first 2 shown]
	global_load_dword v48, v0, s[8:9]
	s_nop 0
	scratch_load_dwordx2 v[0:1], off, off
	s_waitcnt vmcnt(1)
	v_readfirstlane_b32 s0, v48
	s_add_i32 s0, s0, -1
	s_cmp_eq_u32 s0, 0
	s_cbranch_scc1 .LBB86_196
; %bb.195:
	s_lshl_b32 s0, s0, 3
	s_nop 0
	scratch_load_dwordx2 v[48:49], off, s0
	s_waitcnt vmcnt(0)
	scratch_store_dwordx2 off, v[48:49], off
	scratch_store_dwordx2 off, v[0:1], s0
	scratch_load_dwordx2 v[0:1], off, off
.LBB86_196:
	s_waitcnt vmcnt(0)
	flat_store_dwordx2 v[2:3], v[0:1]
	scratch_load_dwordx2 v[0:1], off, off offset:8
	s_waitcnt vmcnt(0)
	flat_store_dwordx2 v[4:5], v[0:1]
	scratch_load_dwordx2 v[0:1], off, off offset:16
	;; [unrolled: 3-line block ×22, first 2 shown]
	s_waitcnt vmcnt(0)
	flat_store_dwordx2 v[46:47], v[0:1]
	s_endpgm
	.section	.rodata,"a",@progbits
	.p2align	6, 0x0
	.amdhsa_kernel _ZN9rocsolver6v33100L18getri_kernel_smallILi23E19rocblas_complex_numIfEPKPS3_EEvT1_iilPiilS8_bb
		.amdhsa_group_segment_fixed_size 376
		.amdhsa_private_segment_fixed_size 192
		.amdhsa_kernarg_size 60
		.amdhsa_user_sgpr_count 2
		.amdhsa_user_sgpr_dispatch_ptr 0
		.amdhsa_user_sgpr_queue_ptr 0
		.amdhsa_user_sgpr_kernarg_segment_ptr 1
		.amdhsa_user_sgpr_dispatch_id 0
		.amdhsa_user_sgpr_kernarg_preload_length 0
		.amdhsa_user_sgpr_kernarg_preload_offset 0
		.amdhsa_user_sgpr_private_segment_size 0
		.amdhsa_uses_dynamic_stack 0
		.amdhsa_enable_private_segment 1
		.amdhsa_system_sgpr_workgroup_id_x 1
		.amdhsa_system_sgpr_workgroup_id_y 0
		.amdhsa_system_sgpr_workgroup_id_z 0
		.amdhsa_system_sgpr_workgroup_info 0
		.amdhsa_system_vgpr_workitem_id 0
		.amdhsa_next_free_vgpr 130
		.amdhsa_next_free_sgpr 17
		.amdhsa_accum_offset 132
		.amdhsa_reserve_vcc 1
		.amdhsa_float_round_mode_32 0
		.amdhsa_float_round_mode_16_64 0
		.amdhsa_float_denorm_mode_32 3
		.amdhsa_float_denorm_mode_16_64 3
		.amdhsa_dx10_clamp 1
		.amdhsa_ieee_mode 1
		.amdhsa_fp16_overflow 0
		.amdhsa_tg_split 0
		.amdhsa_exception_fp_ieee_invalid_op 0
		.amdhsa_exception_fp_denorm_src 0
		.amdhsa_exception_fp_ieee_div_zero 0
		.amdhsa_exception_fp_ieee_overflow 0
		.amdhsa_exception_fp_ieee_underflow 0
		.amdhsa_exception_fp_ieee_inexact 0
		.amdhsa_exception_int_div_zero 0
	.end_amdhsa_kernel
	.section	.text._ZN9rocsolver6v33100L18getri_kernel_smallILi23E19rocblas_complex_numIfEPKPS3_EEvT1_iilPiilS8_bb,"axG",@progbits,_ZN9rocsolver6v33100L18getri_kernel_smallILi23E19rocblas_complex_numIfEPKPS3_EEvT1_iilPiilS8_bb,comdat
.Lfunc_end86:
	.size	_ZN9rocsolver6v33100L18getri_kernel_smallILi23E19rocblas_complex_numIfEPKPS3_EEvT1_iilPiilS8_bb, .Lfunc_end86-_ZN9rocsolver6v33100L18getri_kernel_smallILi23E19rocblas_complex_numIfEPKPS3_EEvT1_iilPiilS8_bb
                                        ; -- End function
	.set _ZN9rocsolver6v33100L18getri_kernel_smallILi23E19rocblas_complex_numIfEPKPS3_EEvT1_iilPiilS8_bb.num_vgpr, 130
	.set _ZN9rocsolver6v33100L18getri_kernel_smallILi23E19rocblas_complex_numIfEPKPS3_EEvT1_iilPiilS8_bb.num_agpr, 0
	.set _ZN9rocsolver6v33100L18getri_kernel_smallILi23E19rocblas_complex_numIfEPKPS3_EEvT1_iilPiilS8_bb.numbered_sgpr, 17
	.set _ZN9rocsolver6v33100L18getri_kernel_smallILi23E19rocblas_complex_numIfEPKPS3_EEvT1_iilPiilS8_bb.num_named_barrier, 0
	.set _ZN9rocsolver6v33100L18getri_kernel_smallILi23E19rocblas_complex_numIfEPKPS3_EEvT1_iilPiilS8_bb.private_seg_size, 192
	.set _ZN9rocsolver6v33100L18getri_kernel_smallILi23E19rocblas_complex_numIfEPKPS3_EEvT1_iilPiilS8_bb.uses_vcc, 1
	.set _ZN9rocsolver6v33100L18getri_kernel_smallILi23E19rocblas_complex_numIfEPKPS3_EEvT1_iilPiilS8_bb.uses_flat_scratch, 0
	.set _ZN9rocsolver6v33100L18getri_kernel_smallILi23E19rocblas_complex_numIfEPKPS3_EEvT1_iilPiilS8_bb.has_dyn_sized_stack, 0
	.set _ZN9rocsolver6v33100L18getri_kernel_smallILi23E19rocblas_complex_numIfEPKPS3_EEvT1_iilPiilS8_bb.has_recursion, 0
	.set _ZN9rocsolver6v33100L18getri_kernel_smallILi23E19rocblas_complex_numIfEPKPS3_EEvT1_iilPiilS8_bb.has_indirect_call, 0
	.section	.AMDGPU.csdata,"",@progbits
; Kernel info:
; codeLenInByte = 21856
; TotalNumSgprs: 23
; NumVgprs: 130
; NumAgprs: 0
; TotalNumVgprs: 130
; ScratchSize: 192
; MemoryBound: 0
; FloatMode: 240
; IeeeMode: 1
; LDSByteSize: 376 bytes/workgroup (compile time only)
; SGPRBlocks: 2
; VGPRBlocks: 16
; NumSGPRsForWavesPerEU: 23
; NumVGPRsForWavesPerEU: 130
; AccumOffset: 132
; Occupancy: 3
; WaveLimiterHint : 1
; COMPUTE_PGM_RSRC2:SCRATCH_EN: 1
; COMPUTE_PGM_RSRC2:USER_SGPR: 2
; COMPUTE_PGM_RSRC2:TRAP_HANDLER: 0
; COMPUTE_PGM_RSRC2:TGID_X_EN: 1
; COMPUTE_PGM_RSRC2:TGID_Y_EN: 0
; COMPUTE_PGM_RSRC2:TGID_Z_EN: 0
; COMPUTE_PGM_RSRC2:TIDIG_COMP_CNT: 0
; COMPUTE_PGM_RSRC3_GFX90A:ACCUM_OFFSET: 32
; COMPUTE_PGM_RSRC3_GFX90A:TG_SPLIT: 0
	.section	.text._ZN9rocsolver6v33100L18getri_kernel_smallILi24E19rocblas_complex_numIfEPKPS3_EEvT1_iilPiilS8_bb,"axG",@progbits,_ZN9rocsolver6v33100L18getri_kernel_smallILi24E19rocblas_complex_numIfEPKPS3_EEvT1_iilPiilS8_bb,comdat
	.globl	_ZN9rocsolver6v33100L18getri_kernel_smallILi24E19rocblas_complex_numIfEPKPS3_EEvT1_iilPiilS8_bb ; -- Begin function _ZN9rocsolver6v33100L18getri_kernel_smallILi24E19rocblas_complex_numIfEPKPS3_EEvT1_iilPiilS8_bb
	.p2align	8
	.type	_ZN9rocsolver6v33100L18getri_kernel_smallILi24E19rocblas_complex_numIfEPKPS3_EEvT1_iilPiilS8_bb,@function
_ZN9rocsolver6v33100L18getri_kernel_smallILi24E19rocblas_complex_numIfEPKPS3_EEvT1_iilPiilS8_bb: ; @_ZN9rocsolver6v33100L18getri_kernel_smallILi24E19rocblas_complex_numIfEPKPS3_EEvT1_iilPiilS8_bb
; %bb.0:
	v_cmp_gt_u32_e32 vcc, 24, v0
	s_and_saveexec_b64 s[4:5], vcc
	s_cbranch_execz .LBB87_110
; %bb.1:
	s_load_dword s14, s[0:1], 0x38
	s_load_dwordx2 s[8:9], s[0:1], 0x0
	s_load_dwordx4 s[4:7], s[0:1], 0x28
	s_waitcnt lgkmcnt(0)
	s_bitcmp1_b32 s14, 8
	s_cselect_b64 s[10:11], -1, 0
	s_ashr_i32 s3, s2, 31
	s_lshl_b64 s[12:13], s[2:3], 3
	s_add_u32 s8, s8, s12
	s_addc_u32 s9, s9, s13
	s_load_dwordx2 s[12:13], s[8:9], 0x0
	s_bfe_u32 s8, s14, 0x10008
	s_cmp_eq_u32 s8, 0
                                        ; implicit-def: $sgpr8_sgpr9
	s_cbranch_scc1 .LBB87_3
; %bb.2:
	s_load_dword s8, s[0:1], 0x20
	s_load_dwordx2 s[14:15], s[0:1], 0x18
	s_mul_i32 s9, s4, s3
	s_mul_hi_u32 s16, s4, s2
	s_add_i32 s16, s16, s9
	s_mul_i32 s5, s5, s2
	s_add_i32 s5, s16, s5
	s_mul_i32 s4, s4, s2
	s_waitcnt lgkmcnt(0)
	s_ashr_i32 s9, s8, 31
	s_lshl_b64 s[4:5], s[4:5], 2
	s_add_u32 s14, s14, s4
	s_addc_u32 s15, s15, s5
	s_lshl_b64 s[4:5], s[8:9], 2
	s_add_u32 s8, s14, s4
	s_addc_u32 s9, s15, s5
.LBB87_3:
	s_load_dwordx2 s[4:5], s[0:1], 0x8
	s_load_dword s14, s[0:1], 0x38
	v_lshlrev_b32_e32 v2, 3, v0
	v_mov_b32_e32 v3, 0
	s_waitcnt lgkmcnt(0)
	s_ashr_i32 s1, s4, 31
	s_mov_b32 s0, s4
	s_lshl_b64 s[0:1], s[0:1], 3
	s_add_u32 s0, s12, s0
	s_addc_u32 s1, s13, s1
	v_lshl_add_u64 v[20:21], s[0:1], 0, v[2:3]
	flat_load_dwordx2 v[4:5], v[20:21]
	s_mov_b32 s12, s5
	s_ashr_i32 s13, s5, 31
	v_lshl_add_u64 v[22:23], s[12:13], 3, v[20:21]
	s_add_i32 s4, s5, s5
	v_add_u32_e32 v6, s4, v0
	v_ashrrev_i32_e32 v7, 31, v6
	v_lshl_add_u64 v[24:25], v[6:7], 3, s[0:1]
	v_add_u32_e32 v6, s5, v6
	v_ashrrev_i32_e32 v7, 31, v6
	v_lshl_add_u64 v[26:27], v[6:7], 3, s[0:1]
	;; [unrolled: 3-line block ×22, first 2 shown]
	s_bitcmp0_b32 s14, 0
	s_mov_b64 s[4:5], -1
	s_waitcnt vmcnt(0) lgkmcnt(0)
	scratch_store_dwordx2 off, v[4:5], off
	flat_load_dwordx2 v[4:5], v[22:23]
	s_waitcnt vmcnt(0) lgkmcnt(0)
	scratch_store_dwordx2 off, v[4:5], off offset:8
	flat_load_dwordx2 v[4:5], v[24:25]
	s_waitcnt vmcnt(0) lgkmcnt(0)
	scratch_store_dwordx2 off, v[4:5], off offset:16
	;; [unrolled: 3-line block ×23, first 2 shown]
	s_cbranch_scc1 .LBB87_108
; %bb.4:
	v_cmp_eq_u32_e64 s[0:1], 0, v0
	s_and_saveexec_b64 s[4:5], s[0:1]
; %bb.5:
	v_mov_b32_e32 v1, 0
	ds_write_b32 v1, v1 offset:384
; %bb.6:
	s_or_b64 exec, exec, s[4:5]
	s_waitcnt lgkmcnt(0)
	; wave barrier
	scratch_load_dwordx2 v[4:5], v2, off
	s_waitcnt vmcnt(0)
	v_cmp_eq_f32_e32 vcc, 0, v4
	v_cmp_eq_f32_e64 s[4:5], 0, v5
	s_and_b64 s[4:5], vcc, s[4:5]
	s_and_saveexec_b64 s[12:13], s[4:5]
	s_cbranch_execz .LBB87_10
; %bb.7:
	v_mov_b32_e32 v1, 0
	ds_read_b32 v4, v1 offset:384
	v_add_u32_e32 v3, 1, v0
	s_waitcnt lgkmcnt(0)
	v_readfirstlane_b32 s4, v4
	s_cmp_eq_u32 s4, 0
	s_cselect_b64 s[14:15], -1, 0
	v_cmp_gt_i32_e32 vcc, s4, v3
	s_or_b64 s[14:15], s[14:15], vcc
	s_and_b64 exec, exec, s[14:15]
	s_cbranch_execz .LBB87_10
; %bb.8:
	s_mov_b64 s[14:15], 0
	v_mov_b32_e32 v4, s4
.LBB87_9:                               ; =>This Inner Loop Header: Depth=1
	ds_cmpst_rtn_b32 v4, v1, v4, v3 offset:384
	s_waitcnt lgkmcnt(0)
	v_cmp_ne_u32_e32 vcc, 0, v4
	v_cmp_le_i32_e64 s[4:5], v4, v3
	s_and_b64 s[4:5], vcc, s[4:5]
	s_and_b64 s[4:5], exec, s[4:5]
	s_or_b64 s[14:15], s[4:5], s[14:15]
	s_andn2_b64 exec, exec, s[14:15]
	s_cbranch_execnz .LBB87_9
.LBB87_10:
	s_or_b64 exec, exec, s[12:13]
	v_mov_b32_e32 v3, 0
	; wave barrier
	ds_read_b32 v1, v3 offset:384
	s_and_saveexec_b64 s[4:5], s[0:1]
	s_cbranch_execz .LBB87_12
; %bb.11:
	s_lshl_b64 s[12:13], s[2:3], 2
	s_add_u32 s12, s6, s12
	s_addc_u32 s13, s7, s13
	s_waitcnt lgkmcnt(0)
	global_store_dword v3, v1, s[12:13]
.LBB87_12:
	s_or_b64 exec, exec, s[4:5]
	s_waitcnt lgkmcnt(0)
	v_cmp_ne_u32_e32 vcc, 0, v1
	s_mov_b64 s[4:5], 0
	s_cbranch_vccnz .LBB87_108
; %bb.13:
	v_mov_b32_e32 v3, v2
	scratch_load_dwordx2 v[4:5], v3, off
                                        ; implicit-def: $vgpr7
                                        ; implicit-def: $vgpr8
	s_waitcnt vmcnt(0)
	v_cmp_ngt_f32_e64 s[4:5], |v4|, |v5|
	s_and_saveexec_b64 s[12:13], s[4:5]
	s_xor_b64 s[4:5], exec, s[12:13]
	s_cbranch_execz .LBB87_15
; %bb.14:
	v_div_scale_f32 v1, s[12:13], v5, v5, v4
	v_rcp_f32_e32 v6, v1
	v_div_scale_f32 v7, vcc, v4, v5, v4
	v_fma_f32 v8, -v1, v6, 1.0
	v_fmac_f32_e32 v6, v8, v6
	v_mul_f32_e32 v8, v7, v6
	v_fma_f32 v9, -v1, v8, v7
	v_fmac_f32_e32 v8, v9, v6
	v_fma_f32 v1, -v1, v8, v7
	v_div_fmas_f32 v1, v1, v6, v8
	v_div_fixup_f32 v1, v1, v5, v4
	v_fmac_f32_e32 v5, v4, v1
	v_div_scale_f32 v4, s[12:13], v5, v5, -1.0
	v_rcp_f32_e32 v6, v4
	s_nop 0
	v_fma_f32 v7, -v4, v6, 1.0
	v_fmac_f32_e32 v6, v7, v6
	v_div_scale_f32 v7, vcc, -1.0, v5, -1.0
	v_mul_f32_e32 v8, v7, v6
	v_fma_f32 v9, -v4, v8, v7
	v_fmac_f32_e32 v8, v9, v6
	v_fma_f32 v4, -v4, v8, v7
	v_div_fmas_f32 v4, v4, v6, v8
	v_div_fixup_f32 v7, v4, v5, -1.0
	v_mul_f32_e32 v8, v1, v7
	v_xor_b32_e32 v6, 0x80000000, v8
                                        ; implicit-def: $vgpr4_vgpr5
.LBB87_15:
	s_andn2_saveexec_b64 s[4:5], s[4:5]
	s_cbranch_execz .LBB87_17
; %bb.16:
	v_div_scale_f32 v1, s[12:13], v4, v4, v5
	v_rcp_f32_e32 v6, v1
	v_div_scale_f32 v7, vcc, v5, v4, v5
	v_fma_f32 v8, -v1, v6, 1.0
	v_fmac_f32_e32 v6, v8, v6
	v_mul_f32_e32 v8, v7, v6
	v_fma_f32 v9, -v1, v8, v7
	v_fmac_f32_e32 v8, v9, v6
	v_fma_f32 v1, -v1, v8, v7
	v_div_fmas_f32 v1, v1, v6, v8
	v_div_fixup_f32 v1, v1, v4, v5
	v_fmac_f32_e32 v4, v5, v1
	v_div_scale_f32 v5, s[12:13], v4, v4, 1.0
	v_rcp_f32_e32 v6, v5
	s_nop 0
	v_fma_f32 v7, -v5, v6, 1.0
	v_fmac_f32_e32 v6, v7, v6
	v_div_scale_f32 v7, vcc, 1.0, v4, 1.0
	v_mul_f32_e32 v8, v7, v6
	v_fma_f32 v9, -v5, v8, v7
	v_fmac_f32_e32 v8, v9, v6
	v_fma_f32 v5, -v5, v8, v7
	v_div_fmas_f32 v5, v5, v6, v8
	v_div_fixup_f32 v6, v5, v4, 1.0
	v_xor_b32_e32 v8, 0x80000000, v6
	v_mul_f32_e64 v7, v1, -v6
.LBB87_17:
	s_or_b64 exec, exec, s[4:5]
	scratch_store_dwordx2 v3, v[6:7], off
	scratch_load_dwordx2 v[4:5], off, off offset:8
	v_xor_b32_e32 v9, 0x80000000, v7
	v_add_u32_e32 v1, 0xc0, v2
	s_waitcnt vmcnt(0)
	ds_write2_b64 v2, v[8:9], v[4:5] offset1:24
	s_waitcnt lgkmcnt(0)
	; wave barrier
	s_and_saveexec_b64 s[4:5], s[0:1]
	s_cbranch_execz .LBB87_19
; %bb.18:
	scratch_load_dwordx2 v[4:5], v3, off
	ds_read_b64 v[6:7], v1
	v_mov_b32_e32 v8, 0
	ds_read_b64 v[8:9], v8 offset:8
	s_waitcnt vmcnt(0) lgkmcnt(1)
	v_pk_mul_f32 v[10:11], v[6:7], v[4:5] op_sel:[1,1] op_sel_hi:[0,1]
	v_pk_fma_f32 v[12:13], v[6:7], v[4:5], v[10:11] neg_lo:[0,0,1] neg_hi:[0,0,1]
	v_pk_fma_f32 v[4:5], v[6:7], v[4:5], v[10:11] op_sel_hi:[1,0,1]
	s_nop 0
	v_mov_b32_e32 v13, v5
	v_pk_add_f32 v[4:5], v[12:13], 0 op_sel_hi:[1,0]
	s_waitcnt lgkmcnt(0)
	v_pk_mul_f32 v[6:7], v[4:5], v[8:9] op_sel:[1,1] op_sel_hi:[0,1]
	v_pk_fma_f32 v[10:11], v[4:5], v[8:9], v[6:7] neg_lo:[0,0,1] neg_hi:[0,0,1]
	v_pk_fma_f32 v[4:5], v[4:5], v[8:9], v[6:7] op_sel_hi:[1,0,1]
	s_nop 0
	v_mov_b32_e32 v11, v5
	scratch_store_dwordx2 off, v[10:11], off offset:8
.LBB87_19:
	s_or_b64 exec, exec, s[4:5]
	; wave barrier
	scratch_load_dwordx2 v[4:5], off, off offset:16
	v_cmp_gt_u32_e32 vcc, 2, v0
	s_waitcnt vmcnt(0)
	ds_write_b64 v1, v[4:5]
	s_waitcnt lgkmcnt(0)
	; wave barrier
	s_and_saveexec_b64 s[4:5], vcc
	s_cbranch_execz .LBB87_23
; %bb.20:
	scratch_load_dwordx2 v[4:5], v3, off
	ds_read_b64 v[6:7], v1
	s_waitcnt vmcnt(0) lgkmcnt(0)
	v_pk_mul_f32 v[8:9], v[6:7], v[4:5] op_sel:[1,1] op_sel_hi:[0,1]
	v_pk_fma_f32 v[10:11], v[6:7], v[4:5], v[8:9] neg_lo:[0,0,1] neg_hi:[0,0,1]
	v_pk_fma_f32 v[4:5], v[6:7], v[4:5], v[8:9] op_sel_hi:[1,0,1]
	s_nop 0
	v_mov_b32_e32 v11, v5
	v_pk_add_f32 v[4:5], v[10:11], 0 op_sel_hi:[1,0]
	s_and_saveexec_b64 s[12:13], s[0:1]
	s_cbranch_execz .LBB87_22
; %bb.21:
	scratch_load_dwordx2 v[6:7], off, off offset:8
	v_mov_b32_e32 v3, 0
	ds_read_b64 v[8:9], v3 offset:200
	s_waitcnt vmcnt(0) lgkmcnt(0)
	v_pk_mul_f32 v[10:11], v[8:9], v[6:7] op_sel:[1,1] op_sel_hi:[0,1]
	v_pk_fma_f32 v[12:13], v[8:9], v[6:7], v[10:11] neg_lo:[0,0,1] neg_hi:[0,0,1]
	v_pk_fma_f32 v[6:7], v[8:9], v[6:7], v[10:11] op_sel_hi:[1,0,1]
	s_nop 0
	v_mov_b32_e32 v13, v7
	v_pk_add_f32 v[4:5], v[4:5], v[12:13]
.LBB87_22:
	s_or_b64 exec, exec, s[12:13]
	v_mov_b32_e32 v3, 0
	ds_read_b64 v[6:7], v3 offset:16
	s_waitcnt lgkmcnt(0)
	v_pk_mul_f32 v[8:9], v[4:5], v[6:7] op_sel:[1,1] op_sel_hi:[0,1]
	v_pk_fma_f32 v[10:11], v[4:5], v[6:7], v[8:9] neg_lo:[0,0,1] neg_hi:[0,0,1]
	v_pk_fma_f32 v[4:5], v[4:5], v[6:7], v[8:9] op_sel_hi:[1,0,1]
	s_nop 0
	v_mov_b32_e32 v11, v5
	scratch_store_dwordx2 off, v[10:11], off offset:16
.LBB87_23:
	s_or_b64 exec, exec, s[4:5]
	; wave barrier
	scratch_load_dwordx2 v[4:5], off, off offset:24
	v_cmp_gt_u32_e32 vcc, 3, v0
	v_add_u32_e32 v6, -1, v0
	s_waitcnt vmcnt(0)
	ds_write_b64 v1, v[4:5]
	s_waitcnt lgkmcnt(0)
	; wave barrier
	s_and_saveexec_b64 s[0:1], vcc
	s_cbranch_execz .LBB87_27
; %bb.24:
	v_mov_b32_e32 v4, 0
	v_add_u32_e32 v3, -1, v0
	v_add_u32_e32 v7, 0xc0, v2
	v_mov_b32_e32 v8, v2
	s_mov_b64 s[4:5], 0
	v_mov_b32_e32 v5, v4
.LBB87_25:                              ; =>This Inner Loop Header: Depth=1
	scratch_load_dwordx2 v[10:11], v8, off
	ds_read_b64 v[12:13], v7
	v_add_u32_e32 v3, 1, v3
	v_cmp_lt_u32_e32 vcc, 1, v3
	v_add_u32_e32 v7, 8, v7
	v_add_u32_e32 v8, 8, v8
	s_or_b64 s[4:5], vcc, s[4:5]
	s_waitcnt vmcnt(0) lgkmcnt(0)
	v_pk_mul_f32 v[14:15], v[12:13], v[10:11] op_sel:[1,1] op_sel_hi:[0,1]
	v_pk_fma_f32 v[16:17], v[12:13], v[10:11], v[14:15] neg_lo:[0,0,1] neg_hi:[0,0,1]
	v_pk_fma_f32 v[10:11], v[12:13], v[10:11], v[14:15] op_sel_hi:[1,0,1]
	s_nop 0
	v_mov_b32_e32 v17, v11
	v_pk_add_f32 v[4:5], v[4:5], v[16:17]
	s_andn2_b64 exec, exec, s[4:5]
	s_cbranch_execnz .LBB87_25
; %bb.26:
	s_or_b64 exec, exec, s[4:5]
	v_mov_b32_e32 v3, 0
	ds_read_b64 v[8:9], v3 offset:24
	s_waitcnt lgkmcnt(0)
	v_pk_mul_f32 v[10:11], v[4:5], v[8:9] op_sel:[1,1] op_sel_hi:[0,1]
	v_pk_fma_f32 v[12:13], v[4:5], v[8:9], v[10:11] neg_lo:[0,0,1] neg_hi:[0,0,1]
	v_pk_fma_f32 v[4:5], v[4:5], v[8:9], v[10:11] op_sel_hi:[1,0,1]
	s_nop 0
	v_mov_b32_e32 v13, v5
	scratch_store_dwordx2 off, v[12:13], off offset:24
.LBB87_27:
	s_or_b64 exec, exec, s[0:1]
	; wave barrier
	scratch_load_dwordx2 v[4:5], off, off offset:32
	v_cmp_gt_u32_e32 vcc, 4, v0
	s_waitcnt vmcnt(0)
	ds_write_b64 v1, v[4:5]
	s_waitcnt lgkmcnt(0)
	; wave barrier
	s_and_saveexec_b64 s[0:1], vcc
	s_cbranch_execz .LBB87_31
; %bb.28:
	v_mov_b32_e32 v4, 0
	v_add_u32_e32 v3, -1, v0
	v_add_u32_e32 v7, 0xc0, v2
	v_mov_b32_e32 v8, v2
	s_mov_b64 s[4:5], 0
	v_mov_b32_e32 v5, v4
.LBB87_29:                              ; =>This Inner Loop Header: Depth=1
	scratch_load_dwordx2 v[10:11], v8, off
	ds_read_b64 v[12:13], v7
	v_add_u32_e32 v3, 1, v3
	v_cmp_lt_u32_e32 vcc, 2, v3
	v_add_u32_e32 v7, 8, v7
	v_add_u32_e32 v8, 8, v8
	s_or_b64 s[4:5], vcc, s[4:5]
	s_waitcnt vmcnt(0) lgkmcnt(0)
	v_pk_mul_f32 v[14:15], v[12:13], v[10:11] op_sel:[1,1] op_sel_hi:[0,1]
	v_pk_fma_f32 v[16:17], v[12:13], v[10:11], v[14:15] neg_lo:[0,0,1] neg_hi:[0,0,1]
	v_pk_fma_f32 v[10:11], v[12:13], v[10:11], v[14:15] op_sel_hi:[1,0,1]
	s_nop 0
	v_mov_b32_e32 v17, v11
	v_pk_add_f32 v[4:5], v[4:5], v[16:17]
	s_andn2_b64 exec, exec, s[4:5]
	s_cbranch_execnz .LBB87_29
; %bb.30:
	s_or_b64 exec, exec, s[4:5]
	v_mov_b32_e32 v3, 0
	ds_read_b64 v[8:9], v3 offset:32
	s_waitcnt lgkmcnt(0)
	v_pk_mul_f32 v[10:11], v[4:5], v[8:9] op_sel:[1,1] op_sel_hi:[0,1]
	v_pk_fma_f32 v[12:13], v[4:5], v[8:9], v[10:11] neg_lo:[0,0,1] neg_hi:[0,0,1]
	v_pk_fma_f32 v[4:5], v[4:5], v[8:9], v[10:11] op_sel_hi:[1,0,1]
	s_nop 0
	v_mov_b32_e32 v13, v5
	scratch_store_dwordx2 off, v[12:13], off offset:32
.LBB87_31:
	s_or_b64 exec, exec, s[0:1]
	; wave barrier
	scratch_load_dwordx2 v[4:5], off, off offset:40
	v_cmp_gt_u32_e32 vcc, 5, v0
	;; [unrolled: 46-line block ×19, first 2 shown]
	s_waitcnt vmcnt(0)
	ds_write_b64 v1, v[4:5]
	s_waitcnt lgkmcnt(0)
	; wave barrier
	s_and_saveexec_b64 s[0:1], vcc
	s_cbranch_execz .LBB87_103
; %bb.100:
	v_mov_b32_e32 v4, 0
	v_add_u32_e32 v3, -1, v0
	v_add_u32_e32 v7, 0xc0, v2
	v_mov_b32_e32 v8, v2
	s_mov_b64 s[4:5], 0
	v_mov_b32_e32 v5, v4
.LBB87_101:                             ; =>This Inner Loop Header: Depth=1
	scratch_load_dwordx2 v[10:11], v8, off
	ds_read_b64 v[12:13], v7
	v_add_u32_e32 v3, 1, v3
	v_cmp_lt_u32_e32 vcc, 20, v3
	v_add_u32_e32 v7, 8, v7
	v_add_u32_e32 v8, 8, v8
	s_or_b64 s[4:5], vcc, s[4:5]
	s_waitcnt vmcnt(0) lgkmcnt(0)
	v_pk_mul_f32 v[14:15], v[12:13], v[10:11] op_sel:[1,1] op_sel_hi:[0,1]
	v_pk_fma_f32 v[16:17], v[12:13], v[10:11], v[14:15] neg_lo:[0,0,1] neg_hi:[0,0,1]
	v_pk_fma_f32 v[10:11], v[12:13], v[10:11], v[14:15] op_sel_hi:[1,0,1]
	s_nop 0
	v_mov_b32_e32 v17, v11
	v_pk_add_f32 v[4:5], v[4:5], v[16:17]
	s_andn2_b64 exec, exec, s[4:5]
	s_cbranch_execnz .LBB87_101
; %bb.102:
	s_or_b64 exec, exec, s[4:5]
	v_mov_b32_e32 v3, 0
	ds_read_b64 v[8:9], v3 offset:176
	s_waitcnt lgkmcnt(0)
	v_pk_mul_f32 v[10:11], v[4:5], v[8:9] op_sel:[1,1] op_sel_hi:[0,1]
	v_pk_fma_f32 v[12:13], v[4:5], v[8:9], v[10:11] neg_lo:[0,0,1] neg_hi:[0,0,1]
	v_pk_fma_f32 v[4:5], v[4:5], v[8:9], v[10:11] op_sel_hi:[1,0,1]
	s_nop 0
	v_mov_b32_e32 v13, v5
	scratch_store_dwordx2 off, v[12:13], off offset:176
.LBB87_103:
	s_or_b64 exec, exec, s[0:1]
	; wave barrier
	scratch_load_dwordx2 v[4:5], off, off offset:184
	v_cmp_ne_u32_e32 vcc, 23, v0
	s_waitcnt vmcnt(0)
	ds_write_b64 v1, v[4:5]
	s_waitcnt lgkmcnt(0)
	; wave barrier
	s_and_saveexec_b64 s[0:1], vcc
	s_cbranch_execz .LBB87_107
; %bb.104:
	v_add_u32_e32 v1, 0xc0, v2
	v_mov_b32_e32 v4, v2
	v_mov_b32_e32 v2, 0
	s_mov_b64 s[4:5], 0
	v_mov_b32_e32 v3, v2
.LBB87_105:                             ; =>This Inner Loop Header: Depth=1
	scratch_load_dwordx2 v[8:9], v4, off
	ds_read_b64 v[10:11], v1
	v_add_u32_e32 v6, 1, v6
	v_cmp_lt_u32_e32 vcc, 21, v6
	v_add_u32_e32 v1, 8, v1
	v_add_u32_e32 v4, 8, v4
	s_or_b64 s[4:5], vcc, s[4:5]
	s_waitcnt vmcnt(0) lgkmcnt(0)
	v_pk_mul_f32 v[12:13], v[10:11], v[8:9] op_sel:[1,1] op_sel_hi:[0,1]
	v_pk_fma_f32 v[14:15], v[10:11], v[8:9], v[12:13] neg_lo:[0,0,1] neg_hi:[0,0,1]
	v_pk_fma_f32 v[8:9], v[10:11], v[8:9], v[12:13] op_sel_hi:[1,0,1]
	s_nop 0
	v_mov_b32_e32 v15, v9
	v_pk_add_f32 v[2:3], v[2:3], v[14:15]
	s_andn2_b64 exec, exec, s[4:5]
	s_cbranch_execnz .LBB87_105
; %bb.106:
	s_or_b64 exec, exec, s[4:5]
	v_mov_b32_e32 v1, 0
	ds_read_b64 v[4:5], v1 offset:184
	s_waitcnt lgkmcnt(0)
	v_pk_mul_f32 v[6:7], v[2:3], v[4:5] op_sel:[1,1] op_sel_hi:[0,1]
	v_pk_fma_f32 v[8:9], v[2:3], v[4:5], v[6:7] neg_lo:[0,0,1] neg_hi:[0,0,1]
	v_pk_fma_f32 v[2:3], v[2:3], v[4:5], v[6:7] op_sel_hi:[1,0,1]
	s_nop 0
	v_mov_b32_e32 v9, v3
	scratch_store_dwordx2 off, v[8:9], off offset:184
.LBB87_107:
	s_or_b64 exec, exec, s[0:1]
	s_mov_b64 s[4:5], -1
	; wave barrier
.LBB87_108:
	s_and_b64 vcc, exec, s[4:5]
	s_cbranch_vccz .LBB87_110
; %bb.109:
	s_lshl_b64 s[0:1], s[2:3], 2
	s_add_u32 s0, s6, s0
	s_addc_u32 s1, s7, s1
	v_mov_b32_e32 v1, 0
	global_load_dword v1, v1, s[0:1]
	s_waitcnt vmcnt(0)
	v_cmp_ne_u32_e32 vcc, 0, v1
	s_cbranch_vccz .LBB87_111
.LBB87_110:
	s_endpgm
.LBB87_111:
	v_mov_b32_e32 v1, 0xc0
	v_lshl_add_u32 v1, v0, 3, v1
	v_cmp_eq_u32_e32 vcc, 23, v0
	s_and_saveexec_b64 s[0:1], vcc
	s_cbranch_execz .LBB87_113
; %bb.112:
	scratch_load_dwordx2 v[2:3], off, off offset:176
	v_mov_b32_e32 v4, 0
	v_mov_b32_e32 v5, v4
	scratch_store_dwordx2 off, v[4:5], off offset:176
	s_waitcnt vmcnt(1)
	ds_write_b64 v1, v[2:3]
.LBB87_113:
	s_or_b64 exec, exec, s[0:1]
	s_waitcnt lgkmcnt(0)
	; wave barrier
	scratch_load_dwordx2 v[4:5], off, off offset:184
	scratch_load_dwordx2 v[6:7], off, off offset:176
	v_mov_b32_e32 v2, 0
	ds_read_b64 v[8:9], v2 offset:376
	v_cmp_lt_u32_e32 vcc, 21, v0
	s_waitcnt vmcnt(1) lgkmcnt(0)
	v_pk_mul_f32 v[10:11], v[8:9], v[4:5] op_sel:[1,1] op_sel_hi:[0,1]
	v_pk_fma_f32 v[12:13], v[8:9], v[4:5], v[10:11] neg_lo:[0,0,1] neg_hi:[0,0,1]
	v_pk_fma_f32 v[4:5], v[8:9], v[4:5], v[10:11] op_sel_hi:[1,0,1]
	s_nop 0
	v_mov_b32_e32 v13, v5
	v_pk_add_f32 v[4:5], v[12:13], 0 op_sel_hi:[1,0]
	s_waitcnt vmcnt(0)
	v_pk_add_f32 v[4:5], v[6:7], v[4:5] neg_lo:[0,1] neg_hi:[0,1]
	scratch_store_dwordx2 off, v[4:5], off offset:176
	s_and_saveexec_b64 s[0:1], vcc
	s_cbranch_execz .LBB87_115
; %bb.114:
	scratch_load_dwordx2 v[4:5], off, off offset:168
	v_mov_b32_e32 v3, v2
	scratch_store_dwordx2 off, v[2:3], off offset:168
	s_waitcnt vmcnt(1)
	ds_write_b64 v1, v[4:5]
.LBB87_115:
	s_or_b64 exec, exec, s[0:1]
	s_waitcnt lgkmcnt(0)
	; wave barrier
	scratch_load_dwordx4 v[4:7], off, off offset:176
	scratch_load_dwordx2 v[12:13], off, off offset:168
	ds_read_b128 v[8:11], v2 offset:368
	v_cmp_lt_u32_e32 vcc, 20, v0
	s_waitcnt vmcnt(1) lgkmcnt(0)
	v_pk_mul_f32 v[2:3], v[8:9], v[4:5] op_sel:[1,1] op_sel_hi:[0,1]
	v_mov_b32_e32 v14, v7
	v_pk_fma_f32 v[16:17], v[8:9], v[4:5], v[2:3] neg_lo:[0,0,1] neg_hi:[0,0,1]
	v_pk_fma_f32 v[2:3], v[8:9], v[4:5], v[2:3] op_sel_hi:[1,0,1]
	v_pk_mul_f32 v[4:5], v[10:11], v[14:15] op_sel:[1,0] op_sel_hi:[0,0]
	v_mov_b32_e32 v17, v3
	v_pk_fma_f32 v[2:3], v[10:11], v[6:7], v[4:5] neg_lo:[0,0,1] neg_hi:[0,0,1]
	v_pk_fma_f32 v[4:5], v[10:11], v[6:7], v[4:5] op_sel_hi:[1,0,1]
	v_pk_add_f32 v[6:7], v[16:17], 0 op_sel_hi:[1,0]
	v_mov_b32_e32 v3, v5
	v_pk_add_f32 v[2:3], v[6:7], v[2:3]
	s_waitcnt vmcnt(0)
	v_pk_add_f32 v[2:3], v[12:13], v[2:3] neg_lo:[0,1] neg_hi:[0,1]
	scratch_store_dwordx2 off, v[2:3], off offset:168
	s_and_saveexec_b64 s[0:1], vcc
	s_cbranch_execz .LBB87_117
; %bb.116:
	scratch_load_dwordx2 v[2:3], off, off offset:160
	v_mov_b32_e32 v4, 0
	v_mov_b32_e32 v5, v4
	scratch_store_dwordx2 off, v[4:5], off offset:160
	s_waitcnt vmcnt(1)
	ds_write_b64 v1, v[2:3]
.LBB87_117:
	s_or_b64 exec, exec, s[0:1]
	s_waitcnt lgkmcnt(0)
	; wave barrier
	scratch_load_dwordx4 v[4:7], off, off offset:168
	scratch_load_dwordx2 v[12:13], off, off offset:184
	scratch_load_dwordx2 v[14:15], off, off offset:160
	v_mov_b32_e32 v2, 0
	ds_read2_b64 v[8:11], v2 offset0:45 offset1:46
	ds_read_b64 v[16:17], v2 offset:376
	v_cmp_lt_u32_e32 vcc, 19, v0
	s_waitcnt vmcnt(2) lgkmcnt(1)
	v_pk_mul_f32 v[18:19], v[8:9], v[4:5] op_sel:[1,1] op_sel_hi:[0,1]
	v_mov_b32_e32 v68, v7
	v_pk_fma_f32 v[72:73], v[8:9], v[4:5], v[18:19] neg_lo:[0,0,1] neg_hi:[0,0,1]
	v_pk_fma_f32 v[4:5], v[8:9], v[4:5], v[18:19] op_sel_hi:[1,0,1]
	v_pk_mul_f32 v[8:9], v[10:11], v[68:69] op_sel:[1,0] op_sel_hi:[0,0]
	s_waitcnt vmcnt(1) lgkmcnt(0)
	v_pk_mul_f32 v[70:71], v[16:17], v[12:13] op_sel:[1,1] op_sel_hi:[0,1]
	v_mov_b32_e32 v73, v5
	v_pk_fma_f32 v[4:5], v[10:11], v[6:7], v[8:9] neg_lo:[0,0,1] neg_hi:[0,0,1]
	v_pk_fma_f32 v[6:7], v[10:11], v[6:7], v[8:9] op_sel_hi:[1,0,1]
	v_pk_fma_f32 v[18:19], v[16:17], v[12:13], v[70:71] neg_lo:[0,0,1] neg_hi:[0,0,1]
	v_pk_fma_f32 v[12:13], v[16:17], v[12:13], v[70:71] op_sel_hi:[1,0,1]
	v_pk_add_f32 v[8:9], v[72:73], 0 op_sel_hi:[1,0]
	v_mov_b32_e32 v5, v7
	v_mov_b32_e32 v19, v13
	v_pk_add_f32 v[4:5], v[8:9], v[4:5]
	s_nop 0
	v_pk_add_f32 v[4:5], v[4:5], v[18:19]
	s_waitcnt vmcnt(0)
	v_pk_add_f32 v[4:5], v[14:15], v[4:5] neg_lo:[0,1] neg_hi:[0,1]
	scratch_store_dwordx2 off, v[4:5], off offset:160
	s_and_saveexec_b64 s[0:1], vcc
	s_cbranch_execz .LBB87_119
; %bb.118:
	scratch_load_dwordx2 v[4:5], off, off offset:152
	v_mov_b32_e32 v3, v2
	scratch_store_dwordx2 off, v[2:3], off offset:152
	s_waitcnt vmcnt(1)
	ds_write_b64 v1, v[4:5]
.LBB87_119:
	s_or_b64 exec, exec, s[0:1]
	s_waitcnt lgkmcnt(0)
	; wave barrier
	scratch_load_dwordx4 v[4:7], off, off offset:160
	scratch_load_dwordx4 v[8:11], off, off offset:176
	scratch_load_dwordx2 v[68:69], off, off offset:152
	ds_read_b128 v[12:15], v2 offset:352
	ds_read_b128 v[16:19], v2 offset:368
	v_cmp_lt_u32_e32 vcc, 18, v0
	s_waitcnt vmcnt(2) lgkmcnt(1)
	v_pk_mul_f32 v[2:3], v[12:13], v[4:5] op_sel:[1,1] op_sel_hi:[0,1]
	v_mov_b32_e32 v70, v7
	s_waitcnt vmcnt(1) lgkmcnt(0)
	v_pk_mul_f32 v[72:73], v[16:17], v[8:9] op_sel:[1,1] op_sel_hi:[0,1]
	v_mov_b32_e32 v74, v11
	v_pk_fma_f32 v[76:77], v[12:13], v[4:5], v[2:3] neg_lo:[0,0,1] neg_hi:[0,0,1]
	v_pk_fma_f32 v[2:3], v[12:13], v[4:5], v[2:3] op_sel_hi:[1,0,1]
	v_pk_mul_f32 v[4:5], v[14:15], v[70:71] op_sel:[1,0] op_sel_hi:[0,0]
	v_pk_fma_f32 v[12:13], v[16:17], v[8:9], v[72:73] neg_lo:[0,0,1] neg_hi:[0,0,1]
	v_pk_fma_f32 v[8:9], v[16:17], v[8:9], v[72:73] op_sel_hi:[1,0,1]
	v_pk_mul_f32 v[16:17], v[18:19], v[74:75] op_sel:[1,0] op_sel_hi:[0,0]
	v_mov_b32_e32 v77, v3
	v_pk_fma_f32 v[2:3], v[14:15], v[6:7], v[4:5] neg_lo:[0,0,1] neg_hi:[0,0,1]
	v_pk_fma_f32 v[4:5], v[14:15], v[6:7], v[4:5] op_sel_hi:[1,0,1]
	v_mov_b32_e32 v13, v9
	v_pk_fma_f32 v[6:7], v[18:19], v[10:11], v[16:17] neg_lo:[0,0,1] neg_hi:[0,0,1]
	v_pk_fma_f32 v[8:9], v[18:19], v[10:11], v[16:17] op_sel_hi:[1,0,1]
	v_pk_add_f32 v[10:11], v[76:77], 0 op_sel_hi:[1,0]
	v_mov_b32_e32 v3, v5
	v_pk_add_f32 v[2:3], v[10:11], v[2:3]
	v_mov_b32_e32 v7, v9
	v_pk_add_f32 v[2:3], v[2:3], v[12:13]
	s_nop 0
	v_pk_add_f32 v[2:3], v[2:3], v[6:7]
	s_waitcnt vmcnt(0)
	v_pk_add_f32 v[2:3], v[68:69], v[2:3] neg_lo:[0,1] neg_hi:[0,1]
	scratch_store_dwordx2 off, v[2:3], off offset:152
	s_and_saveexec_b64 s[0:1], vcc
	s_cbranch_execz .LBB87_121
; %bb.120:
	scratch_load_dwordx2 v[2:3], off, off offset:144
	v_mov_b32_e32 v4, 0
	v_mov_b32_e32 v5, v4
	scratch_store_dwordx2 off, v[4:5], off offset:144
	s_waitcnt vmcnt(1)
	ds_write_b64 v1, v[2:3]
.LBB87_121:
	s_or_b64 exec, exec, s[0:1]
	s_waitcnt lgkmcnt(0)
	; wave barrier
	scratch_load_dwordx4 v[4:7], off, off offset:152
	scratch_load_dwordx4 v[8:11], off, off offset:168
	scratch_load_dwordx2 v[68:69], off, off offset:184
	scratch_load_dwordx2 v[70:71], off, off offset:144
	v_mov_b32_e32 v2, 0
	ds_read2_b64 v[12:15], v2 offset0:43 offset1:44
	ds_read2_b64 v[16:19], v2 offset0:45 offset1:46
	ds_read_b64 v[72:73], v2 offset:376
	v_cmp_lt_u32_e32 vcc, 17, v0
	s_waitcnt vmcnt(3) lgkmcnt(2)
	v_pk_mul_f32 v[74:75], v[12:13], v[4:5] op_sel:[1,1] op_sel_hi:[0,1]
	v_mov_b32_e32 v76, v7
	v_pk_fma_f32 v[84:85], v[12:13], v[4:5], v[74:75] neg_lo:[0,0,1] neg_hi:[0,0,1]
	v_pk_fma_f32 v[4:5], v[12:13], v[4:5], v[74:75] op_sel_hi:[1,0,1]
	v_pk_mul_f32 v[12:13], v[14:15], v[76:77] op_sel:[1,0] op_sel_hi:[0,0]
	s_waitcnt vmcnt(2) lgkmcnt(1)
	v_pk_mul_f32 v[78:79], v[16:17], v[8:9] op_sel:[1,1] op_sel_hi:[0,1]
	v_mov_b32_e32 v80, v11
	v_mov_b32_e32 v85, v5
	v_pk_fma_f32 v[4:5], v[14:15], v[6:7], v[12:13] neg_lo:[0,0,1] neg_hi:[0,0,1]
	v_pk_fma_f32 v[6:7], v[14:15], v[6:7], v[12:13] op_sel_hi:[1,0,1]
	v_pk_fma_f32 v[74:75], v[16:17], v[8:9], v[78:79] neg_lo:[0,0,1] neg_hi:[0,0,1]
	v_pk_fma_f32 v[8:9], v[16:17], v[8:9], v[78:79] op_sel_hi:[1,0,1]
	v_pk_mul_f32 v[16:17], v[18:19], v[80:81] op_sel:[1,0] op_sel_hi:[0,0]
	v_pk_add_f32 v[12:13], v[84:85], 0 op_sel_hi:[1,0]
	v_mov_b32_e32 v5, v7
	s_waitcnt vmcnt(1) lgkmcnt(0)
	v_pk_mul_f32 v[82:83], v[72:73], v[68:69] op_sel:[1,1] op_sel_hi:[0,1]
	v_mov_b32_e32 v75, v9
	v_pk_fma_f32 v[8:9], v[18:19], v[10:11], v[16:17] neg_lo:[0,0,1] neg_hi:[0,0,1]
	v_pk_fma_f32 v[10:11], v[18:19], v[10:11], v[16:17] op_sel_hi:[1,0,1]
	v_pk_add_f32 v[4:5], v[12:13], v[4:5]
	v_pk_fma_f32 v[76:77], v[72:73], v[68:69], v[82:83] neg_lo:[0,0,1] neg_hi:[0,0,1]
	v_pk_fma_f32 v[68:69], v[72:73], v[68:69], v[82:83] op_sel_hi:[1,0,1]
	v_mov_b32_e32 v9, v11
	v_pk_add_f32 v[4:5], v[4:5], v[74:75]
	v_mov_b32_e32 v77, v69
	v_pk_add_f32 v[4:5], v[4:5], v[8:9]
	s_nop 0
	v_pk_add_f32 v[4:5], v[4:5], v[76:77]
	s_waitcnt vmcnt(0)
	v_pk_add_f32 v[4:5], v[70:71], v[4:5] neg_lo:[0,1] neg_hi:[0,1]
	scratch_store_dwordx2 off, v[4:5], off offset:144
	s_and_saveexec_b64 s[0:1], vcc
	s_cbranch_execz .LBB87_123
; %bb.122:
	scratch_load_dwordx2 v[4:5], off, off offset:136
	v_mov_b32_e32 v3, v2
	scratch_store_dwordx2 off, v[2:3], off offset:136
	s_waitcnt vmcnt(1)
	ds_write_b64 v1, v[4:5]
.LBB87_123:
	s_or_b64 exec, exec, s[0:1]
	s_waitcnt lgkmcnt(0)
	; wave barrier
	scratch_load_dwordx4 v[4:7], off, off offset:144
	scratch_load_dwordx4 v[8:11], off, off offset:160
	;; [unrolled: 1-line block ×3, first 2 shown]
	scratch_load_dwordx2 v[76:77], off, off offset:136
	ds_read_b128 v[16:19], v2 offset:336
	ds_read_b128 v[68:71], v2 offset:352
	;; [unrolled: 1-line block ×3, first 2 shown]
	v_cmp_lt_u32_e32 vcc, 16, v0
	s_waitcnt vmcnt(3) lgkmcnt(2)
	v_pk_mul_f32 v[2:3], v[16:17], v[4:5] op_sel:[1,1] op_sel_hi:[0,1]
	v_mov_b32_e32 v78, v7
	s_waitcnt vmcnt(2) lgkmcnt(1)
	v_pk_mul_f32 v[80:81], v[68:69], v[8:9] op_sel:[1,1] op_sel_hi:[0,1]
	v_mov_b32_e32 v82, v11
	;; [unrolled: 3-line block ×3, first 2 shown]
	v_pk_fma_f32 v[88:89], v[16:17], v[4:5], v[2:3] neg_lo:[0,0,1] neg_hi:[0,0,1]
	v_pk_fma_f32 v[2:3], v[16:17], v[4:5], v[2:3] op_sel_hi:[1,0,1]
	v_pk_mul_f32 v[4:5], v[18:19], v[78:79] op_sel:[1,0] op_sel_hi:[0,0]
	v_pk_fma_f32 v[16:17], v[68:69], v[8:9], v[80:81] neg_lo:[0,0,1] neg_hi:[0,0,1]
	v_pk_fma_f32 v[8:9], v[68:69], v[8:9], v[80:81] op_sel_hi:[1,0,1]
	v_pk_mul_f32 v[68:69], v[70:71], v[82:83] op_sel:[1,0] op_sel_hi:[0,0]
	v_pk_fma_f32 v[78:79], v[72:73], v[12:13], v[84:85] neg_lo:[0,0,1] neg_hi:[0,0,1]
	v_pk_fma_f32 v[12:13], v[72:73], v[12:13], v[84:85] op_sel_hi:[1,0,1]
	v_pk_mul_f32 v[72:73], v[74:75], v[86:87] op_sel:[1,0] op_sel_hi:[0,0]
	v_mov_b32_e32 v89, v3
	v_pk_fma_f32 v[2:3], v[18:19], v[6:7], v[4:5] neg_lo:[0,0,1] neg_hi:[0,0,1]
	v_pk_fma_f32 v[4:5], v[18:19], v[6:7], v[4:5] op_sel_hi:[1,0,1]
	v_mov_b32_e32 v17, v9
	v_pk_fma_f32 v[6:7], v[70:71], v[10:11], v[68:69] neg_lo:[0,0,1] neg_hi:[0,0,1]
	v_pk_fma_f32 v[8:9], v[70:71], v[10:11], v[68:69] op_sel_hi:[1,0,1]
	;; [unrolled: 3-line block ×3, first 2 shown]
	v_pk_add_f32 v[14:15], v[88:89], 0 op_sel_hi:[1,0]
	v_mov_b32_e32 v3, v5
	v_pk_add_f32 v[2:3], v[14:15], v[2:3]
	v_mov_b32_e32 v7, v9
	v_pk_add_f32 v[2:3], v[2:3], v[16:17]
	v_mov_b32_e32 v11, v13
	v_pk_add_f32 v[2:3], v[2:3], v[6:7]
	s_nop 0
	v_pk_add_f32 v[2:3], v[2:3], v[78:79]
	s_nop 0
	v_pk_add_f32 v[2:3], v[2:3], v[10:11]
	s_waitcnt vmcnt(0)
	v_pk_add_f32 v[2:3], v[76:77], v[2:3] neg_lo:[0,1] neg_hi:[0,1]
	scratch_store_dwordx2 off, v[2:3], off offset:136
	s_and_saveexec_b64 s[0:1], vcc
	s_cbranch_execz .LBB87_125
; %bb.124:
	scratch_load_dwordx2 v[2:3], off, off offset:128
	v_mov_b32_e32 v4, 0
	v_mov_b32_e32 v5, v4
	scratch_store_dwordx2 off, v[4:5], off offset:128
	s_waitcnt vmcnt(1)
	ds_write_b64 v1, v[2:3]
.LBB87_125:
	s_or_b64 exec, exec, s[0:1]
	s_waitcnt lgkmcnt(0)
	; wave barrier
	scratch_load_dwordx4 v[4:7], off, off offset:136
	scratch_load_dwordx4 v[8:11], off, off offset:152
	;; [unrolled: 1-line block ×3, first 2 shown]
	scratch_load_dwordx2 v[76:77], off, off offset:184
	scratch_load_dwordx2 v[78:79], off, off offset:128
	v_mov_b32_e32 v2, 0
	ds_read2_b64 v[16:19], v2 offset0:41 offset1:42
	ds_read2_b64 v[68:71], v2 offset0:43 offset1:44
	ds_read2_b64 v[72:75], v2 offset0:45 offset1:46
	ds_read_b64 v[80:81], v2 offset:376
	v_cmp_lt_u32_e32 vcc, 15, v0
	s_waitcnt vmcnt(4) lgkmcnt(3)
	v_pk_mul_f32 v[82:83], v[16:17], v[4:5] op_sel:[1,1] op_sel_hi:[0,1]
	v_mov_b32_e32 v84, v7
	v_pk_fma_f32 v[96:97], v[16:17], v[4:5], v[82:83] neg_lo:[0,0,1] neg_hi:[0,0,1]
	v_pk_fma_f32 v[4:5], v[16:17], v[4:5], v[82:83] op_sel_hi:[1,0,1]
	v_pk_mul_f32 v[16:17], v[18:19], v[84:85] op_sel:[1,0] op_sel_hi:[0,0]
	s_waitcnt vmcnt(3) lgkmcnt(2)
	v_pk_mul_f32 v[86:87], v[68:69], v[8:9] op_sel:[1,1] op_sel_hi:[0,1]
	v_mov_b32_e32 v88, v11
	v_mov_b32_e32 v97, v5
	v_pk_fma_f32 v[4:5], v[18:19], v[6:7], v[16:17] neg_lo:[0,0,1] neg_hi:[0,0,1]
	v_pk_fma_f32 v[6:7], v[18:19], v[6:7], v[16:17] op_sel_hi:[1,0,1]
	v_pk_fma_f32 v[82:83], v[68:69], v[8:9], v[86:87] neg_lo:[0,0,1] neg_hi:[0,0,1]
	v_pk_fma_f32 v[8:9], v[68:69], v[8:9], v[86:87] op_sel_hi:[1,0,1]
	v_pk_mul_f32 v[68:69], v[70:71], v[88:89] op_sel:[1,0] op_sel_hi:[0,0]
	v_pk_add_f32 v[16:17], v[96:97], 0 op_sel_hi:[1,0]
	v_mov_b32_e32 v5, v7
	s_waitcnt vmcnt(2) lgkmcnt(1)
	v_pk_mul_f32 v[90:91], v[72:73], v[12:13] op_sel:[1,1] op_sel_hi:[0,1]
	v_mov_b32_e32 v92, v15
	v_mov_b32_e32 v83, v9
	v_pk_fma_f32 v[8:9], v[70:71], v[10:11], v[68:69] neg_lo:[0,0,1] neg_hi:[0,0,1]
	v_pk_fma_f32 v[10:11], v[70:71], v[10:11], v[68:69] op_sel_hi:[1,0,1]
	v_pk_add_f32 v[4:5], v[16:17], v[4:5]
	v_pk_fma_f32 v[84:85], v[72:73], v[12:13], v[90:91] neg_lo:[0,0,1] neg_hi:[0,0,1]
	v_pk_fma_f32 v[12:13], v[72:73], v[12:13], v[90:91] op_sel_hi:[1,0,1]
	v_pk_mul_f32 v[72:73], v[74:75], v[92:93] op_sel:[1,0] op_sel_hi:[0,0]
	v_mov_b32_e32 v9, v11
	v_pk_add_f32 v[4:5], v[4:5], v[82:83]
	s_waitcnt vmcnt(1) lgkmcnt(0)
	v_pk_mul_f32 v[94:95], v[80:81], v[76:77] op_sel:[1,1] op_sel_hi:[0,1]
	v_mov_b32_e32 v85, v13
	v_pk_fma_f32 v[12:13], v[74:75], v[14:15], v[72:73] neg_lo:[0,0,1] neg_hi:[0,0,1]
	v_pk_fma_f32 v[14:15], v[74:75], v[14:15], v[72:73] op_sel_hi:[1,0,1]
	v_pk_add_f32 v[4:5], v[4:5], v[8:9]
	v_pk_fma_f32 v[86:87], v[80:81], v[76:77], v[94:95] neg_lo:[0,0,1] neg_hi:[0,0,1]
	v_pk_fma_f32 v[76:77], v[80:81], v[76:77], v[94:95] op_sel_hi:[1,0,1]
	v_mov_b32_e32 v13, v15
	v_pk_add_f32 v[4:5], v[4:5], v[84:85]
	v_mov_b32_e32 v87, v77
	v_pk_add_f32 v[4:5], v[4:5], v[12:13]
	s_nop 0
	v_pk_add_f32 v[4:5], v[4:5], v[86:87]
	s_waitcnt vmcnt(0)
	v_pk_add_f32 v[4:5], v[78:79], v[4:5] neg_lo:[0,1] neg_hi:[0,1]
	scratch_store_dwordx2 off, v[4:5], off offset:128
	s_and_saveexec_b64 s[0:1], vcc
	s_cbranch_execz .LBB87_127
; %bb.126:
	scratch_load_dwordx2 v[4:5], off, off offset:120
	v_mov_b32_e32 v3, v2
	scratch_store_dwordx2 off, v[2:3], off offset:120
	s_waitcnt vmcnt(1)
	ds_write_b64 v1, v[4:5]
.LBB87_127:
	s_or_b64 exec, exec, s[0:1]
	s_waitcnt lgkmcnt(0)
	; wave barrier
	scratch_load_dwordx4 v[4:7], off, off offset:128
	scratch_load_dwordx4 v[8:11], off, off offset:144
	;; [unrolled: 1-line block ×4, first 2 shown]
	scratch_load_dwordx2 v[84:85], off, off offset:120
	ds_read_b128 v[68:71], v2 offset:320
	ds_read_b128 v[72:75], v2 offset:336
	;; [unrolled: 1-line block ×4, first 2 shown]
	v_cmp_lt_u32_e32 vcc, 14, v0
	s_waitcnt vmcnt(4) lgkmcnt(3)
	v_pk_mul_f32 v[2:3], v[68:69], v[4:5] op_sel:[1,1] op_sel_hi:[0,1]
	v_mov_b32_e32 v86, v7
	s_waitcnt vmcnt(3) lgkmcnt(2)
	v_pk_mul_f32 v[88:89], v[72:73], v[8:9] op_sel:[1,1] op_sel_hi:[0,1]
	v_mov_b32_e32 v90, v11
	;; [unrolled: 3-line block ×4, first 2 shown]
	v_pk_fma_f32 v[100:101], v[68:69], v[4:5], v[2:3] neg_lo:[0,0,1] neg_hi:[0,0,1]
	v_pk_fma_f32 v[2:3], v[68:69], v[4:5], v[2:3] op_sel_hi:[1,0,1]
	v_pk_mul_f32 v[4:5], v[70:71], v[86:87] op_sel:[1,0] op_sel_hi:[0,0]
	v_pk_fma_f32 v[68:69], v[72:73], v[8:9], v[88:89] neg_lo:[0,0,1] neg_hi:[0,0,1]
	v_pk_fma_f32 v[8:9], v[72:73], v[8:9], v[88:89] op_sel_hi:[1,0,1]
	v_pk_mul_f32 v[72:73], v[74:75], v[90:91] op_sel:[1,0] op_sel_hi:[0,0]
	;; [unrolled: 3-line block ×4, first 2 shown]
	v_mov_b32_e32 v101, v3
	v_pk_fma_f32 v[2:3], v[70:71], v[6:7], v[4:5] neg_lo:[0,0,1] neg_hi:[0,0,1]
	v_pk_fma_f32 v[4:5], v[70:71], v[6:7], v[4:5] op_sel_hi:[1,0,1]
	v_mov_b32_e32 v69, v9
	v_pk_fma_f32 v[6:7], v[74:75], v[10:11], v[72:73] neg_lo:[0,0,1] neg_hi:[0,0,1]
	v_pk_fma_f32 v[8:9], v[74:75], v[10:11], v[72:73] op_sel_hi:[1,0,1]
	;; [unrolled: 3-line block ×4, first 2 shown]
	v_pk_add_f32 v[18:19], v[100:101], 0 op_sel_hi:[1,0]
	v_mov_b32_e32 v3, v5
	v_pk_add_f32 v[2:3], v[18:19], v[2:3]
	v_mov_b32_e32 v7, v9
	v_pk_add_f32 v[2:3], v[2:3], v[68:69]
	;; [unrolled: 2-line block ×4, first 2 shown]
	s_nop 0
	v_pk_add_f32 v[2:3], v[2:3], v[10:11]
	s_nop 0
	v_pk_add_f32 v[2:3], v[2:3], v[88:89]
	;; [unrolled: 2-line block ×3, first 2 shown]
	s_waitcnt vmcnt(0)
	v_pk_add_f32 v[2:3], v[84:85], v[2:3] neg_lo:[0,1] neg_hi:[0,1]
	scratch_store_dwordx2 off, v[2:3], off offset:120
	s_and_saveexec_b64 s[0:1], vcc
	s_cbranch_execz .LBB87_129
; %bb.128:
	scratch_load_dwordx2 v[2:3], off, off offset:112
	v_mov_b32_e32 v4, 0
	v_mov_b32_e32 v5, v4
	scratch_store_dwordx2 off, v[4:5], off offset:112
	s_waitcnt vmcnt(1)
	ds_write_b64 v1, v[2:3]
.LBB87_129:
	s_or_b64 exec, exec, s[0:1]
	s_waitcnt lgkmcnt(0)
	; wave barrier
	scratch_load_dwordx4 v[4:7], off, off offset:120
	scratch_load_dwordx4 v[8:11], off, off offset:136
	;; [unrolled: 1-line block ×4, first 2 shown]
	scratch_load_dwordx2 v[84:85], off, off offset:184
	scratch_load_dwordx2 v[86:87], off, off offset:112
	v_mov_b32_e32 v2, 0
	ds_read2_b64 v[68:71], v2 offset0:39 offset1:40
	ds_read2_b64 v[72:75], v2 offset0:41 offset1:42
	;; [unrolled: 1-line block ×4, first 2 shown]
	ds_read_b64 v[88:89], v2 offset:376
	v_cmp_lt_u32_e32 vcc, 13, v0
	s_waitcnt vmcnt(5) lgkmcnt(4)
	v_mul_f32_e32 v91, v68, v5
	v_mul_f32_e32 v3, v69, v5
	v_mov_b32_e32 v92, v7
	s_waitcnt vmcnt(4) lgkmcnt(3)
	v_pk_mul_f32 v[94:95], v[72:73], v[8:9] op_sel:[1,1] op_sel_hi:[0,1]
	v_mov_b32_e32 v96, v11
	s_waitcnt vmcnt(1) lgkmcnt(0)
	v_pk_mul_f32 v[106:107], v[88:89], v[84:85] op_sel:[1,1] op_sel_hi:[0,1]
	v_fmac_f32_e32 v91, v69, v4
	v_fma_f32 v90, v68, v4, -v3
	v_pk_mul_f32 v[4:5], v[70:71], v[92:93] op_sel:[1,0] op_sel_hi:[0,0]
	v_pk_fma_f32 v[68:69], v[72:73], v[8:9], v[94:95] neg_lo:[0,0,1] neg_hi:[0,0,1]
	v_pk_fma_f32 v[8:9], v[72:73], v[8:9], v[94:95] op_sel_hi:[1,0,1]
	v_pk_mul_f32 v[72:73], v[74:75], v[96:97] op_sel:[1,0] op_sel_hi:[0,0]
	v_pk_fma_f32 v[96:97], v[88:89], v[84:85], v[106:107] neg_lo:[0,0,1] neg_hi:[0,0,1]
	v_pk_fma_f32 v[84:85], v[88:89], v[84:85], v[106:107] op_sel_hi:[1,0,1]
	v_pk_add_f32 v[88:89], v[90:91], 0 op_sel_hi:[1,0]
	v_pk_fma_f32 v[90:91], v[70:71], v[6:7], v[4:5] neg_lo:[0,0,1] neg_hi:[0,0,1]
	v_pk_fma_f32 v[4:5], v[70:71], v[6:7], v[4:5] op_sel_hi:[1,0,1]
	v_pk_mul_f32 v[98:99], v[76:77], v[12:13] op_sel:[1,1] op_sel_hi:[0,1]
	v_mov_b32_e32 v91, v5
	v_mov_b32_e32 v100, v15
	v_mov_b32_e32 v69, v9
	v_pk_fma_f32 v[6:7], v[74:75], v[10:11], v[72:73] neg_lo:[0,0,1] neg_hi:[0,0,1]
	v_pk_fma_f32 v[8:9], v[74:75], v[10:11], v[72:73] op_sel_hi:[1,0,1]
	v_pk_add_f32 v[4:5], v[88:89], v[90:91]
	v_pk_fma_f32 v[92:93], v[76:77], v[12:13], v[98:99] neg_lo:[0,0,1] neg_hi:[0,0,1]
	v_pk_fma_f32 v[12:13], v[76:77], v[12:13], v[98:99] op_sel_hi:[1,0,1]
	v_pk_mul_f32 v[76:77], v[78:79], v[100:101] op_sel:[1,0] op_sel_hi:[0,0]
	v_mov_b32_e32 v7, v9
	v_pk_add_f32 v[4:5], v[4:5], v[68:69]
	v_pk_mul_f32 v[102:103], v[80:81], v[16:17] op_sel:[1,1] op_sel_hi:[0,1]
	v_mov_b32_e32 v104, v19
	v_mov_b32_e32 v93, v13
	v_pk_fma_f32 v[10:11], v[78:79], v[14:15], v[76:77] neg_lo:[0,0,1] neg_hi:[0,0,1]
	v_pk_fma_f32 v[12:13], v[78:79], v[14:15], v[76:77] op_sel_hi:[1,0,1]
	v_pk_add_f32 v[4:5], v[4:5], v[6:7]
	v_pk_fma_f32 v[94:95], v[80:81], v[16:17], v[102:103] neg_lo:[0,0,1] neg_hi:[0,0,1]
	v_pk_fma_f32 v[16:17], v[80:81], v[16:17], v[102:103] op_sel_hi:[1,0,1]
	v_pk_mul_f32 v[80:81], v[82:83], v[104:105] op_sel:[1,0] op_sel_hi:[0,0]
	v_mov_b32_e32 v11, v13
	v_pk_add_f32 v[4:5], v[4:5], v[92:93]
	v_mov_b32_e32 v95, v17
	v_pk_fma_f32 v[14:15], v[82:83], v[18:19], v[80:81] neg_lo:[0,0,1] neg_hi:[0,0,1]
	v_pk_fma_f32 v[16:17], v[82:83], v[18:19], v[80:81] op_sel_hi:[1,0,1]
	v_pk_add_f32 v[4:5], v[4:5], v[10:11]
	v_mov_b32_e32 v15, v17
	v_pk_add_f32 v[4:5], v[4:5], v[94:95]
	v_mov_b32_e32 v97, v85
	v_pk_add_f32 v[4:5], v[4:5], v[14:15]
	s_nop 0
	v_pk_add_f32 v[4:5], v[4:5], v[96:97]
	s_waitcnt vmcnt(0)
	v_pk_add_f32 v[4:5], v[86:87], v[4:5] neg_lo:[0,1] neg_hi:[0,1]
	scratch_store_dwordx2 off, v[4:5], off offset:112
	s_and_saveexec_b64 s[0:1], vcc
	s_cbranch_execz .LBB87_131
; %bb.130:
	scratch_load_dwordx2 v[4:5], off, off offset:104
	v_mov_b32_e32 v3, v2
	scratch_store_dwordx2 off, v[2:3], off offset:104
	s_waitcnt vmcnt(1)
	ds_write_b64 v1, v[4:5]
.LBB87_131:
	s_or_b64 exec, exec, s[0:1]
	s_waitcnt lgkmcnt(0)
	; wave barrier
	scratch_load_dwordx4 v[4:7], off, off offset:112
	scratch_load_dwordx4 v[8:11], off, off offset:128
	;; [unrolled: 1-line block ×5, first 2 shown]
	scratch_load_dwordx2 v[92:93], off, off offset:104
	ds_read_b128 v[72:75], v2 offset:304
	ds_read_b128 v[76:79], v2 offset:320
	;; [unrolled: 1-line block ×5, first 2 shown]
	v_cmp_lt_u32_e32 vcc, 12, v0
	s_waitcnt vmcnt(5) lgkmcnt(4)
	v_mul_f32_e32 v3, v72, v5
	v_mul_f32_e32 v2, v73, v5
	v_mul_f32_e32 v95, v74, v7
	v_mul_f32_e32 v5, v75, v7
	s_waitcnt vmcnt(4) lgkmcnt(3)
	v_pk_mul_f32 v[96:97], v[76:77], v[8:9] op_sel:[1,1] op_sel_hi:[0,1]
	v_mov_b32_e32 v98, v11
	v_fmac_f32_e32 v3, v73, v4
	v_fma_f32 v2, v72, v4, -v2
	v_fmac_f32_e32 v95, v75, v6
	v_fma_f32 v94, v74, v6, -v5
	v_pk_fma_f32 v[4:5], v[76:77], v[8:9], v[96:97] neg_lo:[0,0,1] neg_hi:[0,0,1]
	v_pk_fma_f32 v[6:7], v[76:77], v[8:9], v[96:97] op_sel_hi:[1,0,1]
	v_pk_mul_f32 v[8:9], v[78:79], v[98:99] op_sel:[1,0] op_sel_hi:[0,0]
	v_pk_add_f32 v[2:3], v[2:3], 0 op_sel_hi:[1,0]
	s_waitcnt vmcnt(3) lgkmcnt(2)
	v_pk_mul_f32 v[100:101], v[80:81], v[12:13] op_sel:[1,1] op_sel_hi:[0,1]
	v_mov_b32_e32 v102, v15
	v_mov_b32_e32 v5, v7
	v_pk_fma_f32 v[6:7], v[78:79], v[10:11], v[8:9] neg_lo:[0,0,1] neg_hi:[0,0,1]
	v_pk_fma_f32 v[8:9], v[78:79], v[10:11], v[8:9] op_sel_hi:[1,0,1]
	v_pk_add_f32 v[2:3], v[2:3], v[94:95]
	v_pk_fma_f32 v[72:73], v[80:81], v[12:13], v[100:101] neg_lo:[0,0,1] neg_hi:[0,0,1]
	v_pk_fma_f32 v[12:13], v[80:81], v[12:13], v[100:101] op_sel_hi:[1,0,1]
	v_pk_mul_f32 v[74:75], v[82:83], v[102:103] op_sel:[1,0] op_sel_hi:[0,0]
	v_mov_b32_e32 v7, v9
	v_pk_add_f32 v[2:3], v[2:3], v[4:5]
	s_waitcnt vmcnt(2) lgkmcnt(1)
	v_pk_mul_f32 v[104:105], v[84:85], v[16:17] op_sel:[1,1] op_sel_hi:[0,1]
	v_mov_b32_e32 v106, v19
	v_mov_b32_e32 v73, v13
	v_pk_fma_f32 v[10:11], v[82:83], v[14:15], v[74:75] neg_lo:[0,0,1] neg_hi:[0,0,1]
	v_pk_fma_f32 v[12:13], v[82:83], v[14:15], v[74:75] op_sel_hi:[1,0,1]
	v_pk_add_f32 v[2:3], v[2:3], v[6:7]
	v_pk_fma_f32 v[76:77], v[84:85], v[16:17], v[104:105] neg_lo:[0,0,1] neg_hi:[0,0,1]
	v_pk_fma_f32 v[16:17], v[84:85], v[16:17], v[104:105] op_sel_hi:[1,0,1]
	v_pk_mul_f32 v[80:81], v[86:87], v[106:107] op_sel:[1,0] op_sel_hi:[0,0]
	v_mov_b32_e32 v11, v13
	v_pk_add_f32 v[2:3], v[2:3], v[72:73]
	;; [unrolled: 12-line block ×3, first 2 shown]
	v_mov_b32_e32 v85, v69
	v_pk_fma_f32 v[18:19], v[90:91], v[70:71], v[88:89] neg_lo:[0,0,1] neg_hi:[0,0,1]
	v_pk_fma_f32 v[68:69], v[90:91], v[70:71], v[88:89] op_sel_hi:[1,0,1]
	v_pk_add_f32 v[2:3], v[2:3], v[14:15]
	v_mov_b32_e32 v19, v69
	v_pk_add_f32 v[2:3], v[2:3], v[84:85]
	s_nop 0
	v_pk_add_f32 v[2:3], v[2:3], v[18:19]
	s_waitcnt vmcnt(0)
	v_pk_add_f32 v[2:3], v[92:93], v[2:3] neg_lo:[0,1] neg_hi:[0,1]
	scratch_store_dwordx2 off, v[2:3], off offset:104
	s_and_saveexec_b64 s[0:1], vcc
	s_cbranch_execz .LBB87_133
; %bb.132:
	scratch_load_dwordx2 v[2:3], off, off offset:96
	v_mov_b32_e32 v4, 0
	v_mov_b32_e32 v5, v4
	scratch_store_dwordx2 off, v[4:5], off offset:96
	s_waitcnt vmcnt(1)
	ds_write_b64 v1, v[2:3]
.LBB87_133:
	s_or_b64 exec, exec, s[0:1]
	s_waitcnt lgkmcnt(0)
	; wave barrier
	scratch_load_dwordx4 v[4:7], off, off offset:104
	scratch_load_dwordx4 v[8:11], off, off offset:120
	;; [unrolled: 1-line block ×5, first 2 shown]
	scratch_load_dwordx2 v[92:93], off, off offset:184
	scratch_load_dwordx2 v[94:95], off, off offset:96
	v_mov_b32_e32 v2, 0
	ds_read2_b64 v[72:75], v2 offset0:37 offset1:38
	ds_read2_b64 v[76:79], v2 offset0:39 offset1:40
	;; [unrolled: 1-line block ×5, first 2 shown]
	ds_read_b64 v[96:97], v2 offset:376
	v_cmp_lt_u32_e32 vcc, 11, v0
	s_waitcnt vmcnt(6) lgkmcnt(5)
	v_mul_f32_e32 v3, v72, v5
	v_mul_f32_e32 v5, v73, v5
	;; [unrolled: 1-line block ×3, first 2 shown]
	s_waitcnt vmcnt(5) lgkmcnt(4)
	v_mul_f32_e32 v101, v76, v9
	v_mul_f32_e32 v7, v75, v7
	;; [unrolled: 1-line block ×3, first 2 shown]
	v_mov_b32_e32 v102, v11
	s_waitcnt vmcnt(3) lgkmcnt(2)
	v_pk_mul_f32 v[108:109], v[84:85], v[16:17] op_sel:[1,1] op_sel_hi:[0,1]
	s_waitcnt vmcnt(2) lgkmcnt(1)
	v_pk_mul_f32 v[112:113], v[88:89], v[68:69] op_sel:[1,1] op_sel_hi:[0,1]
	;; [unrolled: 2-line block ×3, first 2 shown]
	v_fmac_f32_e32 v3, v73, v4
	v_fma_f32 v103, v72, v4, -v5
	v_fmac_f32_e32 v99, v75, v6
	v_fmac_f32_e32 v101, v77, v8
	v_fma_f32 v98, v74, v6, -v7
	v_fma_f32 v100, v76, v8, -v9
	v_pk_mul_f32 v[4:5], v[78:79], v[102:103] op_sel:[1,0] op_sel_hi:[0,0]
	v_pk_fma_f32 v[72:73], v[84:85], v[16:17], v[108:109] neg_lo:[0,0,1] neg_hi:[0,0,1]
	v_pk_fma_f32 v[16:17], v[84:85], v[16:17], v[108:109] op_sel_hi:[1,0,1]
	v_pk_fma_f32 v[76:77], v[88:89], v[68:69], v[112:113] neg_lo:[0,0,1] neg_hi:[0,0,1]
	v_pk_fma_f32 v[68:69], v[88:89], v[68:69], v[112:113] op_sel_hi:[1,0,1]
	;; [unrolled: 2-line block ×3, first 2 shown]
	v_add_f32_e32 v93, 0, v3
	v_add_f32_e32 v92, 0, v103
	v_pk_mul_f32 v[104:105], v[80:81], v[12:13] op_sel:[1,1] op_sel_hi:[0,1]
	v_mov_b32_e32 v106, v15
	v_pk_fma_f32 v[96:97], v[78:79], v[10:11], v[4:5] neg_lo:[0,0,1] neg_hi:[0,0,1]
	v_pk_fma_f32 v[4:5], v[78:79], v[10:11], v[4:5] op_sel_hi:[1,0,1]
	v_mov_b32_e32 v77, v69
	v_pk_add_f32 v[68:69], v[92:93], v[98:99]
	v_pk_fma_f32 v[6:7], v[80:81], v[12:13], v[104:105] neg_lo:[0,0,1] neg_hi:[0,0,1]
	v_pk_fma_f32 v[8:9], v[80:81], v[12:13], v[104:105] op_sel_hi:[1,0,1]
	v_pk_mul_f32 v[12:13], v[82:83], v[106:107] op_sel:[1,0] op_sel_hi:[0,0]
	v_mov_b32_e32 v97, v5
	v_pk_add_f32 v[4:5], v[68:69], v[100:101]
	v_mov_b32_e32 v110, v19
	v_mov_b32_e32 v7, v9
	v_pk_fma_f32 v[8:9], v[82:83], v[14:15], v[12:13] neg_lo:[0,0,1] neg_hi:[0,0,1]
	v_pk_fma_f32 v[10:11], v[82:83], v[14:15], v[12:13] op_sel_hi:[1,0,1]
	v_pk_add_f32 v[4:5], v[4:5], v[96:97]
	v_pk_mul_f32 v[74:75], v[86:87], v[110:111] op_sel:[1,0] op_sel_hi:[0,0]
	v_mov_b32_e32 v9, v11
	v_pk_add_f32 v[4:5], v[4:5], v[6:7]
	v_mov_b32_e32 v114, v71
	v_mov_b32_e32 v73, v17
	v_pk_fma_f32 v[12:13], v[86:87], v[18:19], v[74:75] neg_lo:[0,0,1] neg_hi:[0,0,1]
	v_pk_fma_f32 v[14:15], v[86:87], v[18:19], v[74:75] op_sel_hi:[1,0,1]
	v_pk_add_f32 v[4:5], v[4:5], v[8:9]
	v_pk_mul_f32 v[80:81], v[90:91], v[114:115] op_sel:[1,0] op_sel_hi:[0,0]
	v_mov_b32_e32 v13, v15
	v_pk_add_f32 v[4:5], v[4:5], v[72:73]
	v_pk_fma_f32 v[16:17], v[90:91], v[70:71], v[80:81] neg_lo:[0,0,1] neg_hi:[0,0,1]
	v_pk_fma_f32 v[18:19], v[90:91], v[70:71], v[80:81] op_sel_hi:[1,0,1]
	v_pk_add_f32 v[4:5], v[4:5], v[12:13]
	v_mov_b32_e32 v17, v19
	v_pk_add_f32 v[4:5], v[4:5], v[76:77]
	v_mov_b32_e32 v85, v89
	v_pk_add_f32 v[4:5], v[4:5], v[16:17]
	s_nop 0
	v_pk_add_f32 v[4:5], v[4:5], v[84:85]
	s_waitcnt vmcnt(0)
	v_pk_add_f32 v[4:5], v[94:95], v[4:5] neg_lo:[0,1] neg_hi:[0,1]
	scratch_store_dwordx2 off, v[4:5], off offset:96
	s_and_saveexec_b64 s[0:1], vcc
	s_cbranch_execz .LBB87_135
; %bb.134:
	scratch_load_dwordx2 v[4:5], off, off offset:88
	v_mov_b32_e32 v3, v2
	scratch_store_dwordx2 off, v[2:3], off offset:88
	s_waitcnt vmcnt(1)
	ds_write_b64 v1, v[4:5]
.LBB87_135:
	s_or_b64 exec, exec, s[0:1]
	s_waitcnt lgkmcnt(0)
	; wave barrier
	scratch_load_dwordx4 v[4:7], off, off offset:96
	scratch_load_dwordx4 v[8:11], off, off offset:112
	;; [unrolled: 1-line block ×6, first 2 shown]
	scratch_load_dwordx2 v[100:101], off, off offset:88
	ds_read_b128 v[76:79], v2 offset:288
	ds_read_b128 v[80:83], v2 offset:304
	;; [unrolled: 1-line block ×6, first 2 shown]
	v_cmp_lt_u32_e32 vcc, 10, v0
	s_waitcnt vmcnt(6) lgkmcnt(5)
	v_mul_f32_e32 v107, v76, v5
	v_mul_f32_e32 v111, v78, v7
	s_waitcnt vmcnt(5) lgkmcnt(4)
	v_mul_f32_e32 v3, v80, v9
	v_mul_f32_e32 v2, v77, v5
	;; [unrolled: 1-line block ×4, first 2 shown]
	s_waitcnt vmcnt(1) lgkmcnt(0)
	v_pk_mul_f32 v[116:117], v[96:97], v[72:73] op_sel:[1,1] op_sel_hi:[0,1]
	v_pk_mul_f32 v[104:105], v[84:85], v[12:13] op_sel:[1,1] op_sel_hi:[0,1]
	v_fmac_f32_e32 v107, v77, v4
	v_fmac_f32_e32 v3, v81, v8
	v_fma_f32 v115, v76, v4, -v2
	v_fma_f32 v2, v80, v8, -v7
	v_pk_fma_f32 v[80:81], v[96:97], v[72:73], v[116:117] neg_lo:[0,0,1] neg_hi:[0,0,1]
	v_pk_fma_f32 v[72:73], v[96:97], v[72:73], v[116:117] op_sel_hi:[1,0,1]
	v_fmac_f32_e32 v111, v79, v6
	v_fma_f32 v119, v78, v6, -v5
	v_pk_fma_f32 v[4:5], v[84:85], v[12:13], v[104:105] neg_lo:[0,0,1] neg_hi:[0,0,1]
	v_pk_fma_f32 v[6:7], v[84:85], v[12:13], v[104:105] op_sel_hi:[1,0,1]
	v_add_f32_e32 v72, 0, v107
	v_add_f32_e32 v84, 0, v115
	v_mul_f32_e32 v103, v82, v11
	v_mul_f32_e32 v9, v83, v11
	v_mov_b32_e32 v106, v15
	v_mov_b32_e32 v81, v73
	v_add_f32_e32 v73, v72, v111
	v_add_f32_e32 v72, v84, v119
	v_fmac_f32_e32 v103, v83, v10
	v_fma_f32 v102, v82, v10, -v9
	v_pk_mul_f32 v[8:9], v[86:87], v[106:107] op_sel:[1,0] op_sel_hi:[0,0]
	v_pk_add_f32 v[2:3], v[72:73], v[2:3]
	v_pk_mul_f32 v[108:109], v[88:89], v[16:17] op_sel:[1,1] op_sel_hi:[0,1]
	v_mov_b32_e32 v110, v19
	v_mov_b32_e32 v5, v7
	v_pk_fma_f32 v[6:7], v[86:87], v[14:15], v[8:9] neg_lo:[0,0,1] neg_hi:[0,0,1]
	v_pk_fma_f32 v[8:9], v[86:87], v[14:15], v[8:9] op_sel_hi:[1,0,1]
	v_pk_add_f32 v[2:3], v[2:3], v[102:103]
	v_pk_fma_f32 v[10:11], v[88:89], v[16:17], v[108:109] neg_lo:[0,0,1] neg_hi:[0,0,1]
	v_pk_fma_f32 v[12:13], v[88:89], v[16:17], v[108:109] op_sel_hi:[1,0,1]
	v_pk_mul_f32 v[16:17], v[90:91], v[110:111] op_sel:[1,0] op_sel_hi:[0,0]
	v_mov_b32_e32 v7, v9
	v_pk_add_f32 v[2:3], v[2:3], v[4:5]
	v_pk_mul_f32 v[112:113], v[92:93], v[68:69] op_sel:[1,1] op_sel_hi:[0,1]
	v_mov_b32_e32 v114, v71
	v_mov_b32_e32 v11, v13
	v_pk_fma_f32 v[12:13], v[90:91], v[18:19], v[16:17] neg_lo:[0,0,1] neg_hi:[0,0,1]
	v_pk_fma_f32 v[14:15], v[90:91], v[18:19], v[16:17] op_sel_hi:[1,0,1]
	v_pk_add_f32 v[2:3], v[2:3], v[6:7]
	v_pk_fma_f32 v[76:77], v[92:93], v[68:69], v[112:113] neg_lo:[0,0,1] neg_hi:[0,0,1]
	v_pk_fma_f32 v[68:69], v[92:93], v[68:69], v[112:113] op_sel_hi:[1,0,1]
	v_pk_mul_f32 v[78:79], v[94:95], v[114:115] op_sel:[1,0] op_sel_hi:[0,0]
	v_mov_b32_e32 v13, v15
	v_pk_add_f32 v[2:3], v[2:3], v[10:11]
	v_mov_b32_e32 v118, v75
	v_mov_b32_e32 v77, v69
	v_pk_fma_f32 v[16:17], v[94:95], v[70:71], v[78:79] neg_lo:[0,0,1] neg_hi:[0,0,1]
	v_pk_fma_f32 v[18:19], v[94:95], v[70:71], v[78:79] op_sel_hi:[1,0,1]
	v_pk_add_f32 v[2:3], v[2:3], v[12:13]
	v_pk_mul_f32 v[82:83], v[98:99], v[118:119] op_sel:[1,0] op_sel_hi:[0,0]
	v_mov_b32_e32 v17, v19
	v_pk_add_f32 v[2:3], v[2:3], v[76:77]
	v_pk_fma_f32 v[68:69], v[98:99], v[74:75], v[82:83] neg_lo:[0,0,1] neg_hi:[0,0,1]
	v_pk_fma_f32 v[70:71], v[98:99], v[74:75], v[82:83] op_sel_hi:[1,0,1]
	v_pk_add_f32 v[2:3], v[2:3], v[16:17]
	v_mov_b32_e32 v69, v71
	v_pk_add_f32 v[2:3], v[2:3], v[80:81]
	s_nop 0
	v_pk_add_f32 v[2:3], v[2:3], v[68:69]
	s_waitcnt vmcnt(0)
	v_pk_add_f32 v[2:3], v[100:101], v[2:3] neg_lo:[0,1] neg_hi:[0,1]
	scratch_store_dwordx2 off, v[2:3], off offset:88
	s_and_saveexec_b64 s[0:1], vcc
	s_cbranch_execz .LBB87_137
; %bb.136:
	scratch_load_dwordx2 v[2:3], off, off offset:80
	v_mov_b32_e32 v4, 0
	v_mov_b32_e32 v5, v4
	scratch_store_dwordx2 off, v[4:5], off offset:80
	s_waitcnt vmcnt(1)
	ds_write_b64 v1, v[2:3]
.LBB87_137:
	s_or_b64 exec, exec, s[0:1]
	s_waitcnt lgkmcnt(0)
	; wave barrier
	scratch_load_dwordx4 v[4:7], off, off offset:88
	scratch_load_dwordx4 v[8:11], off, off offset:104
	scratch_load_dwordx4 v[12:15], off, off offset:120
	scratch_load_dwordx4 v[16:19], off, off offset:136
	scratch_load_dwordx4 v[68:71], off, off offset:152
	scratch_load_dwordx4 v[72:75], off, off offset:168
	scratch_load_dwordx2 v[100:101], off, off offset:184
	scratch_load_dwordx2 v[102:103], off, off offset:80
	v_mov_b32_e32 v2, 0
	ds_read2_b64 v[76:79], v2 offset0:35 offset1:36
	ds_read2_b64 v[80:83], v2 offset0:37 offset1:38
	;; [unrolled: 1-line block ×6, first 2 shown]
	ds_read_b64 v[104:105], v2 offset:376
	v_cmp_lt_u32_e32 vcc, 9, v0
	s_waitcnt vmcnt(7) lgkmcnt(6)
	v_mul_f32_e32 v111, v78, v7
	v_mul_f32_e32 v3, v76, v5
	s_waitcnt vmcnt(5) lgkmcnt(4)
	v_mul_f32_e32 v109, v84, v13
	v_mul_f32_e32 v5, v77, v5
	v_mov_b32_e32 v110, v15
	s_waitcnt vmcnt(2) lgkmcnt(1)
	v_pk_mul_f32 v[120:121], v[96:97], v[72:73] op_sel:[1,1] op_sel_hi:[0,1]
	v_fmac_f32_e32 v111, v79, v6
	v_mul_f32_e32 v7, v79, v7
	v_mul_f32_e32 v13, v85, v13
	v_fmac_f32_e32 v3, v77, v4
	v_fmac_f32_e32 v109, v85, v12
	v_fma_f32 v85, v76, v4, -v5
	v_pk_mul_f32 v[4:5], v[86:87], v[110:111] op_sel:[1,0] op_sel_hi:[0,0]
	v_pk_fma_f32 v[76:77], v[96:97], v[72:73], v[120:121] neg_lo:[0,0,1] neg_hi:[0,0,1]
	v_pk_fma_f32 v[72:73], v[96:97], v[72:73], v[120:121] op_sel_hi:[1,0,1]
	v_mul_f32_e32 v115, v80, v9
	v_mul_f32_e32 v9, v81, v9
	v_fma_f32 v119, v78, v6, -v7
	v_fma_f32 v108, v84, v12, -v13
	v_add_f32_e32 v3, 0, v3
	v_add_f32_e32 v72, 0, v85
	v_pk_fma_f32 v[84:85], v[86:87], v[14:15], v[4:5] neg_lo:[0,0,1] neg_hi:[0,0,1]
	v_pk_fma_f32 v[4:5], v[86:87], v[14:15], v[4:5] op_sel_hi:[1,0,1]
	v_mul_f32_e32 v107, v82, v11
	v_mul_f32_e32 v11, v83, v11
	v_fmac_f32_e32 v115, v81, v8
	v_fma_f32 v123, v80, v8, -v9
	v_add_f32_e32 v3, v3, v111
	v_add_f32_e32 v4, v72, v119
	v_fmac_f32_e32 v107, v83, v10
	v_fma_f32 v106, v82, v10, -v11
	v_mov_b32_e32 v85, v5
	v_add_f32_e32 v5, v3, v115
	v_add_f32_e32 v4, v4, v123
	v_pk_mul_f32 v[112:113], v[88:89], v[16:17] op_sel:[1,1] op_sel_hi:[0,1]
	v_mov_b32_e32 v114, v19
	v_pk_add_f32 v[4:5], v[4:5], v[106:107]
	v_pk_fma_f32 v[6:7], v[88:89], v[16:17], v[112:113] neg_lo:[0,0,1] neg_hi:[0,0,1]
	v_pk_fma_f32 v[8:9], v[88:89], v[16:17], v[112:113] op_sel_hi:[1,0,1]
	v_pk_mul_f32 v[10:11], v[90:91], v[114:115] op_sel:[1,0] op_sel_hi:[0,0]
	v_pk_add_f32 v[4:5], v[4:5], v[108:109]
	v_pk_mul_f32 v[116:117], v[92:93], v[68:69] op_sel:[1,1] op_sel_hi:[0,1]
	v_mov_b32_e32 v118, v71
	v_mov_b32_e32 v7, v9
	v_pk_fma_f32 v[8:9], v[90:91], v[18:19], v[10:11] neg_lo:[0,0,1] neg_hi:[0,0,1]
	v_pk_fma_f32 v[10:11], v[90:91], v[18:19], v[10:11] op_sel_hi:[1,0,1]
	v_pk_add_f32 v[4:5], v[4:5], v[84:85]
	v_pk_fma_f32 v[12:13], v[92:93], v[68:69], v[116:117] neg_lo:[0,0,1] neg_hi:[0,0,1]
	v_pk_fma_f32 v[16:17], v[92:93], v[68:69], v[116:117] op_sel_hi:[1,0,1]
	v_pk_mul_f32 v[68:69], v[94:95], v[118:119] op_sel:[1,0] op_sel_hi:[0,0]
	v_mov_b32_e32 v9, v11
	v_pk_add_f32 v[4:5], v[4:5], v[6:7]
	v_mov_b32_e32 v122, v75
	v_mov_b32_e32 v13, v17
	v_pk_fma_f32 v[14:15], v[94:95], v[70:71], v[68:69] neg_lo:[0,0,1] neg_hi:[0,0,1]
	v_pk_fma_f32 v[16:17], v[94:95], v[70:71], v[68:69] op_sel_hi:[1,0,1]
	v_pk_add_f32 v[4:5], v[4:5], v[8:9]
	v_pk_mul_f32 v[78:79], v[98:99], v[122:123] op_sel:[1,0] op_sel_hi:[0,0]
	v_mov_b32_e32 v15, v17
	v_pk_add_f32 v[4:5], v[4:5], v[12:13]
	s_waitcnt vmcnt(1) lgkmcnt(0)
	v_pk_mul_f32 v[124:125], v[104:105], v[100:101] op_sel:[1,1] op_sel_hi:[0,1]
	v_mov_b32_e32 v77, v73
	v_pk_fma_f32 v[18:19], v[98:99], v[74:75], v[78:79] neg_lo:[0,0,1] neg_hi:[0,0,1]
	v_pk_fma_f32 v[68:69], v[98:99], v[74:75], v[78:79] op_sel_hi:[1,0,1]
	v_pk_add_f32 v[4:5], v[4:5], v[14:15]
	v_pk_fma_f32 v[80:81], v[104:105], v[100:101], v[124:125] neg_lo:[0,0,1] neg_hi:[0,0,1]
	v_pk_fma_f32 v[82:83], v[104:105], v[100:101], v[124:125] op_sel_hi:[1,0,1]
	v_mov_b32_e32 v19, v69
	v_pk_add_f32 v[4:5], v[4:5], v[76:77]
	v_mov_b32_e32 v81, v83
	v_pk_add_f32 v[4:5], v[4:5], v[18:19]
	s_nop 0
	v_pk_add_f32 v[4:5], v[4:5], v[80:81]
	s_waitcnt vmcnt(0)
	v_pk_add_f32 v[4:5], v[102:103], v[4:5] neg_lo:[0,1] neg_hi:[0,1]
	scratch_store_dwordx2 off, v[4:5], off offset:80
	s_and_saveexec_b64 s[0:1], vcc
	s_cbranch_execz .LBB87_139
; %bb.138:
	scratch_load_dwordx2 v[4:5], off, off offset:72
	v_mov_b32_e32 v3, v2
	scratch_store_dwordx2 off, v[2:3], off offset:72
	s_waitcnt vmcnt(1)
	ds_write_b64 v1, v[4:5]
.LBB87_139:
	s_or_b64 exec, exec, s[0:1]
	s_waitcnt lgkmcnt(0)
	; wave barrier
	scratch_load_dwordx4 v[4:7], off, off offset:80
	scratch_load_dwordx4 v[8:11], off, off offset:96
	;; [unrolled: 1-line block ×7, first 2 shown]
	ds_read_b128 v[80:83], v2 offset:272
	ds_read_b128 v[84:87], v2 offset:288
	;; [unrolled: 1-line block ×6, first 2 shown]
	scratch_load_dwordx2 v[108:109], off, off offset:72
	ds_read_b128 v[104:107], v2 offset:368
	v_cmp_lt_u32_e32 vcc, 8, v0
	s_waitcnt vmcnt(7) lgkmcnt(6)
	v_mul_f32_e32 v115, v80, v5
	v_mul_f32_e32 v119, v82, v7
	s_waitcnt vmcnt(6) lgkmcnt(5)
	v_mul_f32_e32 v123, v84, v9
	v_mul_f32_e32 v127, v86, v11
	;; [unrolled: 3-line block ×3, first 2 shown]
	v_mul_f32_e32 v2, v81, v5
	v_mul_f32_e32 v5, v83, v7
	;; [unrolled: 1-line block ×6, first 2 shown]
	s_waitcnt vmcnt(4) lgkmcnt(3)
	v_pk_mul_f32 v[112:113], v[92:93], v[16:17] op_sel:[1,1] op_sel_hi:[0,1]
	v_mov_b32_e32 v114, v19
	s_waitcnt vmcnt(3) lgkmcnt(2)
	v_pk_mul_f32 v[116:117], v[96:97], v[68:69] op_sel:[1,1] op_sel_hi:[0,1]
	v_mov_b32_e32 v118, v71
	s_waitcnt vmcnt(1) lgkmcnt(0)
	v_pk_mul_f32 v[124:125], v[104:105], v[76:77] op_sel:[1,1] op_sel_hi:[0,1]
	v_fmac_f32_e32 v115, v81, v4
	v_fmac_f32_e32 v119, v83, v6
	;; [unrolled: 1-line block ×6, first 2 shown]
	v_fma_f32 v85, v80, v4, -v2
	v_fma_f32 v87, v82, v6, -v5
	;; [unrolled: 1-line block ×6, first 2 shown]
	v_pk_fma_f32 v[4:5], v[92:93], v[16:17], v[112:113] neg_lo:[0,0,1] neg_hi:[0,0,1]
	v_pk_fma_f32 v[6:7], v[92:93], v[16:17], v[112:113] op_sel_hi:[1,0,1]
	v_pk_mul_f32 v[8:9], v[94:95], v[114:115] op_sel:[1,0] op_sel_hi:[0,0]
	v_pk_fma_f32 v[10:11], v[96:97], v[68:69], v[116:117] neg_lo:[0,0,1] neg_hi:[0,0,1]
	v_pk_fma_f32 v[12:13], v[96:97], v[68:69], v[116:117] op_sel_hi:[1,0,1]
	v_pk_mul_f32 v[14:15], v[98:99], v[118:119] op_sel:[1,0] op_sel_hi:[0,0]
	v_pk_fma_f32 v[80:81], v[104:105], v[76:77], v[124:125] neg_lo:[0,0,1] neg_hi:[0,0,1]
	v_pk_fma_f32 v[76:77], v[104:105], v[76:77], v[124:125] op_sel_hi:[1,0,1]
	v_add_f32_e32 v85, 0, v85
	v_add_f32_e32 v76, 0, v115
	v_mov_b32_e32 v5, v7
	v_pk_fma_f32 v[6:7], v[94:95], v[18:19], v[8:9] neg_lo:[0,0,1] neg_hi:[0,0,1]
	v_pk_fma_f32 v[8:9], v[94:95], v[18:19], v[8:9] op_sel_hi:[1,0,1]
	v_mov_b32_e32 v11, v13
	v_pk_fma_f32 v[12:13], v[98:99], v[70:71], v[14:15] neg_lo:[0,0,1] neg_hi:[0,0,1]
	v_pk_fma_f32 v[14:15], v[98:99], v[70:71], v[14:15] op_sel_hi:[1,0,1]
	v_add_f32_e32 v8, v76, v119
	v_add_f32_e32 v14, v85, v87
	;; [unrolled: 1-line block ×4, first 2 shown]
	v_mov_b32_e32 v7, v9
	v_add_f32_e32 v9, v8, v127
	v_add_f32_e32 v8, v14, v86
	v_pk_add_f32 v[2:3], v[8:9], v[2:3]
	v_pk_mul_f32 v[120:121], v[100:101], v[72:73] op_sel:[1,1] op_sel_hi:[0,1]
	v_pk_add_f32 v[2:3], v[2:3], v[110:111]
	v_mov_b32_e32 v122, v75
	v_pk_add_f32 v[2:3], v[2:3], v[4:5]
	v_pk_fma_f32 v[16:17], v[100:101], v[72:73], v[120:121] neg_lo:[0,0,1] neg_hi:[0,0,1]
	v_pk_add_f32 v[2:3], v[2:3], v[6:7]
	v_pk_fma_f32 v[68:69], v[100:101], v[72:73], v[120:121] op_sel_hi:[1,0,1]
	v_pk_mul_f32 v[72:73], v[102:103], v[122:123] op_sel:[1,0] op_sel_hi:[0,0]
	v_mov_b32_e32 v13, v15
	v_pk_add_f32 v[2:3], v[2:3], v[10:11]
	v_mov_b32_e32 v126, v79
	v_mov_b32_e32 v17, v69
	v_pk_fma_f32 v[18:19], v[102:103], v[74:75], v[72:73] neg_lo:[0,0,1] neg_hi:[0,0,1]
	v_pk_fma_f32 v[68:69], v[102:103], v[74:75], v[72:73] op_sel_hi:[1,0,1]
	v_pk_add_f32 v[2:3], v[2:3], v[12:13]
	v_pk_mul_f32 v[82:83], v[106:107], v[126:127] op_sel:[1,0] op_sel_hi:[0,0]
	v_mov_b32_e32 v19, v69
	v_pk_add_f32 v[2:3], v[2:3], v[16:17]
	v_mov_b32_e32 v81, v77
	v_pk_fma_f32 v[70:71], v[106:107], v[78:79], v[82:83] neg_lo:[0,0,1] neg_hi:[0,0,1]
	v_pk_fma_f32 v[72:73], v[106:107], v[78:79], v[82:83] op_sel_hi:[1,0,1]
	v_pk_add_f32 v[2:3], v[2:3], v[18:19]
	v_mov_b32_e32 v71, v73
	v_pk_add_f32 v[2:3], v[2:3], v[80:81]
	s_nop 0
	v_pk_add_f32 v[2:3], v[2:3], v[70:71]
	s_waitcnt vmcnt(0)
	v_pk_add_f32 v[2:3], v[108:109], v[2:3] neg_lo:[0,1] neg_hi:[0,1]
	scratch_store_dwordx2 off, v[2:3], off offset:72
	s_and_saveexec_b64 s[0:1], vcc
	s_cbranch_execz .LBB87_141
; %bb.140:
	scratch_load_dwordx2 v[2:3], off, off offset:64
	v_mov_b32_e32 v4, 0
	v_mov_b32_e32 v5, v4
	scratch_store_dwordx2 off, v[4:5], off offset:64
	s_waitcnt vmcnt(1)
	ds_write_b64 v1, v[2:3]
.LBB87_141:
	s_or_b64 exec, exec, s[0:1]
	s_waitcnt lgkmcnt(0)
	; wave barrier
	scratch_load_dwordx4 v[8:11], off, off offset:72
	scratch_load_dwordx4 v[16:19], off, off offset:88
	;; [unrolled: 1-line block ×4, first 2 shown]
	v_mov_b32_e32 v2, 0
	ds_read2_b64 v[4:7], v2 offset0:33 offset1:34
	v_cmp_lt_u32_e32 vcc, 7, v0
	s_waitcnt vmcnt(3) lgkmcnt(0)
	v_mul_f32_e32 v3, v4, v9
	v_fmac_f32_e32 v3, v5, v8
	v_mul_f32_e32 v12, v6, v11
	v_add_f32_e32 v3, 0, v3
	v_fmac_f32_e32 v12, v7, v10
	v_add_f32_e32 v3, v3, v12
	ds_read2_b64 v[12:15], v2 offset0:35 offset1:36
	s_waitcnt vmcnt(2) lgkmcnt(0)
	v_mul_f32_e32 v68, v12, v17
	v_fmac_f32_e32 v68, v13, v16
	v_add_f32_e32 v3, v3, v68
	v_mul_f32_e32 v68, v14, v19
	v_fmac_f32_e32 v68, v15, v18
	v_add_f32_e32 v3, v3, v68
	ds_read2_b64 v[68:71], v2 offset0:37 offset1:38
	s_waitcnt vmcnt(1) lgkmcnt(0)
	v_mul_f32_e32 v76, v68, v73
	v_fmac_f32_e32 v76, v69, v72
	v_add_f32_e32 v97, v3, v76
	ds_read2_b64 v[76:79], v2 offset0:39 offset1:40
	scratch_load_dwordx4 v[84:87], off, off offset:136
	scratch_load_dwordx4 v[88:91], off, off offset:152
	;; [unrolled: 1-line block ×3, first 2 shown]
	scratch_load_dwordx2 v[102:103], off, off offset:184
	v_mul_f32_e32 v3, v5, v9
	v_fma_f32 v3, v4, v8, -v3
	v_mul_f32_e32 v4, v7, v11
	v_add_f32_e32 v3, 0, v3
	v_fma_f32 v4, v6, v10, -v4
	v_add_f32_e32 v3, v3, v4
	v_mul_f32_e32 v4, v13, v17
	v_fma_f32 v4, v12, v16, -v4
	v_add_f32_e32 v3, v3, v4
	v_mul_f32_e32 v4, v15, v19
	;; [unrolled: 3-line block ×3, first 2 shown]
	v_fma_f32 v4, v68, v72, -v4
	v_mul_f32_e32 v99, v70, v75
	v_add_f32_e32 v96, v3, v4
	v_mul_f32_e32 v3, v71, v75
	s_waitcnt vmcnt(4)
	v_mov_b32_e32 v68, v83
	v_fmac_f32_e32 v99, v71, v74
	s_waitcnt lgkmcnt(0)
	v_mul_f32_e32 v101, v76, v81
	v_fma_f32 v98, v70, v74, -v3
	v_mul_f32_e32 v3, v77, v81
	ds_read2_b64 v[4:7], v2 offset0:41 offset1:42
	ds_read2_b64 v[8:11], v2 offset0:43 offset1:44
	;; [unrolled: 1-line block ×3, first 2 shown]
	ds_read_b64 v[16:17], v2 offset:376
	v_pk_mul_f32 v[68:69], v[78:79], v[68:69] op_sel:[1,0] op_sel_hi:[0,0]
	v_fmac_f32_e32 v101, v77, v80
	v_fma_f32 v100, v76, v80, -v3
	v_pk_add_f32 v[18:19], v[96:97], v[98:99]
	v_pk_fma_f32 v[70:71], v[78:79], v[82:83], v[68:69] neg_lo:[0,0,1] neg_hi:[0,0,1]
	v_pk_fma_f32 v[68:69], v[78:79], v[82:83], v[68:69] op_sel_hi:[1,0,1]
	v_pk_add_f32 v[18:19], v[18:19], v[100:101]
	v_mov_b32_e32 v71, v69
	v_pk_add_f32 v[18:19], v[18:19], v[70:71]
	s_waitcnt vmcnt(3) lgkmcnt(3)
	v_pk_mul_f32 v[68:69], v[4:5], v[84:85] op_sel:[1,1] op_sel_hi:[0,1]
	v_pk_fma_f32 v[70:71], v[4:5], v[84:85], v[68:69] neg_lo:[0,0,1] neg_hi:[0,0,1]
	v_pk_fma_f32 v[4:5], v[4:5], v[84:85], v[68:69] op_sel_hi:[1,0,1]
	s_nop 0
	v_mov_b32_e32 v71, v5
	v_pk_add_f32 v[4:5], v[18:19], v[70:71]
	v_mov_b32_e32 v18, v87
	v_pk_mul_f32 v[18:19], v[6:7], v[18:19] op_sel:[1,0] op_sel_hi:[0,0]
	v_pk_fma_f32 v[68:69], v[6:7], v[86:87], v[18:19] neg_lo:[0,0,1] neg_hi:[0,0,1]
	v_pk_fma_f32 v[6:7], v[6:7], v[86:87], v[18:19] op_sel_hi:[1,0,1]
	s_nop 0
	v_mov_b32_e32 v69, v7
	s_waitcnt vmcnt(2) lgkmcnt(2)
	v_pk_mul_f32 v[6:7], v[8:9], v[88:89] op_sel:[1,1] op_sel_hi:[0,1]
	v_pk_fma_f32 v[18:19], v[8:9], v[88:89], v[6:7] neg_lo:[0,0,1] neg_hi:[0,0,1]
	v_pk_fma_f32 v[6:7], v[8:9], v[88:89], v[6:7] op_sel_hi:[1,0,1]
	v_pk_add_f32 v[4:5], v[4:5], v[68:69]
	v_mov_b32_e32 v6, v91
	v_mov_b32_e32 v19, v7
	v_pk_mul_f32 v[6:7], v[10:11], v[6:7] op_sel:[1,0] op_sel_hi:[0,0]
	v_pk_fma_f32 v[8:9], v[10:11], v[90:91], v[6:7] neg_lo:[0,0,1] neg_hi:[0,0,1]
	v_pk_fma_f32 v[6:7], v[10:11], v[90:91], v[6:7] op_sel_hi:[1,0,1]
	v_pk_add_f32 v[4:5], v[4:5], v[18:19]
	v_mov_b32_e32 v9, v7
	s_waitcnt vmcnt(1) lgkmcnt(1)
	v_pk_mul_f32 v[6:7], v[12:13], v[92:93] op_sel:[1,1] op_sel_hi:[0,1]
	v_pk_add_f32 v[4:5], v[4:5], v[8:9]
	v_pk_fma_f32 v[8:9], v[12:13], v[92:93], v[6:7] neg_lo:[0,0,1] neg_hi:[0,0,1]
	v_pk_fma_f32 v[6:7], v[12:13], v[92:93], v[6:7] op_sel_hi:[1,0,1]
	s_nop 0
	v_mov_b32_e32 v6, v95
	v_mov_b32_e32 v9, v7
	v_pk_mul_f32 v[6:7], v[14:15], v[6:7] op_sel:[1,0] op_sel_hi:[0,0]
	v_pk_add_f32 v[4:5], v[4:5], v[8:9]
	v_pk_fma_f32 v[8:9], v[14:15], v[94:95], v[6:7] neg_lo:[0,0,1] neg_hi:[0,0,1]
	v_pk_fma_f32 v[6:7], v[14:15], v[94:95], v[6:7] op_sel_hi:[1,0,1]
	s_nop 0
	v_mov_b32_e32 v9, v7
	s_waitcnt vmcnt(0) lgkmcnt(0)
	v_pk_mul_f32 v[6:7], v[16:17], v[102:103] op_sel:[1,1] op_sel_hi:[0,1]
	v_pk_add_f32 v[4:5], v[4:5], v[8:9]
	v_pk_fma_f32 v[8:9], v[16:17], v[102:103], v[6:7] neg_lo:[0,0,1] neg_hi:[0,0,1]
	v_pk_fma_f32 v[6:7], v[16:17], v[102:103], v[6:7] op_sel_hi:[1,0,1]
	s_nop 0
	v_mov_b32_e32 v9, v7
	scratch_load_dwordx2 v[6:7], off, off offset:64
	v_pk_add_f32 v[4:5], v[4:5], v[8:9]
	s_waitcnt vmcnt(0)
	v_pk_add_f32 v[4:5], v[6:7], v[4:5] neg_lo:[0,1] neg_hi:[0,1]
	scratch_store_dwordx2 off, v[4:5], off offset:64
	s_and_saveexec_b64 s[0:1], vcc
	s_cbranch_execz .LBB87_143
; %bb.142:
	scratch_load_dwordx2 v[4:5], off, off offset:56
	v_mov_b32_e32 v3, v2
	scratch_store_dwordx2 off, v[2:3], off offset:56
	s_waitcnt vmcnt(1)
	ds_write_b64 v1, v[4:5]
.LBB87_143:
	s_or_b64 exec, exec, s[0:1]
	s_waitcnt lgkmcnt(0)
	; wave barrier
	ds_read_b128 v[4:7], v2 offset:256
	ds_read_b128 v[8:11], v2 offset:272
	ds_read_b128 v[12:15], v2 offset:288
	ds_read_b128 v[16:19], v2 offset:304
	scratch_load_dwordx4 v[68:71], off, off offset:64
	v_cmp_lt_u32_e32 vcc, 6, v0
	s_waitcnt vmcnt(0) lgkmcnt(3)
	v_mul_f32_e32 v3, v4, v69
	v_fmac_f32_e32 v3, v5, v68
	v_mul_f32_e32 v72, v6, v71
	v_add_f32_e32 v3, 0, v3
	v_fmac_f32_e32 v72, v7, v70
	v_add_f32_e32 v3, v3, v72
	scratch_load_dwordx4 v[72:75], off, off offset:80
	s_waitcnt vmcnt(0) lgkmcnt(2)
	v_mul_f32_e32 v76, v8, v73
	v_fmac_f32_e32 v76, v9, v72
	v_add_f32_e32 v3, v3, v76
	v_mul_f32_e32 v76, v10, v75
	v_fmac_f32_e32 v76, v11, v74
	v_add_f32_e32 v3, v3, v76
	scratch_load_dwordx4 v[76:79], off, off offset:96
	s_waitcnt vmcnt(0) lgkmcnt(1)
	v_mul_f32_e32 v80, v12, v77
	v_fmac_f32_e32 v80, v13, v76
	v_add_f32_e32 v3, v3, v80
	v_mul_f32_e32 v80, v14, v79
	v_fmac_f32_e32 v80, v15, v78
	v_add_f32_e32 v101, v3, v80
	scratch_load_dwordx4 v[80:83], off, off offset:112
	scratch_load_dwordx4 v[84:87], off, off offset:128
	;; [unrolled: 1-line block ×5, first 2 shown]
	v_mul_f32_e32 v3, v5, v69
	v_fma_f32 v3, v4, v68, -v3
	v_mul_f32_e32 v4, v7, v71
	v_add_f32_e32 v3, 0, v3
	v_fma_f32 v4, v6, v70, -v4
	v_add_f32_e32 v3, v3, v4
	v_mul_f32_e32 v4, v9, v73
	v_fma_f32 v4, v8, v72, -v4
	v_add_f32_e32 v3, v3, v4
	v_mul_f32_e32 v4, v11, v75
	;; [unrolled: 3-line block ×4, first 2 shown]
	v_fma_f32 v4, v14, v78, -v4
	v_add_f32_e32 v100, v3, v4
	s_waitcnt vmcnt(4) lgkmcnt(0)
	v_mul_f32_e32 v3, v17, v81
	v_mul_f32_e32 v103, v16, v81
	;; [unrolled: 1-line block ×3, first 2 shown]
	v_fma_f32 v102, v16, v80, -v3
	v_mul_f32_e32 v3, v19, v83
	v_fmac_f32_e32 v103, v17, v80
	v_fmac_f32_e32 v105, v19, v82
	v_fma_f32 v104, v18, v82, -v3
	ds_read_b128 v[4:7], v2 offset:320
	ds_read_b128 v[8:11], v2 offset:336
	;; [unrolled: 1-line block ×4, first 2 shown]
	v_pk_add_f32 v[2:3], v[100:101], v[102:103]
	s_waitcnt vmcnt(3) lgkmcnt(3)
	v_pk_mul_f32 v[68:69], v[4:5], v[84:85] op_sel:[1,1] op_sel_hi:[0,1]
	v_pk_fma_f32 v[70:71], v[4:5], v[84:85], v[68:69] neg_lo:[0,0,1] neg_hi:[0,0,1]
	v_pk_fma_f32 v[4:5], v[4:5], v[84:85], v[68:69] op_sel_hi:[1,0,1]
	v_pk_add_f32 v[2:3], v[2:3], v[104:105]
	v_mov_b32_e32 v4, v87
	v_mov_b32_e32 v71, v5
	v_pk_mul_f32 v[4:5], v[6:7], v[4:5] op_sel:[1,0] op_sel_hi:[0,0]
	v_pk_fma_f32 v[68:69], v[6:7], v[86:87], v[4:5] neg_lo:[0,0,1] neg_hi:[0,0,1]
	v_pk_fma_f32 v[4:5], v[6:7], v[86:87], v[4:5] op_sel_hi:[1,0,1]
	v_pk_add_f32 v[2:3], v[2:3], v[70:71]
	v_mov_b32_e32 v69, v5
	s_waitcnt vmcnt(2) lgkmcnt(2)
	v_pk_mul_f32 v[4:5], v[8:9], v[88:89] op_sel:[1,1] op_sel_hi:[0,1]
	v_pk_fma_f32 v[6:7], v[8:9], v[88:89], v[4:5] neg_lo:[0,0,1] neg_hi:[0,0,1]
	v_pk_fma_f32 v[4:5], v[8:9], v[88:89], v[4:5] op_sel_hi:[1,0,1]
	v_pk_add_f32 v[2:3], v[2:3], v[68:69]
	v_mov_b32_e32 v4, v91
	v_mov_b32_e32 v7, v5
	v_pk_mul_f32 v[4:5], v[10:11], v[4:5] op_sel:[1,0] op_sel_hi:[0,0]
	v_pk_add_f32 v[2:3], v[2:3], v[6:7]
	v_pk_fma_f32 v[6:7], v[10:11], v[90:91], v[4:5] neg_lo:[0,0,1] neg_hi:[0,0,1]
	v_pk_fma_f32 v[4:5], v[10:11], v[90:91], v[4:5] op_sel_hi:[1,0,1]
	s_nop 0
	v_mov_b32_e32 v7, v5
	s_waitcnt vmcnt(1) lgkmcnt(1)
	v_pk_mul_f32 v[4:5], v[12:13], v[92:93] op_sel:[1,1] op_sel_hi:[0,1]
	v_pk_add_f32 v[2:3], v[2:3], v[6:7]
	v_pk_fma_f32 v[6:7], v[12:13], v[92:93], v[4:5] neg_lo:[0,0,1] neg_hi:[0,0,1]
	v_pk_fma_f32 v[4:5], v[12:13], v[92:93], v[4:5] op_sel_hi:[1,0,1]
	s_nop 0
	v_mov_b32_e32 v4, v95
	v_mov_b32_e32 v7, v5
	v_pk_mul_f32 v[4:5], v[14:15], v[4:5] op_sel:[1,0] op_sel_hi:[0,0]
	v_pk_add_f32 v[2:3], v[2:3], v[6:7]
	v_pk_fma_f32 v[6:7], v[14:15], v[94:95], v[4:5] neg_lo:[0,0,1] neg_hi:[0,0,1]
	v_pk_fma_f32 v[4:5], v[14:15], v[94:95], v[4:5] op_sel_hi:[1,0,1]
	s_nop 0
	v_mov_b32_e32 v7, v5
	s_waitcnt vmcnt(0) lgkmcnt(0)
	v_pk_mul_f32 v[4:5], v[16:17], v[96:97] op_sel:[1,1] op_sel_hi:[0,1]
	v_pk_add_f32 v[2:3], v[2:3], v[6:7]
	v_pk_fma_f32 v[6:7], v[16:17], v[96:97], v[4:5] neg_lo:[0,0,1] neg_hi:[0,0,1]
	v_pk_fma_f32 v[4:5], v[16:17], v[96:97], v[4:5] op_sel_hi:[1,0,1]
	s_nop 0
	v_mov_b32_e32 v4, v99
	v_mov_b32_e32 v7, v5
	v_pk_mul_f32 v[4:5], v[18:19], v[4:5] op_sel:[1,0] op_sel_hi:[0,0]
	v_pk_add_f32 v[2:3], v[2:3], v[6:7]
	v_pk_fma_f32 v[6:7], v[18:19], v[98:99], v[4:5] neg_lo:[0,0,1] neg_hi:[0,0,1]
	v_pk_fma_f32 v[4:5], v[18:19], v[98:99], v[4:5] op_sel_hi:[1,0,1]
	s_nop 0
	v_mov_b32_e32 v7, v5
	scratch_load_dwordx2 v[4:5], off, off offset:56
	v_pk_add_f32 v[2:3], v[2:3], v[6:7]
	s_waitcnt vmcnt(0)
	v_pk_add_f32 v[2:3], v[4:5], v[2:3] neg_lo:[0,1] neg_hi:[0,1]
	scratch_store_dwordx2 off, v[2:3], off offset:56
	s_and_saveexec_b64 s[0:1], vcc
	s_cbranch_execz .LBB87_145
; %bb.144:
	scratch_load_dwordx2 v[2:3], off, off offset:48
	v_mov_b32_e32 v4, 0
	v_mov_b32_e32 v5, v4
	scratch_store_dwordx2 off, v[4:5], off offset:48
	s_waitcnt vmcnt(1)
	ds_write_b64 v1, v[2:3]
.LBB87_145:
	s_or_b64 exec, exec, s[0:1]
	s_waitcnt lgkmcnt(0)
	; wave barrier
	scratch_load_dwordx4 v[8:11], off, off offset:56
	scratch_load_dwordx4 v[16:19], off, off offset:72
	scratch_load_dwordx4 v[72:75], off, off offset:88
	scratch_load_dwordx4 v[80:83], off, off offset:104
	v_mov_b32_e32 v2, 0
	ds_read2_b64 v[4:7], v2 offset0:31 offset1:32
	scratch_load_dwordx4 v[88:91], off, off offset:120
	v_cmp_lt_u32_e32 vcc, 5, v0
	s_waitcnt vmcnt(4) lgkmcnt(0)
	v_mul_f32_e32 v3, v4, v9
	v_fmac_f32_e32 v3, v5, v8
	v_mul_f32_e32 v12, v6, v11
	v_add_f32_e32 v3, 0, v3
	v_fmac_f32_e32 v12, v7, v10
	v_add_f32_e32 v3, v3, v12
	ds_read2_b64 v[12:15], v2 offset0:33 offset1:34
	s_waitcnt vmcnt(3) lgkmcnt(0)
	v_mul_f32_e32 v68, v12, v17
	v_fmac_f32_e32 v68, v13, v16
	v_add_f32_e32 v3, v3, v68
	v_mul_f32_e32 v68, v14, v19
	v_fmac_f32_e32 v68, v15, v18
	v_add_f32_e32 v3, v3, v68
	ds_read2_b64 v[68:71], v2 offset0:35 offset1:36
	s_waitcnt vmcnt(2) lgkmcnt(0)
	v_mul_f32_e32 v76, v68, v73
	v_fmac_f32_e32 v76, v69, v72
	v_add_f32_e32 v3, v3, v76
	v_mul_f32_e32 v76, v70, v75
	v_fmac_f32_e32 v76, v71, v74
	v_add_f32_e32 v3, v3, v76
	ds_read2_b64 v[76:79], v2 offset0:37 offset1:38
	s_waitcnt vmcnt(1) lgkmcnt(0)
	v_mul_f32_e32 v84, v76, v81
	v_fmac_f32_e32 v84, v77, v80
	v_add_f32_e32 v105, v3, v84
	ds_read2_b64 v[84:87], v2 offset0:39 offset1:40
	scratch_load_dwordx4 v[92:95], off, off offset:136
	scratch_load_dwordx4 v[96:99], off, off offset:152
	;; [unrolled: 1-line block ×3, first 2 shown]
	scratch_load_dwordx2 v[110:111], off, off offset:184
	v_mul_f32_e32 v3, v5, v9
	v_fma_f32 v3, v4, v8, -v3
	v_mul_f32_e32 v4, v7, v11
	v_add_f32_e32 v3, 0, v3
	v_fma_f32 v4, v6, v10, -v4
	v_add_f32_e32 v3, v3, v4
	v_mul_f32_e32 v4, v13, v17
	v_fma_f32 v4, v12, v16, -v4
	v_add_f32_e32 v3, v3, v4
	v_mul_f32_e32 v4, v15, v19
	v_fma_f32 v4, v14, v18, -v4
	v_add_f32_e32 v3, v3, v4
	v_mul_f32_e32 v4, v69, v73
	v_fma_f32 v4, v68, v72, -v4
	v_add_f32_e32 v3, v3, v4
	v_mul_f32_e32 v4, v71, v75
	v_fma_f32 v4, v70, v74, -v4
	v_add_f32_e32 v3, v3, v4
	v_mul_f32_e32 v4, v77, v81
	v_fma_f32 v4, v76, v80, -v4
	v_mul_f32_e32 v107, v78, v83
	v_add_f32_e32 v104, v3, v4
	v_mul_f32_e32 v3, v79, v83
	s_waitcnt vmcnt(4)
	v_mov_b32_e32 v68, v91
	v_fmac_f32_e32 v107, v79, v82
	s_waitcnt lgkmcnt(0)
	v_mul_f32_e32 v109, v84, v89
	v_fma_f32 v106, v78, v82, -v3
	v_mul_f32_e32 v3, v85, v89
	ds_read2_b64 v[4:7], v2 offset0:41 offset1:42
	ds_read2_b64 v[8:11], v2 offset0:43 offset1:44
	;; [unrolled: 1-line block ×3, first 2 shown]
	ds_read_b64 v[16:17], v2 offset:376
	v_pk_mul_f32 v[68:69], v[86:87], v[68:69] op_sel:[1,0] op_sel_hi:[0,0]
	v_fmac_f32_e32 v109, v85, v88
	v_fma_f32 v108, v84, v88, -v3
	v_pk_add_f32 v[18:19], v[104:105], v[106:107]
	v_pk_fma_f32 v[70:71], v[86:87], v[90:91], v[68:69] neg_lo:[0,0,1] neg_hi:[0,0,1]
	v_pk_fma_f32 v[68:69], v[86:87], v[90:91], v[68:69] op_sel_hi:[1,0,1]
	v_pk_add_f32 v[18:19], v[18:19], v[108:109]
	v_mov_b32_e32 v71, v69
	v_pk_add_f32 v[18:19], v[18:19], v[70:71]
	s_waitcnt vmcnt(3) lgkmcnt(3)
	v_pk_mul_f32 v[68:69], v[4:5], v[92:93] op_sel:[1,1] op_sel_hi:[0,1]
	v_pk_fma_f32 v[70:71], v[4:5], v[92:93], v[68:69] neg_lo:[0,0,1] neg_hi:[0,0,1]
	v_pk_fma_f32 v[4:5], v[4:5], v[92:93], v[68:69] op_sel_hi:[1,0,1]
	s_nop 0
	v_mov_b32_e32 v71, v5
	v_pk_add_f32 v[4:5], v[18:19], v[70:71]
	v_mov_b32_e32 v18, v95
	v_pk_mul_f32 v[18:19], v[6:7], v[18:19] op_sel:[1,0] op_sel_hi:[0,0]
	v_pk_fma_f32 v[68:69], v[6:7], v[94:95], v[18:19] neg_lo:[0,0,1] neg_hi:[0,0,1]
	v_pk_fma_f32 v[6:7], v[6:7], v[94:95], v[18:19] op_sel_hi:[1,0,1]
	s_nop 0
	v_mov_b32_e32 v69, v7
	s_waitcnt vmcnt(2) lgkmcnt(2)
	v_pk_mul_f32 v[6:7], v[8:9], v[96:97] op_sel:[1,1] op_sel_hi:[0,1]
	v_pk_fma_f32 v[18:19], v[8:9], v[96:97], v[6:7] neg_lo:[0,0,1] neg_hi:[0,0,1]
	v_pk_fma_f32 v[6:7], v[8:9], v[96:97], v[6:7] op_sel_hi:[1,0,1]
	v_pk_add_f32 v[4:5], v[4:5], v[68:69]
	v_mov_b32_e32 v6, v99
	v_mov_b32_e32 v19, v7
	v_pk_mul_f32 v[6:7], v[10:11], v[6:7] op_sel:[1,0] op_sel_hi:[0,0]
	v_pk_fma_f32 v[8:9], v[10:11], v[98:99], v[6:7] neg_lo:[0,0,1] neg_hi:[0,0,1]
	v_pk_fma_f32 v[6:7], v[10:11], v[98:99], v[6:7] op_sel_hi:[1,0,1]
	v_pk_add_f32 v[4:5], v[4:5], v[18:19]
	v_mov_b32_e32 v9, v7
	s_waitcnt vmcnt(1) lgkmcnt(1)
	v_pk_mul_f32 v[6:7], v[12:13], v[100:101] op_sel:[1,1] op_sel_hi:[0,1]
	v_pk_add_f32 v[4:5], v[4:5], v[8:9]
	v_pk_fma_f32 v[8:9], v[12:13], v[100:101], v[6:7] neg_lo:[0,0,1] neg_hi:[0,0,1]
	v_pk_fma_f32 v[6:7], v[12:13], v[100:101], v[6:7] op_sel_hi:[1,0,1]
	s_nop 0
	v_mov_b32_e32 v6, v103
	v_mov_b32_e32 v9, v7
	v_pk_mul_f32 v[6:7], v[14:15], v[6:7] op_sel:[1,0] op_sel_hi:[0,0]
	v_pk_add_f32 v[4:5], v[4:5], v[8:9]
	v_pk_fma_f32 v[8:9], v[14:15], v[102:103], v[6:7] neg_lo:[0,0,1] neg_hi:[0,0,1]
	v_pk_fma_f32 v[6:7], v[14:15], v[102:103], v[6:7] op_sel_hi:[1,0,1]
	s_nop 0
	v_mov_b32_e32 v9, v7
	s_waitcnt vmcnt(0) lgkmcnt(0)
	v_pk_mul_f32 v[6:7], v[16:17], v[110:111] op_sel:[1,1] op_sel_hi:[0,1]
	v_pk_add_f32 v[4:5], v[4:5], v[8:9]
	v_pk_fma_f32 v[8:9], v[16:17], v[110:111], v[6:7] neg_lo:[0,0,1] neg_hi:[0,0,1]
	v_pk_fma_f32 v[6:7], v[16:17], v[110:111], v[6:7] op_sel_hi:[1,0,1]
	s_nop 0
	v_mov_b32_e32 v9, v7
	scratch_load_dwordx2 v[6:7], off, off offset:48
	v_pk_add_f32 v[4:5], v[4:5], v[8:9]
	s_waitcnt vmcnt(0)
	v_pk_add_f32 v[4:5], v[6:7], v[4:5] neg_lo:[0,1] neg_hi:[0,1]
	scratch_store_dwordx2 off, v[4:5], off offset:48
	s_and_saveexec_b64 s[0:1], vcc
	s_cbranch_execz .LBB87_147
; %bb.146:
	scratch_load_dwordx2 v[4:5], off, off offset:40
	v_mov_b32_e32 v3, v2
	scratch_store_dwordx2 off, v[2:3], off offset:40
	s_waitcnt vmcnt(1)
	ds_write_b64 v1, v[4:5]
.LBB87_147:
	s_or_b64 exec, exec, s[0:1]
	s_waitcnt lgkmcnt(0)
	; wave barrier
	ds_read_b128 v[4:7], v2 offset:240
	ds_read_b128 v[8:11], v2 offset:256
	;; [unrolled: 1-line block ×4, first 2 shown]
	scratch_load_dwordx4 v[68:71], off, off offset:48
	scratch_load_dwordx4 v[88:91], off, off offset:112
	v_cmp_lt_u32_e32 vcc, 4, v0
	s_waitcnt vmcnt(1) lgkmcnt(3)
	v_mul_f32_e32 v3, v4, v69
	v_fmac_f32_e32 v3, v5, v68
	v_mul_f32_e32 v72, v6, v71
	v_add_f32_e32 v3, 0, v3
	v_fmac_f32_e32 v72, v7, v70
	v_add_f32_e32 v3, v3, v72
	scratch_load_dwordx4 v[72:75], off, off offset:64
	s_waitcnt vmcnt(0) lgkmcnt(2)
	v_mul_f32_e32 v76, v8, v73
	v_fmac_f32_e32 v76, v9, v72
	v_add_f32_e32 v3, v3, v76
	v_mul_f32_e32 v76, v10, v75
	v_fmac_f32_e32 v76, v11, v74
	v_add_f32_e32 v3, v3, v76
	scratch_load_dwordx4 v[76:79], off, off offset:80
	s_waitcnt vmcnt(0) lgkmcnt(1)
	v_mul_f32_e32 v80, v12, v77
	v_fmac_f32_e32 v80, v13, v76
	v_add_f32_e32 v3, v3, v80
	v_mul_f32_e32 v80, v14, v79
	;; [unrolled: 8-line block ×3, first 2 shown]
	v_fmac_f32_e32 v84, v19, v82
	v_add_f32_e32 v109, v3, v84
	ds_read_b128 v[84:87], v2 offset:304
	scratch_load_dwordx4 v[92:95], off, off offset:128
	scratch_load_dwordx4 v[96:99], off, off offset:144
	;; [unrolled: 1-line block ×4, first 2 shown]
	v_mul_f32_e32 v3, v5, v69
	v_fma_f32 v3, v4, v68, -v3
	v_mul_f32_e32 v4, v7, v71
	v_add_f32_e32 v3, 0, v3
	v_fma_f32 v4, v6, v70, -v4
	v_add_f32_e32 v3, v3, v4
	v_mul_f32_e32 v4, v9, v73
	v_fma_f32 v4, v8, v72, -v4
	v_add_f32_e32 v3, v3, v4
	v_mul_f32_e32 v4, v11, v75
	;; [unrolled: 3-line block ×6, first 2 shown]
	v_fma_f32 v4, v18, v82, -v4
	v_add_f32_e32 v108, v3, v4
	ds_read_b128 v[4:7], v2 offset:320
	ds_read_b128 v[8:11], v2 offset:336
	;; [unrolled: 1-line block ×4, first 2 shown]
	s_waitcnt lgkmcnt(4)
	v_mul_f32_e32 v111, v84, v89
	v_mul_f32_e32 v3, v85, v89
	v_fmac_f32_e32 v111, v85, v88
	v_mul_f32_e32 v113, v86, v91
	v_fma_f32 v110, v84, v88, -v3
	v_mul_f32_e32 v3, v87, v91
	v_fmac_f32_e32 v113, v87, v90
	v_fma_f32 v112, v86, v90, -v3
	v_pk_add_f32 v[2:3], v[108:109], v[110:111]
	s_waitcnt vmcnt(3) lgkmcnt(3)
	v_pk_mul_f32 v[68:69], v[4:5], v[92:93] op_sel:[1,1] op_sel_hi:[0,1]
	v_pk_fma_f32 v[70:71], v[4:5], v[92:93], v[68:69] neg_lo:[0,0,1] neg_hi:[0,0,1]
	v_pk_fma_f32 v[4:5], v[4:5], v[92:93], v[68:69] op_sel_hi:[1,0,1]
	v_pk_add_f32 v[2:3], v[2:3], v[112:113]
	v_mov_b32_e32 v4, v95
	v_mov_b32_e32 v71, v5
	v_pk_mul_f32 v[4:5], v[6:7], v[4:5] op_sel:[1,0] op_sel_hi:[0,0]
	v_pk_fma_f32 v[68:69], v[6:7], v[94:95], v[4:5] neg_lo:[0,0,1] neg_hi:[0,0,1]
	v_pk_fma_f32 v[4:5], v[6:7], v[94:95], v[4:5] op_sel_hi:[1,0,1]
	v_pk_add_f32 v[2:3], v[2:3], v[70:71]
	v_mov_b32_e32 v69, v5
	s_waitcnt vmcnt(2) lgkmcnt(2)
	v_pk_mul_f32 v[4:5], v[8:9], v[96:97] op_sel:[1,1] op_sel_hi:[0,1]
	v_pk_fma_f32 v[6:7], v[8:9], v[96:97], v[4:5] neg_lo:[0,0,1] neg_hi:[0,0,1]
	v_pk_fma_f32 v[4:5], v[8:9], v[96:97], v[4:5] op_sel_hi:[1,0,1]
	v_pk_add_f32 v[2:3], v[2:3], v[68:69]
	v_mov_b32_e32 v4, v99
	v_mov_b32_e32 v7, v5
	v_pk_mul_f32 v[4:5], v[10:11], v[4:5] op_sel:[1,0] op_sel_hi:[0,0]
	v_pk_add_f32 v[2:3], v[2:3], v[6:7]
	v_pk_fma_f32 v[6:7], v[10:11], v[98:99], v[4:5] neg_lo:[0,0,1] neg_hi:[0,0,1]
	v_pk_fma_f32 v[4:5], v[10:11], v[98:99], v[4:5] op_sel_hi:[1,0,1]
	s_nop 0
	v_mov_b32_e32 v7, v5
	s_waitcnt vmcnt(1) lgkmcnt(1)
	v_pk_mul_f32 v[4:5], v[12:13], v[100:101] op_sel:[1,1] op_sel_hi:[0,1]
	v_pk_add_f32 v[2:3], v[2:3], v[6:7]
	v_pk_fma_f32 v[6:7], v[12:13], v[100:101], v[4:5] neg_lo:[0,0,1] neg_hi:[0,0,1]
	v_pk_fma_f32 v[4:5], v[12:13], v[100:101], v[4:5] op_sel_hi:[1,0,1]
	s_nop 0
	v_mov_b32_e32 v4, v103
	v_mov_b32_e32 v7, v5
	v_pk_mul_f32 v[4:5], v[14:15], v[4:5] op_sel:[1,0] op_sel_hi:[0,0]
	v_pk_add_f32 v[2:3], v[2:3], v[6:7]
	v_pk_fma_f32 v[6:7], v[14:15], v[102:103], v[4:5] neg_lo:[0,0,1] neg_hi:[0,0,1]
	v_pk_fma_f32 v[4:5], v[14:15], v[102:103], v[4:5] op_sel_hi:[1,0,1]
	s_nop 0
	v_mov_b32_e32 v7, v5
	s_waitcnt vmcnt(0) lgkmcnt(0)
	v_pk_mul_f32 v[4:5], v[16:17], v[104:105] op_sel:[1,1] op_sel_hi:[0,1]
	v_pk_add_f32 v[2:3], v[2:3], v[6:7]
	v_pk_fma_f32 v[6:7], v[16:17], v[104:105], v[4:5] neg_lo:[0,0,1] neg_hi:[0,0,1]
	v_pk_fma_f32 v[4:5], v[16:17], v[104:105], v[4:5] op_sel_hi:[1,0,1]
	s_nop 0
	v_mov_b32_e32 v4, v107
	v_mov_b32_e32 v7, v5
	v_pk_mul_f32 v[4:5], v[18:19], v[4:5] op_sel:[1,0] op_sel_hi:[0,0]
	v_pk_add_f32 v[2:3], v[2:3], v[6:7]
	v_pk_fma_f32 v[6:7], v[18:19], v[106:107], v[4:5] neg_lo:[0,0,1] neg_hi:[0,0,1]
	v_pk_fma_f32 v[4:5], v[18:19], v[106:107], v[4:5] op_sel_hi:[1,0,1]
	s_nop 0
	v_mov_b32_e32 v7, v5
	scratch_load_dwordx2 v[4:5], off, off offset:40
	v_pk_add_f32 v[2:3], v[2:3], v[6:7]
	s_waitcnt vmcnt(0)
	v_pk_add_f32 v[2:3], v[4:5], v[2:3] neg_lo:[0,1] neg_hi:[0,1]
	scratch_store_dwordx2 off, v[2:3], off offset:40
	s_and_saveexec_b64 s[0:1], vcc
	s_cbranch_execz .LBB87_149
; %bb.148:
	scratch_load_dwordx2 v[2:3], off, off offset:32
	v_mov_b32_e32 v4, 0
	v_mov_b32_e32 v5, v4
	scratch_store_dwordx2 off, v[4:5], off offset:32
	s_waitcnt vmcnt(1)
	ds_write_b64 v1, v[2:3]
.LBB87_149:
	s_or_b64 exec, exec, s[0:1]
	s_waitcnt lgkmcnt(0)
	; wave barrier
	scratch_load_dwordx4 v[8:11], off, off offset:40
	scratch_load_dwordx4 v[16:19], off, off offset:56
	;; [unrolled: 1-line block ×6, first 2 shown]
	v_mov_b32_e32 v2, 0
	ds_read2_b64 v[4:7], v2 offset0:29 offset1:30
	v_cmp_lt_u32_e32 vcc, 3, v0
	s_waitcnt vmcnt(5) lgkmcnt(0)
	v_mul_f32_e32 v3, v4, v9
	v_fmac_f32_e32 v3, v5, v8
	v_mul_f32_e32 v12, v6, v11
	v_add_f32_e32 v3, 0, v3
	v_fmac_f32_e32 v12, v7, v10
	v_add_f32_e32 v3, v3, v12
	ds_read2_b64 v[12:15], v2 offset0:31 offset1:32
	s_waitcnt vmcnt(4) lgkmcnt(0)
	v_mul_f32_e32 v68, v12, v17
	v_fmac_f32_e32 v68, v13, v16
	v_add_f32_e32 v3, v3, v68
	v_mul_f32_e32 v68, v14, v19
	v_fmac_f32_e32 v68, v15, v18
	v_add_f32_e32 v3, v3, v68
	ds_read2_b64 v[68:71], v2 offset0:33 offset1:34
	s_waitcnt vmcnt(3) lgkmcnt(0)
	v_mul_f32_e32 v76, v68, v73
	v_fmac_f32_e32 v76, v69, v72
	v_add_f32_e32 v3, v3, v76
	v_mul_f32_e32 v76, v70, v75
	;; [unrolled: 8-line block ×3, first 2 shown]
	v_fmac_f32_e32 v84, v79, v82
	v_add_f32_e32 v3, v3, v84
	ds_read2_b64 v[84:87], v2 offset0:37 offset1:38
	s_waitcnt vmcnt(1) lgkmcnt(0)
	v_mul_f32_e32 v92, v84, v89
	v_fmac_f32_e32 v92, v85, v88
	v_add_f32_e32 v113, v3, v92
	ds_read2_b64 v[92:95], v2 offset0:39 offset1:40
	scratch_load_dwordx4 v[100:103], off, off offset:136
	scratch_load_dwordx4 v[104:107], off, off offset:152
	;; [unrolled: 1-line block ×3, first 2 shown]
	scratch_load_dwordx2 v[118:119], off, off offset:184
	v_mul_f32_e32 v3, v5, v9
	v_fma_f32 v3, v4, v8, -v3
	v_mul_f32_e32 v4, v7, v11
	v_add_f32_e32 v3, 0, v3
	v_fma_f32 v4, v6, v10, -v4
	v_add_f32_e32 v3, v3, v4
	v_mul_f32_e32 v4, v13, v17
	v_fma_f32 v4, v12, v16, -v4
	v_add_f32_e32 v3, v3, v4
	v_mul_f32_e32 v4, v15, v19
	;; [unrolled: 3-line block ×7, first 2 shown]
	v_fma_f32 v4, v84, v88, -v4
	v_mul_f32_e32 v115, v86, v91
	v_add_f32_e32 v112, v3, v4
	v_mul_f32_e32 v3, v87, v91
	s_waitcnt vmcnt(4)
	v_mov_b32_e32 v68, v99
	v_fmac_f32_e32 v115, v87, v90
	s_waitcnt lgkmcnt(0)
	v_mul_f32_e32 v117, v92, v97
	v_fma_f32 v114, v86, v90, -v3
	v_mul_f32_e32 v3, v93, v97
	ds_read2_b64 v[4:7], v2 offset0:41 offset1:42
	ds_read2_b64 v[8:11], v2 offset0:43 offset1:44
	;; [unrolled: 1-line block ×3, first 2 shown]
	ds_read_b64 v[16:17], v2 offset:376
	v_pk_mul_f32 v[68:69], v[94:95], v[68:69] op_sel:[1,0] op_sel_hi:[0,0]
	v_fmac_f32_e32 v117, v93, v96
	v_fma_f32 v116, v92, v96, -v3
	v_pk_add_f32 v[18:19], v[112:113], v[114:115]
	v_pk_fma_f32 v[70:71], v[94:95], v[98:99], v[68:69] neg_lo:[0,0,1] neg_hi:[0,0,1]
	v_pk_fma_f32 v[68:69], v[94:95], v[98:99], v[68:69] op_sel_hi:[1,0,1]
	v_pk_add_f32 v[18:19], v[18:19], v[116:117]
	v_mov_b32_e32 v71, v69
	v_pk_add_f32 v[18:19], v[18:19], v[70:71]
	s_waitcnt vmcnt(3) lgkmcnt(3)
	v_pk_mul_f32 v[68:69], v[4:5], v[100:101] op_sel:[1,1] op_sel_hi:[0,1]
	v_pk_fma_f32 v[70:71], v[4:5], v[100:101], v[68:69] neg_lo:[0,0,1] neg_hi:[0,0,1]
	v_pk_fma_f32 v[4:5], v[4:5], v[100:101], v[68:69] op_sel_hi:[1,0,1]
	s_nop 0
	v_mov_b32_e32 v71, v5
	v_pk_add_f32 v[4:5], v[18:19], v[70:71]
	v_mov_b32_e32 v18, v103
	v_pk_mul_f32 v[18:19], v[6:7], v[18:19] op_sel:[1,0] op_sel_hi:[0,0]
	v_pk_fma_f32 v[68:69], v[6:7], v[102:103], v[18:19] neg_lo:[0,0,1] neg_hi:[0,0,1]
	v_pk_fma_f32 v[6:7], v[6:7], v[102:103], v[18:19] op_sel_hi:[1,0,1]
	s_nop 0
	v_mov_b32_e32 v69, v7
	s_waitcnt vmcnt(2) lgkmcnt(2)
	v_pk_mul_f32 v[6:7], v[8:9], v[104:105] op_sel:[1,1] op_sel_hi:[0,1]
	v_pk_fma_f32 v[18:19], v[8:9], v[104:105], v[6:7] neg_lo:[0,0,1] neg_hi:[0,0,1]
	v_pk_fma_f32 v[6:7], v[8:9], v[104:105], v[6:7] op_sel_hi:[1,0,1]
	v_pk_add_f32 v[4:5], v[4:5], v[68:69]
	v_mov_b32_e32 v6, v107
	v_mov_b32_e32 v19, v7
	v_pk_mul_f32 v[6:7], v[10:11], v[6:7] op_sel:[1,0] op_sel_hi:[0,0]
	v_pk_fma_f32 v[8:9], v[10:11], v[106:107], v[6:7] neg_lo:[0,0,1] neg_hi:[0,0,1]
	v_pk_fma_f32 v[6:7], v[10:11], v[106:107], v[6:7] op_sel_hi:[1,0,1]
	v_pk_add_f32 v[4:5], v[4:5], v[18:19]
	v_mov_b32_e32 v9, v7
	s_waitcnt vmcnt(1) lgkmcnt(1)
	v_pk_mul_f32 v[6:7], v[12:13], v[108:109] op_sel:[1,1] op_sel_hi:[0,1]
	v_pk_add_f32 v[4:5], v[4:5], v[8:9]
	v_pk_fma_f32 v[8:9], v[12:13], v[108:109], v[6:7] neg_lo:[0,0,1] neg_hi:[0,0,1]
	v_pk_fma_f32 v[6:7], v[12:13], v[108:109], v[6:7] op_sel_hi:[1,0,1]
	s_nop 0
	v_mov_b32_e32 v6, v111
	v_mov_b32_e32 v9, v7
	v_pk_mul_f32 v[6:7], v[14:15], v[6:7] op_sel:[1,0] op_sel_hi:[0,0]
	v_pk_add_f32 v[4:5], v[4:5], v[8:9]
	v_pk_fma_f32 v[8:9], v[14:15], v[110:111], v[6:7] neg_lo:[0,0,1] neg_hi:[0,0,1]
	v_pk_fma_f32 v[6:7], v[14:15], v[110:111], v[6:7] op_sel_hi:[1,0,1]
	s_nop 0
	v_mov_b32_e32 v9, v7
	s_waitcnt vmcnt(0) lgkmcnt(0)
	v_pk_mul_f32 v[6:7], v[16:17], v[118:119] op_sel:[1,1] op_sel_hi:[0,1]
	v_pk_add_f32 v[4:5], v[4:5], v[8:9]
	v_pk_fma_f32 v[8:9], v[16:17], v[118:119], v[6:7] neg_lo:[0,0,1] neg_hi:[0,0,1]
	v_pk_fma_f32 v[6:7], v[16:17], v[118:119], v[6:7] op_sel_hi:[1,0,1]
	s_nop 0
	v_mov_b32_e32 v9, v7
	scratch_load_dwordx2 v[6:7], off, off offset:32
	v_pk_add_f32 v[4:5], v[4:5], v[8:9]
	s_waitcnt vmcnt(0)
	v_pk_add_f32 v[4:5], v[6:7], v[4:5] neg_lo:[0,1] neg_hi:[0,1]
	scratch_store_dwordx2 off, v[4:5], off offset:32
	s_and_saveexec_b64 s[0:1], vcc
	s_cbranch_execz .LBB87_151
; %bb.150:
	scratch_load_dwordx2 v[4:5], off, off offset:24
	v_mov_b32_e32 v3, v2
	scratch_store_dwordx2 off, v[2:3], off offset:24
	s_waitcnt vmcnt(1)
	ds_write_b64 v1, v[4:5]
.LBB87_151:
	s_or_b64 exec, exec, s[0:1]
	s_waitcnt lgkmcnt(0)
	; wave barrier
	ds_read_b128 v[4:7], v2 offset:224
	ds_read_b128 v[8:11], v2 offset:240
	;; [unrolled: 1-line block ×4, first 2 shown]
	scratch_load_dwordx4 v[68:71], off, off offset:32
	scratch_load_dwordx4 v[88:91], off, off offset:96
	v_cmp_lt_u32_e32 vcc, 2, v0
	scratch_load_dwordx4 v[96:99], off, off offset:112
	s_waitcnt vmcnt(2) lgkmcnt(3)
	v_mul_f32_e32 v3, v4, v69
	v_fmac_f32_e32 v3, v5, v68
	v_mul_f32_e32 v72, v6, v71
	v_add_f32_e32 v3, 0, v3
	v_fmac_f32_e32 v72, v7, v70
	v_add_f32_e32 v3, v3, v72
	scratch_load_dwordx4 v[72:75], off, off offset:48
	s_waitcnt vmcnt(0) lgkmcnt(2)
	v_mul_f32_e32 v76, v8, v73
	v_fmac_f32_e32 v76, v9, v72
	v_add_f32_e32 v3, v3, v76
	v_mul_f32_e32 v76, v10, v75
	v_fmac_f32_e32 v76, v11, v74
	v_add_f32_e32 v3, v3, v76
	scratch_load_dwordx4 v[76:79], off, off offset:64
	s_waitcnt vmcnt(0) lgkmcnt(1)
	v_mul_f32_e32 v80, v12, v77
	v_fmac_f32_e32 v80, v13, v76
	v_add_f32_e32 v3, v3, v80
	v_mul_f32_e32 v80, v14, v79
	;; [unrolled: 8-line block ×3, first 2 shown]
	v_fmac_f32_e32 v84, v19, v82
	v_add_f32_e32 v3, v3, v84
	ds_read_b128 v[84:87], v2 offset:288
	s_waitcnt lgkmcnt(0)
	v_mul_f32_e32 v92, v84, v89
	v_fmac_f32_e32 v92, v85, v88
	v_add_f32_e32 v3, v3, v92
	v_mul_f32_e32 v92, v86, v91
	v_fmac_f32_e32 v92, v87, v90
	v_add_f32_e32 v117, v3, v92
	ds_read_b128 v[92:95], v2 offset:304
	scratch_load_dwordx4 v[100:103], off, off offset:128
	scratch_load_dwordx4 v[104:107], off, off offset:144
	;; [unrolled: 1-line block ×4, first 2 shown]
	v_mul_f32_e32 v3, v5, v69
	v_fma_f32 v3, v4, v68, -v3
	v_mul_f32_e32 v4, v7, v71
	v_add_f32_e32 v3, 0, v3
	v_fma_f32 v4, v6, v70, -v4
	v_add_f32_e32 v3, v3, v4
	v_mul_f32_e32 v4, v9, v73
	v_fma_f32 v4, v8, v72, -v4
	v_add_f32_e32 v3, v3, v4
	v_mul_f32_e32 v4, v11, v75
	;; [unrolled: 3-line block ×8, first 2 shown]
	v_fma_f32 v4, v86, v90, -v4
	v_add_f32_e32 v116, v3, v4
	ds_read_b128 v[4:7], v2 offset:320
	ds_read_b128 v[8:11], v2 offset:336
	;; [unrolled: 1-line block ×4, first 2 shown]
	s_waitcnt lgkmcnt(4)
	v_mul_f32_e32 v119, v92, v97
	v_mul_f32_e32 v3, v93, v97
	v_fmac_f32_e32 v119, v93, v96
	v_mul_f32_e32 v121, v94, v99
	v_fma_f32 v118, v92, v96, -v3
	v_mul_f32_e32 v3, v95, v99
	v_fmac_f32_e32 v121, v95, v98
	v_fma_f32 v120, v94, v98, -v3
	v_pk_add_f32 v[2:3], v[116:117], v[118:119]
	s_waitcnt vmcnt(3) lgkmcnt(3)
	v_pk_mul_f32 v[68:69], v[4:5], v[100:101] op_sel:[1,1] op_sel_hi:[0,1]
	v_pk_fma_f32 v[70:71], v[4:5], v[100:101], v[68:69] neg_lo:[0,0,1] neg_hi:[0,0,1]
	v_pk_fma_f32 v[4:5], v[4:5], v[100:101], v[68:69] op_sel_hi:[1,0,1]
	v_pk_add_f32 v[2:3], v[2:3], v[120:121]
	v_mov_b32_e32 v4, v103
	v_mov_b32_e32 v71, v5
	v_pk_mul_f32 v[4:5], v[6:7], v[4:5] op_sel:[1,0] op_sel_hi:[0,0]
	v_pk_fma_f32 v[68:69], v[6:7], v[102:103], v[4:5] neg_lo:[0,0,1] neg_hi:[0,0,1]
	v_pk_fma_f32 v[4:5], v[6:7], v[102:103], v[4:5] op_sel_hi:[1,0,1]
	v_pk_add_f32 v[2:3], v[2:3], v[70:71]
	v_mov_b32_e32 v69, v5
	s_waitcnt vmcnt(2) lgkmcnt(2)
	v_pk_mul_f32 v[4:5], v[8:9], v[104:105] op_sel:[1,1] op_sel_hi:[0,1]
	v_pk_fma_f32 v[6:7], v[8:9], v[104:105], v[4:5] neg_lo:[0,0,1] neg_hi:[0,0,1]
	v_pk_fma_f32 v[4:5], v[8:9], v[104:105], v[4:5] op_sel_hi:[1,0,1]
	v_pk_add_f32 v[2:3], v[2:3], v[68:69]
	v_mov_b32_e32 v4, v107
	v_mov_b32_e32 v7, v5
	v_pk_mul_f32 v[4:5], v[10:11], v[4:5] op_sel:[1,0] op_sel_hi:[0,0]
	v_pk_add_f32 v[2:3], v[2:3], v[6:7]
	v_pk_fma_f32 v[6:7], v[10:11], v[106:107], v[4:5] neg_lo:[0,0,1] neg_hi:[0,0,1]
	v_pk_fma_f32 v[4:5], v[10:11], v[106:107], v[4:5] op_sel_hi:[1,0,1]
	s_nop 0
	v_mov_b32_e32 v7, v5
	s_waitcnt vmcnt(1) lgkmcnt(1)
	v_pk_mul_f32 v[4:5], v[12:13], v[108:109] op_sel:[1,1] op_sel_hi:[0,1]
	v_pk_add_f32 v[2:3], v[2:3], v[6:7]
	v_pk_fma_f32 v[6:7], v[12:13], v[108:109], v[4:5] neg_lo:[0,0,1] neg_hi:[0,0,1]
	v_pk_fma_f32 v[4:5], v[12:13], v[108:109], v[4:5] op_sel_hi:[1,0,1]
	s_nop 0
	v_mov_b32_e32 v4, v111
	v_mov_b32_e32 v7, v5
	v_pk_mul_f32 v[4:5], v[14:15], v[4:5] op_sel:[1,0] op_sel_hi:[0,0]
	v_pk_add_f32 v[2:3], v[2:3], v[6:7]
	v_pk_fma_f32 v[6:7], v[14:15], v[110:111], v[4:5] neg_lo:[0,0,1] neg_hi:[0,0,1]
	v_pk_fma_f32 v[4:5], v[14:15], v[110:111], v[4:5] op_sel_hi:[1,0,1]
	s_nop 0
	v_mov_b32_e32 v7, v5
	s_waitcnt vmcnt(0) lgkmcnt(0)
	v_pk_mul_f32 v[4:5], v[16:17], v[112:113] op_sel:[1,1] op_sel_hi:[0,1]
	v_pk_add_f32 v[2:3], v[2:3], v[6:7]
	v_pk_fma_f32 v[6:7], v[16:17], v[112:113], v[4:5] neg_lo:[0,0,1] neg_hi:[0,0,1]
	v_pk_fma_f32 v[4:5], v[16:17], v[112:113], v[4:5] op_sel_hi:[1,0,1]
	s_nop 0
	v_mov_b32_e32 v4, v115
	v_mov_b32_e32 v7, v5
	v_pk_mul_f32 v[4:5], v[18:19], v[4:5] op_sel:[1,0] op_sel_hi:[0,0]
	v_pk_add_f32 v[2:3], v[2:3], v[6:7]
	v_pk_fma_f32 v[6:7], v[18:19], v[114:115], v[4:5] neg_lo:[0,0,1] neg_hi:[0,0,1]
	v_pk_fma_f32 v[4:5], v[18:19], v[114:115], v[4:5] op_sel_hi:[1,0,1]
	s_nop 0
	v_mov_b32_e32 v7, v5
	scratch_load_dwordx2 v[4:5], off, off offset:24
	v_pk_add_f32 v[2:3], v[2:3], v[6:7]
	s_waitcnt vmcnt(0)
	v_pk_add_f32 v[2:3], v[4:5], v[2:3] neg_lo:[0,1] neg_hi:[0,1]
	scratch_store_dwordx2 off, v[2:3], off offset:24
	s_and_saveexec_b64 s[0:1], vcc
	s_cbranch_execz .LBB87_153
; %bb.152:
	scratch_load_dwordx2 v[2:3], off, off offset:16
	v_mov_b32_e32 v4, 0
	v_mov_b32_e32 v5, v4
	scratch_store_dwordx2 off, v[4:5], off offset:16
	s_waitcnt vmcnt(1)
	ds_write_b64 v1, v[2:3]
.LBB87_153:
	s_or_b64 exec, exec, s[0:1]
	s_waitcnt lgkmcnt(0)
	; wave barrier
	scratch_load_dwordx4 v[8:11], off, off offset:24
	scratch_load_dwordx4 v[16:19], off, off offset:40
	;; [unrolled: 1-line block ×6, first 2 shown]
	v_mov_b32_e32 v2, 0
	ds_read2_b64 v[4:7], v2 offset0:27 offset1:28
	scratch_load_dwordx4 v[104:107], off, off offset:120
	v_cmp_lt_u32_e32 vcc, 1, v0
	s_waitcnt vmcnt(6) lgkmcnt(0)
	v_mul_f32_e32 v3, v4, v9
	v_fmac_f32_e32 v3, v5, v8
	v_mul_f32_e32 v12, v6, v11
	v_add_f32_e32 v3, 0, v3
	v_fmac_f32_e32 v12, v7, v10
	v_add_f32_e32 v3, v3, v12
	ds_read2_b64 v[12:15], v2 offset0:29 offset1:30
	s_waitcnt vmcnt(5) lgkmcnt(0)
	v_mul_f32_e32 v68, v12, v17
	v_fmac_f32_e32 v68, v13, v16
	v_add_f32_e32 v3, v3, v68
	v_mul_f32_e32 v68, v14, v19
	v_fmac_f32_e32 v68, v15, v18
	v_add_f32_e32 v3, v3, v68
	ds_read2_b64 v[68:71], v2 offset0:31 offset1:32
	s_waitcnt vmcnt(4) lgkmcnt(0)
	v_mul_f32_e32 v76, v68, v73
	v_fmac_f32_e32 v76, v69, v72
	v_add_f32_e32 v3, v3, v76
	v_mul_f32_e32 v76, v70, v75
	;; [unrolled: 8-line block ×4, first 2 shown]
	v_fmac_f32_e32 v92, v87, v90
	v_add_f32_e32 v3, v3, v92
	ds_read2_b64 v[92:95], v2 offset0:37 offset1:38
	s_waitcnt vmcnt(1) lgkmcnt(0)
	v_mul_f32_e32 v100, v92, v97
	v_fmac_f32_e32 v100, v93, v96
	v_add_f32_e32 v121, v3, v100
	ds_read2_b64 v[100:103], v2 offset0:39 offset1:40
	scratch_load_dwordx4 v[108:111], off, off offset:136
	scratch_load_dwordx4 v[112:115], off, off offset:152
	scratch_load_dwordx4 v[116:119], off, off offset:168
	scratch_load_dwordx2 v[126:127], off, off offset:184
	v_mul_f32_e32 v3, v5, v9
	v_fma_f32 v3, v4, v8, -v3
	v_mul_f32_e32 v4, v7, v11
	v_add_f32_e32 v3, 0, v3
	v_fma_f32 v4, v6, v10, -v4
	v_add_f32_e32 v3, v3, v4
	v_mul_f32_e32 v4, v13, v17
	v_fma_f32 v4, v12, v16, -v4
	v_add_f32_e32 v3, v3, v4
	v_mul_f32_e32 v4, v15, v19
	;; [unrolled: 3-line block ×9, first 2 shown]
	v_fma_f32 v4, v92, v96, -v4
	v_mul_f32_e32 v123, v94, v99
	v_add_f32_e32 v120, v3, v4
	v_mul_f32_e32 v3, v95, v99
	s_waitcnt vmcnt(4)
	v_mov_b32_e32 v68, v107
	v_fmac_f32_e32 v123, v95, v98
	s_waitcnt lgkmcnt(0)
	v_mul_f32_e32 v125, v100, v105
	v_fma_f32 v122, v94, v98, -v3
	v_mul_f32_e32 v3, v101, v105
	ds_read2_b64 v[4:7], v2 offset0:41 offset1:42
	ds_read2_b64 v[8:11], v2 offset0:43 offset1:44
	;; [unrolled: 1-line block ×3, first 2 shown]
	ds_read_b64 v[16:17], v2 offset:376
	v_pk_mul_f32 v[68:69], v[102:103], v[68:69] op_sel:[1,0] op_sel_hi:[0,0]
	v_fmac_f32_e32 v125, v101, v104
	v_fma_f32 v124, v100, v104, -v3
	v_pk_add_f32 v[18:19], v[120:121], v[122:123]
	v_pk_fma_f32 v[70:71], v[102:103], v[106:107], v[68:69] neg_lo:[0,0,1] neg_hi:[0,0,1]
	v_pk_fma_f32 v[68:69], v[102:103], v[106:107], v[68:69] op_sel_hi:[1,0,1]
	v_pk_add_f32 v[18:19], v[18:19], v[124:125]
	v_mov_b32_e32 v71, v69
	v_pk_add_f32 v[18:19], v[18:19], v[70:71]
	s_waitcnt vmcnt(3) lgkmcnt(3)
	v_pk_mul_f32 v[68:69], v[4:5], v[108:109] op_sel:[1,1] op_sel_hi:[0,1]
	v_pk_fma_f32 v[70:71], v[4:5], v[108:109], v[68:69] neg_lo:[0,0,1] neg_hi:[0,0,1]
	v_pk_fma_f32 v[4:5], v[4:5], v[108:109], v[68:69] op_sel_hi:[1,0,1]
	s_nop 0
	v_mov_b32_e32 v71, v5
	v_pk_add_f32 v[4:5], v[18:19], v[70:71]
	v_mov_b32_e32 v18, v111
	v_pk_mul_f32 v[18:19], v[6:7], v[18:19] op_sel:[1,0] op_sel_hi:[0,0]
	v_pk_fma_f32 v[68:69], v[6:7], v[110:111], v[18:19] neg_lo:[0,0,1] neg_hi:[0,0,1]
	v_pk_fma_f32 v[6:7], v[6:7], v[110:111], v[18:19] op_sel_hi:[1,0,1]
	s_nop 0
	v_mov_b32_e32 v69, v7
	s_waitcnt vmcnt(2) lgkmcnt(2)
	v_pk_mul_f32 v[6:7], v[8:9], v[112:113] op_sel:[1,1] op_sel_hi:[0,1]
	v_pk_fma_f32 v[18:19], v[8:9], v[112:113], v[6:7] neg_lo:[0,0,1] neg_hi:[0,0,1]
	v_pk_fma_f32 v[6:7], v[8:9], v[112:113], v[6:7] op_sel_hi:[1,0,1]
	v_pk_add_f32 v[4:5], v[4:5], v[68:69]
	v_mov_b32_e32 v6, v115
	v_mov_b32_e32 v19, v7
	v_pk_mul_f32 v[6:7], v[10:11], v[6:7] op_sel:[1,0] op_sel_hi:[0,0]
	v_pk_fma_f32 v[8:9], v[10:11], v[114:115], v[6:7] neg_lo:[0,0,1] neg_hi:[0,0,1]
	v_pk_fma_f32 v[6:7], v[10:11], v[114:115], v[6:7] op_sel_hi:[1,0,1]
	v_pk_add_f32 v[4:5], v[4:5], v[18:19]
	v_mov_b32_e32 v9, v7
	s_waitcnt vmcnt(1) lgkmcnt(1)
	v_pk_mul_f32 v[6:7], v[12:13], v[116:117] op_sel:[1,1] op_sel_hi:[0,1]
	v_pk_add_f32 v[4:5], v[4:5], v[8:9]
	v_pk_fma_f32 v[8:9], v[12:13], v[116:117], v[6:7] neg_lo:[0,0,1] neg_hi:[0,0,1]
	v_pk_fma_f32 v[6:7], v[12:13], v[116:117], v[6:7] op_sel_hi:[1,0,1]
	s_nop 0
	v_mov_b32_e32 v6, v119
	v_mov_b32_e32 v9, v7
	v_pk_mul_f32 v[6:7], v[14:15], v[6:7] op_sel:[1,0] op_sel_hi:[0,0]
	v_pk_add_f32 v[4:5], v[4:5], v[8:9]
	v_pk_fma_f32 v[8:9], v[14:15], v[118:119], v[6:7] neg_lo:[0,0,1] neg_hi:[0,0,1]
	v_pk_fma_f32 v[6:7], v[14:15], v[118:119], v[6:7] op_sel_hi:[1,0,1]
	s_nop 0
	v_mov_b32_e32 v9, v7
	s_waitcnt vmcnt(0) lgkmcnt(0)
	v_pk_mul_f32 v[6:7], v[16:17], v[126:127] op_sel:[1,1] op_sel_hi:[0,1]
	v_pk_add_f32 v[4:5], v[4:5], v[8:9]
	v_pk_fma_f32 v[8:9], v[16:17], v[126:127], v[6:7] neg_lo:[0,0,1] neg_hi:[0,0,1]
	v_pk_fma_f32 v[6:7], v[16:17], v[126:127], v[6:7] op_sel_hi:[1,0,1]
	s_nop 0
	v_mov_b32_e32 v9, v7
	scratch_load_dwordx2 v[6:7], off, off offset:16
	v_pk_add_f32 v[4:5], v[4:5], v[8:9]
	s_waitcnt vmcnt(0)
	v_pk_add_f32 v[4:5], v[6:7], v[4:5] neg_lo:[0,1] neg_hi:[0,1]
	scratch_store_dwordx2 off, v[4:5], off offset:16
	s_and_saveexec_b64 s[0:1], vcc
	s_cbranch_execz .LBB87_155
; %bb.154:
	scratch_load_dwordx2 v[4:5], off, off offset:8
	v_mov_b32_e32 v3, v2
	scratch_store_dwordx2 off, v[2:3], off offset:8
	s_waitcnt vmcnt(1)
	ds_write_b64 v1, v[4:5]
.LBB87_155:
	s_or_b64 exec, exec, s[0:1]
	s_waitcnt lgkmcnt(0)
	; wave barrier
	ds_read_b128 v[4:7], v2 offset:208
	ds_read_b128 v[8:11], v2 offset:224
	;; [unrolled: 1-line block ×4, first 2 shown]
	scratch_load_dwordx4 v[68:71], off, off offset:16
	scratch_load_dwordx4 v[88:91], off, off offset:80
	v_cmp_ne_u32_e32 vcc, 0, v0
	scratch_load_dwordx4 v[96:99], off, off offset:96
	scratch_load_dwordx4 v[104:107], off, off offset:112
	s_waitcnt vmcnt(3) lgkmcnt(3)
	v_mul_f32_e32 v3, v4, v69
	v_fmac_f32_e32 v3, v5, v68
	v_mul_f32_e32 v72, v6, v71
	v_add_f32_e32 v3, 0, v3
	v_fmac_f32_e32 v72, v7, v70
	v_add_f32_e32 v3, v3, v72
	scratch_load_dwordx4 v[72:75], off, off offset:32
	s_waitcnt vmcnt(0) lgkmcnt(2)
	v_mul_f32_e32 v76, v8, v73
	v_fmac_f32_e32 v76, v9, v72
	v_add_f32_e32 v3, v3, v76
	v_mul_f32_e32 v76, v10, v75
	v_fmac_f32_e32 v76, v11, v74
	v_add_f32_e32 v3, v3, v76
	scratch_load_dwordx4 v[76:79], off, off offset:48
	s_waitcnt vmcnt(0) lgkmcnt(1)
	v_mul_f32_e32 v80, v12, v77
	v_fmac_f32_e32 v80, v13, v76
	v_add_f32_e32 v3, v3, v80
	v_mul_f32_e32 v80, v14, v79
	;; [unrolled: 8-line block ×3, first 2 shown]
	v_fmac_f32_e32 v84, v19, v82
	v_add_f32_e32 v3, v3, v84
	ds_read_b128 v[84:87], v2 offset:272
	s_waitcnt lgkmcnt(0)
	v_mul_f32_e32 v92, v84, v89
	v_fmac_f32_e32 v92, v85, v88
	v_add_f32_e32 v3, v3, v92
	v_mul_f32_e32 v92, v86, v91
	v_fmac_f32_e32 v92, v87, v90
	v_add_f32_e32 v3, v3, v92
	ds_read_b128 v[92:95], v2 offset:288
	s_waitcnt lgkmcnt(0)
	v_mul_f32_e32 v100, v92, v97
	v_fmac_f32_e32 v100, v93, v96
	v_add_f32_e32 v3, v3, v100
	v_mul_f32_e32 v100, v94, v99
	v_fmac_f32_e32 v100, v95, v98
	v_add_f32_e32 v125, v3, v100
	ds_read_b128 v[100:103], v2 offset:304
	scratch_load_dwordx4 v[108:111], off, off offset:128
	scratch_load_dwordx4 v[112:115], off, off offset:144
	;; [unrolled: 1-line block ×4, first 2 shown]
	v_mul_f32_e32 v3, v5, v69
	v_fma_f32 v3, v4, v68, -v3
	v_mul_f32_e32 v4, v7, v71
	v_add_f32_e32 v3, 0, v3
	v_fma_f32 v4, v6, v70, -v4
	v_add_f32_e32 v3, v3, v4
	v_mul_f32_e32 v4, v9, v73
	v_fma_f32 v4, v8, v72, -v4
	v_add_f32_e32 v3, v3, v4
	v_mul_f32_e32 v4, v11, v75
	;; [unrolled: 3-line block ×10, first 2 shown]
	v_fma_f32 v4, v94, v98, -v4
	v_add_f32_e32 v124, v3, v4
	ds_read_b128 v[4:7], v2 offset:320
	ds_read_b128 v[8:11], v2 offset:336
	;; [unrolled: 1-line block ×4, first 2 shown]
	s_waitcnt lgkmcnt(4)
	v_mul_f32_e32 v127, v100, v105
	v_mul_f32_e32 v3, v101, v105
	v_fmac_f32_e32 v127, v101, v104
	v_mul_f32_e32 v129, v102, v107
	v_fma_f32 v126, v100, v104, -v3
	v_mul_f32_e32 v3, v103, v107
	v_fmac_f32_e32 v129, v103, v106
	v_fma_f32 v128, v102, v106, -v3
	v_pk_add_f32 v[2:3], v[124:125], v[126:127]
	s_waitcnt vmcnt(3) lgkmcnt(3)
	v_pk_mul_f32 v[68:69], v[4:5], v[108:109] op_sel:[1,1] op_sel_hi:[0,1]
	v_pk_fma_f32 v[70:71], v[4:5], v[108:109], v[68:69] neg_lo:[0,0,1] neg_hi:[0,0,1]
	v_pk_fma_f32 v[4:5], v[4:5], v[108:109], v[68:69] op_sel_hi:[1,0,1]
	v_pk_add_f32 v[2:3], v[2:3], v[128:129]
	v_mov_b32_e32 v4, v111
	v_mov_b32_e32 v71, v5
	v_pk_mul_f32 v[4:5], v[6:7], v[4:5] op_sel:[1,0] op_sel_hi:[0,0]
	v_pk_fma_f32 v[68:69], v[6:7], v[110:111], v[4:5] neg_lo:[0,0,1] neg_hi:[0,0,1]
	v_pk_fma_f32 v[4:5], v[6:7], v[110:111], v[4:5] op_sel_hi:[1,0,1]
	v_pk_add_f32 v[2:3], v[2:3], v[70:71]
	v_mov_b32_e32 v69, v5
	s_waitcnt vmcnt(2) lgkmcnt(2)
	v_pk_mul_f32 v[4:5], v[8:9], v[112:113] op_sel:[1,1] op_sel_hi:[0,1]
	v_pk_fma_f32 v[6:7], v[8:9], v[112:113], v[4:5] neg_lo:[0,0,1] neg_hi:[0,0,1]
	v_pk_fma_f32 v[4:5], v[8:9], v[112:113], v[4:5] op_sel_hi:[1,0,1]
	v_pk_add_f32 v[2:3], v[2:3], v[68:69]
	v_mov_b32_e32 v4, v115
	v_mov_b32_e32 v7, v5
	v_pk_mul_f32 v[4:5], v[10:11], v[4:5] op_sel:[1,0] op_sel_hi:[0,0]
	v_pk_add_f32 v[2:3], v[2:3], v[6:7]
	v_pk_fma_f32 v[6:7], v[10:11], v[114:115], v[4:5] neg_lo:[0,0,1] neg_hi:[0,0,1]
	v_pk_fma_f32 v[4:5], v[10:11], v[114:115], v[4:5] op_sel_hi:[1,0,1]
	s_nop 0
	v_mov_b32_e32 v7, v5
	s_waitcnt vmcnt(1) lgkmcnt(1)
	v_pk_mul_f32 v[4:5], v[12:13], v[116:117] op_sel:[1,1] op_sel_hi:[0,1]
	v_pk_add_f32 v[2:3], v[2:3], v[6:7]
	v_pk_fma_f32 v[6:7], v[12:13], v[116:117], v[4:5] neg_lo:[0,0,1] neg_hi:[0,0,1]
	v_pk_fma_f32 v[4:5], v[12:13], v[116:117], v[4:5] op_sel_hi:[1,0,1]
	s_nop 0
	v_mov_b32_e32 v4, v119
	v_mov_b32_e32 v7, v5
	v_pk_mul_f32 v[4:5], v[14:15], v[4:5] op_sel:[1,0] op_sel_hi:[0,0]
	v_pk_add_f32 v[2:3], v[2:3], v[6:7]
	v_pk_fma_f32 v[6:7], v[14:15], v[118:119], v[4:5] neg_lo:[0,0,1] neg_hi:[0,0,1]
	v_pk_fma_f32 v[4:5], v[14:15], v[118:119], v[4:5] op_sel_hi:[1,0,1]
	s_nop 0
	v_mov_b32_e32 v7, v5
	s_waitcnt vmcnt(0) lgkmcnt(0)
	v_pk_mul_f32 v[4:5], v[16:17], v[120:121] op_sel:[1,1] op_sel_hi:[0,1]
	v_pk_add_f32 v[2:3], v[2:3], v[6:7]
	v_pk_fma_f32 v[6:7], v[16:17], v[120:121], v[4:5] neg_lo:[0,0,1] neg_hi:[0,0,1]
	v_pk_fma_f32 v[4:5], v[16:17], v[120:121], v[4:5] op_sel_hi:[1,0,1]
	s_nop 0
	v_mov_b32_e32 v4, v123
	v_mov_b32_e32 v7, v5
	v_pk_mul_f32 v[4:5], v[18:19], v[4:5] op_sel:[1,0] op_sel_hi:[0,0]
	v_pk_add_f32 v[2:3], v[2:3], v[6:7]
	v_pk_fma_f32 v[6:7], v[18:19], v[122:123], v[4:5] neg_lo:[0,0,1] neg_hi:[0,0,1]
	v_pk_fma_f32 v[4:5], v[18:19], v[122:123], v[4:5] op_sel_hi:[1,0,1]
	s_nop 0
	v_mov_b32_e32 v7, v5
	scratch_load_dwordx2 v[4:5], off, off offset:8
	v_pk_add_f32 v[2:3], v[2:3], v[6:7]
	s_waitcnt vmcnt(0)
	v_pk_add_f32 v[2:3], v[4:5], v[2:3] neg_lo:[0,1] neg_hi:[0,1]
	scratch_store_dwordx2 off, v[2:3], off offset:8
	s_and_saveexec_b64 s[0:1], vcc
	s_cbranch_execz .LBB87_157
; %bb.156:
	scratch_load_dwordx2 v[2:3], off, off
	v_mov_b32_e32 v4, 0
	v_mov_b32_e32 v5, v4
	scratch_store_dwordx2 off, v[4:5], off
	s_waitcnt vmcnt(1)
	ds_write_b64 v1, v[2:3]
.LBB87_157:
	s_or_b64 exec, exec, s[0:1]
	s_waitcnt lgkmcnt(0)
	; wave barrier
	scratch_load_dwordx4 v[0:3], off, off offset:8
	scratch_load_dwordx4 v[12:15], off, off offset:24
	;; [unrolled: 1-line block ×11, first 2 shown]
	scratch_load_dwordx2 v[68:69], off, off offset:184
	scratch_load_dwordx2 v[128:129], off, off
	v_mov_b32_e32 v70, 0
	ds_read2_b64 v[96:99], v70 offset0:25 offset1:26
	ds_read2_b64 v[100:103], v70 offset0:27 offset1:28
	;; [unrolled: 1-line block ×8, first 2 shown]
	s_and_b64 vcc, exec, s[10:11]
	s_waitcnt vmcnt(12) lgkmcnt(7)
	v_mul_f32_e32 v71, v96, v1
	v_mul_f32_e32 v130, v98, v3
	v_mul_f32_e32 v1, v97, v1
	v_fmac_f32_e32 v71, v97, v0
	s_waitcnt vmcnt(8) lgkmcnt(3)
	v_mul_f32_e32 v139, v112, v17
	v_mul_f32_e32 v17, v113, v17
	;; [unrolled: 1-line block ×4, first 2 shown]
	v_fmac_f32_e32 v130, v99, v2
	v_fmac_f32_e32 v139, v113, v16
	v_fma_f32 v0, v96, v0, -v1
	v_fma_f32 v16, v112, v16, -v17
	v_add_f32_e32 v17, 0, v71
	v_mul_f32_e32 v134, v102, v15
	v_fmac_f32_e32 v132, v101, v12
	v_fma_f32 v1, v98, v2, -v3
	v_add_f32_e32 v0, 0, v0
	v_add_f32_e32 v17, v17, v130
	v_mul_f32_e32 v135, v104, v73
	v_fmac_f32_e32 v134, v103, v14
	v_add_f32_e32 v0, v0, v1
	v_add_f32_e32 v1, v17, v132
	v_mul_f32_e32 v136, v106, v75
	v_fmac_f32_e32 v135, v105, v72
	v_add_f32_e32 v1, v1, v134
	v_mul_f32_e32 v137, v108, v77
	v_mul_f32_e32 v13, v101, v13
	v_fmac_f32_e32 v136, v107, v74
	v_add_f32_e32 v1, v1, v135
	v_mul_f32_e32 v138, v110, v79
	v_mul_f32_e32 v15, v103, v15
	v_fmac_f32_e32 v137, v109, v76
	v_fma_f32 v2, v100, v12, -v13
	v_add_f32_e32 v1, v1, v136
	v_mul_f32_e32 v73, v105, v73
	v_fmac_f32_e32 v138, v111, v78
	v_fma_f32 v3, v102, v14, -v15
	v_add_f32_e32 v0, v0, v2
	v_add_f32_e32 v1, v1, v137
	v_mul_f32_e32 v140, v114, v19
	v_mul_f32_e32 v75, v107, v75
	v_fma_f32 v12, v104, v72, -v73
	v_add_f32_e32 v0, v0, v3
	v_add_f32_e32 v1, v1, v138
	s_waitcnt vmcnt(7) lgkmcnt(2)
	v_mul_f32_e32 v141, v116, v81
	v_mul_f32_e32 v77, v109, v77
	v_fmac_f32_e32 v140, v115, v18
	v_fma_f32 v13, v106, v74, -v75
	v_add_f32_e32 v0, v0, v12
	v_add_f32_e32 v1, v1, v139
	v_mul_f32_e32 v142, v118, v83
	v_mul_f32_e32 v79, v111, v79
	v_fmac_f32_e32 v141, v117, v80
	v_fma_f32 v14, v108, v76, -v77
	v_add_f32_e32 v0, v0, v13
	v_add_f32_e32 v1, v1, v140
	s_waitcnt vmcnt(6) lgkmcnt(1)
	v_mul_f32_e32 v143, v120, v85
	v_fmac_f32_e32 v142, v119, v82
	v_fma_f32 v15, v110, v78, -v79
	v_add_f32_e32 v0, v0, v14
	v_add_f32_e32 v1, v1, v141
	v_mul_f32_e32 v19, v115, v19
	v_fmac_f32_e32 v143, v121, v84
	v_add_f32_e32 v0, v0, v15
	v_add_f32_e32 v1, v1, v142
	;; [unrolled: 1-line block ×4, first 2 shown]
	v_fma_f32 v1, v114, v18, -v19
	v_add_f32_e32 v0, v0, v1
	v_mul_f32_e32 v1, v117, v81
	v_fma_f32 v1, v116, v80, -v1
	v_add_f32_e32 v0, v0, v1
	v_mul_f32_e32 v1, v119, v83
	v_fma_f32 v1, v118, v82, -v1
	v_add_f32_e32 v0, v0, v1
	v_mul_f32_e32 v1, v121, v85
	v_fma_f32 v1, v120, v84, -v1
	v_add_f32_e32 v72, v0, v1
	v_mul_f32_e32 v0, v123, v87
	v_mul_f32_e32 v131, v122, v87
	v_fma_f32 v130, v122, v86, -v0
	s_waitcnt vmcnt(5) lgkmcnt(0)
	v_mul_f32_e32 v0, v125, v89
	v_mov_b32_e32 v76, v91
	v_mul_f32_e32 v133, v124, v89
	v_fmac_f32_e32 v131, v123, v86
	v_fma_f32 v132, v124, v88, -v0
	ds_read2_b64 v[0:3], v70 offset0:41 offset1:42
	ds_read2_b64 v[12:15], v70 offset0:43 offset1:44
	;; [unrolled: 1-line block ×3, first 2 shown]
	ds_read_b64 v[74:75], v70 offset:376
	v_pk_mul_f32 v[76:77], v[126:127], v[76:77] op_sel:[1,0] op_sel_hi:[0,0]
	v_fmac_f32_e32 v133, v125, v88
	v_pk_add_f32 v[72:73], v[72:73], v[130:131]
	v_pk_fma_f32 v[78:79], v[126:127], v[90:91], v[76:77] neg_lo:[0,0,1] neg_hi:[0,0,1]
	v_pk_fma_f32 v[76:77], v[126:127], v[90:91], v[76:77] op_sel_hi:[1,0,1]
	v_pk_add_f32 v[72:73], v[72:73], v[132:133]
	v_mov_b32_e32 v79, v77
	s_waitcnt vmcnt(4) lgkmcnt(3)
	v_pk_mul_f32 v[76:77], v[0:1], v[92:93] op_sel:[1,1] op_sel_hi:[0,1]
	v_pk_add_f32 v[72:73], v[72:73], v[78:79]
	v_pk_fma_f32 v[78:79], v[0:1], v[92:93], v[76:77] neg_lo:[0,0,1] neg_hi:[0,0,1]
	v_pk_fma_f32 v[0:1], v[0:1], v[92:93], v[76:77] op_sel_hi:[1,0,1]
	s_nop 0
	v_mov_b32_e32 v79, v1
	v_pk_add_f32 v[0:1], v[72:73], v[78:79]
	v_mov_b32_e32 v72, v95
	v_pk_mul_f32 v[72:73], v[2:3], v[72:73] op_sel:[1,0] op_sel_hi:[0,0]
	v_pk_fma_f32 v[76:77], v[2:3], v[94:95], v[72:73] neg_lo:[0,0,1] neg_hi:[0,0,1]
	v_pk_fma_f32 v[2:3], v[2:3], v[94:95], v[72:73] op_sel_hi:[1,0,1]
	s_nop 0
	v_mov_b32_e32 v77, v3
	s_waitcnt vmcnt(3) lgkmcnt(2)
	v_pk_mul_f32 v[2:3], v[12:13], v[8:9] op_sel:[1,1] op_sel_hi:[0,1]
	v_pk_fma_f32 v[72:73], v[12:13], v[8:9], v[2:3] neg_lo:[0,0,1] neg_hi:[0,0,1]
	v_pk_fma_f32 v[2:3], v[12:13], v[8:9], v[2:3] op_sel_hi:[1,0,1]
	v_pk_add_f32 v[0:1], v[0:1], v[76:77]
	v_mov_b32_e32 v2, v11
	v_mov_b32_e32 v73, v3
	v_pk_mul_f32 v[2:3], v[14:15], v[2:3] op_sel:[1,0] op_sel_hi:[0,0]
	v_pk_fma_f32 v[8:9], v[14:15], v[10:11], v[2:3] neg_lo:[0,0,1] neg_hi:[0,0,1]
	v_pk_fma_f32 v[2:3], v[14:15], v[10:11], v[2:3] op_sel_hi:[1,0,1]
	v_pk_add_f32 v[0:1], v[0:1], v[72:73]
	v_mov_b32_e32 v9, v3
	s_waitcnt vmcnt(2) lgkmcnt(1)
	v_pk_mul_f32 v[2:3], v[16:17], v[4:5] op_sel:[1,1] op_sel_hi:[0,1]
	v_pk_add_f32 v[0:1], v[0:1], v[8:9]
	v_pk_fma_f32 v[8:9], v[16:17], v[4:5], v[2:3] neg_lo:[0,0,1] neg_hi:[0,0,1]
	v_pk_fma_f32 v[2:3], v[16:17], v[4:5], v[2:3] op_sel_hi:[1,0,1]
	s_nop 0
	v_mov_b32_e32 v2, v7
	v_mov_b32_e32 v9, v3
	v_pk_mul_f32 v[2:3], v[18:19], v[2:3] op_sel:[1,0] op_sel_hi:[0,0]
	v_pk_fma_f32 v[4:5], v[18:19], v[6:7], v[2:3] neg_lo:[0,0,1] neg_hi:[0,0,1]
	v_pk_fma_f32 v[2:3], v[18:19], v[6:7], v[2:3] op_sel_hi:[1,0,1]
	v_pk_add_f32 v[0:1], v[0:1], v[8:9]
	v_mov_b32_e32 v5, v3
	s_waitcnt vmcnt(1) lgkmcnt(0)
	v_pk_mul_f32 v[2:3], v[74:75], v[68:69] op_sel:[1,1] op_sel_hi:[0,1]
	v_pk_add_f32 v[0:1], v[0:1], v[4:5]
	v_pk_fma_f32 v[4:5], v[74:75], v[68:69], v[2:3] neg_lo:[0,0,1] neg_hi:[0,0,1]
	v_pk_fma_f32 v[2:3], v[74:75], v[68:69], v[2:3] op_sel_hi:[1,0,1]
	s_nop 0
	v_mov_b32_e32 v5, v3
	v_pk_add_f32 v[0:1], v[0:1], v[4:5]
	s_waitcnt vmcnt(0)
	v_pk_add_f32 v[0:1], v[128:129], v[0:1] neg_lo:[0,1] neg_hi:[0,1]
	scratch_store_dwordx2 off, v[0:1], off
	s_cbranch_vccz .LBB87_204
; %bb.158:
	global_load_dword v0, v70, s[8:9] offset:88
	s_waitcnt vmcnt(0)
	v_readfirstlane_b32 s0, v0
	s_add_i32 s0, s0, -1
	s_cmp_lg_u32 s0, 22
	s_cbranch_scc0 .LBB87_160
; %bb.159:
	s_lshl_b32 s0, s0, 3
	s_nop 0
	scratch_load_dwordx2 v[0:1], off, s0
	scratch_load_dwordx2 v[2:3], off, off offset:176
	s_waitcnt vmcnt(1)
	scratch_store_dwordx2 off, v[0:1], off offset:176
	s_waitcnt vmcnt(1)
	scratch_store_dwordx2 off, v[2:3], s0
.LBB87_160:
	v_mov_b32_e32 v0, 0
	global_load_dword v1, v0, s[8:9] offset:84
	s_waitcnt vmcnt(0)
	v_readfirstlane_b32 s0, v1
	s_add_i32 s0, s0, -1
	s_cmp_eq_u32 s0, 21
	s_cbranch_scc1 .LBB87_162
; %bb.161:
	s_lshl_b32 s0, s0, 3
	s_nop 0
	scratch_load_dwordx2 v[2:3], off, s0
	scratch_load_dwordx2 v[4:5], off, off offset:168
	s_waitcnt vmcnt(1)
	scratch_store_dwordx2 off, v[2:3], off offset:168
	s_waitcnt vmcnt(1)
	scratch_store_dwordx2 off, v[4:5], s0
.LBB87_162:
	global_load_dword v0, v0, s[8:9] offset:80
	s_waitcnt vmcnt(0)
	v_readfirstlane_b32 s0, v0
	s_add_i32 s0, s0, -1
	s_cmp_eq_u32 s0, 20
	s_cbranch_scc1 .LBB87_164
; %bb.163:
	s_lshl_b32 s0, s0, 3
	s_nop 0
	scratch_load_dwordx2 v[0:1], off, s0
	scratch_load_dwordx2 v[2:3], off, off offset:160
	s_waitcnt vmcnt(1)
	scratch_store_dwordx2 off, v[0:1], off offset:160
	s_waitcnt vmcnt(1)
	scratch_store_dwordx2 off, v[2:3], s0
.LBB87_164:
	v_mov_b32_e32 v0, 0
	global_load_dword v1, v0, s[8:9] offset:76
	s_waitcnt vmcnt(0)
	v_readfirstlane_b32 s0, v1
	s_add_i32 s0, s0, -1
	s_cmp_eq_u32 s0, 19
	s_cbranch_scc1 .LBB87_166
; %bb.165:
	s_lshl_b32 s0, s0, 3
	s_nop 0
	scratch_load_dwordx2 v[2:3], off, s0
	scratch_load_dwordx2 v[4:5], off, off offset:152
	s_waitcnt vmcnt(1)
	scratch_store_dwordx2 off, v[2:3], off offset:152
	s_waitcnt vmcnt(1)
	scratch_store_dwordx2 off, v[4:5], s0
.LBB87_166:
	global_load_dword v0, v0, s[8:9] offset:72
	s_waitcnt vmcnt(0)
	v_readfirstlane_b32 s0, v0
	s_add_i32 s0, s0, -1
	s_cmp_eq_u32 s0, 18
	s_cbranch_scc1 .LBB87_168
; %bb.167:
	s_lshl_b32 s0, s0, 3
	s_nop 0
	scratch_load_dwordx2 v[0:1], off, s0
	scratch_load_dwordx2 v[2:3], off, off offset:144
	s_waitcnt vmcnt(1)
	scratch_store_dwordx2 off, v[0:1], off offset:144
	s_waitcnt vmcnt(1)
	scratch_store_dwordx2 off, v[2:3], s0
.LBB87_168:
	;; [unrolled: 33-line block ×10, first 2 shown]
	v_mov_b32_e32 v0, 0
	global_load_dword v1, v0, s[8:9] offset:4
	s_waitcnt vmcnt(0)
	v_readfirstlane_b32 s0, v1
	s_add_i32 s0, s0, -1
	s_cmp_eq_u32 s0, 1
	s_cbranch_scc1 .LBB87_202
; %bb.201:
	s_lshl_b32 s0, s0, 3
	s_nop 0
	scratch_load_dwordx2 v[2:3], off, s0
	scratch_load_dwordx2 v[4:5], off, off offset:8
	s_waitcnt vmcnt(1)
	scratch_store_dwordx2 off, v[2:3], off offset:8
	s_waitcnt vmcnt(1)
	scratch_store_dwordx2 off, v[4:5], s0
.LBB87_202:
	global_load_dword v2, v0, s[8:9]
	s_nop 0
	scratch_load_dwordx2 v[0:1], off, off
	s_waitcnt vmcnt(1)
	v_readfirstlane_b32 s0, v2
	s_add_i32 s0, s0, -1
	s_cmp_eq_u32 s0, 0
	s_cbranch_scc1 .LBB87_204
; %bb.203:
	s_lshl_b32 s0, s0, 3
	s_nop 0
	scratch_load_dwordx2 v[2:3], off, s0
	s_waitcnt vmcnt(0)
	scratch_store_dwordx2 off, v[2:3], off
	scratch_store_dwordx2 off, v[0:1], s0
	scratch_load_dwordx2 v[0:1], off, off
.LBB87_204:
	s_waitcnt vmcnt(0)
	flat_store_dwordx2 v[20:21], v[0:1]
	scratch_load_dwordx2 v[0:1], off, off offset:8
	s_waitcnt vmcnt(0)
	flat_store_dwordx2 v[22:23], v[0:1]
	scratch_load_dwordx2 v[0:1], off, off offset:16
	;; [unrolled: 3-line block ×23, first 2 shown]
	s_waitcnt vmcnt(0)
	flat_store_dwordx2 v[66:67], v[0:1]
	s_endpgm
	.section	.rodata,"a",@progbits
	.p2align	6, 0x0
	.amdhsa_kernel _ZN9rocsolver6v33100L18getri_kernel_smallILi24E19rocblas_complex_numIfEPKPS3_EEvT1_iilPiilS8_bb
		.amdhsa_group_segment_fixed_size 388
		.amdhsa_private_segment_fixed_size 208
		.amdhsa_kernarg_size 60
		.amdhsa_user_sgpr_count 2
		.amdhsa_user_sgpr_dispatch_ptr 0
		.amdhsa_user_sgpr_queue_ptr 0
		.amdhsa_user_sgpr_kernarg_segment_ptr 1
		.amdhsa_user_sgpr_dispatch_id 0
		.amdhsa_user_sgpr_kernarg_preload_length 0
		.amdhsa_user_sgpr_kernarg_preload_offset 0
		.amdhsa_user_sgpr_private_segment_size 0
		.amdhsa_uses_dynamic_stack 0
		.amdhsa_enable_private_segment 1
		.amdhsa_system_sgpr_workgroup_id_x 1
		.amdhsa_system_sgpr_workgroup_id_y 0
		.amdhsa_system_sgpr_workgroup_id_z 0
		.amdhsa_system_sgpr_workgroup_info 0
		.amdhsa_system_vgpr_workitem_id 0
		.amdhsa_next_free_vgpr 144
		.amdhsa_next_free_sgpr 17
		.amdhsa_accum_offset 144
		.amdhsa_reserve_vcc 1
		.amdhsa_float_round_mode_32 0
		.amdhsa_float_round_mode_16_64 0
		.amdhsa_float_denorm_mode_32 3
		.amdhsa_float_denorm_mode_16_64 3
		.amdhsa_dx10_clamp 1
		.amdhsa_ieee_mode 1
		.amdhsa_fp16_overflow 0
		.amdhsa_tg_split 0
		.amdhsa_exception_fp_ieee_invalid_op 0
		.amdhsa_exception_fp_denorm_src 0
		.amdhsa_exception_fp_ieee_div_zero 0
		.amdhsa_exception_fp_ieee_overflow 0
		.amdhsa_exception_fp_ieee_underflow 0
		.amdhsa_exception_fp_ieee_inexact 0
		.amdhsa_exception_int_div_zero 0
	.end_amdhsa_kernel
	.section	.text._ZN9rocsolver6v33100L18getri_kernel_smallILi24E19rocblas_complex_numIfEPKPS3_EEvT1_iilPiilS8_bb,"axG",@progbits,_ZN9rocsolver6v33100L18getri_kernel_smallILi24E19rocblas_complex_numIfEPKPS3_EEvT1_iilPiilS8_bb,comdat
.Lfunc_end87:
	.size	_ZN9rocsolver6v33100L18getri_kernel_smallILi24E19rocblas_complex_numIfEPKPS3_EEvT1_iilPiilS8_bb, .Lfunc_end87-_ZN9rocsolver6v33100L18getri_kernel_smallILi24E19rocblas_complex_numIfEPKPS3_EEvT1_iilPiilS8_bb
                                        ; -- End function
	.set _ZN9rocsolver6v33100L18getri_kernel_smallILi24E19rocblas_complex_numIfEPKPS3_EEvT1_iilPiilS8_bb.num_vgpr, 144
	.set _ZN9rocsolver6v33100L18getri_kernel_smallILi24E19rocblas_complex_numIfEPKPS3_EEvT1_iilPiilS8_bb.num_agpr, 0
	.set _ZN9rocsolver6v33100L18getri_kernel_smallILi24E19rocblas_complex_numIfEPKPS3_EEvT1_iilPiilS8_bb.numbered_sgpr, 17
	.set _ZN9rocsolver6v33100L18getri_kernel_smallILi24E19rocblas_complex_numIfEPKPS3_EEvT1_iilPiilS8_bb.num_named_barrier, 0
	.set _ZN9rocsolver6v33100L18getri_kernel_smallILi24E19rocblas_complex_numIfEPKPS3_EEvT1_iilPiilS8_bb.private_seg_size, 208
	.set _ZN9rocsolver6v33100L18getri_kernel_smallILi24E19rocblas_complex_numIfEPKPS3_EEvT1_iilPiilS8_bb.uses_vcc, 1
	.set _ZN9rocsolver6v33100L18getri_kernel_smallILi24E19rocblas_complex_numIfEPKPS3_EEvT1_iilPiilS8_bb.uses_flat_scratch, 0
	.set _ZN9rocsolver6v33100L18getri_kernel_smallILi24E19rocblas_complex_numIfEPKPS3_EEvT1_iilPiilS8_bb.has_dyn_sized_stack, 0
	.set _ZN9rocsolver6v33100L18getri_kernel_smallILi24E19rocblas_complex_numIfEPKPS3_EEvT1_iilPiilS8_bb.has_recursion, 0
	.set _ZN9rocsolver6v33100L18getri_kernel_smallILi24E19rocblas_complex_numIfEPKPS3_EEvT1_iilPiilS8_bb.has_indirect_call, 0
	.section	.AMDGPU.csdata,"",@progbits
; Kernel info:
; codeLenInByte = 23292
; TotalNumSgprs: 23
; NumVgprs: 144
; NumAgprs: 0
; TotalNumVgprs: 144
; ScratchSize: 208
; MemoryBound: 0
; FloatMode: 240
; IeeeMode: 1
; LDSByteSize: 388 bytes/workgroup (compile time only)
; SGPRBlocks: 2
; VGPRBlocks: 17
; NumSGPRsForWavesPerEU: 23
; NumVGPRsForWavesPerEU: 144
; AccumOffset: 144
; Occupancy: 3
; WaveLimiterHint : 1
; COMPUTE_PGM_RSRC2:SCRATCH_EN: 1
; COMPUTE_PGM_RSRC2:USER_SGPR: 2
; COMPUTE_PGM_RSRC2:TRAP_HANDLER: 0
; COMPUTE_PGM_RSRC2:TGID_X_EN: 1
; COMPUTE_PGM_RSRC2:TGID_Y_EN: 0
; COMPUTE_PGM_RSRC2:TGID_Z_EN: 0
; COMPUTE_PGM_RSRC2:TIDIG_COMP_CNT: 0
; COMPUTE_PGM_RSRC3_GFX90A:ACCUM_OFFSET: 35
; COMPUTE_PGM_RSRC3_GFX90A:TG_SPLIT: 0
	.section	.text._ZN9rocsolver6v33100L18getri_kernel_smallILi25E19rocblas_complex_numIfEPKPS3_EEvT1_iilPiilS8_bb,"axG",@progbits,_ZN9rocsolver6v33100L18getri_kernel_smallILi25E19rocblas_complex_numIfEPKPS3_EEvT1_iilPiilS8_bb,comdat
	.globl	_ZN9rocsolver6v33100L18getri_kernel_smallILi25E19rocblas_complex_numIfEPKPS3_EEvT1_iilPiilS8_bb ; -- Begin function _ZN9rocsolver6v33100L18getri_kernel_smallILi25E19rocblas_complex_numIfEPKPS3_EEvT1_iilPiilS8_bb
	.p2align	8
	.type	_ZN9rocsolver6v33100L18getri_kernel_smallILi25E19rocblas_complex_numIfEPKPS3_EEvT1_iilPiilS8_bb,@function
_ZN9rocsolver6v33100L18getri_kernel_smallILi25E19rocblas_complex_numIfEPKPS3_EEvT1_iilPiilS8_bb: ; @_ZN9rocsolver6v33100L18getri_kernel_smallILi25E19rocblas_complex_numIfEPKPS3_EEvT1_iilPiilS8_bb
; %bb.0:
	v_cmp_gt_u32_e32 vcc, 25, v0
	s_and_saveexec_b64 s[4:5], vcc
	s_cbranch_execz .LBB88_114
; %bb.1:
	s_load_dword s14, s[0:1], 0x38
	s_load_dwordx2 s[8:9], s[0:1], 0x0
	s_load_dwordx4 s[4:7], s[0:1], 0x28
	s_waitcnt lgkmcnt(0)
	s_bitcmp1_b32 s14, 8
	s_cselect_b64 s[10:11], -1, 0
	s_ashr_i32 s3, s2, 31
	s_lshl_b64 s[12:13], s[2:3], 3
	s_add_u32 s8, s8, s12
	s_addc_u32 s9, s9, s13
	s_load_dwordx2 s[12:13], s[8:9], 0x0
	s_bfe_u32 s8, s14, 0x10008
	s_cmp_eq_u32 s8, 0
                                        ; implicit-def: $sgpr8_sgpr9
	s_cbranch_scc1 .LBB88_3
; %bb.2:
	s_load_dword s8, s[0:1], 0x20
	s_load_dwordx2 s[14:15], s[0:1], 0x18
	s_mul_i32 s9, s4, s3
	s_mul_hi_u32 s16, s4, s2
	s_add_i32 s16, s16, s9
	s_mul_i32 s5, s5, s2
	s_add_i32 s5, s16, s5
	s_mul_i32 s4, s4, s2
	s_waitcnt lgkmcnt(0)
	s_ashr_i32 s9, s8, 31
	s_lshl_b64 s[4:5], s[4:5], 2
	s_add_u32 s14, s14, s4
	s_addc_u32 s15, s15, s5
	s_lshl_b64 s[4:5], s[8:9], 2
	s_add_u32 s8, s14, s4
	s_addc_u32 s9, s15, s5
.LBB88_3:
	s_load_dwordx2 s[4:5], s[0:1], 0x8
	s_load_dword s14, s[0:1], 0x38
	v_lshlrev_b32_e32 v2, 3, v0
	v_mov_b32_e32 v3, 0
	s_waitcnt lgkmcnt(0)
	s_ashr_i32 s1, s4, 31
	s_mov_b32 s0, s4
	s_lshl_b64 s[0:1], s[0:1], 3
	s_add_u32 s0, s12, s0
	s_addc_u32 s1, s13, s1
	v_lshl_add_u64 v[36:37], s[0:1], 0, v[2:3]
	flat_load_dwordx2 v[4:5], v[36:37]
	s_mov_b32 s12, s5
	s_ashr_i32 s13, s5, 31
	v_lshl_add_u64 v[38:39], s[12:13], 3, v[36:37]
	s_add_i32 s4, s5, s5
	v_add_u32_e32 v6, s4, v0
	v_ashrrev_i32_e32 v7, 31, v6
	v_lshl_add_u64 v[40:41], v[6:7], 3, s[0:1]
	v_add_u32_e32 v6, s5, v6
	v_ashrrev_i32_e32 v7, 31, v6
	v_lshl_add_u64 v[42:43], v[6:7], 3, s[0:1]
	;; [unrolled: 3-line block ×23, first 2 shown]
	s_bitcmp0_b32 s14, 0
	s_mov_b64 s[4:5], -1
	s_waitcnt vmcnt(0) lgkmcnt(0)
	scratch_store_dwordx2 off, v[4:5], off
	flat_load_dwordx2 v[4:5], v[38:39]
	s_waitcnt vmcnt(0) lgkmcnt(0)
	scratch_store_dwordx2 off, v[4:5], off offset:8
	flat_load_dwordx2 v[4:5], v[40:41]
	s_waitcnt vmcnt(0) lgkmcnt(0)
	scratch_store_dwordx2 off, v[4:5], off offset:16
	;; [unrolled: 3-line block ×24, first 2 shown]
	s_cbranch_scc1 .LBB88_112
; %bb.4:
	v_cmp_eq_u32_e64 s[0:1], 0, v0
	s_and_saveexec_b64 s[4:5], s[0:1]
; %bb.5:
	v_mov_b32_e32 v1, 0
	ds_write_b32 v1, v1 offset:200
; %bb.6:
	s_or_b64 exec, exec, s[4:5]
	s_waitcnt lgkmcnt(0)
	; wave barrier
	scratch_load_dwordx2 v[4:5], v2, off
	s_waitcnt vmcnt(0)
	v_cmp_eq_f32_e32 vcc, 0, v4
	v_cmp_eq_f32_e64 s[4:5], 0, v5
	s_and_b64 s[4:5], vcc, s[4:5]
	s_and_saveexec_b64 s[12:13], s[4:5]
	s_cbranch_execz .LBB88_10
; %bb.7:
	v_mov_b32_e32 v1, 0
	ds_read_b32 v4, v1 offset:200
	v_add_u32_e32 v3, 1, v0
	s_waitcnt lgkmcnt(0)
	v_readfirstlane_b32 s4, v4
	s_cmp_eq_u32 s4, 0
	s_cselect_b64 s[14:15], -1, 0
	v_cmp_gt_i32_e32 vcc, s4, v3
	s_or_b64 s[14:15], s[14:15], vcc
	s_and_b64 exec, exec, s[14:15]
	s_cbranch_execz .LBB88_10
; %bb.8:
	s_mov_b64 s[14:15], 0
	v_mov_b32_e32 v4, s4
.LBB88_9:                               ; =>This Inner Loop Header: Depth=1
	ds_cmpst_rtn_b32 v4, v1, v4, v3 offset:200
	s_waitcnt lgkmcnt(0)
	v_cmp_ne_u32_e32 vcc, 0, v4
	v_cmp_le_i32_e64 s[4:5], v4, v3
	s_and_b64 s[4:5], vcc, s[4:5]
	s_and_b64 s[4:5], exec, s[4:5]
	s_or_b64 s[14:15], s[4:5], s[14:15]
	s_andn2_b64 exec, exec, s[14:15]
	s_cbranch_execnz .LBB88_9
.LBB88_10:
	s_or_b64 exec, exec, s[12:13]
	v_mov_b32_e32 v3, 0
	; wave barrier
	ds_read_b32 v1, v3 offset:200
	s_and_saveexec_b64 s[4:5], s[0:1]
	s_cbranch_execz .LBB88_12
; %bb.11:
	s_lshl_b64 s[12:13], s[2:3], 2
	s_add_u32 s12, s6, s12
	s_addc_u32 s13, s7, s13
	s_waitcnt lgkmcnt(0)
	global_store_dword v3, v1, s[12:13]
.LBB88_12:
	s_or_b64 exec, exec, s[4:5]
	s_waitcnt lgkmcnt(0)
	v_cmp_ne_u32_e32 vcc, 0, v1
	s_mov_b64 s[4:5], 0
	s_cbranch_vccnz .LBB88_112
; %bb.13:
	v_mov_b32_e32 v3, v2
	scratch_load_dwordx2 v[4:5], v3, off
                                        ; implicit-def: $vgpr7
                                        ; implicit-def: $vgpr8
	s_waitcnt vmcnt(0)
	v_cmp_ngt_f32_e64 s[4:5], |v4|, |v5|
	s_and_saveexec_b64 s[12:13], s[4:5]
	s_xor_b64 s[4:5], exec, s[12:13]
	s_cbranch_execz .LBB88_15
; %bb.14:
	v_div_scale_f32 v1, s[12:13], v5, v5, v4
	v_rcp_f32_e32 v6, v1
	v_div_scale_f32 v7, vcc, v4, v5, v4
	v_fma_f32 v8, -v1, v6, 1.0
	v_fmac_f32_e32 v6, v8, v6
	v_mul_f32_e32 v8, v7, v6
	v_fma_f32 v9, -v1, v8, v7
	v_fmac_f32_e32 v8, v9, v6
	v_fma_f32 v1, -v1, v8, v7
	v_div_fmas_f32 v1, v1, v6, v8
	v_div_fixup_f32 v1, v1, v5, v4
	v_fmac_f32_e32 v5, v4, v1
	v_div_scale_f32 v4, s[12:13], v5, v5, -1.0
	v_rcp_f32_e32 v6, v4
	s_nop 0
	v_fma_f32 v7, -v4, v6, 1.0
	v_fmac_f32_e32 v6, v7, v6
	v_div_scale_f32 v7, vcc, -1.0, v5, -1.0
	v_mul_f32_e32 v8, v7, v6
	v_fma_f32 v9, -v4, v8, v7
	v_fmac_f32_e32 v8, v9, v6
	v_fma_f32 v4, -v4, v8, v7
	v_div_fmas_f32 v4, v4, v6, v8
	v_div_fixup_f32 v7, v4, v5, -1.0
	v_mul_f32_e32 v8, v1, v7
	v_xor_b32_e32 v6, 0x80000000, v8
                                        ; implicit-def: $vgpr4_vgpr5
.LBB88_15:
	s_andn2_saveexec_b64 s[4:5], s[4:5]
	s_cbranch_execz .LBB88_17
; %bb.16:
	v_div_scale_f32 v1, s[12:13], v4, v4, v5
	v_rcp_f32_e32 v6, v1
	v_div_scale_f32 v7, vcc, v5, v4, v5
	v_fma_f32 v8, -v1, v6, 1.0
	v_fmac_f32_e32 v6, v8, v6
	v_mul_f32_e32 v8, v7, v6
	v_fma_f32 v9, -v1, v8, v7
	v_fmac_f32_e32 v8, v9, v6
	v_fma_f32 v1, -v1, v8, v7
	v_div_fmas_f32 v1, v1, v6, v8
	v_div_fixup_f32 v1, v1, v4, v5
	v_fmac_f32_e32 v4, v5, v1
	v_div_scale_f32 v5, s[12:13], v4, v4, 1.0
	v_rcp_f32_e32 v6, v5
	s_nop 0
	v_fma_f32 v7, -v5, v6, 1.0
	v_fmac_f32_e32 v6, v7, v6
	v_div_scale_f32 v7, vcc, 1.0, v4, 1.0
	v_mul_f32_e32 v8, v7, v6
	v_fma_f32 v9, -v5, v8, v7
	v_fmac_f32_e32 v8, v9, v6
	v_fma_f32 v5, -v5, v8, v7
	v_div_fmas_f32 v5, v5, v6, v8
	v_div_fixup_f32 v6, v5, v4, 1.0
	v_xor_b32_e32 v8, 0x80000000, v6
	v_mul_f32_e64 v7, v1, -v6
.LBB88_17:
	s_or_b64 exec, exec, s[4:5]
	scratch_store_dwordx2 v3, v[6:7], off
	scratch_load_dwordx2 v[4:5], off, off offset:8
	v_xor_b32_e32 v9, 0x80000000, v7
	v_add_u32_e32 v1, 0xd0, v2
	s_waitcnt vmcnt(0)
	ds_write2_b64 v2, v[8:9], v[4:5] offset1:26
	s_waitcnt lgkmcnt(0)
	; wave barrier
	s_and_saveexec_b64 s[4:5], s[0:1]
	s_cbranch_execz .LBB88_19
; %bb.18:
	scratch_load_dwordx2 v[4:5], v3, off
	ds_read_b64 v[6:7], v1
	v_mov_b32_e32 v8, 0
	ds_read_b64 v[8:9], v8 offset:8
	s_waitcnt vmcnt(0) lgkmcnt(1)
	v_pk_mul_f32 v[10:11], v[6:7], v[4:5] op_sel:[1,1] op_sel_hi:[0,1]
	v_pk_fma_f32 v[12:13], v[6:7], v[4:5], v[10:11] neg_lo:[0,0,1] neg_hi:[0,0,1]
	v_pk_fma_f32 v[4:5], v[6:7], v[4:5], v[10:11] op_sel_hi:[1,0,1]
	s_nop 0
	v_mov_b32_e32 v13, v5
	v_pk_add_f32 v[4:5], v[12:13], 0 op_sel_hi:[1,0]
	s_waitcnt lgkmcnt(0)
	v_pk_mul_f32 v[6:7], v[4:5], v[8:9] op_sel:[1,1] op_sel_hi:[0,1]
	v_pk_fma_f32 v[10:11], v[4:5], v[8:9], v[6:7] neg_lo:[0,0,1] neg_hi:[0,0,1]
	v_pk_fma_f32 v[4:5], v[4:5], v[8:9], v[6:7] op_sel_hi:[1,0,1]
	s_nop 0
	v_mov_b32_e32 v11, v5
	scratch_store_dwordx2 off, v[10:11], off offset:8
.LBB88_19:
	s_or_b64 exec, exec, s[4:5]
	; wave barrier
	scratch_load_dwordx2 v[4:5], off, off offset:16
	v_cmp_gt_u32_e32 vcc, 2, v0
	s_waitcnt vmcnt(0)
	ds_write_b64 v1, v[4:5]
	s_waitcnt lgkmcnt(0)
	; wave barrier
	s_and_saveexec_b64 s[4:5], vcc
	s_cbranch_execz .LBB88_23
; %bb.20:
	scratch_load_dwordx2 v[4:5], v3, off
	ds_read_b64 v[6:7], v1
	s_waitcnt vmcnt(0) lgkmcnt(0)
	v_pk_mul_f32 v[8:9], v[6:7], v[4:5] op_sel:[1,1] op_sel_hi:[0,1]
	v_pk_fma_f32 v[10:11], v[6:7], v[4:5], v[8:9] neg_lo:[0,0,1] neg_hi:[0,0,1]
	v_pk_fma_f32 v[4:5], v[6:7], v[4:5], v[8:9] op_sel_hi:[1,0,1]
	s_nop 0
	v_mov_b32_e32 v11, v5
	v_pk_add_f32 v[4:5], v[10:11], 0 op_sel_hi:[1,0]
	s_and_saveexec_b64 s[12:13], s[0:1]
	s_cbranch_execz .LBB88_22
; %bb.21:
	scratch_load_dwordx2 v[6:7], off, off offset:8
	v_mov_b32_e32 v3, 0
	ds_read_b64 v[8:9], v3 offset:216
	s_waitcnt vmcnt(0) lgkmcnt(0)
	v_pk_mul_f32 v[10:11], v[8:9], v[6:7] op_sel:[1,1] op_sel_hi:[0,1]
	v_pk_fma_f32 v[12:13], v[8:9], v[6:7], v[10:11] neg_lo:[0,0,1] neg_hi:[0,0,1]
	v_pk_fma_f32 v[6:7], v[8:9], v[6:7], v[10:11] op_sel_hi:[1,0,1]
	s_nop 0
	v_mov_b32_e32 v13, v7
	v_pk_add_f32 v[4:5], v[4:5], v[12:13]
.LBB88_22:
	s_or_b64 exec, exec, s[12:13]
	v_mov_b32_e32 v3, 0
	ds_read_b64 v[6:7], v3 offset:16
	s_waitcnt lgkmcnt(0)
	v_pk_mul_f32 v[8:9], v[4:5], v[6:7] op_sel:[1,1] op_sel_hi:[0,1]
	v_pk_fma_f32 v[10:11], v[4:5], v[6:7], v[8:9] neg_lo:[0,0,1] neg_hi:[0,0,1]
	v_pk_fma_f32 v[4:5], v[4:5], v[6:7], v[8:9] op_sel_hi:[1,0,1]
	s_nop 0
	v_mov_b32_e32 v11, v5
	scratch_store_dwordx2 off, v[10:11], off offset:16
.LBB88_23:
	s_or_b64 exec, exec, s[4:5]
	; wave barrier
	scratch_load_dwordx2 v[4:5], off, off offset:24
	v_cmp_gt_u32_e32 vcc, 3, v0
	v_add_u32_e32 v6, -1, v0
	s_waitcnt vmcnt(0)
	ds_write_b64 v1, v[4:5]
	s_waitcnt lgkmcnt(0)
	; wave barrier
	s_and_saveexec_b64 s[0:1], vcc
	s_cbranch_execz .LBB88_27
; %bb.24:
	v_mov_b32_e32 v4, 0
	v_add_u32_e32 v3, -1, v0
	v_add_u32_e32 v7, 0xd0, v2
	v_mov_b32_e32 v8, v2
	s_mov_b64 s[4:5], 0
	v_mov_b32_e32 v5, v4
.LBB88_25:                              ; =>This Inner Loop Header: Depth=1
	scratch_load_dwordx2 v[10:11], v8, off
	ds_read_b64 v[12:13], v7
	v_add_u32_e32 v3, 1, v3
	v_cmp_lt_u32_e32 vcc, 1, v3
	v_add_u32_e32 v7, 8, v7
	v_add_u32_e32 v8, 8, v8
	s_or_b64 s[4:5], vcc, s[4:5]
	s_waitcnt vmcnt(0) lgkmcnt(0)
	v_pk_mul_f32 v[14:15], v[12:13], v[10:11] op_sel:[1,1] op_sel_hi:[0,1]
	v_pk_fma_f32 v[16:17], v[12:13], v[10:11], v[14:15] neg_lo:[0,0,1] neg_hi:[0,0,1]
	v_pk_fma_f32 v[10:11], v[12:13], v[10:11], v[14:15] op_sel_hi:[1,0,1]
	s_nop 0
	v_mov_b32_e32 v17, v11
	v_pk_add_f32 v[4:5], v[4:5], v[16:17]
	s_andn2_b64 exec, exec, s[4:5]
	s_cbranch_execnz .LBB88_25
; %bb.26:
	s_or_b64 exec, exec, s[4:5]
	v_mov_b32_e32 v3, 0
	ds_read_b64 v[8:9], v3 offset:24
	s_waitcnt lgkmcnt(0)
	v_pk_mul_f32 v[10:11], v[4:5], v[8:9] op_sel:[1,1] op_sel_hi:[0,1]
	v_pk_fma_f32 v[12:13], v[4:5], v[8:9], v[10:11] neg_lo:[0,0,1] neg_hi:[0,0,1]
	v_pk_fma_f32 v[4:5], v[4:5], v[8:9], v[10:11] op_sel_hi:[1,0,1]
	s_nop 0
	v_mov_b32_e32 v13, v5
	scratch_store_dwordx2 off, v[12:13], off offset:24
.LBB88_27:
	s_or_b64 exec, exec, s[0:1]
	; wave barrier
	scratch_load_dwordx2 v[4:5], off, off offset:32
	v_cmp_gt_u32_e32 vcc, 4, v0
	s_waitcnt vmcnt(0)
	ds_write_b64 v1, v[4:5]
	s_waitcnt lgkmcnt(0)
	; wave barrier
	s_and_saveexec_b64 s[0:1], vcc
	s_cbranch_execz .LBB88_31
; %bb.28:
	v_mov_b32_e32 v4, 0
	v_add_u32_e32 v3, -1, v0
	v_add_u32_e32 v7, 0xd0, v2
	v_mov_b32_e32 v8, v2
	s_mov_b64 s[4:5], 0
	v_mov_b32_e32 v5, v4
.LBB88_29:                              ; =>This Inner Loop Header: Depth=1
	scratch_load_dwordx2 v[10:11], v8, off
	ds_read_b64 v[12:13], v7
	v_add_u32_e32 v3, 1, v3
	v_cmp_lt_u32_e32 vcc, 2, v3
	v_add_u32_e32 v7, 8, v7
	v_add_u32_e32 v8, 8, v8
	s_or_b64 s[4:5], vcc, s[4:5]
	s_waitcnt vmcnt(0) lgkmcnt(0)
	v_pk_mul_f32 v[14:15], v[12:13], v[10:11] op_sel:[1,1] op_sel_hi:[0,1]
	v_pk_fma_f32 v[16:17], v[12:13], v[10:11], v[14:15] neg_lo:[0,0,1] neg_hi:[0,0,1]
	v_pk_fma_f32 v[10:11], v[12:13], v[10:11], v[14:15] op_sel_hi:[1,0,1]
	s_nop 0
	v_mov_b32_e32 v17, v11
	v_pk_add_f32 v[4:5], v[4:5], v[16:17]
	s_andn2_b64 exec, exec, s[4:5]
	s_cbranch_execnz .LBB88_29
; %bb.30:
	s_or_b64 exec, exec, s[4:5]
	v_mov_b32_e32 v3, 0
	ds_read_b64 v[8:9], v3 offset:32
	s_waitcnt lgkmcnt(0)
	v_pk_mul_f32 v[10:11], v[4:5], v[8:9] op_sel:[1,1] op_sel_hi:[0,1]
	v_pk_fma_f32 v[12:13], v[4:5], v[8:9], v[10:11] neg_lo:[0,0,1] neg_hi:[0,0,1]
	v_pk_fma_f32 v[4:5], v[4:5], v[8:9], v[10:11] op_sel_hi:[1,0,1]
	s_nop 0
	v_mov_b32_e32 v13, v5
	scratch_store_dwordx2 off, v[12:13], off offset:32
.LBB88_31:
	s_or_b64 exec, exec, s[0:1]
	; wave barrier
	scratch_load_dwordx2 v[4:5], off, off offset:40
	v_cmp_gt_u32_e32 vcc, 5, v0
	;; [unrolled: 46-line block ×19, first 2 shown]
	s_waitcnt vmcnt(0)
	ds_write_b64 v1, v[4:5]
	s_waitcnt lgkmcnt(0)
	; wave barrier
	s_and_saveexec_b64 s[0:1], vcc
	s_cbranch_execz .LBB88_103
; %bb.100:
	v_mov_b32_e32 v4, 0
	v_add_u32_e32 v3, -1, v0
	v_add_u32_e32 v7, 0xd0, v2
	v_mov_b32_e32 v8, v2
	s_mov_b64 s[4:5], 0
	v_mov_b32_e32 v5, v4
.LBB88_101:                             ; =>This Inner Loop Header: Depth=1
	scratch_load_dwordx2 v[10:11], v8, off
	ds_read_b64 v[12:13], v7
	v_add_u32_e32 v3, 1, v3
	v_cmp_lt_u32_e32 vcc, 20, v3
	v_add_u32_e32 v7, 8, v7
	v_add_u32_e32 v8, 8, v8
	s_or_b64 s[4:5], vcc, s[4:5]
	s_waitcnt vmcnt(0) lgkmcnt(0)
	v_pk_mul_f32 v[14:15], v[12:13], v[10:11] op_sel:[1,1] op_sel_hi:[0,1]
	v_pk_fma_f32 v[16:17], v[12:13], v[10:11], v[14:15] neg_lo:[0,0,1] neg_hi:[0,0,1]
	v_pk_fma_f32 v[10:11], v[12:13], v[10:11], v[14:15] op_sel_hi:[1,0,1]
	s_nop 0
	v_mov_b32_e32 v17, v11
	v_pk_add_f32 v[4:5], v[4:5], v[16:17]
	s_andn2_b64 exec, exec, s[4:5]
	s_cbranch_execnz .LBB88_101
; %bb.102:
	s_or_b64 exec, exec, s[4:5]
	v_mov_b32_e32 v3, 0
	ds_read_b64 v[8:9], v3 offset:176
	s_waitcnt lgkmcnt(0)
	v_pk_mul_f32 v[10:11], v[4:5], v[8:9] op_sel:[1,1] op_sel_hi:[0,1]
	v_pk_fma_f32 v[12:13], v[4:5], v[8:9], v[10:11] neg_lo:[0,0,1] neg_hi:[0,0,1]
	v_pk_fma_f32 v[4:5], v[4:5], v[8:9], v[10:11] op_sel_hi:[1,0,1]
	s_nop 0
	v_mov_b32_e32 v13, v5
	scratch_store_dwordx2 off, v[12:13], off offset:176
.LBB88_103:
	s_or_b64 exec, exec, s[0:1]
	; wave barrier
	scratch_load_dwordx2 v[4:5], off, off offset:184
	v_cmp_gt_u32_e32 vcc, 23, v0
	s_waitcnt vmcnt(0)
	ds_write_b64 v1, v[4:5]
	s_waitcnt lgkmcnt(0)
	; wave barrier
	s_and_saveexec_b64 s[0:1], vcc
	s_cbranch_execz .LBB88_107
; %bb.104:
	v_mov_b32_e32 v4, 0
	v_add_u32_e32 v3, -1, v0
	v_add_u32_e32 v7, 0xd0, v2
	v_mov_b32_e32 v8, v2
	s_mov_b64 s[4:5], 0
	v_mov_b32_e32 v5, v4
.LBB88_105:                             ; =>This Inner Loop Header: Depth=1
	scratch_load_dwordx2 v[10:11], v8, off
	ds_read_b64 v[12:13], v7
	v_add_u32_e32 v3, 1, v3
	v_cmp_lt_u32_e32 vcc, 21, v3
	v_add_u32_e32 v7, 8, v7
	v_add_u32_e32 v8, 8, v8
	s_or_b64 s[4:5], vcc, s[4:5]
	s_waitcnt vmcnt(0) lgkmcnt(0)
	v_pk_mul_f32 v[14:15], v[12:13], v[10:11] op_sel:[1,1] op_sel_hi:[0,1]
	v_pk_fma_f32 v[16:17], v[12:13], v[10:11], v[14:15] neg_lo:[0,0,1] neg_hi:[0,0,1]
	v_pk_fma_f32 v[10:11], v[12:13], v[10:11], v[14:15] op_sel_hi:[1,0,1]
	s_nop 0
	v_mov_b32_e32 v17, v11
	v_pk_add_f32 v[4:5], v[4:5], v[16:17]
	s_andn2_b64 exec, exec, s[4:5]
	s_cbranch_execnz .LBB88_105
; %bb.106:
	s_or_b64 exec, exec, s[4:5]
	v_mov_b32_e32 v3, 0
	ds_read_b64 v[8:9], v3 offset:184
	s_waitcnt lgkmcnt(0)
	v_pk_mul_f32 v[10:11], v[4:5], v[8:9] op_sel:[1,1] op_sel_hi:[0,1]
	v_pk_fma_f32 v[12:13], v[4:5], v[8:9], v[10:11] neg_lo:[0,0,1] neg_hi:[0,0,1]
	v_pk_fma_f32 v[4:5], v[4:5], v[8:9], v[10:11] op_sel_hi:[1,0,1]
	s_nop 0
	v_mov_b32_e32 v13, v5
	scratch_store_dwordx2 off, v[12:13], off offset:184
.LBB88_107:
	s_or_b64 exec, exec, s[0:1]
	; wave barrier
	scratch_load_dwordx2 v[4:5], off, off offset:192
	v_cmp_ne_u32_e32 vcc, 24, v0
	s_waitcnt vmcnt(0)
	ds_write_b64 v1, v[4:5]
	s_waitcnt lgkmcnt(0)
	; wave barrier
	s_and_saveexec_b64 s[0:1], vcc
	s_cbranch_execz .LBB88_111
; %bb.108:
	v_add_u32_e32 v1, 0xd0, v2
	v_mov_b32_e32 v4, v2
	v_mov_b32_e32 v2, 0
	s_mov_b64 s[4:5], 0
	v_mov_b32_e32 v3, v2
.LBB88_109:                             ; =>This Inner Loop Header: Depth=1
	scratch_load_dwordx2 v[8:9], v4, off
	ds_read_b64 v[10:11], v1
	v_add_u32_e32 v6, 1, v6
	v_cmp_lt_u32_e32 vcc, 22, v6
	v_add_u32_e32 v1, 8, v1
	v_add_u32_e32 v4, 8, v4
	s_or_b64 s[4:5], vcc, s[4:5]
	s_waitcnt vmcnt(0) lgkmcnt(0)
	v_pk_mul_f32 v[12:13], v[10:11], v[8:9] op_sel:[1,1] op_sel_hi:[0,1]
	v_pk_fma_f32 v[14:15], v[10:11], v[8:9], v[12:13] neg_lo:[0,0,1] neg_hi:[0,0,1]
	v_pk_fma_f32 v[8:9], v[10:11], v[8:9], v[12:13] op_sel_hi:[1,0,1]
	s_nop 0
	v_mov_b32_e32 v15, v9
	v_pk_add_f32 v[2:3], v[2:3], v[14:15]
	s_andn2_b64 exec, exec, s[4:5]
	s_cbranch_execnz .LBB88_109
; %bb.110:
	s_or_b64 exec, exec, s[4:5]
	v_mov_b32_e32 v1, 0
	ds_read_b64 v[4:5], v1 offset:192
	s_waitcnt lgkmcnt(0)
	v_pk_mul_f32 v[6:7], v[2:3], v[4:5] op_sel:[1,1] op_sel_hi:[0,1]
	v_pk_fma_f32 v[8:9], v[2:3], v[4:5], v[6:7] neg_lo:[0,0,1] neg_hi:[0,0,1]
	v_pk_fma_f32 v[2:3], v[2:3], v[4:5], v[6:7] op_sel_hi:[1,0,1]
	s_nop 0
	v_mov_b32_e32 v9, v3
	scratch_store_dwordx2 off, v[8:9], off offset:192
.LBB88_111:
	s_or_b64 exec, exec, s[0:1]
	s_mov_b64 s[4:5], -1
	; wave barrier
.LBB88_112:
	s_and_b64 vcc, exec, s[4:5]
	s_cbranch_vccz .LBB88_114
; %bb.113:
	s_lshl_b64 s[0:1], s[2:3], 2
	s_add_u32 s0, s6, s0
	s_addc_u32 s1, s7, s1
	v_mov_b32_e32 v1, 0
	global_load_dword v1, v1, s[0:1]
	s_waitcnt vmcnt(0)
	v_cmp_ne_u32_e32 vcc, 0, v1
	s_cbranch_vccz .LBB88_115
.LBB88_114:
	s_endpgm
.LBB88_115:
	v_mov_b32_e32 v1, 0xd0
	v_lshl_add_u32 v1, v0, 3, v1
	v_cmp_eq_u32_e32 vcc, 24, v0
	s_and_saveexec_b64 s[0:1], vcc
	s_cbranch_execz .LBB88_117
; %bb.116:
	scratch_load_dwordx2 v[2:3], off, off offset:184
	v_mov_b32_e32 v4, 0
	v_mov_b32_e32 v5, v4
	scratch_store_dwordx2 off, v[4:5], off offset:184
	s_waitcnt vmcnt(1)
	ds_write_b64 v1, v[2:3]
.LBB88_117:
	s_or_b64 exec, exec, s[0:1]
	s_waitcnt lgkmcnt(0)
	; wave barrier
	scratch_load_dwordx2 v[4:5], off, off offset:192
	scratch_load_dwordx2 v[6:7], off, off offset:184
	v_mov_b32_e32 v2, 0
	ds_read_b64 v[8:9], v2 offset:400
	v_cmp_lt_u32_e32 vcc, 22, v0
	s_waitcnt vmcnt(1) lgkmcnt(0)
	v_pk_mul_f32 v[10:11], v[8:9], v[4:5] op_sel:[1,1] op_sel_hi:[0,1]
	v_pk_fma_f32 v[12:13], v[8:9], v[4:5], v[10:11] neg_lo:[0,0,1] neg_hi:[0,0,1]
	v_pk_fma_f32 v[4:5], v[8:9], v[4:5], v[10:11] op_sel_hi:[1,0,1]
	s_nop 0
	v_mov_b32_e32 v13, v5
	v_pk_add_f32 v[4:5], v[12:13], 0 op_sel_hi:[1,0]
	s_waitcnt vmcnt(0)
	v_pk_add_f32 v[4:5], v[6:7], v[4:5] neg_lo:[0,1] neg_hi:[0,1]
	scratch_store_dwordx2 off, v[4:5], off offset:184
	s_and_saveexec_b64 s[0:1], vcc
	s_cbranch_execz .LBB88_119
; %bb.118:
	scratch_load_dwordx2 v[4:5], off, off offset:176
	v_mov_b32_e32 v3, v2
	scratch_store_dwordx2 off, v[2:3], off offset:176
	s_waitcnt vmcnt(1)
	ds_write_b64 v1, v[4:5]
.LBB88_119:
	s_or_b64 exec, exec, s[0:1]
	s_waitcnt lgkmcnt(0)
	; wave barrier
	scratch_load_dwordx4 v[4:7], off, off offset:184
	scratch_load_dwordx2 v[12:13], off, off offset:176
	ds_read2_b64 v[8:11], v2 offset0:49 offset1:50
	v_cmp_lt_u32_e32 vcc, 21, v0
	s_waitcnt vmcnt(1) lgkmcnt(0)
	v_pk_mul_f32 v[2:3], v[8:9], v[4:5] op_sel:[1,1] op_sel_hi:[0,1]
	v_mov_b32_e32 v14, v7
	v_pk_fma_f32 v[16:17], v[8:9], v[4:5], v[2:3] neg_lo:[0,0,1] neg_hi:[0,0,1]
	v_pk_fma_f32 v[2:3], v[8:9], v[4:5], v[2:3] op_sel_hi:[1,0,1]
	v_pk_mul_f32 v[4:5], v[10:11], v[14:15] op_sel:[1,0] op_sel_hi:[0,0]
	v_mov_b32_e32 v17, v3
	v_pk_fma_f32 v[2:3], v[10:11], v[6:7], v[4:5] neg_lo:[0,0,1] neg_hi:[0,0,1]
	v_pk_fma_f32 v[4:5], v[10:11], v[6:7], v[4:5] op_sel_hi:[1,0,1]
	v_pk_add_f32 v[6:7], v[16:17], 0 op_sel_hi:[1,0]
	v_mov_b32_e32 v3, v5
	v_pk_add_f32 v[2:3], v[6:7], v[2:3]
	s_waitcnt vmcnt(0)
	v_pk_add_f32 v[2:3], v[12:13], v[2:3] neg_lo:[0,1] neg_hi:[0,1]
	scratch_store_dwordx2 off, v[2:3], off offset:176
	s_and_saveexec_b64 s[0:1], vcc
	s_cbranch_execz .LBB88_121
; %bb.120:
	scratch_load_dwordx2 v[2:3], off, off offset:168
	v_mov_b32_e32 v4, 0
	v_mov_b32_e32 v5, v4
	scratch_store_dwordx2 off, v[4:5], off offset:168
	s_waitcnt vmcnt(1)
	ds_write_b64 v1, v[2:3]
.LBB88_121:
	s_or_b64 exec, exec, s[0:1]
	s_waitcnt lgkmcnt(0)
	; wave barrier
	scratch_load_dwordx4 v[4:7], off, off offset:176
	scratch_load_dwordx2 v[12:13], off, off offset:192
	scratch_load_dwordx2 v[14:15], off, off offset:168
	v_mov_b32_e32 v2, 0
	ds_read_b128 v[8:11], v2 offset:384
	ds_read_b64 v[16:17], v2 offset:400
	v_cmp_lt_u32_e32 vcc, 20, v0
	s_waitcnt vmcnt(2) lgkmcnt(1)
	v_pk_mul_f32 v[18:19], v[8:9], v[4:5] op_sel:[1,1] op_sel_hi:[0,1]
	v_mov_b32_e32 v20, v7
	v_pk_fma_f32 v[24:25], v[8:9], v[4:5], v[18:19] neg_lo:[0,0,1] neg_hi:[0,0,1]
	v_pk_fma_f32 v[4:5], v[8:9], v[4:5], v[18:19] op_sel_hi:[1,0,1]
	v_pk_mul_f32 v[8:9], v[10:11], v[20:21] op_sel:[1,0] op_sel_hi:[0,0]
	s_waitcnt vmcnt(1) lgkmcnt(0)
	v_pk_mul_f32 v[22:23], v[16:17], v[12:13] op_sel:[1,1] op_sel_hi:[0,1]
	v_mov_b32_e32 v25, v5
	v_pk_fma_f32 v[4:5], v[10:11], v[6:7], v[8:9] neg_lo:[0,0,1] neg_hi:[0,0,1]
	v_pk_fma_f32 v[6:7], v[10:11], v[6:7], v[8:9] op_sel_hi:[1,0,1]
	v_pk_fma_f32 v[18:19], v[16:17], v[12:13], v[22:23] neg_lo:[0,0,1] neg_hi:[0,0,1]
	v_pk_fma_f32 v[12:13], v[16:17], v[12:13], v[22:23] op_sel_hi:[1,0,1]
	v_pk_add_f32 v[8:9], v[24:25], 0 op_sel_hi:[1,0]
	v_mov_b32_e32 v5, v7
	v_mov_b32_e32 v19, v13
	v_pk_add_f32 v[4:5], v[8:9], v[4:5]
	s_nop 0
	v_pk_add_f32 v[4:5], v[4:5], v[18:19]
	s_waitcnt vmcnt(0)
	v_pk_add_f32 v[4:5], v[14:15], v[4:5] neg_lo:[0,1] neg_hi:[0,1]
	scratch_store_dwordx2 off, v[4:5], off offset:168
	s_and_saveexec_b64 s[0:1], vcc
	s_cbranch_execz .LBB88_123
; %bb.122:
	scratch_load_dwordx2 v[4:5], off, off offset:160
	v_mov_b32_e32 v3, v2
	scratch_store_dwordx2 off, v[2:3], off offset:160
	s_waitcnt vmcnt(1)
	ds_write_b64 v1, v[4:5]
.LBB88_123:
	s_or_b64 exec, exec, s[0:1]
	s_waitcnt lgkmcnt(0)
	; wave barrier
	scratch_load_dwordx4 v[4:7], off, off offset:168
	scratch_load_dwordx4 v[8:11], off, off offset:184
	scratch_load_dwordx2 v[20:21], off, off offset:160
	ds_read2_b64 v[12:15], v2 offset0:47 offset1:48
	ds_read2_b64 v[16:19], v2 offset0:49 offset1:50
	v_cmp_lt_u32_e32 vcc, 19, v0
	s_waitcnt vmcnt(2) lgkmcnt(1)
	v_pk_mul_f32 v[2:3], v[12:13], v[4:5] op_sel:[1,1] op_sel_hi:[0,1]
	v_mov_b32_e32 v22, v7
	s_waitcnt vmcnt(1) lgkmcnt(0)
	v_pk_mul_f32 v[24:25], v[16:17], v[8:9] op_sel:[1,1] op_sel_hi:[0,1]
	v_mov_b32_e32 v26, v11
	v_pk_fma_f32 v[28:29], v[12:13], v[4:5], v[2:3] neg_lo:[0,0,1] neg_hi:[0,0,1]
	v_pk_fma_f32 v[2:3], v[12:13], v[4:5], v[2:3] op_sel_hi:[1,0,1]
	v_pk_mul_f32 v[4:5], v[14:15], v[22:23] op_sel:[1,0] op_sel_hi:[0,0]
	v_pk_fma_f32 v[12:13], v[16:17], v[8:9], v[24:25] neg_lo:[0,0,1] neg_hi:[0,0,1]
	v_pk_fma_f32 v[8:9], v[16:17], v[8:9], v[24:25] op_sel_hi:[1,0,1]
	v_pk_mul_f32 v[16:17], v[18:19], v[26:27] op_sel:[1,0] op_sel_hi:[0,0]
	v_mov_b32_e32 v29, v3
	v_pk_fma_f32 v[2:3], v[14:15], v[6:7], v[4:5] neg_lo:[0,0,1] neg_hi:[0,0,1]
	v_pk_fma_f32 v[4:5], v[14:15], v[6:7], v[4:5] op_sel_hi:[1,0,1]
	v_mov_b32_e32 v13, v9
	v_pk_fma_f32 v[6:7], v[18:19], v[10:11], v[16:17] neg_lo:[0,0,1] neg_hi:[0,0,1]
	v_pk_fma_f32 v[8:9], v[18:19], v[10:11], v[16:17] op_sel_hi:[1,0,1]
	v_pk_add_f32 v[10:11], v[28:29], 0 op_sel_hi:[1,0]
	v_mov_b32_e32 v3, v5
	v_pk_add_f32 v[2:3], v[10:11], v[2:3]
	v_mov_b32_e32 v7, v9
	v_pk_add_f32 v[2:3], v[2:3], v[12:13]
	s_nop 0
	v_pk_add_f32 v[2:3], v[2:3], v[6:7]
	s_waitcnt vmcnt(0)
	v_pk_add_f32 v[2:3], v[20:21], v[2:3] neg_lo:[0,1] neg_hi:[0,1]
	scratch_store_dwordx2 off, v[2:3], off offset:160
	s_and_saveexec_b64 s[0:1], vcc
	s_cbranch_execz .LBB88_125
; %bb.124:
	scratch_load_dwordx2 v[2:3], off, off offset:152
	v_mov_b32_e32 v4, 0
	v_mov_b32_e32 v5, v4
	scratch_store_dwordx2 off, v[4:5], off offset:152
	s_waitcnt vmcnt(1)
	ds_write_b64 v1, v[2:3]
.LBB88_125:
	s_or_b64 exec, exec, s[0:1]
	s_waitcnt lgkmcnt(0)
	; wave barrier
	scratch_load_dwordx4 v[4:7], off, off offset:160
	scratch_load_dwordx4 v[8:11], off, off offset:176
	scratch_load_dwordx2 v[20:21], off, off offset:192
	scratch_load_dwordx2 v[22:23], off, off offset:152
	v_mov_b32_e32 v2, 0
	ds_read_b128 v[12:15], v2 offset:368
	ds_read_b128 v[16:19], v2 offset:384
	ds_read_b64 v[24:25], v2 offset:400
	v_cmp_lt_u32_e32 vcc, 18, v0
	s_waitcnt vmcnt(3) lgkmcnt(2)
	v_pk_mul_f32 v[26:27], v[12:13], v[4:5] op_sel:[1,1] op_sel_hi:[0,1]
	v_mov_b32_e32 v28, v7
	v_pk_fma_f32 v[86:87], v[12:13], v[4:5], v[26:27] neg_lo:[0,0,1] neg_hi:[0,0,1]
	v_pk_fma_f32 v[4:5], v[12:13], v[4:5], v[26:27] op_sel_hi:[1,0,1]
	v_pk_mul_f32 v[12:13], v[14:15], v[28:29] op_sel:[1,0] op_sel_hi:[0,0]
	s_waitcnt vmcnt(2) lgkmcnt(1)
	v_pk_mul_f32 v[30:31], v[16:17], v[8:9] op_sel:[1,1] op_sel_hi:[0,1]
	v_mov_b32_e32 v32, v11
	v_mov_b32_e32 v87, v5
	v_pk_fma_f32 v[4:5], v[14:15], v[6:7], v[12:13] neg_lo:[0,0,1] neg_hi:[0,0,1]
	v_pk_fma_f32 v[6:7], v[14:15], v[6:7], v[12:13] op_sel_hi:[1,0,1]
	v_pk_fma_f32 v[26:27], v[16:17], v[8:9], v[30:31] neg_lo:[0,0,1] neg_hi:[0,0,1]
	v_pk_fma_f32 v[8:9], v[16:17], v[8:9], v[30:31] op_sel_hi:[1,0,1]
	v_pk_mul_f32 v[16:17], v[18:19], v[32:33] op_sel:[1,0] op_sel_hi:[0,0]
	v_pk_add_f32 v[12:13], v[86:87], 0 op_sel_hi:[1,0]
	v_mov_b32_e32 v5, v7
	s_waitcnt vmcnt(1) lgkmcnt(0)
	v_pk_mul_f32 v[34:35], v[24:25], v[20:21] op_sel:[1,1] op_sel_hi:[0,1]
	v_mov_b32_e32 v27, v9
	v_pk_fma_f32 v[8:9], v[18:19], v[10:11], v[16:17] neg_lo:[0,0,1] neg_hi:[0,0,1]
	v_pk_fma_f32 v[10:11], v[18:19], v[10:11], v[16:17] op_sel_hi:[1,0,1]
	v_pk_add_f32 v[4:5], v[12:13], v[4:5]
	v_pk_fma_f32 v[28:29], v[24:25], v[20:21], v[34:35] neg_lo:[0,0,1] neg_hi:[0,0,1]
	v_pk_fma_f32 v[20:21], v[24:25], v[20:21], v[34:35] op_sel_hi:[1,0,1]
	v_mov_b32_e32 v9, v11
	v_pk_add_f32 v[4:5], v[4:5], v[26:27]
	v_mov_b32_e32 v29, v21
	v_pk_add_f32 v[4:5], v[4:5], v[8:9]
	s_nop 0
	v_pk_add_f32 v[4:5], v[4:5], v[28:29]
	s_waitcnt vmcnt(0)
	v_pk_add_f32 v[4:5], v[22:23], v[4:5] neg_lo:[0,1] neg_hi:[0,1]
	scratch_store_dwordx2 off, v[4:5], off offset:152
	s_and_saveexec_b64 s[0:1], vcc
	s_cbranch_execz .LBB88_127
; %bb.126:
	scratch_load_dwordx2 v[4:5], off, off offset:144
	v_mov_b32_e32 v3, v2
	scratch_store_dwordx2 off, v[2:3], off offset:144
	s_waitcnt vmcnt(1)
	ds_write_b64 v1, v[4:5]
.LBB88_127:
	s_or_b64 exec, exec, s[0:1]
	s_waitcnt lgkmcnt(0)
	; wave barrier
	scratch_load_dwordx4 v[4:7], off, off offset:152
	scratch_load_dwordx4 v[8:11], off, off offset:168
	scratch_load_dwordx4 v[12:15], off, off offset:184
	scratch_load_dwordx2 v[28:29], off, off offset:144
	ds_read2_b64 v[16:19], v2 offset0:45 offset1:46
	ds_read2_b64 v[20:23], v2 offset0:47 offset1:48
	;; [unrolled: 1-line block ×3, first 2 shown]
	v_cmp_lt_u32_e32 vcc, 17, v0
	s_waitcnt vmcnt(3) lgkmcnt(2)
	v_pk_mul_f32 v[2:3], v[16:17], v[4:5] op_sel:[1,1] op_sel_hi:[0,1]
	v_mov_b32_e32 v30, v7
	s_waitcnt vmcnt(2) lgkmcnt(1)
	v_pk_mul_f32 v[32:33], v[20:21], v[8:9] op_sel:[1,1] op_sel_hi:[0,1]
	v_mov_b32_e32 v34, v11
	;; [unrolled: 3-line block ×3, first 2 shown]
	v_pk_fma_f32 v[90:91], v[16:17], v[4:5], v[2:3] neg_lo:[0,0,1] neg_hi:[0,0,1]
	v_pk_fma_f32 v[2:3], v[16:17], v[4:5], v[2:3] op_sel_hi:[1,0,1]
	v_pk_mul_f32 v[4:5], v[18:19], v[30:31] op_sel:[1,0] op_sel_hi:[0,0]
	v_pk_fma_f32 v[16:17], v[20:21], v[8:9], v[32:33] neg_lo:[0,0,1] neg_hi:[0,0,1]
	v_pk_fma_f32 v[8:9], v[20:21], v[8:9], v[32:33] op_sel_hi:[1,0,1]
	v_pk_mul_f32 v[20:21], v[22:23], v[34:35] op_sel:[1,0] op_sel_hi:[0,0]
	;; [unrolled: 3-line block ×3, first 2 shown]
	v_mov_b32_e32 v91, v3
	v_pk_fma_f32 v[2:3], v[18:19], v[6:7], v[4:5] neg_lo:[0,0,1] neg_hi:[0,0,1]
	v_pk_fma_f32 v[4:5], v[18:19], v[6:7], v[4:5] op_sel_hi:[1,0,1]
	v_mov_b32_e32 v17, v9
	v_pk_fma_f32 v[6:7], v[22:23], v[10:11], v[20:21] neg_lo:[0,0,1] neg_hi:[0,0,1]
	v_pk_fma_f32 v[8:9], v[22:23], v[10:11], v[20:21] op_sel_hi:[1,0,1]
	;; [unrolled: 3-line block ×3, first 2 shown]
	v_pk_add_f32 v[14:15], v[90:91], 0 op_sel_hi:[1,0]
	v_mov_b32_e32 v3, v5
	v_pk_add_f32 v[2:3], v[14:15], v[2:3]
	v_mov_b32_e32 v7, v9
	v_pk_add_f32 v[2:3], v[2:3], v[16:17]
	;; [unrolled: 2-line block ×3, first 2 shown]
	s_nop 0
	v_pk_add_f32 v[2:3], v[2:3], v[30:31]
	s_nop 0
	v_pk_add_f32 v[2:3], v[2:3], v[10:11]
	s_waitcnt vmcnt(0)
	v_pk_add_f32 v[2:3], v[28:29], v[2:3] neg_lo:[0,1] neg_hi:[0,1]
	scratch_store_dwordx2 off, v[2:3], off offset:144
	s_and_saveexec_b64 s[0:1], vcc
	s_cbranch_execz .LBB88_129
; %bb.128:
	scratch_load_dwordx2 v[2:3], off, off offset:136
	v_mov_b32_e32 v4, 0
	v_mov_b32_e32 v5, v4
	scratch_store_dwordx2 off, v[4:5], off offset:136
	s_waitcnt vmcnt(1)
	ds_write_b64 v1, v[2:3]
.LBB88_129:
	s_or_b64 exec, exec, s[0:1]
	s_waitcnt lgkmcnt(0)
	; wave barrier
	scratch_load_dwordx4 v[4:7], off, off offset:144
	scratch_load_dwordx4 v[8:11], off, off offset:160
	;; [unrolled: 1-line block ×3, first 2 shown]
	scratch_load_dwordx2 v[28:29], off, off offset:192
	scratch_load_dwordx2 v[30:31], off, off offset:136
	v_mov_b32_e32 v2, 0
	ds_read_b128 v[16:19], v2 offset:352
	ds_read_b128 v[20:23], v2 offset:368
	;; [unrolled: 1-line block ×3, first 2 shown]
	ds_read_b64 v[32:33], v2 offset:400
	v_cmp_lt_u32_e32 vcc, 16, v0
	s_waitcnt vmcnt(4) lgkmcnt(3)
	v_pk_mul_f32 v[34:35], v[16:17], v[4:5] op_sel:[1,1] op_sel_hi:[0,1]
	v_mov_b32_e32 v86, v7
	v_pk_fma_f32 v[98:99], v[16:17], v[4:5], v[34:35] neg_lo:[0,0,1] neg_hi:[0,0,1]
	v_pk_fma_f32 v[4:5], v[16:17], v[4:5], v[34:35] op_sel_hi:[1,0,1]
	v_pk_mul_f32 v[16:17], v[18:19], v[86:87] op_sel:[1,0] op_sel_hi:[0,0]
	s_waitcnt vmcnt(3) lgkmcnt(2)
	v_pk_mul_f32 v[88:89], v[20:21], v[8:9] op_sel:[1,1] op_sel_hi:[0,1]
	v_mov_b32_e32 v90, v11
	v_mov_b32_e32 v99, v5
	v_pk_fma_f32 v[4:5], v[18:19], v[6:7], v[16:17] neg_lo:[0,0,1] neg_hi:[0,0,1]
	v_pk_fma_f32 v[6:7], v[18:19], v[6:7], v[16:17] op_sel_hi:[1,0,1]
	v_pk_fma_f32 v[34:35], v[20:21], v[8:9], v[88:89] neg_lo:[0,0,1] neg_hi:[0,0,1]
	v_pk_fma_f32 v[8:9], v[20:21], v[8:9], v[88:89] op_sel_hi:[1,0,1]
	v_pk_mul_f32 v[20:21], v[22:23], v[90:91] op_sel:[1,0] op_sel_hi:[0,0]
	v_pk_add_f32 v[16:17], v[98:99], 0 op_sel_hi:[1,0]
	v_mov_b32_e32 v5, v7
	s_waitcnt vmcnt(2) lgkmcnt(1)
	v_pk_mul_f32 v[92:93], v[24:25], v[12:13] op_sel:[1,1] op_sel_hi:[0,1]
	v_mov_b32_e32 v94, v15
	v_mov_b32_e32 v35, v9
	v_pk_fma_f32 v[8:9], v[22:23], v[10:11], v[20:21] neg_lo:[0,0,1] neg_hi:[0,0,1]
	v_pk_fma_f32 v[10:11], v[22:23], v[10:11], v[20:21] op_sel_hi:[1,0,1]
	v_pk_add_f32 v[4:5], v[16:17], v[4:5]
	v_pk_fma_f32 v[86:87], v[24:25], v[12:13], v[92:93] neg_lo:[0,0,1] neg_hi:[0,0,1]
	v_pk_fma_f32 v[12:13], v[24:25], v[12:13], v[92:93] op_sel_hi:[1,0,1]
	v_pk_mul_f32 v[24:25], v[26:27], v[94:95] op_sel:[1,0] op_sel_hi:[0,0]
	v_mov_b32_e32 v9, v11
	v_pk_add_f32 v[4:5], v[4:5], v[34:35]
	s_waitcnt vmcnt(1) lgkmcnt(0)
	v_pk_mul_f32 v[96:97], v[32:33], v[28:29] op_sel:[1,1] op_sel_hi:[0,1]
	v_mov_b32_e32 v87, v13
	v_pk_fma_f32 v[12:13], v[26:27], v[14:15], v[24:25] neg_lo:[0,0,1] neg_hi:[0,0,1]
	v_pk_fma_f32 v[14:15], v[26:27], v[14:15], v[24:25] op_sel_hi:[1,0,1]
	v_pk_add_f32 v[4:5], v[4:5], v[8:9]
	v_pk_fma_f32 v[88:89], v[32:33], v[28:29], v[96:97] neg_lo:[0,0,1] neg_hi:[0,0,1]
	v_pk_fma_f32 v[28:29], v[32:33], v[28:29], v[96:97] op_sel_hi:[1,0,1]
	v_mov_b32_e32 v13, v15
	v_pk_add_f32 v[4:5], v[4:5], v[86:87]
	v_mov_b32_e32 v89, v29
	v_pk_add_f32 v[4:5], v[4:5], v[12:13]
	s_nop 0
	v_pk_add_f32 v[4:5], v[4:5], v[88:89]
	s_waitcnt vmcnt(0)
	v_pk_add_f32 v[4:5], v[30:31], v[4:5] neg_lo:[0,1] neg_hi:[0,1]
	scratch_store_dwordx2 off, v[4:5], off offset:136
	s_and_saveexec_b64 s[0:1], vcc
	s_cbranch_execz .LBB88_131
; %bb.130:
	scratch_load_dwordx2 v[4:5], off, off offset:128
	v_mov_b32_e32 v3, v2
	scratch_store_dwordx2 off, v[2:3], off offset:128
	s_waitcnt vmcnt(1)
	ds_write_b64 v1, v[4:5]
.LBB88_131:
	s_or_b64 exec, exec, s[0:1]
	s_waitcnt lgkmcnt(0)
	; wave barrier
	scratch_load_dwordx4 v[4:7], off, off offset:136
	scratch_load_dwordx4 v[8:11], off, off offset:152
	;; [unrolled: 1-line block ×4, first 2 shown]
	scratch_load_dwordx2 v[86:87], off, off offset:128
	ds_read2_b64 v[20:23], v2 offset0:43 offset1:44
	ds_read2_b64 v[24:27], v2 offset0:45 offset1:46
	;; [unrolled: 1-line block ×4, first 2 shown]
	v_cmp_lt_u32_e32 vcc, 15, v0
	s_waitcnt vmcnt(4) lgkmcnt(3)
	v_pk_mul_f32 v[2:3], v[20:21], v[4:5] op_sel:[1,1] op_sel_hi:[0,1]
	v_mov_b32_e32 v88, v7
	s_waitcnt vmcnt(3) lgkmcnt(2)
	v_pk_mul_f32 v[90:91], v[24:25], v[8:9] op_sel:[1,1] op_sel_hi:[0,1]
	v_mov_b32_e32 v92, v11
	;; [unrolled: 3-line block ×4, first 2 shown]
	v_pk_fma_f32 v[102:103], v[20:21], v[4:5], v[2:3] neg_lo:[0,0,1] neg_hi:[0,0,1]
	v_pk_fma_f32 v[2:3], v[20:21], v[4:5], v[2:3] op_sel_hi:[1,0,1]
	v_pk_mul_f32 v[4:5], v[22:23], v[88:89] op_sel:[1,0] op_sel_hi:[0,0]
	v_pk_fma_f32 v[20:21], v[24:25], v[8:9], v[90:91] neg_lo:[0,0,1] neg_hi:[0,0,1]
	v_pk_fma_f32 v[8:9], v[24:25], v[8:9], v[90:91] op_sel_hi:[1,0,1]
	v_pk_mul_f32 v[24:25], v[26:27], v[92:93] op_sel:[1,0] op_sel_hi:[0,0]
	;; [unrolled: 3-line block ×4, first 2 shown]
	v_mov_b32_e32 v103, v3
	v_pk_fma_f32 v[2:3], v[22:23], v[6:7], v[4:5] neg_lo:[0,0,1] neg_hi:[0,0,1]
	v_pk_fma_f32 v[4:5], v[22:23], v[6:7], v[4:5] op_sel_hi:[1,0,1]
	v_mov_b32_e32 v21, v9
	v_pk_fma_f32 v[6:7], v[26:27], v[10:11], v[24:25] neg_lo:[0,0,1] neg_hi:[0,0,1]
	v_pk_fma_f32 v[8:9], v[26:27], v[10:11], v[24:25] op_sel_hi:[1,0,1]
	;; [unrolled: 3-line block ×4, first 2 shown]
	v_pk_add_f32 v[18:19], v[102:103], 0 op_sel_hi:[1,0]
	v_mov_b32_e32 v3, v5
	v_pk_add_f32 v[2:3], v[18:19], v[2:3]
	v_mov_b32_e32 v7, v9
	v_pk_add_f32 v[2:3], v[2:3], v[20:21]
	;; [unrolled: 2-line block ×4, first 2 shown]
	s_nop 0
	v_pk_add_f32 v[2:3], v[2:3], v[10:11]
	s_nop 0
	v_pk_add_f32 v[2:3], v[2:3], v[90:91]
	;; [unrolled: 2-line block ×3, first 2 shown]
	s_waitcnt vmcnt(0)
	v_pk_add_f32 v[2:3], v[86:87], v[2:3] neg_lo:[0,1] neg_hi:[0,1]
	scratch_store_dwordx2 off, v[2:3], off offset:128
	s_and_saveexec_b64 s[0:1], vcc
	s_cbranch_execz .LBB88_133
; %bb.132:
	scratch_load_dwordx2 v[2:3], off, off offset:120
	v_mov_b32_e32 v4, 0
	v_mov_b32_e32 v5, v4
	scratch_store_dwordx2 off, v[4:5], off offset:120
	s_waitcnt vmcnt(1)
	ds_write_b64 v1, v[2:3]
.LBB88_133:
	s_or_b64 exec, exec, s[0:1]
	s_waitcnt lgkmcnt(0)
	; wave barrier
	scratch_load_dwordx4 v[4:7], off, off offset:128
	scratch_load_dwordx4 v[8:11], off, off offset:144
	;; [unrolled: 1-line block ×4, first 2 shown]
	scratch_load_dwordx2 v[86:87], off, off offset:192
	scratch_load_dwordx2 v[88:89], off, off offset:120
	v_mov_b32_e32 v2, 0
	ds_read_b128 v[20:23], v2 offset:336
	ds_read_b128 v[24:27], v2 offset:352
	;; [unrolled: 1-line block ×4, first 2 shown]
	ds_read_b64 v[90:91], v2 offset:400
	v_cmp_lt_u32_e32 vcc, 14, v0
	s_waitcnt vmcnt(5) lgkmcnt(4)
	v_mul_f32_e32 v93, v20, v5
	v_mul_f32_e32 v3, v21, v5
	v_mov_b32_e32 v94, v7
	s_waitcnt vmcnt(4) lgkmcnt(3)
	v_pk_mul_f32 v[96:97], v[24:25], v[8:9] op_sel:[1,1] op_sel_hi:[0,1]
	v_mov_b32_e32 v98, v11
	s_waitcnt vmcnt(1) lgkmcnt(0)
	v_pk_mul_f32 v[108:109], v[90:91], v[86:87] op_sel:[1,1] op_sel_hi:[0,1]
	v_fmac_f32_e32 v93, v21, v4
	v_fma_f32 v92, v20, v4, -v3
	v_pk_mul_f32 v[4:5], v[22:23], v[94:95] op_sel:[1,0] op_sel_hi:[0,0]
	v_pk_fma_f32 v[20:21], v[24:25], v[8:9], v[96:97] neg_lo:[0,0,1] neg_hi:[0,0,1]
	v_pk_fma_f32 v[8:9], v[24:25], v[8:9], v[96:97] op_sel_hi:[1,0,1]
	v_pk_mul_f32 v[24:25], v[26:27], v[98:99] op_sel:[1,0] op_sel_hi:[0,0]
	v_pk_fma_f32 v[98:99], v[90:91], v[86:87], v[108:109] neg_lo:[0,0,1] neg_hi:[0,0,1]
	v_pk_fma_f32 v[86:87], v[90:91], v[86:87], v[108:109] op_sel_hi:[1,0,1]
	v_pk_add_f32 v[90:91], v[92:93], 0 op_sel_hi:[1,0]
	v_pk_fma_f32 v[92:93], v[22:23], v[6:7], v[4:5] neg_lo:[0,0,1] neg_hi:[0,0,1]
	v_pk_fma_f32 v[4:5], v[22:23], v[6:7], v[4:5] op_sel_hi:[1,0,1]
	v_pk_mul_f32 v[100:101], v[28:29], v[12:13] op_sel:[1,1] op_sel_hi:[0,1]
	v_mov_b32_e32 v93, v5
	v_mov_b32_e32 v102, v15
	;; [unrolled: 1-line block ×3, first 2 shown]
	v_pk_fma_f32 v[6:7], v[26:27], v[10:11], v[24:25] neg_lo:[0,0,1] neg_hi:[0,0,1]
	v_pk_fma_f32 v[8:9], v[26:27], v[10:11], v[24:25] op_sel_hi:[1,0,1]
	v_pk_add_f32 v[4:5], v[90:91], v[92:93]
	v_pk_fma_f32 v[94:95], v[28:29], v[12:13], v[100:101] neg_lo:[0,0,1] neg_hi:[0,0,1]
	v_pk_fma_f32 v[12:13], v[28:29], v[12:13], v[100:101] op_sel_hi:[1,0,1]
	v_pk_mul_f32 v[28:29], v[30:31], v[102:103] op_sel:[1,0] op_sel_hi:[0,0]
	v_mov_b32_e32 v7, v9
	v_pk_add_f32 v[4:5], v[4:5], v[20:21]
	v_pk_mul_f32 v[104:105], v[32:33], v[16:17] op_sel:[1,1] op_sel_hi:[0,1]
	v_mov_b32_e32 v106, v19
	v_mov_b32_e32 v95, v13
	v_pk_fma_f32 v[10:11], v[30:31], v[14:15], v[28:29] neg_lo:[0,0,1] neg_hi:[0,0,1]
	v_pk_fma_f32 v[12:13], v[30:31], v[14:15], v[28:29] op_sel_hi:[1,0,1]
	v_pk_add_f32 v[4:5], v[4:5], v[6:7]
	v_pk_fma_f32 v[96:97], v[32:33], v[16:17], v[104:105] neg_lo:[0,0,1] neg_hi:[0,0,1]
	v_pk_fma_f32 v[16:17], v[32:33], v[16:17], v[104:105] op_sel_hi:[1,0,1]
	v_pk_mul_f32 v[32:33], v[34:35], v[106:107] op_sel:[1,0] op_sel_hi:[0,0]
	v_mov_b32_e32 v11, v13
	v_pk_add_f32 v[4:5], v[4:5], v[94:95]
	v_mov_b32_e32 v97, v17
	v_pk_fma_f32 v[14:15], v[34:35], v[18:19], v[32:33] neg_lo:[0,0,1] neg_hi:[0,0,1]
	v_pk_fma_f32 v[16:17], v[34:35], v[18:19], v[32:33] op_sel_hi:[1,0,1]
	v_pk_add_f32 v[4:5], v[4:5], v[10:11]
	v_mov_b32_e32 v15, v17
	v_pk_add_f32 v[4:5], v[4:5], v[96:97]
	v_mov_b32_e32 v99, v87
	v_pk_add_f32 v[4:5], v[4:5], v[14:15]
	s_nop 0
	v_pk_add_f32 v[4:5], v[4:5], v[98:99]
	s_waitcnt vmcnt(0)
	v_pk_add_f32 v[4:5], v[88:89], v[4:5] neg_lo:[0,1] neg_hi:[0,1]
	scratch_store_dwordx2 off, v[4:5], off offset:120
	s_and_saveexec_b64 s[0:1], vcc
	s_cbranch_execz .LBB88_135
; %bb.134:
	scratch_load_dwordx2 v[4:5], off, off offset:112
	v_mov_b32_e32 v3, v2
	scratch_store_dwordx2 off, v[2:3], off offset:112
	s_waitcnt vmcnt(1)
	ds_write_b64 v1, v[4:5]
.LBB88_135:
	s_or_b64 exec, exec, s[0:1]
	s_waitcnt lgkmcnt(0)
	; wave barrier
	scratch_load_dwordx4 v[4:7], off, off offset:120
	scratch_load_dwordx4 v[8:11], off, off offset:136
	scratch_load_dwordx4 v[12:15], off, off offset:152
	scratch_load_dwordx4 v[16:19], off, off offset:168
	scratch_load_dwordx4 v[20:23], off, off offset:184
	scratch_load_dwordx2 v[94:95], off, off offset:112
	ds_read2_b64 v[24:27], v2 offset0:41 offset1:42
	ds_read2_b64 v[28:31], v2 offset0:43 offset1:44
	;; [unrolled: 1-line block ×5, first 2 shown]
	v_cmp_lt_u32_e32 vcc, 13, v0
	s_waitcnt vmcnt(5) lgkmcnt(4)
	v_mul_f32_e32 v3, v24, v5
	v_mul_f32_e32 v2, v25, v5
	;; [unrolled: 1-line block ×4, first 2 shown]
	s_waitcnt vmcnt(4) lgkmcnt(3)
	v_pk_mul_f32 v[98:99], v[28:29], v[8:9] op_sel:[1,1] op_sel_hi:[0,1]
	v_mov_b32_e32 v100, v11
	v_fmac_f32_e32 v3, v25, v4
	v_fma_f32 v2, v24, v4, -v2
	v_fmac_f32_e32 v97, v27, v6
	v_fma_f32 v96, v26, v6, -v5
	v_pk_fma_f32 v[4:5], v[28:29], v[8:9], v[98:99] neg_lo:[0,0,1] neg_hi:[0,0,1]
	v_pk_fma_f32 v[6:7], v[28:29], v[8:9], v[98:99] op_sel_hi:[1,0,1]
	v_pk_mul_f32 v[8:9], v[30:31], v[100:101] op_sel:[1,0] op_sel_hi:[0,0]
	v_pk_add_f32 v[2:3], v[2:3], 0 op_sel_hi:[1,0]
	s_waitcnt vmcnt(3) lgkmcnt(2)
	v_pk_mul_f32 v[102:103], v[32:33], v[12:13] op_sel:[1,1] op_sel_hi:[0,1]
	v_mov_b32_e32 v104, v15
	v_mov_b32_e32 v5, v7
	v_pk_fma_f32 v[6:7], v[30:31], v[10:11], v[8:9] neg_lo:[0,0,1] neg_hi:[0,0,1]
	v_pk_fma_f32 v[8:9], v[30:31], v[10:11], v[8:9] op_sel_hi:[1,0,1]
	v_pk_add_f32 v[2:3], v[2:3], v[96:97]
	v_pk_fma_f32 v[24:25], v[32:33], v[12:13], v[102:103] neg_lo:[0,0,1] neg_hi:[0,0,1]
	v_pk_fma_f32 v[12:13], v[32:33], v[12:13], v[102:103] op_sel_hi:[1,0,1]
	v_pk_mul_f32 v[26:27], v[34:35], v[104:105] op_sel:[1,0] op_sel_hi:[0,0]
	v_mov_b32_e32 v7, v9
	v_pk_add_f32 v[2:3], v[2:3], v[4:5]
	s_waitcnt vmcnt(2) lgkmcnt(1)
	v_pk_mul_f32 v[106:107], v[86:87], v[16:17] op_sel:[1,1] op_sel_hi:[0,1]
	v_mov_b32_e32 v108, v19
	v_mov_b32_e32 v25, v13
	v_pk_fma_f32 v[10:11], v[34:35], v[14:15], v[26:27] neg_lo:[0,0,1] neg_hi:[0,0,1]
	v_pk_fma_f32 v[12:13], v[34:35], v[14:15], v[26:27] op_sel_hi:[1,0,1]
	v_pk_add_f32 v[2:3], v[2:3], v[6:7]
	v_pk_fma_f32 v[28:29], v[86:87], v[16:17], v[106:107] neg_lo:[0,0,1] neg_hi:[0,0,1]
	v_pk_fma_f32 v[16:17], v[86:87], v[16:17], v[106:107] op_sel_hi:[1,0,1]
	v_pk_mul_f32 v[32:33], v[88:89], v[108:109] op_sel:[1,0] op_sel_hi:[0,0]
	v_mov_b32_e32 v11, v13
	v_pk_add_f32 v[2:3], v[2:3], v[24:25]
	;; [unrolled: 12-line block ×3, first 2 shown]
	v_mov_b32_e32 v87, v21
	v_pk_fma_f32 v[18:19], v[92:93], v[22:23], v[90:91] neg_lo:[0,0,1] neg_hi:[0,0,1]
	v_pk_fma_f32 v[20:21], v[92:93], v[22:23], v[90:91] op_sel_hi:[1,0,1]
	v_pk_add_f32 v[2:3], v[2:3], v[14:15]
	v_mov_b32_e32 v19, v21
	v_pk_add_f32 v[2:3], v[2:3], v[86:87]
	s_nop 0
	v_pk_add_f32 v[2:3], v[2:3], v[18:19]
	s_waitcnt vmcnt(0)
	v_pk_add_f32 v[2:3], v[94:95], v[2:3] neg_lo:[0,1] neg_hi:[0,1]
	scratch_store_dwordx2 off, v[2:3], off offset:112
	s_and_saveexec_b64 s[0:1], vcc
	s_cbranch_execz .LBB88_137
; %bb.136:
	scratch_load_dwordx2 v[2:3], off, off offset:104
	v_mov_b32_e32 v4, 0
	v_mov_b32_e32 v5, v4
	scratch_store_dwordx2 off, v[4:5], off offset:104
	s_waitcnt vmcnt(1)
	ds_write_b64 v1, v[2:3]
.LBB88_137:
	s_or_b64 exec, exec, s[0:1]
	s_waitcnt lgkmcnt(0)
	; wave barrier
	scratch_load_dwordx4 v[4:7], off, off offset:112
	scratch_load_dwordx4 v[8:11], off, off offset:128
	;; [unrolled: 1-line block ×5, first 2 shown]
	scratch_load_dwordx2 v[94:95], off, off offset:192
	scratch_load_dwordx2 v[96:97], off, off offset:104
	v_mov_b32_e32 v2, 0
	ds_read_b128 v[24:27], v2 offset:320
	ds_read_b128 v[28:31], v2 offset:336
	ds_read_b128 v[32:35], v2 offset:352
	ds_read_b128 v[86:89], v2 offset:368
	ds_read_b128 v[90:93], v2 offset:384
	ds_read_b64 v[98:99], v2 offset:400
	v_cmp_lt_u32_e32 vcc, 12, v0
	s_waitcnt vmcnt(6) lgkmcnt(5)
	v_mul_f32_e32 v3, v24, v5
	v_mul_f32_e32 v5, v25, v5
	;; [unrolled: 1-line block ×3, first 2 shown]
	s_waitcnt vmcnt(5) lgkmcnt(4)
	v_mul_f32_e32 v103, v28, v9
	v_mul_f32_e32 v7, v27, v7
	;; [unrolled: 1-line block ×3, first 2 shown]
	v_mov_b32_e32 v104, v11
	s_waitcnt vmcnt(3) lgkmcnt(2)
	v_pk_mul_f32 v[110:111], v[86:87], v[16:17] op_sel:[1,1] op_sel_hi:[0,1]
	s_waitcnt vmcnt(2) lgkmcnt(1)
	v_pk_mul_f32 v[114:115], v[90:91], v[20:21] op_sel:[1,1] op_sel_hi:[0,1]
	s_waitcnt vmcnt(1) lgkmcnt(0)
	v_pk_mul_f32 v[118:119], v[98:99], v[94:95] op_sel:[1,1] op_sel_hi:[0,1]
	v_fmac_f32_e32 v3, v25, v4
	v_fma_f32 v105, v24, v4, -v5
	v_fmac_f32_e32 v101, v27, v6
	v_fmac_f32_e32 v103, v29, v8
	v_fma_f32 v100, v26, v6, -v7
	v_fma_f32 v102, v28, v8, -v9
	v_pk_mul_f32 v[4:5], v[30:31], v[104:105] op_sel:[1,0] op_sel_hi:[0,0]
	v_pk_fma_f32 v[24:25], v[86:87], v[16:17], v[110:111] neg_lo:[0,0,1] neg_hi:[0,0,1]
	v_pk_fma_f32 v[16:17], v[86:87], v[16:17], v[110:111] op_sel_hi:[1,0,1]
	v_pk_fma_f32 v[28:29], v[90:91], v[20:21], v[114:115] neg_lo:[0,0,1] neg_hi:[0,0,1]
	v_pk_fma_f32 v[20:21], v[90:91], v[20:21], v[114:115] op_sel_hi:[1,0,1]
	;; [unrolled: 2-line block ×3, first 2 shown]
	v_add_f32_e32 v95, 0, v3
	v_add_f32_e32 v94, 0, v105
	v_pk_mul_f32 v[106:107], v[32:33], v[12:13] op_sel:[1,1] op_sel_hi:[0,1]
	v_mov_b32_e32 v108, v15
	v_pk_fma_f32 v[98:99], v[30:31], v[10:11], v[4:5] neg_lo:[0,0,1] neg_hi:[0,0,1]
	v_pk_fma_f32 v[4:5], v[30:31], v[10:11], v[4:5] op_sel_hi:[1,0,1]
	v_mov_b32_e32 v29, v21
	v_pk_add_f32 v[20:21], v[94:95], v[100:101]
	v_pk_fma_f32 v[6:7], v[32:33], v[12:13], v[106:107] neg_lo:[0,0,1] neg_hi:[0,0,1]
	v_pk_fma_f32 v[8:9], v[32:33], v[12:13], v[106:107] op_sel_hi:[1,0,1]
	v_pk_mul_f32 v[12:13], v[34:35], v[108:109] op_sel:[1,0] op_sel_hi:[0,0]
	v_mov_b32_e32 v99, v5
	v_pk_add_f32 v[4:5], v[20:21], v[102:103]
	v_mov_b32_e32 v112, v19
	v_mov_b32_e32 v7, v9
	v_pk_fma_f32 v[8:9], v[34:35], v[14:15], v[12:13] neg_lo:[0,0,1] neg_hi:[0,0,1]
	v_pk_fma_f32 v[10:11], v[34:35], v[14:15], v[12:13] op_sel_hi:[1,0,1]
	v_pk_add_f32 v[4:5], v[4:5], v[98:99]
	v_pk_mul_f32 v[26:27], v[88:89], v[112:113] op_sel:[1,0] op_sel_hi:[0,0]
	v_mov_b32_e32 v9, v11
	v_pk_add_f32 v[4:5], v[4:5], v[6:7]
	v_mov_b32_e32 v116, v23
	v_mov_b32_e32 v25, v17
	v_pk_fma_f32 v[12:13], v[88:89], v[18:19], v[26:27] neg_lo:[0,0,1] neg_hi:[0,0,1]
	v_pk_fma_f32 v[14:15], v[88:89], v[18:19], v[26:27] op_sel_hi:[1,0,1]
	v_pk_add_f32 v[4:5], v[4:5], v[8:9]
	v_pk_mul_f32 v[32:33], v[92:93], v[116:117] op_sel:[1,0] op_sel_hi:[0,0]
	v_mov_b32_e32 v13, v15
	v_pk_add_f32 v[4:5], v[4:5], v[24:25]
	v_pk_fma_f32 v[16:17], v[92:93], v[22:23], v[32:33] neg_lo:[0,0,1] neg_hi:[0,0,1]
	v_pk_fma_f32 v[18:19], v[92:93], v[22:23], v[32:33] op_sel_hi:[1,0,1]
	v_pk_add_f32 v[4:5], v[4:5], v[12:13]
	v_mov_b32_e32 v17, v19
	v_pk_add_f32 v[4:5], v[4:5], v[28:29]
	v_mov_b32_e32 v87, v91
	v_pk_add_f32 v[4:5], v[4:5], v[16:17]
	s_nop 0
	v_pk_add_f32 v[4:5], v[4:5], v[86:87]
	s_waitcnt vmcnt(0)
	v_pk_add_f32 v[4:5], v[96:97], v[4:5] neg_lo:[0,1] neg_hi:[0,1]
	scratch_store_dwordx2 off, v[4:5], off offset:104
	s_and_saveexec_b64 s[0:1], vcc
	s_cbranch_execz .LBB88_139
; %bb.138:
	scratch_load_dwordx2 v[4:5], off, off offset:96
	v_mov_b32_e32 v3, v2
	scratch_store_dwordx2 off, v[2:3], off offset:96
	s_waitcnt vmcnt(1)
	ds_write_b64 v1, v[4:5]
.LBB88_139:
	s_or_b64 exec, exec, s[0:1]
	s_waitcnt lgkmcnt(0)
	; wave barrier
	scratch_load_dwordx4 v[4:7], off, off offset:104
	scratch_load_dwordx4 v[8:11], off, off offset:120
	;; [unrolled: 1-line block ×6, first 2 shown]
	scratch_load_dwordx2 v[102:103], off, off offset:96
	ds_read2_b64 v[28:31], v2 offset0:39 offset1:40
	ds_read2_b64 v[32:35], v2 offset0:41 offset1:42
	;; [unrolled: 1-line block ×6, first 2 shown]
	v_cmp_lt_u32_e32 vcc, 11, v0
	s_waitcnt vmcnt(6) lgkmcnt(5)
	v_mul_f32_e32 v109, v28, v5
	v_mul_f32_e32 v113, v30, v7
	s_waitcnt vmcnt(5) lgkmcnt(4)
	v_mul_f32_e32 v3, v32, v9
	v_mul_f32_e32 v2, v29, v5
	;; [unrolled: 1-line block ×4, first 2 shown]
	s_waitcnt vmcnt(1) lgkmcnt(0)
	v_pk_mul_f32 v[118:119], v[98:99], v[24:25] op_sel:[1,1] op_sel_hi:[0,1]
	v_pk_mul_f32 v[106:107], v[86:87], v[12:13] op_sel:[1,1] op_sel_hi:[0,1]
	v_fmac_f32_e32 v109, v29, v4
	v_fmac_f32_e32 v3, v33, v8
	v_fma_f32 v117, v28, v4, -v2
	v_fma_f32 v2, v32, v8, -v7
	v_pk_fma_f32 v[32:33], v[98:99], v[24:25], v[118:119] neg_lo:[0,0,1] neg_hi:[0,0,1]
	v_pk_fma_f32 v[24:25], v[98:99], v[24:25], v[118:119] op_sel_hi:[1,0,1]
	v_fmac_f32_e32 v113, v31, v6
	v_fma_f32 v121, v30, v6, -v5
	v_pk_fma_f32 v[4:5], v[86:87], v[12:13], v[106:107] neg_lo:[0,0,1] neg_hi:[0,0,1]
	v_pk_fma_f32 v[6:7], v[86:87], v[12:13], v[106:107] op_sel_hi:[1,0,1]
	v_add_f32_e32 v24, 0, v109
	v_add_f32_e32 v86, 0, v117
	v_mul_f32_e32 v105, v34, v11
	v_mul_f32_e32 v9, v35, v11
	v_mov_b32_e32 v108, v15
	v_mov_b32_e32 v33, v25
	v_add_f32_e32 v25, v24, v113
	v_add_f32_e32 v24, v86, v121
	v_fmac_f32_e32 v105, v35, v10
	v_fma_f32 v104, v34, v10, -v9
	v_pk_mul_f32 v[8:9], v[88:89], v[108:109] op_sel:[1,0] op_sel_hi:[0,0]
	v_pk_add_f32 v[2:3], v[24:25], v[2:3]
	v_pk_mul_f32 v[110:111], v[90:91], v[16:17] op_sel:[1,1] op_sel_hi:[0,1]
	v_mov_b32_e32 v112, v19
	v_mov_b32_e32 v5, v7
	v_pk_fma_f32 v[6:7], v[88:89], v[14:15], v[8:9] neg_lo:[0,0,1] neg_hi:[0,0,1]
	v_pk_fma_f32 v[8:9], v[88:89], v[14:15], v[8:9] op_sel_hi:[1,0,1]
	v_pk_add_f32 v[2:3], v[2:3], v[104:105]
	v_pk_fma_f32 v[10:11], v[90:91], v[16:17], v[110:111] neg_lo:[0,0,1] neg_hi:[0,0,1]
	v_pk_fma_f32 v[12:13], v[90:91], v[16:17], v[110:111] op_sel_hi:[1,0,1]
	v_pk_mul_f32 v[16:17], v[92:93], v[112:113] op_sel:[1,0] op_sel_hi:[0,0]
	v_mov_b32_e32 v7, v9
	v_pk_add_f32 v[2:3], v[2:3], v[4:5]
	v_pk_mul_f32 v[114:115], v[94:95], v[20:21] op_sel:[1,1] op_sel_hi:[0,1]
	v_mov_b32_e32 v116, v23
	v_mov_b32_e32 v11, v13
	v_pk_fma_f32 v[12:13], v[92:93], v[18:19], v[16:17] neg_lo:[0,0,1] neg_hi:[0,0,1]
	v_pk_fma_f32 v[14:15], v[92:93], v[18:19], v[16:17] op_sel_hi:[1,0,1]
	v_pk_add_f32 v[2:3], v[2:3], v[6:7]
	v_pk_fma_f32 v[28:29], v[94:95], v[20:21], v[114:115] neg_lo:[0,0,1] neg_hi:[0,0,1]
	v_pk_fma_f32 v[20:21], v[94:95], v[20:21], v[114:115] op_sel_hi:[1,0,1]
	v_pk_mul_f32 v[30:31], v[96:97], v[116:117] op_sel:[1,0] op_sel_hi:[0,0]
	v_mov_b32_e32 v13, v15
	v_pk_add_f32 v[2:3], v[2:3], v[10:11]
	v_mov_b32_e32 v120, v27
	v_mov_b32_e32 v29, v21
	v_pk_fma_f32 v[16:17], v[96:97], v[22:23], v[30:31] neg_lo:[0,0,1] neg_hi:[0,0,1]
	v_pk_fma_f32 v[18:19], v[96:97], v[22:23], v[30:31] op_sel_hi:[1,0,1]
	v_pk_add_f32 v[2:3], v[2:3], v[12:13]
	v_pk_mul_f32 v[34:35], v[100:101], v[120:121] op_sel:[1,0] op_sel_hi:[0,0]
	v_mov_b32_e32 v17, v19
	v_pk_add_f32 v[2:3], v[2:3], v[28:29]
	v_pk_fma_f32 v[20:21], v[100:101], v[26:27], v[34:35] neg_lo:[0,0,1] neg_hi:[0,0,1]
	v_pk_fma_f32 v[22:23], v[100:101], v[26:27], v[34:35] op_sel_hi:[1,0,1]
	v_pk_add_f32 v[2:3], v[2:3], v[16:17]
	v_mov_b32_e32 v21, v23
	v_pk_add_f32 v[2:3], v[2:3], v[32:33]
	s_nop 0
	v_pk_add_f32 v[2:3], v[2:3], v[20:21]
	s_waitcnt vmcnt(0)
	v_pk_add_f32 v[2:3], v[102:103], v[2:3] neg_lo:[0,1] neg_hi:[0,1]
	scratch_store_dwordx2 off, v[2:3], off offset:96
	s_and_saveexec_b64 s[0:1], vcc
	s_cbranch_execz .LBB88_141
; %bb.140:
	scratch_load_dwordx2 v[2:3], off, off offset:88
	v_mov_b32_e32 v4, 0
	v_mov_b32_e32 v5, v4
	scratch_store_dwordx2 off, v[4:5], off offset:88
	s_waitcnt vmcnt(1)
	ds_write_b64 v1, v[2:3]
.LBB88_141:
	s_or_b64 exec, exec, s[0:1]
	s_waitcnt lgkmcnt(0)
	; wave barrier
	scratch_load_dwordx4 v[4:7], off, off offset:96
	scratch_load_dwordx4 v[8:11], off, off offset:112
	;; [unrolled: 1-line block ×6, first 2 shown]
	scratch_load_dwordx2 v[102:103], off, off offset:192
	scratch_load_dwordx2 v[104:105], off, off offset:88
	v_mov_b32_e32 v2, 0
	ds_read_b128 v[28:31], v2 offset:304
	ds_read_b128 v[32:35], v2 offset:320
	;; [unrolled: 1-line block ×6, first 2 shown]
	ds_read_b64 v[106:107], v2 offset:400
	v_cmp_lt_u32_e32 vcc, 10, v0
	s_waitcnt vmcnt(7) lgkmcnt(6)
	v_mul_f32_e32 v113, v30, v7
	v_mul_f32_e32 v3, v28, v5
	s_waitcnt vmcnt(5) lgkmcnt(4)
	v_mul_f32_e32 v111, v86, v13
	v_mul_f32_e32 v5, v29, v5
	v_mov_b32_e32 v112, v15
	s_waitcnt vmcnt(2) lgkmcnt(1)
	v_pk_mul_f32 v[122:123], v[98:99], v[24:25] op_sel:[1,1] op_sel_hi:[0,1]
	v_fmac_f32_e32 v113, v31, v6
	v_mul_f32_e32 v7, v31, v7
	v_mul_f32_e32 v13, v87, v13
	v_fmac_f32_e32 v3, v29, v4
	v_fmac_f32_e32 v111, v87, v12
	v_fma_f32 v87, v28, v4, -v5
	v_pk_mul_f32 v[4:5], v[88:89], v[112:113] op_sel:[1,0] op_sel_hi:[0,0]
	v_pk_fma_f32 v[28:29], v[98:99], v[24:25], v[122:123] neg_lo:[0,0,1] neg_hi:[0,0,1]
	v_pk_fma_f32 v[24:25], v[98:99], v[24:25], v[122:123] op_sel_hi:[1,0,1]
	v_mul_f32_e32 v117, v32, v9
	v_mul_f32_e32 v9, v33, v9
	v_fma_f32 v121, v30, v6, -v7
	v_fma_f32 v110, v86, v12, -v13
	v_add_f32_e32 v3, 0, v3
	v_add_f32_e32 v24, 0, v87
	v_pk_fma_f32 v[86:87], v[88:89], v[14:15], v[4:5] neg_lo:[0,0,1] neg_hi:[0,0,1]
	v_pk_fma_f32 v[4:5], v[88:89], v[14:15], v[4:5] op_sel_hi:[1,0,1]
	v_mul_f32_e32 v109, v34, v11
	v_mul_f32_e32 v11, v35, v11
	v_fmac_f32_e32 v117, v33, v8
	v_fma_f32 v125, v32, v8, -v9
	v_add_f32_e32 v3, v3, v113
	v_add_f32_e32 v4, v24, v121
	v_fmac_f32_e32 v109, v35, v10
	v_fma_f32 v108, v34, v10, -v11
	v_mov_b32_e32 v87, v5
	v_add_f32_e32 v5, v3, v117
	v_add_f32_e32 v4, v4, v125
	v_pk_mul_f32 v[114:115], v[90:91], v[16:17] op_sel:[1,1] op_sel_hi:[0,1]
	v_mov_b32_e32 v116, v19
	v_pk_add_f32 v[4:5], v[4:5], v[108:109]
	v_pk_fma_f32 v[6:7], v[90:91], v[16:17], v[114:115] neg_lo:[0,0,1] neg_hi:[0,0,1]
	v_pk_fma_f32 v[8:9], v[90:91], v[16:17], v[114:115] op_sel_hi:[1,0,1]
	v_pk_mul_f32 v[10:11], v[92:93], v[116:117] op_sel:[1,0] op_sel_hi:[0,0]
	v_pk_add_f32 v[4:5], v[4:5], v[110:111]
	v_pk_mul_f32 v[118:119], v[94:95], v[20:21] op_sel:[1,1] op_sel_hi:[0,1]
	v_mov_b32_e32 v120, v23
	v_mov_b32_e32 v7, v9
	v_pk_fma_f32 v[8:9], v[92:93], v[18:19], v[10:11] neg_lo:[0,0,1] neg_hi:[0,0,1]
	v_pk_fma_f32 v[10:11], v[92:93], v[18:19], v[10:11] op_sel_hi:[1,0,1]
	v_pk_add_f32 v[4:5], v[4:5], v[86:87]
	v_pk_fma_f32 v[12:13], v[94:95], v[20:21], v[118:119] neg_lo:[0,0,1] neg_hi:[0,0,1]
	v_pk_fma_f32 v[16:17], v[94:95], v[20:21], v[118:119] op_sel_hi:[1,0,1]
	v_pk_mul_f32 v[20:21], v[96:97], v[120:121] op_sel:[1,0] op_sel_hi:[0,0]
	v_mov_b32_e32 v9, v11
	v_pk_add_f32 v[4:5], v[4:5], v[6:7]
	v_mov_b32_e32 v124, v27
	v_mov_b32_e32 v13, v17
	v_pk_fma_f32 v[14:15], v[96:97], v[22:23], v[20:21] neg_lo:[0,0,1] neg_hi:[0,0,1]
	v_pk_fma_f32 v[16:17], v[96:97], v[22:23], v[20:21] op_sel_hi:[1,0,1]
	v_pk_add_f32 v[4:5], v[4:5], v[8:9]
	v_pk_mul_f32 v[30:31], v[100:101], v[124:125] op_sel:[1,0] op_sel_hi:[0,0]
	v_mov_b32_e32 v15, v17
	v_pk_add_f32 v[4:5], v[4:5], v[12:13]
	s_waitcnt vmcnt(1) lgkmcnt(0)
	v_pk_mul_f32 v[126:127], v[106:107], v[102:103] op_sel:[1,1] op_sel_hi:[0,1]
	v_mov_b32_e32 v29, v25
	v_pk_fma_f32 v[18:19], v[100:101], v[26:27], v[30:31] neg_lo:[0,0,1] neg_hi:[0,0,1]
	v_pk_fma_f32 v[20:21], v[100:101], v[26:27], v[30:31] op_sel_hi:[1,0,1]
	v_pk_add_f32 v[4:5], v[4:5], v[14:15]
	v_pk_fma_f32 v[32:33], v[106:107], v[102:103], v[126:127] neg_lo:[0,0,1] neg_hi:[0,0,1]
	v_pk_fma_f32 v[34:35], v[106:107], v[102:103], v[126:127] op_sel_hi:[1,0,1]
	v_mov_b32_e32 v19, v21
	v_pk_add_f32 v[4:5], v[4:5], v[28:29]
	v_mov_b32_e32 v33, v35
	v_pk_add_f32 v[4:5], v[4:5], v[18:19]
	s_nop 0
	v_pk_add_f32 v[4:5], v[4:5], v[32:33]
	s_waitcnt vmcnt(0)
	v_pk_add_f32 v[4:5], v[104:105], v[4:5] neg_lo:[0,1] neg_hi:[0,1]
	scratch_store_dwordx2 off, v[4:5], off offset:88
	s_and_saveexec_b64 s[0:1], vcc
	s_cbranch_execz .LBB88_143
; %bb.142:
	scratch_load_dwordx2 v[4:5], off, off offset:80
	v_mov_b32_e32 v3, v2
	scratch_store_dwordx2 off, v[2:3], off offset:80
	s_waitcnt vmcnt(1)
	ds_write_b64 v1, v[4:5]
.LBB88_143:
	s_or_b64 exec, exec, s[0:1]
	s_waitcnt lgkmcnt(0)
	; wave barrier
	scratch_load_dwordx4 v[4:7], off, off offset:88
	scratch_load_dwordx4 v[8:11], off, off offset:104
	;; [unrolled: 1-line block ×7, first 2 shown]
	ds_read2_b64 v[32:35], v2 offset0:37 offset1:38
	ds_read2_b64 v[86:89], v2 offset0:39 offset1:40
	;; [unrolled: 1-line block ×6, first 2 shown]
	scratch_load_dwordx2 v[110:111], off, off offset:80
	ds_read2_b64 v[106:109], v2 offset0:49 offset1:50
	v_cmp_lt_u32_e32 vcc, 9, v0
	s_waitcnt vmcnt(7) lgkmcnt(6)
	v_mul_f32_e32 v117, v32, v5
	v_mul_f32_e32 v121, v34, v7
	s_waitcnt vmcnt(6) lgkmcnt(5)
	v_mul_f32_e32 v125, v86, v9
	v_mul_f32_e32 v129, v88, v11
	;; [unrolled: 3-line block ×3, first 2 shown]
	v_mul_f32_e32 v2, v33, v5
	v_mul_f32_e32 v5, v35, v7
	;; [unrolled: 1-line block ×6, first 2 shown]
	s_waitcnt vmcnt(4) lgkmcnt(3)
	v_pk_mul_f32 v[114:115], v[94:95], v[16:17] op_sel:[1,1] op_sel_hi:[0,1]
	v_mov_b32_e32 v116, v19
	s_waitcnt vmcnt(3) lgkmcnt(2)
	v_pk_mul_f32 v[118:119], v[98:99], v[20:21] op_sel:[1,1] op_sel_hi:[0,1]
	v_mov_b32_e32 v120, v23
	s_waitcnt vmcnt(1) lgkmcnt(0)
	v_pk_mul_f32 v[126:127], v[106:107], v[28:29] op_sel:[1,1] op_sel_hi:[0,1]
	v_fmac_f32_e32 v117, v33, v4
	v_fmac_f32_e32 v121, v35, v6
	;; [unrolled: 1-line block ×6, first 2 shown]
	v_fma_f32 v87, v32, v4, -v2
	v_fma_f32 v89, v34, v6, -v5
	;; [unrolled: 1-line block ×6, first 2 shown]
	v_pk_fma_f32 v[4:5], v[94:95], v[16:17], v[114:115] neg_lo:[0,0,1] neg_hi:[0,0,1]
	v_pk_fma_f32 v[6:7], v[94:95], v[16:17], v[114:115] op_sel_hi:[1,0,1]
	v_pk_mul_f32 v[8:9], v[96:97], v[116:117] op_sel:[1,0] op_sel_hi:[0,0]
	v_pk_fma_f32 v[10:11], v[98:99], v[20:21], v[118:119] neg_lo:[0,0,1] neg_hi:[0,0,1]
	v_pk_fma_f32 v[12:13], v[98:99], v[20:21], v[118:119] op_sel_hi:[1,0,1]
	v_pk_mul_f32 v[14:15], v[100:101], v[120:121] op_sel:[1,0] op_sel_hi:[0,0]
	v_pk_fma_f32 v[32:33], v[106:107], v[28:29], v[126:127] neg_lo:[0,0,1] neg_hi:[0,0,1]
	v_pk_fma_f32 v[28:29], v[106:107], v[28:29], v[126:127] op_sel_hi:[1,0,1]
	v_add_f32_e32 v87, 0, v87
	v_add_f32_e32 v28, 0, v117
	v_mov_b32_e32 v5, v7
	v_pk_fma_f32 v[6:7], v[96:97], v[18:19], v[8:9] neg_lo:[0,0,1] neg_hi:[0,0,1]
	v_pk_fma_f32 v[8:9], v[96:97], v[18:19], v[8:9] op_sel_hi:[1,0,1]
	v_mov_b32_e32 v11, v13
	v_pk_fma_f32 v[12:13], v[100:101], v[22:23], v[14:15] neg_lo:[0,0,1] neg_hi:[0,0,1]
	v_pk_fma_f32 v[14:15], v[100:101], v[22:23], v[14:15] op_sel_hi:[1,0,1]
	v_add_f32_e32 v8, v28, v121
	v_add_f32_e32 v14, v87, v89
	;; [unrolled: 1-line block ×4, first 2 shown]
	v_mov_b32_e32 v7, v9
	v_add_f32_e32 v9, v8, v129
	v_add_f32_e32 v8, v14, v88
	v_pk_add_f32 v[2:3], v[8:9], v[2:3]
	v_pk_mul_f32 v[122:123], v[102:103], v[24:25] op_sel:[1,1] op_sel_hi:[0,1]
	v_pk_add_f32 v[2:3], v[2:3], v[112:113]
	v_mov_b32_e32 v124, v27
	v_pk_add_f32 v[2:3], v[2:3], v[4:5]
	v_pk_fma_f32 v[16:17], v[102:103], v[24:25], v[122:123] neg_lo:[0,0,1] neg_hi:[0,0,1]
	v_pk_add_f32 v[2:3], v[2:3], v[6:7]
	v_pk_fma_f32 v[20:21], v[102:103], v[24:25], v[122:123] op_sel_hi:[1,0,1]
	v_pk_mul_f32 v[24:25], v[104:105], v[124:125] op_sel:[1,0] op_sel_hi:[0,0]
	v_mov_b32_e32 v13, v15
	v_pk_add_f32 v[2:3], v[2:3], v[10:11]
	v_mov_b32_e32 v128, v31
	v_mov_b32_e32 v17, v21
	v_pk_fma_f32 v[18:19], v[104:105], v[26:27], v[24:25] neg_lo:[0,0,1] neg_hi:[0,0,1]
	v_pk_fma_f32 v[20:21], v[104:105], v[26:27], v[24:25] op_sel_hi:[1,0,1]
	v_pk_add_f32 v[2:3], v[2:3], v[12:13]
	v_pk_mul_f32 v[34:35], v[108:109], v[128:129] op_sel:[1,0] op_sel_hi:[0,0]
	v_mov_b32_e32 v19, v21
	v_pk_add_f32 v[2:3], v[2:3], v[16:17]
	v_mov_b32_e32 v33, v29
	v_pk_fma_f32 v[22:23], v[108:109], v[30:31], v[34:35] neg_lo:[0,0,1] neg_hi:[0,0,1]
	v_pk_fma_f32 v[24:25], v[108:109], v[30:31], v[34:35] op_sel_hi:[1,0,1]
	v_pk_add_f32 v[2:3], v[2:3], v[18:19]
	v_mov_b32_e32 v23, v25
	v_pk_add_f32 v[2:3], v[2:3], v[32:33]
	s_nop 0
	v_pk_add_f32 v[2:3], v[2:3], v[22:23]
	s_waitcnt vmcnt(0)
	v_pk_add_f32 v[2:3], v[110:111], v[2:3] neg_lo:[0,1] neg_hi:[0,1]
	scratch_store_dwordx2 off, v[2:3], off offset:80
	s_and_saveexec_b64 s[0:1], vcc
	s_cbranch_execz .LBB88_145
; %bb.144:
	scratch_load_dwordx2 v[2:3], off, off offset:72
	v_mov_b32_e32 v4, 0
	v_mov_b32_e32 v5, v4
	scratch_store_dwordx2 off, v[4:5], off offset:72
	s_waitcnt vmcnt(1)
	ds_write_b64 v1, v[2:3]
.LBB88_145:
	s_or_b64 exec, exec, s[0:1]
	v_mov_b32_e32 v2, 0
	s_waitcnt lgkmcnt(0)
	; wave barrier
	ds_read_b128 v[4:7], v2 offset:288
	ds_read_b128 v[8:11], v2 offset:304
	;; [unrolled: 1-line block ×4, first 2 shown]
	scratch_load_dwordx4 v[20:23], off, off offset:80
	v_cmp_lt_u32_e32 vcc, 8, v0
	s_waitcnt vmcnt(0) lgkmcnt(3)
	v_mul_f32_e32 v3, v4, v21
	v_fmac_f32_e32 v3, v5, v20
	v_mul_f32_e32 v24, v6, v23
	v_add_f32_e32 v3, 0, v3
	v_fmac_f32_e32 v24, v7, v22
	v_add_f32_e32 v3, v3, v24
	scratch_load_dwordx4 v[24:27], off, off offset:96
	s_waitcnt vmcnt(0) lgkmcnt(2)
	v_mul_f32_e32 v28, v8, v25
	v_fmac_f32_e32 v28, v9, v24
	v_add_f32_e32 v3, v3, v28
	v_mul_f32_e32 v28, v10, v27
	v_fmac_f32_e32 v28, v11, v26
	v_add_f32_e32 v3, v3, v28
	scratch_load_dwordx4 v[28:31], off, off offset:112
	s_waitcnt vmcnt(0) lgkmcnt(1)
	v_mul_f32_e32 v32, v12, v29
	v_fmac_f32_e32 v32, v13, v28
	v_add_f32_e32 v99, v3, v32
	scratch_load_dwordx4 v[32:35], off, off offset:128
	scratch_load_dwordx4 v[86:89], off, off offset:144
	;; [unrolled: 1-line block ×4, first 2 shown]
	scratch_load_dwordx2 v[104:105], off, off offset:192
	v_mul_f32_e32 v3, v5, v21
	v_fma_f32 v3, v4, v20, -v3
	v_mul_f32_e32 v4, v7, v23
	v_add_f32_e32 v3, 0, v3
	v_fma_f32 v4, v6, v22, -v4
	v_add_f32_e32 v3, v3, v4
	v_mul_f32_e32 v4, v9, v25
	v_fma_f32 v4, v8, v24, -v4
	v_add_f32_e32 v3, v3, v4
	v_mul_f32_e32 v4, v11, v27
	;; [unrolled: 3-line block ×3, first 2 shown]
	v_fma_f32 v4, v12, v28, -v4
	v_mul_f32_e32 v101, v14, v31
	v_add_f32_e32 v98, v3, v4
	v_mul_f32_e32 v3, v15, v31
	v_fmac_f32_e32 v101, v15, v30
	v_fma_f32 v100, v14, v30, -v3
	v_pk_add_f32 v[20:21], v[98:99], v[100:101]
	s_waitcnt vmcnt(4)
	v_mov_b32_e32 v22, v35
	s_waitcnt lgkmcnt(0)
	v_mul_f32_e32 v103, v16, v33
	v_mul_f32_e32 v3, v17, v33
	v_pk_mul_f32 v[22:23], v[18:19], v[22:23] op_sel:[1,0] op_sel_hi:[0,0]
	v_fmac_f32_e32 v103, v17, v32
	v_fma_f32 v102, v16, v32, -v3
	ds_read_b128 v[4:7], v2 offset:352
	ds_read_b128 v[8:11], v2 offset:368
	;; [unrolled: 1-line block ×3, first 2 shown]
	ds_read_b64 v[16:17], v2 offset:400
	v_pk_fma_f32 v[24:25], v[18:19], v[34:35], v[22:23] neg_lo:[0,0,1] neg_hi:[0,0,1]
	v_pk_fma_f32 v[18:19], v[18:19], v[34:35], v[22:23] op_sel_hi:[1,0,1]
	v_pk_add_f32 v[20:21], v[20:21], v[102:103]
	v_mov_b32_e32 v25, v19
	v_pk_add_f32 v[18:19], v[20:21], v[24:25]
	s_waitcnt vmcnt(3) lgkmcnt(3)
	v_pk_mul_f32 v[20:21], v[4:5], v[86:87] op_sel:[1,1] op_sel_hi:[0,1]
	v_pk_fma_f32 v[22:23], v[4:5], v[86:87], v[20:21] neg_lo:[0,0,1] neg_hi:[0,0,1]
	v_pk_fma_f32 v[4:5], v[4:5], v[86:87], v[20:21] op_sel_hi:[1,0,1]
	s_nop 0
	v_mov_b32_e32 v23, v5
	v_pk_add_f32 v[4:5], v[18:19], v[22:23]
	v_mov_b32_e32 v18, v89
	v_pk_mul_f32 v[18:19], v[6:7], v[18:19] op_sel:[1,0] op_sel_hi:[0,0]
	v_pk_fma_f32 v[20:21], v[6:7], v[88:89], v[18:19] neg_lo:[0,0,1] neg_hi:[0,0,1]
	v_pk_fma_f32 v[6:7], v[6:7], v[88:89], v[18:19] op_sel_hi:[1,0,1]
	s_nop 0
	v_mov_b32_e32 v21, v7
	s_waitcnt vmcnt(2) lgkmcnt(2)
	v_pk_mul_f32 v[6:7], v[8:9], v[90:91] op_sel:[1,1] op_sel_hi:[0,1]
	v_pk_fma_f32 v[18:19], v[8:9], v[90:91], v[6:7] neg_lo:[0,0,1] neg_hi:[0,0,1]
	v_pk_fma_f32 v[6:7], v[8:9], v[90:91], v[6:7] op_sel_hi:[1,0,1]
	v_pk_add_f32 v[4:5], v[4:5], v[20:21]
	v_mov_b32_e32 v6, v93
	v_mov_b32_e32 v19, v7
	v_pk_mul_f32 v[6:7], v[10:11], v[6:7] op_sel:[1,0] op_sel_hi:[0,0]
	v_pk_fma_f32 v[8:9], v[10:11], v[92:93], v[6:7] neg_lo:[0,0,1] neg_hi:[0,0,1]
	v_pk_fma_f32 v[6:7], v[10:11], v[92:93], v[6:7] op_sel_hi:[1,0,1]
	v_pk_add_f32 v[4:5], v[4:5], v[18:19]
	v_mov_b32_e32 v9, v7
	s_waitcnt vmcnt(1) lgkmcnt(1)
	v_pk_mul_f32 v[6:7], v[12:13], v[94:95] op_sel:[1,1] op_sel_hi:[0,1]
	v_pk_add_f32 v[4:5], v[4:5], v[8:9]
	v_pk_fma_f32 v[8:9], v[12:13], v[94:95], v[6:7] neg_lo:[0,0,1] neg_hi:[0,0,1]
	v_pk_fma_f32 v[6:7], v[12:13], v[94:95], v[6:7] op_sel_hi:[1,0,1]
	s_nop 0
	v_mov_b32_e32 v6, v97
	v_mov_b32_e32 v9, v7
	v_pk_mul_f32 v[6:7], v[14:15], v[6:7] op_sel:[1,0] op_sel_hi:[0,0]
	v_pk_add_f32 v[4:5], v[4:5], v[8:9]
	v_pk_fma_f32 v[8:9], v[14:15], v[96:97], v[6:7] neg_lo:[0,0,1] neg_hi:[0,0,1]
	v_pk_fma_f32 v[6:7], v[14:15], v[96:97], v[6:7] op_sel_hi:[1,0,1]
	s_nop 0
	v_mov_b32_e32 v9, v7
	s_waitcnt vmcnt(0) lgkmcnt(0)
	v_pk_mul_f32 v[6:7], v[16:17], v[104:105] op_sel:[1,1] op_sel_hi:[0,1]
	v_pk_add_f32 v[4:5], v[4:5], v[8:9]
	v_pk_fma_f32 v[8:9], v[16:17], v[104:105], v[6:7] neg_lo:[0,0,1] neg_hi:[0,0,1]
	v_pk_fma_f32 v[6:7], v[16:17], v[104:105], v[6:7] op_sel_hi:[1,0,1]
	s_nop 0
	v_mov_b32_e32 v9, v7
	scratch_load_dwordx2 v[6:7], off, off offset:72
	v_pk_add_f32 v[4:5], v[4:5], v[8:9]
	s_waitcnt vmcnt(0)
	v_pk_add_f32 v[4:5], v[6:7], v[4:5] neg_lo:[0,1] neg_hi:[0,1]
	scratch_store_dwordx2 off, v[4:5], off offset:72
	s_and_saveexec_b64 s[0:1], vcc
	s_cbranch_execz .LBB88_147
; %bb.146:
	scratch_load_dwordx2 v[4:5], off, off offset:64
	v_mov_b32_e32 v3, v2
	scratch_store_dwordx2 off, v[2:3], off offset:64
	s_waitcnt vmcnt(1)
	ds_write_b64 v1, v[4:5]
.LBB88_147:
	s_or_b64 exec, exec, s[0:1]
	s_waitcnt lgkmcnt(0)
	; wave barrier
	scratch_load_dwordx4 v[8:11], off, off offset:72
	scratch_load_dwordx4 v[16:19], off, off offset:88
	;; [unrolled: 1-line block ×4, first 2 shown]
	ds_read2_b64 v[4:7], v2 offset0:35 offset1:36
	v_cmp_lt_u32_e32 vcc, 7, v0
	s_waitcnt vmcnt(3) lgkmcnt(0)
	v_mul_f32_e32 v3, v4, v9
	v_fmac_f32_e32 v3, v5, v8
	v_mul_f32_e32 v12, v6, v11
	v_add_f32_e32 v3, 0, v3
	v_fmac_f32_e32 v12, v7, v10
	v_add_f32_e32 v3, v3, v12
	ds_read2_b64 v[12:15], v2 offset0:37 offset1:38
	s_waitcnt vmcnt(2) lgkmcnt(0)
	v_mul_f32_e32 v20, v12, v17
	v_fmac_f32_e32 v20, v13, v16
	v_add_f32_e32 v3, v3, v20
	v_mul_f32_e32 v20, v14, v19
	v_fmac_f32_e32 v20, v15, v18
	v_add_f32_e32 v3, v3, v20
	ds_read2_b64 v[20:23], v2 offset0:39 offset1:40
	s_waitcnt vmcnt(1) lgkmcnt(0)
	v_mul_f32_e32 v28, v20, v25
	v_fmac_f32_e32 v28, v21, v24
	v_add_f32_e32 v3, v3, v28
	v_mul_f32_e32 v28, v22, v27
	v_fmac_f32_e32 v28, v23, v26
	v_add_f32_e32 v103, v3, v28
	ds_read2_b64 v[28:31], v2 offset0:41 offset1:42
	scratch_load_dwordx4 v[86:89], off, off offset:136
	scratch_load_dwordx4 v[90:93], off, off offset:152
	;; [unrolled: 1-line block ×4, first 2 shown]
	v_mul_f32_e32 v3, v5, v9
	v_fma_f32 v3, v4, v8, -v3
	v_mul_f32_e32 v4, v7, v11
	v_add_f32_e32 v3, 0, v3
	v_fma_f32 v4, v6, v10, -v4
	v_add_f32_e32 v3, v3, v4
	v_mul_f32_e32 v4, v13, v17
	v_fma_f32 v4, v12, v16, -v4
	v_add_f32_e32 v3, v3, v4
	v_mul_f32_e32 v4, v15, v19
	;; [unrolled: 3-line block ×4, first 2 shown]
	v_fma_f32 v4, v22, v26, -v4
	v_add_f32_e32 v102, v3, v4
	ds_read2_b64 v[4:7], v2 offset0:43 offset1:44
	ds_read2_b64 v[8:11], v2 offset0:45 offset1:46
	;; [unrolled: 1-line block ×4, first 2 shown]
	s_waitcnt vmcnt(4) lgkmcnt(4)
	v_mul_f32_e32 v105, v28, v33
	v_mul_f32_e32 v3, v29, v33
	v_fmac_f32_e32 v105, v29, v32
	v_mul_f32_e32 v107, v30, v35
	v_fma_f32 v104, v28, v32, -v3
	v_mul_f32_e32 v3, v31, v35
	v_fmac_f32_e32 v107, v31, v34
	v_fma_f32 v106, v30, v34, -v3
	v_pk_add_f32 v[2:3], v[102:103], v[104:105]
	s_waitcnt vmcnt(3) lgkmcnt(3)
	v_pk_mul_f32 v[20:21], v[4:5], v[86:87] op_sel:[1,1] op_sel_hi:[0,1]
	v_pk_fma_f32 v[22:23], v[4:5], v[86:87], v[20:21] neg_lo:[0,0,1] neg_hi:[0,0,1]
	v_pk_fma_f32 v[4:5], v[4:5], v[86:87], v[20:21] op_sel_hi:[1,0,1]
	v_pk_add_f32 v[2:3], v[2:3], v[106:107]
	v_mov_b32_e32 v4, v89
	v_mov_b32_e32 v23, v5
	v_pk_mul_f32 v[4:5], v[6:7], v[4:5] op_sel:[1,0] op_sel_hi:[0,0]
	v_pk_fma_f32 v[20:21], v[6:7], v[88:89], v[4:5] neg_lo:[0,0,1] neg_hi:[0,0,1]
	v_pk_fma_f32 v[4:5], v[6:7], v[88:89], v[4:5] op_sel_hi:[1,0,1]
	v_pk_add_f32 v[2:3], v[2:3], v[22:23]
	v_mov_b32_e32 v21, v5
	s_waitcnt vmcnt(2) lgkmcnt(2)
	v_pk_mul_f32 v[4:5], v[8:9], v[90:91] op_sel:[1,1] op_sel_hi:[0,1]
	v_pk_fma_f32 v[6:7], v[8:9], v[90:91], v[4:5] neg_lo:[0,0,1] neg_hi:[0,0,1]
	v_pk_fma_f32 v[4:5], v[8:9], v[90:91], v[4:5] op_sel_hi:[1,0,1]
	v_pk_add_f32 v[2:3], v[2:3], v[20:21]
	v_mov_b32_e32 v4, v93
	v_mov_b32_e32 v7, v5
	v_pk_mul_f32 v[4:5], v[10:11], v[4:5] op_sel:[1,0] op_sel_hi:[0,0]
	v_pk_add_f32 v[2:3], v[2:3], v[6:7]
	v_pk_fma_f32 v[6:7], v[10:11], v[92:93], v[4:5] neg_lo:[0,0,1] neg_hi:[0,0,1]
	v_pk_fma_f32 v[4:5], v[10:11], v[92:93], v[4:5] op_sel_hi:[1,0,1]
	s_nop 0
	v_mov_b32_e32 v7, v5
	s_waitcnt vmcnt(1) lgkmcnt(1)
	v_pk_mul_f32 v[4:5], v[12:13], v[94:95] op_sel:[1,1] op_sel_hi:[0,1]
	v_pk_add_f32 v[2:3], v[2:3], v[6:7]
	v_pk_fma_f32 v[6:7], v[12:13], v[94:95], v[4:5] neg_lo:[0,0,1] neg_hi:[0,0,1]
	v_pk_fma_f32 v[4:5], v[12:13], v[94:95], v[4:5] op_sel_hi:[1,0,1]
	s_nop 0
	v_mov_b32_e32 v4, v97
	v_mov_b32_e32 v7, v5
	v_pk_mul_f32 v[4:5], v[14:15], v[4:5] op_sel:[1,0] op_sel_hi:[0,0]
	v_pk_add_f32 v[2:3], v[2:3], v[6:7]
	v_pk_fma_f32 v[6:7], v[14:15], v[96:97], v[4:5] neg_lo:[0,0,1] neg_hi:[0,0,1]
	v_pk_fma_f32 v[4:5], v[14:15], v[96:97], v[4:5] op_sel_hi:[1,0,1]
	s_nop 0
	v_mov_b32_e32 v7, v5
	s_waitcnt vmcnt(0) lgkmcnt(0)
	v_pk_mul_f32 v[4:5], v[16:17], v[98:99] op_sel:[1,1] op_sel_hi:[0,1]
	v_pk_add_f32 v[2:3], v[2:3], v[6:7]
	v_pk_fma_f32 v[6:7], v[16:17], v[98:99], v[4:5] neg_lo:[0,0,1] neg_hi:[0,0,1]
	v_pk_fma_f32 v[4:5], v[16:17], v[98:99], v[4:5] op_sel_hi:[1,0,1]
	s_nop 0
	v_mov_b32_e32 v4, v101
	v_mov_b32_e32 v7, v5
	v_pk_mul_f32 v[4:5], v[18:19], v[4:5] op_sel:[1,0] op_sel_hi:[0,0]
	v_pk_add_f32 v[2:3], v[2:3], v[6:7]
	v_pk_fma_f32 v[6:7], v[18:19], v[100:101], v[4:5] neg_lo:[0,0,1] neg_hi:[0,0,1]
	v_pk_fma_f32 v[4:5], v[18:19], v[100:101], v[4:5] op_sel_hi:[1,0,1]
	s_nop 0
	v_mov_b32_e32 v7, v5
	scratch_load_dwordx2 v[4:5], off, off offset:64
	v_pk_add_f32 v[2:3], v[2:3], v[6:7]
	s_waitcnt vmcnt(0)
	v_pk_add_f32 v[2:3], v[4:5], v[2:3] neg_lo:[0,1] neg_hi:[0,1]
	scratch_store_dwordx2 off, v[2:3], off offset:64
	s_and_saveexec_b64 s[0:1], vcc
	s_cbranch_execz .LBB88_149
; %bb.148:
	scratch_load_dwordx2 v[2:3], off, off offset:56
	v_mov_b32_e32 v4, 0
	v_mov_b32_e32 v5, v4
	scratch_store_dwordx2 off, v[4:5], off offset:56
	s_waitcnt vmcnt(1)
	ds_write_b64 v1, v[2:3]
.LBB88_149:
	s_or_b64 exec, exec, s[0:1]
	v_mov_b32_e32 v2, 0
	s_waitcnt lgkmcnt(0)
	; wave barrier
	ds_read_b128 v[4:7], v2 offset:272
	ds_read_b128 v[8:11], v2 offset:288
	;; [unrolled: 1-line block ×4, first 2 shown]
	scratch_load_dwordx4 v[20:23], off, off offset:64
	scratch_load_dwordx4 v[90:93], off, off offset:128
	v_cmp_lt_u32_e32 vcc, 6, v0
	s_waitcnt vmcnt(1) lgkmcnt(3)
	v_mul_f32_e32 v3, v4, v21
	v_fmac_f32_e32 v3, v5, v20
	v_mul_f32_e32 v24, v6, v23
	v_add_f32_e32 v3, 0, v3
	v_fmac_f32_e32 v24, v7, v22
	v_add_f32_e32 v3, v3, v24
	scratch_load_dwordx4 v[24:27], off, off offset:80
	s_waitcnt vmcnt(0) lgkmcnt(2)
	v_mul_f32_e32 v28, v8, v25
	v_fmac_f32_e32 v28, v9, v24
	v_add_f32_e32 v3, v3, v28
	v_mul_f32_e32 v28, v10, v27
	v_fmac_f32_e32 v28, v11, v26
	v_add_f32_e32 v3, v3, v28
	scratch_load_dwordx4 v[28:31], off, off offset:96
	s_waitcnt vmcnt(0) lgkmcnt(1)
	v_mul_f32_e32 v32, v12, v29
	v_fmac_f32_e32 v32, v13, v28
	v_add_f32_e32 v3, v3, v32
	v_mul_f32_e32 v32, v14, v31
	v_fmac_f32_e32 v32, v15, v30
	v_add_f32_e32 v3, v3, v32
	scratch_load_dwordx4 v[32:35], off, off offset:112
	s_waitcnt vmcnt(0) lgkmcnt(0)
	v_mul_f32_e32 v86, v16, v33
	v_fmac_f32_e32 v86, v17, v32
	v_add_f32_e32 v107, v3, v86
	ds_read_b128 v[86:89], v2 offset:336
	scratch_load_dwordx4 v[94:97], off, off offset:144
	scratch_load_dwordx4 v[98:101], off, off offset:160
	;; [unrolled: 1-line block ×3, first 2 shown]
	scratch_load_dwordx2 v[112:113], off, off offset:192
	v_mul_f32_e32 v3, v5, v21
	v_fma_f32 v3, v4, v20, -v3
	v_mul_f32_e32 v4, v7, v23
	v_add_f32_e32 v3, 0, v3
	v_fma_f32 v4, v6, v22, -v4
	v_add_f32_e32 v3, v3, v4
	v_mul_f32_e32 v4, v9, v25
	v_fma_f32 v4, v8, v24, -v4
	v_add_f32_e32 v3, v3, v4
	v_mul_f32_e32 v4, v11, v27
	;; [unrolled: 3-line block ×5, first 2 shown]
	v_fma_f32 v4, v16, v32, -v4
	v_mul_f32_e32 v109, v18, v35
	v_add_f32_e32 v106, v3, v4
	v_mul_f32_e32 v3, v19, v35
	v_mov_b32_e32 v20, v93
	v_fmac_f32_e32 v109, v19, v34
	s_waitcnt lgkmcnt(0)
	v_mul_f32_e32 v111, v86, v91
	v_fma_f32 v108, v18, v34, -v3
	v_mul_f32_e32 v3, v87, v91
	ds_read_b128 v[4:7], v2 offset:352
	ds_read_b128 v[8:11], v2 offset:368
	;; [unrolled: 1-line block ×3, first 2 shown]
	ds_read_b64 v[16:17], v2 offset:400
	v_pk_mul_f32 v[20:21], v[88:89], v[20:21] op_sel:[1,0] op_sel_hi:[0,0]
	v_fmac_f32_e32 v111, v87, v90
	v_fma_f32 v110, v86, v90, -v3
	v_pk_add_f32 v[18:19], v[106:107], v[108:109]
	v_pk_fma_f32 v[22:23], v[88:89], v[92:93], v[20:21] neg_lo:[0,0,1] neg_hi:[0,0,1]
	v_pk_fma_f32 v[20:21], v[88:89], v[92:93], v[20:21] op_sel_hi:[1,0,1]
	v_pk_add_f32 v[18:19], v[18:19], v[110:111]
	v_mov_b32_e32 v23, v21
	v_pk_add_f32 v[18:19], v[18:19], v[22:23]
	s_waitcnt vmcnt(3) lgkmcnt(3)
	v_pk_mul_f32 v[20:21], v[4:5], v[94:95] op_sel:[1,1] op_sel_hi:[0,1]
	v_pk_fma_f32 v[22:23], v[4:5], v[94:95], v[20:21] neg_lo:[0,0,1] neg_hi:[0,0,1]
	v_pk_fma_f32 v[4:5], v[4:5], v[94:95], v[20:21] op_sel_hi:[1,0,1]
	s_nop 0
	v_mov_b32_e32 v23, v5
	v_pk_add_f32 v[4:5], v[18:19], v[22:23]
	v_mov_b32_e32 v18, v97
	v_pk_mul_f32 v[18:19], v[6:7], v[18:19] op_sel:[1,0] op_sel_hi:[0,0]
	v_pk_fma_f32 v[20:21], v[6:7], v[96:97], v[18:19] neg_lo:[0,0,1] neg_hi:[0,0,1]
	v_pk_fma_f32 v[6:7], v[6:7], v[96:97], v[18:19] op_sel_hi:[1,0,1]
	s_nop 0
	v_mov_b32_e32 v21, v7
	s_waitcnt vmcnt(2) lgkmcnt(2)
	v_pk_mul_f32 v[6:7], v[8:9], v[98:99] op_sel:[1,1] op_sel_hi:[0,1]
	v_pk_fma_f32 v[18:19], v[8:9], v[98:99], v[6:7] neg_lo:[0,0,1] neg_hi:[0,0,1]
	v_pk_fma_f32 v[6:7], v[8:9], v[98:99], v[6:7] op_sel_hi:[1,0,1]
	v_pk_add_f32 v[4:5], v[4:5], v[20:21]
	v_mov_b32_e32 v6, v101
	v_mov_b32_e32 v19, v7
	v_pk_mul_f32 v[6:7], v[10:11], v[6:7] op_sel:[1,0] op_sel_hi:[0,0]
	v_pk_fma_f32 v[8:9], v[10:11], v[100:101], v[6:7] neg_lo:[0,0,1] neg_hi:[0,0,1]
	v_pk_fma_f32 v[6:7], v[10:11], v[100:101], v[6:7] op_sel_hi:[1,0,1]
	v_pk_add_f32 v[4:5], v[4:5], v[18:19]
	v_mov_b32_e32 v9, v7
	s_waitcnt vmcnt(1) lgkmcnt(1)
	v_pk_mul_f32 v[6:7], v[12:13], v[102:103] op_sel:[1,1] op_sel_hi:[0,1]
	v_pk_add_f32 v[4:5], v[4:5], v[8:9]
	v_pk_fma_f32 v[8:9], v[12:13], v[102:103], v[6:7] neg_lo:[0,0,1] neg_hi:[0,0,1]
	v_pk_fma_f32 v[6:7], v[12:13], v[102:103], v[6:7] op_sel_hi:[1,0,1]
	s_nop 0
	v_mov_b32_e32 v6, v105
	v_mov_b32_e32 v9, v7
	v_pk_mul_f32 v[6:7], v[14:15], v[6:7] op_sel:[1,0] op_sel_hi:[0,0]
	v_pk_add_f32 v[4:5], v[4:5], v[8:9]
	v_pk_fma_f32 v[8:9], v[14:15], v[104:105], v[6:7] neg_lo:[0,0,1] neg_hi:[0,0,1]
	v_pk_fma_f32 v[6:7], v[14:15], v[104:105], v[6:7] op_sel_hi:[1,0,1]
	s_nop 0
	v_mov_b32_e32 v9, v7
	s_waitcnt vmcnt(0) lgkmcnt(0)
	v_pk_mul_f32 v[6:7], v[16:17], v[112:113] op_sel:[1,1] op_sel_hi:[0,1]
	v_pk_add_f32 v[4:5], v[4:5], v[8:9]
	v_pk_fma_f32 v[8:9], v[16:17], v[112:113], v[6:7] neg_lo:[0,0,1] neg_hi:[0,0,1]
	v_pk_fma_f32 v[6:7], v[16:17], v[112:113], v[6:7] op_sel_hi:[1,0,1]
	s_nop 0
	v_mov_b32_e32 v9, v7
	scratch_load_dwordx2 v[6:7], off, off offset:56
	v_pk_add_f32 v[4:5], v[4:5], v[8:9]
	s_waitcnt vmcnt(0)
	v_pk_add_f32 v[4:5], v[6:7], v[4:5] neg_lo:[0,1] neg_hi:[0,1]
	scratch_store_dwordx2 off, v[4:5], off offset:56
	s_and_saveexec_b64 s[0:1], vcc
	s_cbranch_execz .LBB88_151
; %bb.150:
	scratch_load_dwordx2 v[4:5], off, off offset:48
	v_mov_b32_e32 v3, v2
	scratch_store_dwordx2 off, v[2:3], off offset:48
	s_waitcnt vmcnt(1)
	ds_write_b64 v1, v[4:5]
.LBB88_151:
	s_or_b64 exec, exec, s[0:1]
	s_waitcnt lgkmcnt(0)
	; wave barrier
	scratch_load_dwordx4 v[8:11], off, off offset:56
	scratch_load_dwordx4 v[16:19], off, off offset:72
	;; [unrolled: 1-line block ×4, first 2 shown]
	ds_read2_b64 v[4:7], v2 offset0:33 offset1:34
	scratch_load_dwordx4 v[90:93], off, off offset:120
	v_cmp_lt_u32_e32 vcc, 5, v0
	s_waitcnt vmcnt(4) lgkmcnt(0)
	v_mul_f32_e32 v3, v4, v9
	v_fmac_f32_e32 v3, v5, v8
	v_mul_f32_e32 v12, v6, v11
	v_add_f32_e32 v3, 0, v3
	v_fmac_f32_e32 v12, v7, v10
	v_add_f32_e32 v3, v3, v12
	ds_read2_b64 v[12:15], v2 offset0:35 offset1:36
	s_waitcnt vmcnt(3) lgkmcnt(0)
	v_mul_f32_e32 v20, v12, v17
	v_fmac_f32_e32 v20, v13, v16
	v_add_f32_e32 v3, v3, v20
	v_mul_f32_e32 v20, v14, v19
	v_fmac_f32_e32 v20, v15, v18
	v_add_f32_e32 v3, v3, v20
	ds_read2_b64 v[20:23], v2 offset0:37 offset1:38
	s_waitcnt vmcnt(2) lgkmcnt(0)
	v_mul_f32_e32 v28, v20, v25
	v_fmac_f32_e32 v28, v21, v24
	v_add_f32_e32 v3, v3, v28
	v_mul_f32_e32 v28, v22, v27
	;; [unrolled: 8-line block ×3, first 2 shown]
	v_fmac_f32_e32 v86, v31, v34
	v_add_f32_e32 v111, v3, v86
	ds_read2_b64 v[86:89], v2 offset0:41 offset1:42
	scratch_load_dwordx4 v[94:97], off, off offset:136
	scratch_load_dwordx4 v[98:101], off, off offset:152
	;; [unrolled: 1-line block ×4, first 2 shown]
	v_mul_f32_e32 v3, v5, v9
	v_fma_f32 v3, v4, v8, -v3
	v_mul_f32_e32 v4, v7, v11
	v_add_f32_e32 v3, 0, v3
	v_fma_f32 v4, v6, v10, -v4
	v_add_f32_e32 v3, v3, v4
	v_mul_f32_e32 v4, v13, v17
	v_fma_f32 v4, v12, v16, -v4
	v_add_f32_e32 v3, v3, v4
	v_mul_f32_e32 v4, v15, v19
	;; [unrolled: 3-line block ×6, first 2 shown]
	v_fma_f32 v4, v30, v34, -v4
	v_add_f32_e32 v110, v3, v4
	ds_read2_b64 v[4:7], v2 offset0:43 offset1:44
	ds_read2_b64 v[8:11], v2 offset0:45 offset1:46
	;; [unrolled: 1-line block ×4, first 2 shown]
	s_waitcnt vmcnt(4) lgkmcnt(4)
	v_mul_f32_e32 v113, v86, v91
	v_mul_f32_e32 v3, v87, v91
	v_fmac_f32_e32 v113, v87, v90
	v_mul_f32_e32 v115, v88, v93
	v_fma_f32 v112, v86, v90, -v3
	v_mul_f32_e32 v3, v89, v93
	v_fmac_f32_e32 v115, v89, v92
	v_fma_f32 v114, v88, v92, -v3
	v_pk_add_f32 v[2:3], v[110:111], v[112:113]
	s_waitcnt vmcnt(3) lgkmcnt(3)
	v_pk_mul_f32 v[20:21], v[4:5], v[94:95] op_sel:[1,1] op_sel_hi:[0,1]
	v_pk_fma_f32 v[22:23], v[4:5], v[94:95], v[20:21] neg_lo:[0,0,1] neg_hi:[0,0,1]
	v_pk_fma_f32 v[4:5], v[4:5], v[94:95], v[20:21] op_sel_hi:[1,0,1]
	v_pk_add_f32 v[2:3], v[2:3], v[114:115]
	v_mov_b32_e32 v4, v97
	v_mov_b32_e32 v23, v5
	v_pk_mul_f32 v[4:5], v[6:7], v[4:5] op_sel:[1,0] op_sel_hi:[0,0]
	v_pk_fma_f32 v[20:21], v[6:7], v[96:97], v[4:5] neg_lo:[0,0,1] neg_hi:[0,0,1]
	v_pk_fma_f32 v[4:5], v[6:7], v[96:97], v[4:5] op_sel_hi:[1,0,1]
	v_pk_add_f32 v[2:3], v[2:3], v[22:23]
	v_mov_b32_e32 v21, v5
	s_waitcnt vmcnt(2) lgkmcnt(2)
	v_pk_mul_f32 v[4:5], v[8:9], v[98:99] op_sel:[1,1] op_sel_hi:[0,1]
	v_pk_fma_f32 v[6:7], v[8:9], v[98:99], v[4:5] neg_lo:[0,0,1] neg_hi:[0,0,1]
	v_pk_fma_f32 v[4:5], v[8:9], v[98:99], v[4:5] op_sel_hi:[1,0,1]
	v_pk_add_f32 v[2:3], v[2:3], v[20:21]
	v_mov_b32_e32 v4, v101
	v_mov_b32_e32 v7, v5
	v_pk_mul_f32 v[4:5], v[10:11], v[4:5] op_sel:[1,0] op_sel_hi:[0,0]
	v_pk_add_f32 v[2:3], v[2:3], v[6:7]
	v_pk_fma_f32 v[6:7], v[10:11], v[100:101], v[4:5] neg_lo:[0,0,1] neg_hi:[0,0,1]
	v_pk_fma_f32 v[4:5], v[10:11], v[100:101], v[4:5] op_sel_hi:[1,0,1]
	s_nop 0
	v_mov_b32_e32 v7, v5
	s_waitcnt vmcnt(1) lgkmcnt(1)
	v_pk_mul_f32 v[4:5], v[12:13], v[102:103] op_sel:[1,1] op_sel_hi:[0,1]
	v_pk_add_f32 v[2:3], v[2:3], v[6:7]
	v_pk_fma_f32 v[6:7], v[12:13], v[102:103], v[4:5] neg_lo:[0,0,1] neg_hi:[0,0,1]
	v_pk_fma_f32 v[4:5], v[12:13], v[102:103], v[4:5] op_sel_hi:[1,0,1]
	s_nop 0
	v_mov_b32_e32 v4, v105
	v_mov_b32_e32 v7, v5
	v_pk_mul_f32 v[4:5], v[14:15], v[4:5] op_sel:[1,0] op_sel_hi:[0,0]
	v_pk_add_f32 v[2:3], v[2:3], v[6:7]
	v_pk_fma_f32 v[6:7], v[14:15], v[104:105], v[4:5] neg_lo:[0,0,1] neg_hi:[0,0,1]
	v_pk_fma_f32 v[4:5], v[14:15], v[104:105], v[4:5] op_sel_hi:[1,0,1]
	s_nop 0
	v_mov_b32_e32 v7, v5
	s_waitcnt vmcnt(0) lgkmcnt(0)
	v_pk_mul_f32 v[4:5], v[16:17], v[106:107] op_sel:[1,1] op_sel_hi:[0,1]
	v_pk_add_f32 v[2:3], v[2:3], v[6:7]
	v_pk_fma_f32 v[6:7], v[16:17], v[106:107], v[4:5] neg_lo:[0,0,1] neg_hi:[0,0,1]
	v_pk_fma_f32 v[4:5], v[16:17], v[106:107], v[4:5] op_sel_hi:[1,0,1]
	s_nop 0
	v_mov_b32_e32 v4, v109
	v_mov_b32_e32 v7, v5
	v_pk_mul_f32 v[4:5], v[18:19], v[4:5] op_sel:[1,0] op_sel_hi:[0,0]
	v_pk_add_f32 v[2:3], v[2:3], v[6:7]
	v_pk_fma_f32 v[6:7], v[18:19], v[108:109], v[4:5] neg_lo:[0,0,1] neg_hi:[0,0,1]
	v_pk_fma_f32 v[4:5], v[18:19], v[108:109], v[4:5] op_sel_hi:[1,0,1]
	s_nop 0
	v_mov_b32_e32 v7, v5
	scratch_load_dwordx2 v[4:5], off, off offset:48
	v_pk_add_f32 v[2:3], v[2:3], v[6:7]
	s_waitcnt vmcnt(0)
	v_pk_add_f32 v[2:3], v[4:5], v[2:3] neg_lo:[0,1] neg_hi:[0,1]
	scratch_store_dwordx2 off, v[2:3], off offset:48
	s_and_saveexec_b64 s[0:1], vcc
	s_cbranch_execz .LBB88_153
; %bb.152:
	scratch_load_dwordx2 v[2:3], off, off offset:40
	v_mov_b32_e32 v4, 0
	v_mov_b32_e32 v5, v4
	scratch_store_dwordx2 off, v[4:5], off offset:40
	s_waitcnt vmcnt(1)
	ds_write_b64 v1, v[2:3]
.LBB88_153:
	s_or_b64 exec, exec, s[0:1]
	v_mov_b32_e32 v2, 0
	s_waitcnt lgkmcnt(0)
	; wave barrier
	ds_read_b128 v[4:7], v2 offset:256
	ds_read_b128 v[8:11], v2 offset:272
	;; [unrolled: 1-line block ×4, first 2 shown]
	scratch_load_dwordx4 v[20:23], off, off offset:48
	scratch_load_dwordx4 v[90:93], off, off offset:112
	v_cmp_lt_u32_e32 vcc, 4, v0
	scratch_load_dwordx4 v[98:101], off, off offset:128
	s_waitcnt vmcnt(2) lgkmcnt(3)
	v_mul_f32_e32 v3, v4, v21
	v_fmac_f32_e32 v3, v5, v20
	v_mul_f32_e32 v24, v6, v23
	v_add_f32_e32 v3, 0, v3
	v_fmac_f32_e32 v24, v7, v22
	v_add_f32_e32 v3, v3, v24
	scratch_load_dwordx4 v[24:27], off, off offset:64
	s_waitcnt vmcnt(0) lgkmcnt(2)
	v_mul_f32_e32 v28, v8, v25
	v_fmac_f32_e32 v28, v9, v24
	v_add_f32_e32 v3, v3, v28
	v_mul_f32_e32 v28, v10, v27
	v_fmac_f32_e32 v28, v11, v26
	v_add_f32_e32 v3, v3, v28
	scratch_load_dwordx4 v[28:31], off, off offset:80
	s_waitcnt vmcnt(0) lgkmcnt(1)
	v_mul_f32_e32 v32, v12, v29
	v_fmac_f32_e32 v32, v13, v28
	v_add_f32_e32 v3, v3, v32
	v_mul_f32_e32 v32, v14, v31
	;; [unrolled: 8-line block ×3, first 2 shown]
	v_fmac_f32_e32 v86, v19, v34
	v_add_f32_e32 v3, v3, v86
	ds_read_b128 v[86:89], v2 offset:320
	s_waitcnt lgkmcnt(0)
	v_mul_f32_e32 v94, v86, v91
	v_fmac_f32_e32 v94, v87, v90
	v_add_f32_e32 v115, v3, v94
	ds_read_b128 v[94:97], v2 offset:336
	scratch_load_dwordx4 v[102:105], off, off offset:144
	scratch_load_dwordx4 v[106:109], off, off offset:160
	;; [unrolled: 1-line block ×3, first 2 shown]
	scratch_load_dwordx2 v[120:121], off, off offset:192
	v_mul_f32_e32 v3, v5, v21
	v_fma_f32 v3, v4, v20, -v3
	v_mul_f32_e32 v4, v7, v23
	v_add_f32_e32 v3, 0, v3
	v_fma_f32 v4, v6, v22, -v4
	v_add_f32_e32 v3, v3, v4
	v_mul_f32_e32 v4, v9, v25
	v_fma_f32 v4, v8, v24, -v4
	v_add_f32_e32 v3, v3, v4
	v_mul_f32_e32 v4, v11, v27
	;; [unrolled: 3-line block ×7, first 2 shown]
	v_fma_f32 v4, v86, v90, -v4
	v_mul_f32_e32 v117, v88, v93
	v_add_f32_e32 v114, v3, v4
	v_mul_f32_e32 v3, v89, v93
	v_mov_b32_e32 v20, v101
	v_fmac_f32_e32 v117, v89, v92
	s_waitcnt lgkmcnt(0)
	v_mul_f32_e32 v119, v94, v99
	v_fma_f32 v116, v88, v92, -v3
	v_mul_f32_e32 v3, v95, v99
	ds_read_b128 v[4:7], v2 offset:352
	ds_read_b128 v[8:11], v2 offset:368
	;; [unrolled: 1-line block ×3, first 2 shown]
	ds_read_b64 v[16:17], v2 offset:400
	v_pk_mul_f32 v[20:21], v[96:97], v[20:21] op_sel:[1,0] op_sel_hi:[0,0]
	v_fmac_f32_e32 v119, v95, v98
	v_fma_f32 v118, v94, v98, -v3
	v_pk_add_f32 v[18:19], v[114:115], v[116:117]
	v_pk_fma_f32 v[22:23], v[96:97], v[100:101], v[20:21] neg_lo:[0,0,1] neg_hi:[0,0,1]
	v_pk_fma_f32 v[20:21], v[96:97], v[100:101], v[20:21] op_sel_hi:[1,0,1]
	v_pk_add_f32 v[18:19], v[18:19], v[118:119]
	v_mov_b32_e32 v23, v21
	v_pk_add_f32 v[18:19], v[18:19], v[22:23]
	s_waitcnt vmcnt(3) lgkmcnt(3)
	v_pk_mul_f32 v[20:21], v[4:5], v[102:103] op_sel:[1,1] op_sel_hi:[0,1]
	v_pk_fma_f32 v[22:23], v[4:5], v[102:103], v[20:21] neg_lo:[0,0,1] neg_hi:[0,0,1]
	v_pk_fma_f32 v[4:5], v[4:5], v[102:103], v[20:21] op_sel_hi:[1,0,1]
	s_nop 0
	v_mov_b32_e32 v23, v5
	v_pk_add_f32 v[4:5], v[18:19], v[22:23]
	v_mov_b32_e32 v18, v105
	v_pk_mul_f32 v[18:19], v[6:7], v[18:19] op_sel:[1,0] op_sel_hi:[0,0]
	v_pk_fma_f32 v[20:21], v[6:7], v[104:105], v[18:19] neg_lo:[0,0,1] neg_hi:[0,0,1]
	v_pk_fma_f32 v[6:7], v[6:7], v[104:105], v[18:19] op_sel_hi:[1,0,1]
	s_nop 0
	v_mov_b32_e32 v21, v7
	s_waitcnt vmcnt(2) lgkmcnt(2)
	v_pk_mul_f32 v[6:7], v[8:9], v[106:107] op_sel:[1,1] op_sel_hi:[0,1]
	v_pk_fma_f32 v[18:19], v[8:9], v[106:107], v[6:7] neg_lo:[0,0,1] neg_hi:[0,0,1]
	v_pk_fma_f32 v[6:7], v[8:9], v[106:107], v[6:7] op_sel_hi:[1,0,1]
	v_pk_add_f32 v[4:5], v[4:5], v[20:21]
	v_mov_b32_e32 v6, v109
	v_mov_b32_e32 v19, v7
	v_pk_mul_f32 v[6:7], v[10:11], v[6:7] op_sel:[1,0] op_sel_hi:[0,0]
	v_pk_fma_f32 v[8:9], v[10:11], v[108:109], v[6:7] neg_lo:[0,0,1] neg_hi:[0,0,1]
	v_pk_fma_f32 v[6:7], v[10:11], v[108:109], v[6:7] op_sel_hi:[1,0,1]
	v_pk_add_f32 v[4:5], v[4:5], v[18:19]
	v_mov_b32_e32 v9, v7
	s_waitcnt vmcnt(1) lgkmcnt(1)
	v_pk_mul_f32 v[6:7], v[12:13], v[110:111] op_sel:[1,1] op_sel_hi:[0,1]
	v_pk_add_f32 v[4:5], v[4:5], v[8:9]
	v_pk_fma_f32 v[8:9], v[12:13], v[110:111], v[6:7] neg_lo:[0,0,1] neg_hi:[0,0,1]
	v_pk_fma_f32 v[6:7], v[12:13], v[110:111], v[6:7] op_sel_hi:[1,0,1]
	s_nop 0
	v_mov_b32_e32 v6, v113
	v_mov_b32_e32 v9, v7
	v_pk_mul_f32 v[6:7], v[14:15], v[6:7] op_sel:[1,0] op_sel_hi:[0,0]
	v_pk_add_f32 v[4:5], v[4:5], v[8:9]
	v_pk_fma_f32 v[8:9], v[14:15], v[112:113], v[6:7] neg_lo:[0,0,1] neg_hi:[0,0,1]
	v_pk_fma_f32 v[6:7], v[14:15], v[112:113], v[6:7] op_sel_hi:[1,0,1]
	s_nop 0
	v_mov_b32_e32 v9, v7
	s_waitcnt vmcnt(0) lgkmcnt(0)
	v_pk_mul_f32 v[6:7], v[16:17], v[120:121] op_sel:[1,1] op_sel_hi:[0,1]
	v_pk_add_f32 v[4:5], v[4:5], v[8:9]
	v_pk_fma_f32 v[8:9], v[16:17], v[120:121], v[6:7] neg_lo:[0,0,1] neg_hi:[0,0,1]
	v_pk_fma_f32 v[6:7], v[16:17], v[120:121], v[6:7] op_sel_hi:[1,0,1]
	s_nop 0
	v_mov_b32_e32 v9, v7
	scratch_load_dwordx2 v[6:7], off, off offset:40
	v_pk_add_f32 v[4:5], v[4:5], v[8:9]
	s_waitcnt vmcnt(0)
	v_pk_add_f32 v[4:5], v[6:7], v[4:5] neg_lo:[0,1] neg_hi:[0,1]
	scratch_store_dwordx2 off, v[4:5], off offset:40
	s_and_saveexec_b64 s[0:1], vcc
	s_cbranch_execz .LBB88_155
; %bb.154:
	scratch_load_dwordx2 v[4:5], off, off offset:32
	v_mov_b32_e32 v3, v2
	scratch_store_dwordx2 off, v[2:3], off offset:32
	s_waitcnt vmcnt(1)
	ds_write_b64 v1, v[4:5]
.LBB88_155:
	s_or_b64 exec, exec, s[0:1]
	s_waitcnt lgkmcnt(0)
	; wave barrier
	scratch_load_dwordx4 v[8:11], off, off offset:40
	scratch_load_dwordx4 v[16:19], off, off offset:56
	;; [unrolled: 1-line block ×6, first 2 shown]
	ds_read2_b64 v[4:7], v2 offset0:31 offset1:32
	v_cmp_lt_u32_e32 vcc, 3, v0
	s_waitcnt vmcnt(5) lgkmcnt(0)
	v_mul_f32_e32 v3, v4, v9
	v_fmac_f32_e32 v3, v5, v8
	v_mul_f32_e32 v12, v6, v11
	v_add_f32_e32 v3, 0, v3
	v_fmac_f32_e32 v12, v7, v10
	v_add_f32_e32 v3, v3, v12
	ds_read2_b64 v[12:15], v2 offset0:33 offset1:34
	s_waitcnt vmcnt(4) lgkmcnt(0)
	v_mul_f32_e32 v20, v12, v17
	v_fmac_f32_e32 v20, v13, v16
	v_add_f32_e32 v3, v3, v20
	v_mul_f32_e32 v20, v14, v19
	v_fmac_f32_e32 v20, v15, v18
	v_add_f32_e32 v3, v3, v20
	ds_read2_b64 v[20:23], v2 offset0:35 offset1:36
	s_waitcnt vmcnt(3) lgkmcnt(0)
	v_mul_f32_e32 v28, v20, v25
	v_fmac_f32_e32 v28, v21, v24
	v_add_f32_e32 v3, v3, v28
	v_mul_f32_e32 v28, v22, v27
	;; [unrolled: 8-line block ×4, first 2 shown]
	v_fmac_f32_e32 v94, v89, v92
	v_add_f32_e32 v119, v3, v94
	ds_read2_b64 v[94:97], v2 offset0:41 offset1:42
	scratch_load_dwordx4 v[102:105], off, off offset:136
	scratch_load_dwordx4 v[106:109], off, off offset:152
	;; [unrolled: 1-line block ×4, first 2 shown]
	v_mul_f32_e32 v3, v5, v9
	v_fma_f32 v3, v4, v8, -v3
	v_mul_f32_e32 v4, v7, v11
	v_add_f32_e32 v3, 0, v3
	v_fma_f32 v4, v6, v10, -v4
	v_add_f32_e32 v3, v3, v4
	v_mul_f32_e32 v4, v13, v17
	v_fma_f32 v4, v12, v16, -v4
	v_add_f32_e32 v3, v3, v4
	v_mul_f32_e32 v4, v15, v19
	;; [unrolled: 3-line block ×8, first 2 shown]
	v_fma_f32 v4, v88, v92, -v4
	v_add_f32_e32 v118, v3, v4
	ds_read2_b64 v[4:7], v2 offset0:43 offset1:44
	ds_read2_b64 v[8:11], v2 offset0:45 offset1:46
	;; [unrolled: 1-line block ×4, first 2 shown]
	s_waitcnt vmcnt(4) lgkmcnt(4)
	v_mul_f32_e32 v121, v94, v99
	v_mul_f32_e32 v3, v95, v99
	v_fmac_f32_e32 v121, v95, v98
	v_mul_f32_e32 v123, v96, v101
	v_fma_f32 v120, v94, v98, -v3
	v_mul_f32_e32 v3, v97, v101
	v_fmac_f32_e32 v123, v97, v100
	v_fma_f32 v122, v96, v100, -v3
	v_pk_add_f32 v[2:3], v[118:119], v[120:121]
	s_waitcnt vmcnt(3) lgkmcnt(3)
	v_pk_mul_f32 v[20:21], v[4:5], v[102:103] op_sel:[1,1] op_sel_hi:[0,1]
	v_pk_fma_f32 v[22:23], v[4:5], v[102:103], v[20:21] neg_lo:[0,0,1] neg_hi:[0,0,1]
	v_pk_fma_f32 v[4:5], v[4:5], v[102:103], v[20:21] op_sel_hi:[1,0,1]
	v_pk_add_f32 v[2:3], v[2:3], v[122:123]
	v_mov_b32_e32 v4, v105
	v_mov_b32_e32 v23, v5
	v_pk_mul_f32 v[4:5], v[6:7], v[4:5] op_sel:[1,0] op_sel_hi:[0,0]
	v_pk_fma_f32 v[20:21], v[6:7], v[104:105], v[4:5] neg_lo:[0,0,1] neg_hi:[0,0,1]
	v_pk_fma_f32 v[4:5], v[6:7], v[104:105], v[4:5] op_sel_hi:[1,0,1]
	v_pk_add_f32 v[2:3], v[2:3], v[22:23]
	v_mov_b32_e32 v21, v5
	s_waitcnt vmcnt(2) lgkmcnt(2)
	v_pk_mul_f32 v[4:5], v[8:9], v[106:107] op_sel:[1,1] op_sel_hi:[0,1]
	v_pk_fma_f32 v[6:7], v[8:9], v[106:107], v[4:5] neg_lo:[0,0,1] neg_hi:[0,0,1]
	v_pk_fma_f32 v[4:5], v[8:9], v[106:107], v[4:5] op_sel_hi:[1,0,1]
	v_pk_add_f32 v[2:3], v[2:3], v[20:21]
	v_mov_b32_e32 v4, v109
	v_mov_b32_e32 v7, v5
	v_pk_mul_f32 v[4:5], v[10:11], v[4:5] op_sel:[1,0] op_sel_hi:[0,0]
	v_pk_add_f32 v[2:3], v[2:3], v[6:7]
	v_pk_fma_f32 v[6:7], v[10:11], v[108:109], v[4:5] neg_lo:[0,0,1] neg_hi:[0,0,1]
	v_pk_fma_f32 v[4:5], v[10:11], v[108:109], v[4:5] op_sel_hi:[1,0,1]
	s_nop 0
	v_mov_b32_e32 v7, v5
	s_waitcnt vmcnt(1) lgkmcnt(1)
	v_pk_mul_f32 v[4:5], v[12:13], v[110:111] op_sel:[1,1] op_sel_hi:[0,1]
	v_pk_add_f32 v[2:3], v[2:3], v[6:7]
	v_pk_fma_f32 v[6:7], v[12:13], v[110:111], v[4:5] neg_lo:[0,0,1] neg_hi:[0,0,1]
	v_pk_fma_f32 v[4:5], v[12:13], v[110:111], v[4:5] op_sel_hi:[1,0,1]
	s_nop 0
	v_mov_b32_e32 v4, v113
	v_mov_b32_e32 v7, v5
	v_pk_mul_f32 v[4:5], v[14:15], v[4:5] op_sel:[1,0] op_sel_hi:[0,0]
	v_pk_add_f32 v[2:3], v[2:3], v[6:7]
	v_pk_fma_f32 v[6:7], v[14:15], v[112:113], v[4:5] neg_lo:[0,0,1] neg_hi:[0,0,1]
	v_pk_fma_f32 v[4:5], v[14:15], v[112:113], v[4:5] op_sel_hi:[1,0,1]
	s_nop 0
	v_mov_b32_e32 v7, v5
	s_waitcnt vmcnt(0) lgkmcnt(0)
	v_pk_mul_f32 v[4:5], v[16:17], v[114:115] op_sel:[1,1] op_sel_hi:[0,1]
	v_pk_add_f32 v[2:3], v[2:3], v[6:7]
	v_pk_fma_f32 v[6:7], v[16:17], v[114:115], v[4:5] neg_lo:[0,0,1] neg_hi:[0,0,1]
	v_pk_fma_f32 v[4:5], v[16:17], v[114:115], v[4:5] op_sel_hi:[1,0,1]
	s_nop 0
	v_mov_b32_e32 v4, v117
	v_mov_b32_e32 v7, v5
	v_pk_mul_f32 v[4:5], v[18:19], v[4:5] op_sel:[1,0] op_sel_hi:[0,0]
	v_pk_add_f32 v[2:3], v[2:3], v[6:7]
	v_pk_fma_f32 v[6:7], v[18:19], v[116:117], v[4:5] neg_lo:[0,0,1] neg_hi:[0,0,1]
	v_pk_fma_f32 v[4:5], v[18:19], v[116:117], v[4:5] op_sel_hi:[1,0,1]
	s_nop 0
	v_mov_b32_e32 v7, v5
	scratch_load_dwordx2 v[4:5], off, off offset:32
	v_pk_add_f32 v[2:3], v[2:3], v[6:7]
	s_waitcnt vmcnt(0)
	v_pk_add_f32 v[2:3], v[4:5], v[2:3] neg_lo:[0,1] neg_hi:[0,1]
	scratch_store_dwordx2 off, v[2:3], off offset:32
	s_and_saveexec_b64 s[0:1], vcc
	s_cbranch_execz .LBB88_157
; %bb.156:
	scratch_load_dwordx2 v[2:3], off, off offset:24
	v_mov_b32_e32 v4, 0
	v_mov_b32_e32 v5, v4
	scratch_store_dwordx2 off, v[4:5], off offset:24
	s_waitcnt vmcnt(1)
	ds_write_b64 v1, v[2:3]
.LBB88_157:
	s_or_b64 exec, exec, s[0:1]
	v_mov_b32_e32 v10, 0
	s_waitcnt lgkmcnt(0)
	; wave barrier
	ds_read_b128 v[2:5], v10 offset:240
	ds_read_b128 v[6:9], v10 offset:256
	;; [unrolled: 1-line block ×4, first 2 shown]
	scratch_load_dwordx4 v[20:23], off, off offset:32
	scratch_load_dwordx4 v[90:93], off, off offset:96
	v_cmp_lt_u32_e32 vcc, 2, v0
	scratch_load_dwordx4 v[98:101], off, off offset:112
	scratch_load_dwordx4 v[106:109], off, off offset:128
	s_waitcnt vmcnt(3) lgkmcnt(3)
	v_mul_f32_e32 v11, v2, v21
	v_fmac_f32_e32 v11, v3, v20
	v_mul_f32_e32 v24, v4, v23
	v_add_f32_e32 v11, 0, v11
	v_fmac_f32_e32 v24, v5, v22
	v_add_f32_e32 v11, v11, v24
	scratch_load_dwordx4 v[24:27], off, off offset:48
	v_mul_f32_e32 v3, v3, v21
	v_fma_f32 v2, v2, v20, -v3
	v_mul_f32_e32 v3, v5, v23
	v_add_f32_e32 v2, 0, v2
	v_fma_f32 v3, v4, v22, -v3
	v_add_f32_e32 v2, v2, v3
	s_waitcnt vmcnt(1)
	v_mov_b32_e32 v20, v109
	s_waitcnt vmcnt(0) lgkmcnt(2)
	v_mul_f32_e32 v28, v6, v25
	v_fmac_f32_e32 v28, v7, v24
	v_add_f32_e32 v11, v11, v28
	v_mul_f32_e32 v28, v8, v27
	v_fmac_f32_e32 v28, v9, v26
	v_add_f32_e32 v11, v11, v28
	scratch_load_dwordx4 v[28:31], off, off offset:64
	v_mul_f32_e32 v3, v7, v25
	v_fma_f32 v3, v6, v24, -v3
	v_add_f32_e32 v2, v2, v3
	v_mul_f32_e32 v3, v9, v27
	v_fma_f32 v3, v8, v26, -v3
	v_add_f32_e32 v2, v2, v3
	s_waitcnt vmcnt(0) lgkmcnt(1)
	v_mul_f32_e32 v32, v12, v29
	v_fmac_f32_e32 v32, v13, v28
	v_add_f32_e32 v11, v11, v32
	v_mul_f32_e32 v32, v14, v31
	v_fmac_f32_e32 v32, v15, v30
	v_add_f32_e32 v11, v11, v32
	scratch_load_dwordx4 v[32:35], off, off offset:80
	v_mul_f32_e32 v3, v13, v29
	v_fma_f32 v3, v12, v28, -v3
	v_add_f32_e32 v2, v2, v3
	v_mul_f32_e32 v3, v15, v31
	v_fma_f32 v3, v14, v30, -v3
	v_add_f32_e32 v2, v2, v3
	s_waitcnt vmcnt(0) lgkmcnt(0)
	v_mul_f32_e32 v86, v16, v33
	v_fmac_f32_e32 v86, v17, v32
	v_add_f32_e32 v11, v11, v86
	v_mul_f32_e32 v86, v18, v35
	v_fmac_f32_e32 v86, v19, v34
	v_add_f32_e32 v11, v11, v86
	ds_read_b128 v[86:89], v10 offset:304
	v_mul_f32_e32 v3, v17, v33
	v_fma_f32 v3, v16, v32, -v3
	v_add_f32_e32 v2, v2, v3
	v_mul_f32_e32 v3, v19, v35
	s_waitcnt lgkmcnt(0)
	v_mul_f32_e32 v94, v86, v91
	v_fmac_f32_e32 v94, v87, v90
	v_add_f32_e32 v11, v11, v94
	v_mul_f32_e32 v94, v88, v93
	v_fmac_f32_e32 v94, v89, v92
	v_add_f32_e32 v11, v11, v94
	ds_read_b128 v[94:97], v10 offset:320
	v_fma_f32 v3, v18, v34, -v3
	v_add_f32_e32 v2, v2, v3
	v_mul_f32_e32 v3, v87, v91
	v_fma_f32 v3, v86, v90, -v3
	s_waitcnt lgkmcnt(0)
	v_mul_f32_e32 v102, v94, v99
	v_fmac_f32_e32 v102, v95, v98
	v_add_f32_e32 v123, v11, v102
	ds_read_b128 v[102:105], v10 offset:336
	scratch_load_dwordx4 v[110:113], off, off offset:144
	scratch_load_dwordx4 v[114:117], off, off offset:160
	;; [unrolled: 1-line block ×3, first 2 shown]
	scratch_load_dwordx2 v[128:129], off, off offset:192
	v_add_f32_e32 v2, v2, v3
	v_mul_f32_e32 v3, v89, v93
	v_fma_f32 v3, v88, v92, -v3
	v_add_f32_e32 v2, v2, v3
	v_mul_f32_e32 v3, v95, v99
	v_fma_f32 v3, v94, v98, -v3
	v_add_f32_e32 v122, v2, v3
	v_mul_f32_e32 v2, v97, v101
	v_mul_f32_e32 v125, v96, v101
	v_fma_f32 v124, v96, v100, -v2
	s_waitcnt lgkmcnt(0)
	v_mul_f32_e32 v2, v103, v107
	v_fmac_f32_e32 v125, v97, v100
	v_mul_f32_e32 v127, v102, v107
	v_fma_f32 v126, v102, v106, -v2
	ds_read_b128 v[2:5], v10 offset:352
	ds_read_b128 v[6:9], v10 offset:368
	;; [unrolled: 1-line block ×3, first 2 shown]
	ds_read_b64 v[16:17], v10 offset:400
	v_pk_mul_f32 v[20:21], v[104:105], v[20:21] op_sel:[1,0] op_sel_hi:[0,0]
	v_fmac_f32_e32 v127, v103, v106
	v_pk_add_f32 v[18:19], v[122:123], v[124:125]
	v_pk_fma_f32 v[22:23], v[104:105], v[108:109], v[20:21] neg_lo:[0,0,1] neg_hi:[0,0,1]
	v_pk_fma_f32 v[20:21], v[104:105], v[108:109], v[20:21] op_sel_hi:[1,0,1]
	v_pk_add_f32 v[18:19], v[18:19], v[126:127]
	v_mov_b32_e32 v23, v21
	v_pk_add_f32 v[18:19], v[18:19], v[22:23]
	s_waitcnt vmcnt(3) lgkmcnt(3)
	v_pk_mul_f32 v[20:21], v[2:3], v[110:111] op_sel:[1,1] op_sel_hi:[0,1]
	v_pk_fma_f32 v[22:23], v[2:3], v[110:111], v[20:21] neg_lo:[0,0,1] neg_hi:[0,0,1]
	v_pk_fma_f32 v[2:3], v[2:3], v[110:111], v[20:21] op_sel_hi:[1,0,1]
	s_nop 0
	v_mov_b32_e32 v23, v3
	v_pk_add_f32 v[2:3], v[18:19], v[22:23]
	v_mov_b32_e32 v18, v113
	v_pk_mul_f32 v[18:19], v[4:5], v[18:19] op_sel:[1,0] op_sel_hi:[0,0]
	v_pk_fma_f32 v[20:21], v[4:5], v[112:113], v[18:19] neg_lo:[0,0,1] neg_hi:[0,0,1]
	v_pk_fma_f32 v[4:5], v[4:5], v[112:113], v[18:19] op_sel_hi:[1,0,1]
	s_nop 0
	v_mov_b32_e32 v21, v5
	s_waitcnt vmcnt(2) lgkmcnt(2)
	v_pk_mul_f32 v[4:5], v[6:7], v[114:115] op_sel:[1,1] op_sel_hi:[0,1]
	v_pk_fma_f32 v[18:19], v[6:7], v[114:115], v[4:5] neg_lo:[0,0,1] neg_hi:[0,0,1]
	v_pk_fma_f32 v[4:5], v[6:7], v[114:115], v[4:5] op_sel_hi:[1,0,1]
	v_pk_add_f32 v[2:3], v[2:3], v[20:21]
	v_mov_b32_e32 v4, v117
	v_mov_b32_e32 v19, v5
	v_pk_mul_f32 v[4:5], v[8:9], v[4:5] op_sel:[1,0] op_sel_hi:[0,0]
	v_pk_fma_f32 v[6:7], v[8:9], v[116:117], v[4:5] neg_lo:[0,0,1] neg_hi:[0,0,1]
	v_pk_fma_f32 v[4:5], v[8:9], v[116:117], v[4:5] op_sel_hi:[1,0,1]
	v_pk_add_f32 v[2:3], v[2:3], v[18:19]
	v_mov_b32_e32 v7, v5
	s_waitcnt vmcnt(1) lgkmcnt(1)
	v_pk_mul_f32 v[4:5], v[12:13], v[118:119] op_sel:[1,1] op_sel_hi:[0,1]
	v_pk_add_f32 v[2:3], v[2:3], v[6:7]
	v_pk_fma_f32 v[6:7], v[12:13], v[118:119], v[4:5] neg_lo:[0,0,1] neg_hi:[0,0,1]
	v_pk_fma_f32 v[4:5], v[12:13], v[118:119], v[4:5] op_sel_hi:[1,0,1]
	s_nop 0
	v_mov_b32_e32 v4, v121
	v_mov_b32_e32 v7, v5
	v_pk_mul_f32 v[4:5], v[14:15], v[4:5] op_sel:[1,0] op_sel_hi:[0,0]
	v_pk_add_f32 v[2:3], v[2:3], v[6:7]
	v_pk_fma_f32 v[6:7], v[14:15], v[120:121], v[4:5] neg_lo:[0,0,1] neg_hi:[0,0,1]
	v_pk_fma_f32 v[4:5], v[14:15], v[120:121], v[4:5] op_sel_hi:[1,0,1]
	s_nop 0
	v_mov_b32_e32 v7, v5
	s_waitcnt vmcnt(0) lgkmcnt(0)
	v_pk_mul_f32 v[4:5], v[16:17], v[128:129] op_sel:[1,1] op_sel_hi:[0,1]
	v_pk_add_f32 v[2:3], v[2:3], v[6:7]
	v_pk_fma_f32 v[6:7], v[16:17], v[128:129], v[4:5] neg_lo:[0,0,1] neg_hi:[0,0,1]
	v_pk_fma_f32 v[4:5], v[16:17], v[128:129], v[4:5] op_sel_hi:[1,0,1]
	s_nop 0
	v_mov_b32_e32 v7, v5
	scratch_load_dwordx2 v[4:5], off, off offset:24
	v_pk_add_f32 v[2:3], v[2:3], v[6:7]
	s_waitcnt vmcnt(0)
	v_pk_add_f32 v[2:3], v[4:5], v[2:3] neg_lo:[0,1] neg_hi:[0,1]
	scratch_store_dwordx2 off, v[2:3], off offset:24
	s_and_saveexec_b64 s[0:1], vcc
	s_cbranch_execz .LBB88_159
; %bb.158:
	scratch_load_dwordx2 v[2:3], off, off offset:16
	v_mov_b32_e32 v11, v10
	scratch_store_dwordx2 off, v[10:11], off offset:16
	s_waitcnt vmcnt(1)
	ds_write_b64 v1, v[2:3]
.LBB88_159:
	s_or_b64 exec, exec, s[0:1]
	s_waitcnt lgkmcnt(0)
	; wave barrier
	scratch_load_dwordx4 v[6:9], off, off offset:24
	scratch_load_dwordx4 v[12:15], off, off offset:40
	scratch_load_dwordx4 v[16:19], off, off offset:56
	scratch_load_dwordx4 v[20:23], off, off offset:72
	scratch_load_dwordx4 v[24:27], off, off offset:88
	scratch_load_dwordx4 v[28:31], off, off offset:104
	scratch_load_dwordx4 v[32:35], off, off offset:120
	ds_read2_b64 v[86:89], v10 offset0:29 offset1:30
	ds_read2_b64 v[90:93], v10 offset0:31 offset1:32
	;; [unrolled: 1-line block ×6, first 2 shown]
	scratch_load_dwordx4 v[110:113], off, off offset:136
	scratch_load_dwordx4 v[114:117], off, off offset:152
	;; [unrolled: 1-line block ×4, first 2 shown]
	ds_read2_b64 v[122:125], v10 offset0:41 offset1:42
	ds_read2_b64 v[126:129], v10 offset0:43 offset1:44
	scratch_load_dwordx2 v[130:131], off, off offset:16
	v_cmp_lt_u32_e32 vcc, 1, v0
	s_waitcnt vmcnt(11) lgkmcnt(7)
	v_mul_f32_e32 v11, v86, v7
	v_mul_f32_e32 v132, v88, v9
	;; [unrolled: 1-line block ×3, first 2 shown]
	v_fmac_f32_e32 v11, v87, v6
	s_waitcnt vmcnt(10) lgkmcnt(6)
	v_mul_f32_e32 v134, v90, v13
	v_mul_f32_e32 v9, v89, v9
	v_fmac_f32_e32 v132, v89, v8
	v_fma_f32 v6, v86, v6, -v7
	v_add_f32_e32 v11, 0, v11
	v_mul_f32_e32 v136, v92, v15
	v_fmac_f32_e32 v134, v91, v12
	v_fma_f32 v7, v88, v8, -v9
	v_add_f32_e32 v6, 0, v6
	v_add_f32_e32 v11, v11, v132
	s_waitcnt vmcnt(9) lgkmcnt(5)
	v_mul_f32_e32 v137, v94, v17
	v_mul_f32_e32 v13, v91, v13
	v_fmac_f32_e32 v136, v93, v14
	v_add_f32_e32 v6, v6, v7
	v_add_f32_e32 v7, v11, v134
	v_mul_f32_e32 v138, v96, v19
	v_mul_f32_e32 v15, v93, v15
	v_fmac_f32_e32 v137, v95, v16
	v_fma_f32 v8, v90, v12, -v13
	v_add_f32_e32 v7, v7, v136
	s_waitcnt vmcnt(8) lgkmcnt(4)
	v_mul_f32_e32 v139, v98, v21
	v_mul_f32_e32 v17, v95, v17
	v_fmac_f32_e32 v138, v97, v18
	v_fma_f32 v9, v92, v14, -v15
	v_add_f32_e32 v6, v6, v8
	v_add_f32_e32 v7, v7, v137
	v_mul_f32_e32 v140, v100, v23
	v_mul_f32_e32 v19, v97, v19
	v_fmac_f32_e32 v139, v99, v20
	v_fma_f32 v12, v94, v16, -v17
	v_add_f32_e32 v6, v6, v9
	v_add_f32_e32 v7, v7, v138
	s_waitcnt vmcnt(7) lgkmcnt(3)
	v_mul_f32_e32 v141, v102, v25
	v_mul_f32_e32 v21, v99, v21
	v_fmac_f32_e32 v140, v101, v22
	v_fma_f32 v13, v96, v18, -v19
	v_add_f32_e32 v6, v6, v12
	v_add_f32_e32 v7, v7, v139
	v_mul_f32_e32 v142, v104, v27
	v_mul_f32_e32 v23, v101, v23
	v_fmac_f32_e32 v141, v103, v24
	v_fma_f32 v14, v98, v20, -v21
	v_add_f32_e32 v6, v6, v13
	;; [unrolled: 13-line block ×3, first 2 shown]
	v_add_f32_e32 v7, v7, v142
	v_mul_f32_e32 v29, v107, v29
	v_fmac_f32_e32 v144, v109, v30
	v_fma_f32 v17, v104, v26, -v27
	v_add_f32_e32 v6, v6, v16
	v_add_f32_e32 v7, v7, v143
	v_fma_f32 v18, v106, v28, -v29
	v_add_f32_e32 v6, v6, v17
	v_add_f32_e32 v21, v7, v144
	v_mul_f32_e32 v7, v109, v31
	v_add_f32_e32 v6, v6, v18
	v_fma_f32 v7, v108, v30, -v7
	s_waitcnt vmcnt(5) lgkmcnt(1)
	v_mul_f32_e32 v133, v122, v33
	v_add_f32_e32 v20, v6, v7
	v_mul_f32_e32 v6, v123, v33
	v_fmac_f32_e32 v133, v123, v32
	v_fma_f32 v132, v122, v32, -v6
	v_mul_f32_e32 v6, v125, v35
	v_fma_f32 v134, v124, v34, -v6
	ds_read2_b64 v[6:9], v10 offset0:45 offset1:46
	ds_read2_b64 v[12:15], v10 offset0:47 offset1:48
	;; [unrolled: 1-line block ×3, first 2 shown]
	v_pk_add_f32 v[10:11], v[20:21], v[132:133]
	s_waitcnt vmcnt(4) lgkmcnt(3)
	v_pk_mul_f32 v[20:21], v[126:127], v[110:111] op_sel:[1,1] op_sel_hi:[0,1]
	v_mul_f32_e32 v135, v124, v35
	v_pk_fma_f32 v[22:23], v[126:127], v[110:111], v[20:21] neg_lo:[0,0,1] neg_hi:[0,0,1]
	v_pk_fma_f32 v[20:21], v[126:127], v[110:111], v[20:21] op_sel_hi:[1,0,1]
	v_fmac_f32_e32 v135, v125, v34
	v_mov_b32_e32 v20, v113
	v_pk_add_f32 v[10:11], v[10:11], v[134:135]
	v_mov_b32_e32 v23, v21
	v_pk_mul_f32 v[20:21], v[128:129], v[20:21] op_sel:[1,0] op_sel_hi:[0,0]
	v_pk_add_f32 v[10:11], v[10:11], v[22:23]
	v_pk_fma_f32 v[22:23], v[128:129], v[112:113], v[20:21] neg_lo:[0,0,1] neg_hi:[0,0,1]
	v_pk_fma_f32 v[20:21], v[128:129], v[112:113], v[20:21] op_sel_hi:[1,0,1]
	s_nop 0
	v_mov_b32_e32 v23, v21
	s_waitcnt vmcnt(3) lgkmcnt(2)
	v_pk_mul_f32 v[20:21], v[6:7], v[114:115] op_sel:[1,1] op_sel_hi:[0,1]
	v_pk_add_f32 v[10:11], v[10:11], v[22:23]
	v_pk_fma_f32 v[22:23], v[6:7], v[114:115], v[20:21] neg_lo:[0,0,1] neg_hi:[0,0,1]
	v_pk_fma_f32 v[6:7], v[6:7], v[114:115], v[20:21] op_sel_hi:[1,0,1]
	s_nop 0
	v_mov_b32_e32 v23, v7
	v_pk_add_f32 v[6:7], v[10:11], v[22:23]
	v_mov_b32_e32 v10, v117
	v_pk_mul_f32 v[10:11], v[8:9], v[10:11] op_sel:[1,0] op_sel_hi:[0,0]
	v_pk_fma_f32 v[20:21], v[8:9], v[116:117], v[10:11] neg_lo:[0,0,1] neg_hi:[0,0,1]
	v_pk_fma_f32 v[8:9], v[8:9], v[116:117], v[10:11] op_sel_hi:[1,0,1]
	s_nop 0
	v_mov_b32_e32 v21, v9
	s_waitcnt vmcnt(2) lgkmcnt(1)
	v_pk_mul_f32 v[8:9], v[12:13], v[118:119] op_sel:[1,1] op_sel_hi:[0,1]
	v_pk_fma_f32 v[10:11], v[12:13], v[118:119], v[8:9] neg_lo:[0,0,1] neg_hi:[0,0,1]
	v_pk_fma_f32 v[8:9], v[12:13], v[118:119], v[8:9] op_sel_hi:[1,0,1]
	v_pk_add_f32 v[6:7], v[6:7], v[20:21]
	v_mov_b32_e32 v8, v121
	v_mov_b32_e32 v11, v9
	v_pk_mul_f32 v[8:9], v[14:15], v[8:9] op_sel:[1,0] op_sel_hi:[0,0]
	v_pk_add_f32 v[6:7], v[6:7], v[10:11]
	v_pk_fma_f32 v[10:11], v[14:15], v[120:121], v[8:9] neg_lo:[0,0,1] neg_hi:[0,0,1]
	v_pk_fma_f32 v[8:9], v[14:15], v[120:121], v[8:9] op_sel_hi:[1,0,1]
	s_nop 0
	v_mov_b32_e32 v11, v9
	s_waitcnt vmcnt(1) lgkmcnt(0)
	v_pk_mul_f32 v[8:9], v[16:17], v[2:3] op_sel:[1,1] op_sel_hi:[0,1]
	v_pk_add_f32 v[6:7], v[6:7], v[10:11]
	v_pk_fma_f32 v[10:11], v[16:17], v[2:3], v[8:9] neg_lo:[0,0,1] neg_hi:[0,0,1]
	v_pk_fma_f32 v[2:3], v[16:17], v[2:3], v[8:9] op_sel_hi:[1,0,1]
	s_nop 0
	v_mov_b32_e32 v11, v3
	v_pk_add_f32 v[2:3], v[6:7], v[10:11]
	v_mov_b32_e32 v6, v5
	v_pk_mul_f32 v[6:7], v[18:19], v[6:7] op_sel:[1,0] op_sel_hi:[0,0]
	v_pk_fma_f32 v[8:9], v[18:19], v[4:5], v[6:7] neg_lo:[0,0,1] neg_hi:[0,0,1]
	v_pk_fma_f32 v[4:5], v[18:19], v[4:5], v[6:7] op_sel_hi:[1,0,1]
	s_nop 0
	v_mov_b32_e32 v9, v5
	v_pk_add_f32 v[2:3], v[2:3], v[8:9]
	s_waitcnt vmcnt(0)
	v_pk_add_f32 v[2:3], v[130:131], v[2:3] neg_lo:[0,1] neg_hi:[0,1]
	scratch_store_dwordx2 off, v[2:3], off offset:16
	s_and_saveexec_b64 s[0:1], vcc
	s_cbranch_execz .LBB88_161
; %bb.160:
	scratch_load_dwordx2 v[2:3], off, off offset:8
	v_mov_b32_e32 v4, 0
	v_mov_b32_e32 v5, v4
	scratch_store_dwordx2 off, v[4:5], off offset:8
	s_waitcnt vmcnt(1)
	ds_write_b64 v1, v[2:3]
.LBB88_161:
	s_or_b64 exec, exec, s[0:1]
	s_waitcnt lgkmcnt(0)
	; wave barrier
	scratch_load_dwordx4 v[6:9], off, off offset:16
	scratch_load_dwordx4 v[14:17], off, off offset:32
	;; [unrolled: 1-line block ×11, first 2 shown]
	scratch_load_dwordx2 v[22:23], off, off offset:192
	scratch_load_dwordx2 v[132:133], off, off offset:8
	v_mov_b32_e32 v86, 0
	ds_read_b128 v[100:103], v86 offset:224
	ds_read_b128 v[104:107], v86 offset:240
	;; [unrolled: 1-line block ×8, first 2 shown]
	v_cmp_ne_u32_e32 vcc, 0, v0
	s_waitcnt vmcnt(12) lgkmcnt(7)
	v_mul_f32_e32 v87, v100, v7
	v_mul_f32_e32 v134, v102, v9
	;; [unrolled: 1-line block ×3, first 2 shown]
	v_fmac_f32_e32 v87, v101, v6
	s_waitcnt vmcnt(8) lgkmcnt(3)
	v_mul_f32_e32 v143, v116, v19
	v_mul_f32_e32 v19, v117, v19
	;; [unrolled: 1-line block ×4, first 2 shown]
	v_fmac_f32_e32 v134, v103, v8
	v_fmac_f32_e32 v143, v117, v18
	v_fma_f32 v6, v100, v6, -v7
	v_fma_f32 v18, v116, v18, -v19
	v_add_f32_e32 v19, 0, v87
	v_mul_f32_e32 v138, v106, v17
	v_fmac_f32_e32 v136, v105, v14
	v_fma_f32 v7, v102, v8, -v9
	v_add_f32_e32 v6, 0, v6
	v_add_f32_e32 v19, v19, v134
	v_mul_f32_e32 v139, v108, v25
	v_fmac_f32_e32 v138, v107, v16
	v_add_f32_e32 v6, v6, v7
	v_add_f32_e32 v7, v19, v136
	v_mul_f32_e32 v140, v110, v27
	v_fmac_f32_e32 v139, v109, v24
	v_add_f32_e32 v7, v7, v138
	v_mul_f32_e32 v141, v112, v29
	v_mul_f32_e32 v15, v105, v15
	v_fmac_f32_e32 v140, v111, v26
	v_add_f32_e32 v7, v7, v139
	v_mul_f32_e32 v142, v114, v31
	v_mul_f32_e32 v17, v107, v17
	v_fmac_f32_e32 v141, v113, v28
	v_fma_f32 v8, v104, v14, -v15
	v_add_f32_e32 v7, v7, v140
	v_mul_f32_e32 v25, v109, v25
	v_fmac_f32_e32 v142, v115, v30
	v_fma_f32 v9, v106, v16, -v17
	v_add_f32_e32 v6, v6, v8
	v_add_f32_e32 v7, v7, v141
	v_mul_f32_e32 v144, v118, v21
	v_mul_f32_e32 v27, v111, v27
	v_fma_f32 v14, v108, v24, -v25
	v_add_f32_e32 v6, v6, v9
	v_add_f32_e32 v7, v7, v142
	s_waitcnt vmcnt(7) lgkmcnt(2)
	v_mul_f32_e32 v145, v120, v33
	v_mul_f32_e32 v29, v113, v29
	v_fmac_f32_e32 v144, v119, v20
	v_fma_f32 v15, v110, v26, -v27
	v_add_f32_e32 v6, v6, v14
	v_add_f32_e32 v7, v7, v143
	v_mul_f32_e32 v146, v122, v35
	v_mul_f32_e32 v31, v115, v31
	v_fmac_f32_e32 v145, v121, v32
	v_fma_f32 v16, v112, v28, -v29
	v_add_f32_e32 v6, v6, v15
	v_add_f32_e32 v7, v7, v144
	s_waitcnt vmcnt(6) lgkmcnt(1)
	v_mul_f32_e32 v147, v124, v89
	v_fmac_f32_e32 v146, v123, v34
	v_fma_f32 v17, v114, v30, -v31
	v_add_f32_e32 v6, v6, v16
	v_add_f32_e32 v7, v7, v145
	v_mul_f32_e32 v21, v119, v21
	v_fmac_f32_e32 v147, v125, v88
	v_add_f32_e32 v6, v6, v17
	v_add_f32_e32 v7, v7, v146
	;; [unrolled: 1-line block ×4, first 2 shown]
	v_fma_f32 v7, v118, v20, -v21
	v_add_f32_e32 v6, v6, v7
	v_mul_f32_e32 v7, v121, v33
	v_fma_f32 v7, v120, v32, -v7
	v_add_f32_e32 v6, v6, v7
	v_mul_f32_e32 v7, v123, v35
	v_fma_f32 v7, v122, v34, -v7
	v_add_f32_e32 v6, v6, v7
	v_mul_f32_e32 v7, v125, v89
	v_fma_f32 v7, v124, v88, -v7
	v_add_f32_e32 v24, v6, v7
	v_mul_f32_e32 v6, v127, v91
	v_mul_f32_e32 v135, v126, v91
	v_fma_f32 v134, v126, v90, -v6
	s_waitcnt vmcnt(5) lgkmcnt(0)
	v_mul_f32_e32 v6, v129, v93
	v_mov_b32_e32 v28, v95
	v_mul_f32_e32 v137, v128, v93
	v_fmac_f32_e32 v135, v127, v90
	v_fma_f32 v136, v128, v92, -v6
	ds_read_b128 v[6:9], v86 offset:352
	ds_read_b128 v[14:17], v86 offset:368
	;; [unrolled: 1-line block ×3, first 2 shown]
	ds_read_b64 v[26:27], v86 offset:400
	v_pk_mul_f32 v[28:29], v[130:131], v[28:29] op_sel:[1,0] op_sel_hi:[0,0]
	v_fmac_f32_e32 v137, v129, v92
	v_pk_add_f32 v[24:25], v[24:25], v[134:135]
	v_pk_fma_f32 v[30:31], v[130:131], v[94:95], v[28:29] neg_lo:[0,0,1] neg_hi:[0,0,1]
	v_pk_fma_f32 v[28:29], v[130:131], v[94:95], v[28:29] op_sel_hi:[1,0,1]
	v_pk_add_f32 v[24:25], v[24:25], v[136:137]
	v_mov_b32_e32 v31, v29
	s_waitcnt vmcnt(4) lgkmcnt(3)
	v_pk_mul_f32 v[28:29], v[6:7], v[96:97] op_sel:[1,1] op_sel_hi:[0,1]
	v_pk_add_f32 v[24:25], v[24:25], v[30:31]
	v_pk_fma_f32 v[30:31], v[6:7], v[96:97], v[28:29] neg_lo:[0,0,1] neg_hi:[0,0,1]
	v_pk_fma_f32 v[6:7], v[6:7], v[96:97], v[28:29] op_sel_hi:[1,0,1]
	s_nop 0
	v_mov_b32_e32 v31, v7
	v_pk_add_f32 v[6:7], v[24:25], v[30:31]
	v_mov_b32_e32 v24, v99
	v_pk_mul_f32 v[24:25], v[8:9], v[24:25] op_sel:[1,0] op_sel_hi:[0,0]
	v_pk_fma_f32 v[28:29], v[8:9], v[98:99], v[24:25] neg_lo:[0,0,1] neg_hi:[0,0,1]
	v_pk_fma_f32 v[8:9], v[8:9], v[98:99], v[24:25] op_sel_hi:[1,0,1]
	s_nop 0
	v_mov_b32_e32 v29, v9
	s_waitcnt vmcnt(3) lgkmcnt(2)
	v_pk_mul_f32 v[8:9], v[14:15], v[10:11] op_sel:[1,1] op_sel_hi:[0,1]
	v_pk_fma_f32 v[24:25], v[14:15], v[10:11], v[8:9] neg_lo:[0,0,1] neg_hi:[0,0,1]
	v_pk_fma_f32 v[8:9], v[14:15], v[10:11], v[8:9] op_sel_hi:[1,0,1]
	v_pk_add_f32 v[6:7], v[6:7], v[28:29]
	v_mov_b32_e32 v8, v13
	v_mov_b32_e32 v25, v9
	v_pk_mul_f32 v[8:9], v[16:17], v[8:9] op_sel:[1,0] op_sel_hi:[0,0]
	v_pk_fma_f32 v[10:11], v[16:17], v[12:13], v[8:9] neg_lo:[0,0,1] neg_hi:[0,0,1]
	v_pk_fma_f32 v[8:9], v[16:17], v[12:13], v[8:9] op_sel_hi:[1,0,1]
	v_pk_add_f32 v[6:7], v[6:7], v[24:25]
	v_mov_b32_e32 v11, v9
	s_waitcnt vmcnt(2) lgkmcnt(1)
	v_pk_mul_f32 v[8:9], v[18:19], v[2:3] op_sel:[1,1] op_sel_hi:[0,1]
	v_pk_add_f32 v[6:7], v[6:7], v[10:11]
	v_pk_fma_f32 v[10:11], v[18:19], v[2:3], v[8:9] neg_lo:[0,0,1] neg_hi:[0,0,1]
	v_pk_fma_f32 v[2:3], v[18:19], v[2:3], v[8:9] op_sel_hi:[1,0,1]
	s_nop 0
	v_mov_b32_e32 v11, v3
	v_pk_add_f32 v[2:3], v[6:7], v[10:11]
	v_mov_b32_e32 v6, v5
	v_pk_mul_f32 v[6:7], v[20:21], v[6:7] op_sel:[1,0] op_sel_hi:[0,0]
	v_pk_fma_f32 v[8:9], v[20:21], v[4:5], v[6:7] neg_lo:[0,0,1] neg_hi:[0,0,1]
	v_pk_fma_f32 v[4:5], v[20:21], v[4:5], v[6:7] op_sel_hi:[1,0,1]
	s_nop 0
	v_mov_b32_e32 v9, v5
	s_waitcnt vmcnt(1) lgkmcnt(0)
	v_pk_mul_f32 v[4:5], v[26:27], v[22:23] op_sel:[1,1] op_sel_hi:[0,1]
	v_pk_fma_f32 v[6:7], v[26:27], v[22:23], v[4:5] neg_lo:[0,0,1] neg_hi:[0,0,1]
	v_pk_fma_f32 v[4:5], v[26:27], v[22:23], v[4:5] op_sel_hi:[1,0,1]
	v_pk_add_f32 v[2:3], v[2:3], v[8:9]
	v_mov_b32_e32 v7, v5
	v_pk_add_f32 v[2:3], v[2:3], v[6:7]
	s_waitcnt vmcnt(0)
	v_pk_add_f32 v[2:3], v[132:133], v[2:3] neg_lo:[0,1] neg_hi:[0,1]
	scratch_store_dwordx2 off, v[2:3], off offset:8
	s_and_saveexec_b64 s[0:1], vcc
	s_cbranch_execz .LBB88_163
; %bb.162:
	scratch_load_dwordx2 v[2:3], off, off
	v_mov_b32_e32 v87, v86
	scratch_store_dwordx2 off, v[86:87], off
	s_waitcnt vmcnt(1)
	ds_write_b64 v1, v[2:3]
.LBB88_163:
	s_or_b64 exec, exec, s[0:1]
	s_waitcnt lgkmcnt(0)
	; wave barrier
	scratch_load_dwordx4 v[0:3], off, off offset:8
	scratch_load_dwordx4 v[12:15], off, off offset:24
	;; [unrolled: 1-line block ×8, first 2 shown]
	ds_read2_b64 v[96:99], v86 offset0:27 offset1:28
	ds_read2_b64 v[100:103], v86 offset0:29 offset1:30
	;; [unrolled: 1-line block ×8, first 2 shown]
	scratch_load_dwordx4 v[128:131], off, off offset:136
	scratch_load_dwordx4 v[24:27], off, off offset:152
	;; [unrolled: 1-line block ×4, first 2 shown]
	scratch_load_dwordx2 v[132:133], off, off
	s_and_b64 vcc, exec, s[10:11]
	s_waitcnt vmcnt(12) lgkmcnt(7)
	v_mul_f32_e32 v87, v96, v1
	v_mul_f32_e32 v134, v98, v3
	;; [unrolled: 1-line block ×3, first 2 shown]
	v_fmac_f32_e32 v87, v97, v0
	s_waitcnt vmcnt(8) lgkmcnt(3)
	v_mul_f32_e32 v143, v112, v17
	v_mul_f32_e32 v17, v113, v17
	;; [unrolled: 1-line block ×4, first 2 shown]
	v_fmac_f32_e32 v134, v99, v2
	v_fmac_f32_e32 v143, v113, v16
	v_fma_f32 v0, v96, v0, -v1
	v_fma_f32 v16, v112, v16, -v17
	v_add_f32_e32 v17, 0, v87
	v_mul_f32_e32 v138, v102, v15
	v_fmac_f32_e32 v136, v101, v12
	v_fma_f32 v1, v98, v2, -v3
	v_add_f32_e32 v0, 0, v0
	v_add_f32_e32 v17, v17, v134
	v_mul_f32_e32 v139, v104, v29
	v_fmac_f32_e32 v138, v103, v14
	v_add_f32_e32 v0, v0, v1
	v_add_f32_e32 v1, v17, v136
	v_mul_f32_e32 v140, v106, v31
	v_fmac_f32_e32 v139, v105, v28
	v_add_f32_e32 v1, v1, v138
	v_mul_f32_e32 v141, v108, v89
	v_fmac_f32_e32 v140, v107, v30
	;; [unrolled: 3-line block ×4, first 2 shown]
	v_add_f32_e32 v1, v1, v141
	v_mul_f32_e32 v144, v114, v19
	v_mul_f32_e32 v15, v103, v15
	v_fma_f32 v2, v100, v12, -v13
	v_add_f32_e32 v1, v1, v142
	s_waitcnt vmcnt(7) lgkmcnt(2)
	v_mul_f32_e32 v145, v116, v21
	v_mul_f32_e32 v29, v105, v29
	v_fmac_f32_e32 v144, v115, v18
	v_fma_f32 v3, v102, v14, -v15
	v_add_f32_e32 v0, v0, v2
	v_add_f32_e32 v1, v1, v143
	v_mul_f32_e32 v146, v118, v23
	v_mul_f32_e32 v31, v107, v31
	v_fmac_f32_e32 v145, v117, v20
	v_fma_f32 v12, v104, v28, -v29
	v_add_f32_e32 v0, v0, v3
	v_add_f32_e32 v1, v1, v144
	s_waitcnt vmcnt(6) lgkmcnt(1)
	v_mul_f32_e32 v147, v120, v33
	v_mul_f32_e32 v89, v109, v89
	v_fmac_f32_e32 v146, v119, v22
	v_fma_f32 v13, v106, v30, -v31
	v_add_f32_e32 v0, v0, v12
	v_add_f32_e32 v1, v1, v145
	v_mul_f32_e32 v148, v122, v35
	v_mul_f32_e32 v91, v111, v91
	v_fmac_f32_e32 v147, v121, v32
	v_fma_f32 v14, v108, v88, -v89
	v_add_f32_e32 v0, v0, v13
	v_add_f32_e32 v1, v1, v146
	v_fmac_f32_e32 v148, v123, v34
	v_fma_f32 v15, v110, v90, -v91
	v_add_f32_e32 v0, v0, v14
	v_add_f32_e32 v1, v1, v147
	;; [unrolled: 1-line block ×4, first 2 shown]
	v_mul_f32_e32 v1, v115, v19
	v_add_f32_e32 v0, v0, v16
	v_fma_f32 v1, v114, v18, -v1
	v_add_f32_e32 v0, v0, v1
	v_mul_f32_e32 v1, v117, v21
	v_fma_f32 v1, v116, v20, -v1
	v_add_f32_e32 v0, v0, v1
	v_mul_f32_e32 v1, v119, v23
	;; [unrolled: 3-line block ×4, first 2 shown]
	v_fma_f32 v1, v122, v34, -v1
	v_add_f32_e32 v28, v0, v1
	s_waitcnt vmcnt(5) lgkmcnt(0)
	v_mul_f32_e32 v0, v125, v93
	v_fma_f32 v134, v124, v92, -v0
	v_mul_f32_e32 v0, v127, v95
	v_fma_f32 v136, v126, v94, -v0
	ds_read2_b64 v[0:3], v86 offset0:43 offset1:44
	ds_read2_b64 v[12:15], v86 offset0:45 offset1:46
	;; [unrolled: 1-line block ×4, first 2 shown]
	v_mul_f32_e32 v135, v124, v93
	v_mul_f32_e32 v137, v126, v95
	v_fmac_f32_e32 v135, v125, v92
	s_waitcnt vmcnt(4) lgkmcnt(3)
	v_pk_mul_f32 v[30:31], v[0:1], v[128:129] op_sel:[1,1] op_sel_hi:[0,1]
	v_fmac_f32_e32 v137, v127, v94
	v_pk_add_f32 v[28:29], v[28:29], v[134:135]
	v_pk_fma_f32 v[32:33], v[0:1], v[128:129], v[30:31] neg_lo:[0,0,1] neg_hi:[0,0,1]
	v_pk_fma_f32 v[0:1], v[0:1], v[128:129], v[30:31] op_sel_hi:[1,0,1]
	v_pk_add_f32 v[28:29], v[28:29], v[136:137]
	v_mov_b32_e32 v33, v1
	v_pk_add_f32 v[0:1], v[28:29], v[32:33]
	v_mov_b32_e32 v28, v131
	v_pk_mul_f32 v[28:29], v[2:3], v[28:29] op_sel:[1,0] op_sel_hi:[0,0]
	v_pk_fma_f32 v[30:31], v[2:3], v[130:131], v[28:29] neg_lo:[0,0,1] neg_hi:[0,0,1]
	v_pk_fma_f32 v[2:3], v[2:3], v[130:131], v[28:29] op_sel_hi:[1,0,1]
	s_nop 0
	v_mov_b32_e32 v31, v3
	s_waitcnt vmcnt(3) lgkmcnt(2)
	v_pk_mul_f32 v[2:3], v[12:13], v[24:25] op_sel:[1,1] op_sel_hi:[0,1]
	v_pk_fma_f32 v[28:29], v[12:13], v[24:25], v[2:3] neg_lo:[0,0,1] neg_hi:[0,0,1]
	v_pk_fma_f32 v[2:3], v[12:13], v[24:25], v[2:3] op_sel_hi:[1,0,1]
	v_pk_add_f32 v[0:1], v[0:1], v[30:31]
	v_mov_b32_e32 v2, v27
	v_mov_b32_e32 v29, v3
	v_pk_mul_f32 v[2:3], v[14:15], v[2:3] op_sel:[1,0] op_sel_hi:[0,0]
	v_pk_fma_f32 v[12:13], v[14:15], v[26:27], v[2:3] neg_lo:[0,0,1] neg_hi:[0,0,1]
	v_pk_fma_f32 v[2:3], v[14:15], v[26:27], v[2:3] op_sel_hi:[1,0,1]
	v_pk_add_f32 v[0:1], v[0:1], v[28:29]
	v_mov_b32_e32 v13, v3
	s_waitcnt vmcnt(2) lgkmcnt(1)
	v_pk_mul_f32 v[2:3], v[16:17], v[8:9] op_sel:[1,1] op_sel_hi:[0,1]
	v_pk_add_f32 v[0:1], v[0:1], v[12:13]
	v_pk_fma_f32 v[12:13], v[16:17], v[8:9], v[2:3] neg_lo:[0,0,1] neg_hi:[0,0,1]
	v_pk_fma_f32 v[2:3], v[16:17], v[8:9], v[2:3] op_sel_hi:[1,0,1]
	s_nop 0
	v_mov_b32_e32 v2, v11
	v_mov_b32_e32 v13, v3
	v_pk_mul_f32 v[2:3], v[18:19], v[2:3] op_sel:[1,0] op_sel_hi:[0,0]
	v_pk_fma_f32 v[8:9], v[18:19], v[10:11], v[2:3] neg_lo:[0,0,1] neg_hi:[0,0,1]
	v_pk_fma_f32 v[2:3], v[18:19], v[10:11], v[2:3] op_sel_hi:[1,0,1]
	v_pk_add_f32 v[0:1], v[0:1], v[12:13]
	v_mov_b32_e32 v9, v3
	s_waitcnt vmcnt(1) lgkmcnt(0)
	v_pk_mul_f32 v[2:3], v[20:21], v[4:5] op_sel:[1,1] op_sel_hi:[0,1]
	v_pk_add_f32 v[0:1], v[0:1], v[8:9]
	v_pk_fma_f32 v[8:9], v[20:21], v[4:5], v[2:3] neg_lo:[0,0,1] neg_hi:[0,0,1]
	v_pk_fma_f32 v[2:3], v[20:21], v[4:5], v[2:3] op_sel_hi:[1,0,1]
	s_nop 0
	v_mov_b32_e32 v2, v7
	v_mov_b32_e32 v9, v3
	v_pk_mul_f32 v[2:3], v[22:23], v[2:3] op_sel:[1,0] op_sel_hi:[0,0]
	v_pk_fma_f32 v[4:5], v[22:23], v[6:7], v[2:3] neg_lo:[0,0,1] neg_hi:[0,0,1]
	v_pk_fma_f32 v[2:3], v[22:23], v[6:7], v[2:3] op_sel_hi:[1,0,1]
	v_pk_add_f32 v[0:1], v[0:1], v[8:9]
	v_mov_b32_e32 v5, v3
	v_pk_add_f32 v[0:1], v[0:1], v[4:5]
	s_waitcnt vmcnt(0)
	v_pk_add_f32 v[0:1], v[132:133], v[0:1] neg_lo:[0,1] neg_hi:[0,1]
	scratch_store_dwordx2 off, v[0:1], off
	s_cbranch_vccz .LBB88_212
; %bb.164:
	v_mov_b32_e32 v0, 0
	global_load_dword v1, v0, s[8:9] offset:92
	s_waitcnt vmcnt(0)
	v_readfirstlane_b32 s0, v1
	s_add_i32 s0, s0, -1
	s_cmp_lg_u32 s0, 23
	s_cbranch_scc0 .LBB88_166
; %bb.165:
	s_lshl_b32 s0, s0, 3
	s_nop 0
	scratch_load_dwordx2 v[2:3], off, s0
	scratch_load_dwordx2 v[4:5], off, off offset:184
	s_waitcnt vmcnt(1)
	scratch_store_dwordx2 off, v[2:3], off offset:184
	s_waitcnt vmcnt(1)
	scratch_store_dwordx2 off, v[4:5], s0
.LBB88_166:
	global_load_dword v0, v0, s[8:9] offset:88
	s_waitcnt vmcnt(0)
	v_readfirstlane_b32 s0, v0
	s_add_i32 s0, s0, -1
	s_cmp_eq_u32 s0, 22
	s_cbranch_scc1 .LBB88_168
; %bb.167:
	s_lshl_b32 s0, s0, 3
	s_nop 0
	scratch_load_dwordx2 v[0:1], off, s0
	scratch_load_dwordx2 v[2:3], off, off offset:176
	s_waitcnt vmcnt(1)
	scratch_store_dwordx2 off, v[0:1], off offset:176
	s_waitcnt vmcnt(1)
	scratch_store_dwordx2 off, v[2:3], s0
.LBB88_168:
	v_mov_b32_e32 v0, 0
	global_load_dword v1, v0, s[8:9] offset:84
	s_waitcnt vmcnt(0)
	v_readfirstlane_b32 s0, v1
	s_add_i32 s0, s0, -1
	s_cmp_eq_u32 s0, 21
	s_cbranch_scc1 .LBB88_170
; %bb.169:
	s_lshl_b32 s0, s0, 3
	s_nop 0
	scratch_load_dwordx2 v[2:3], off, s0
	scratch_load_dwordx2 v[4:5], off, off offset:168
	s_waitcnt vmcnt(1)
	scratch_store_dwordx2 off, v[2:3], off offset:168
	s_waitcnt vmcnt(1)
	scratch_store_dwordx2 off, v[4:5], s0
.LBB88_170:
	global_load_dword v0, v0, s[8:9] offset:80
	s_waitcnt vmcnt(0)
	v_readfirstlane_b32 s0, v0
	s_add_i32 s0, s0, -1
	s_cmp_eq_u32 s0, 20
	s_cbranch_scc1 .LBB88_172
; %bb.171:
	s_lshl_b32 s0, s0, 3
	s_nop 0
	scratch_load_dwordx2 v[0:1], off, s0
	scratch_load_dwordx2 v[2:3], off, off offset:160
	s_waitcnt vmcnt(1)
	scratch_store_dwordx2 off, v[0:1], off offset:160
	s_waitcnt vmcnt(1)
	scratch_store_dwordx2 off, v[2:3], s0
.LBB88_172:
	v_mov_b32_e32 v0, 0
	global_load_dword v1, v0, s[8:9] offset:76
	s_waitcnt vmcnt(0)
	v_readfirstlane_b32 s0, v1
	s_add_i32 s0, s0, -1
	s_cmp_eq_u32 s0, 19
	s_cbranch_scc1 .LBB88_174
; %bb.173:
	s_lshl_b32 s0, s0, 3
	s_nop 0
	scratch_load_dwordx2 v[2:3], off, s0
	scratch_load_dwordx2 v[4:5], off, off offset:152
	s_waitcnt vmcnt(1)
	scratch_store_dwordx2 off, v[2:3], off offset:152
	s_waitcnt vmcnt(1)
	scratch_store_dwordx2 off, v[4:5], s0
.LBB88_174:
	;; [unrolled: 33-line block ×11, first 2 shown]
	global_load_dword v2, v0, s[8:9]
	s_nop 0
	scratch_load_dwordx2 v[0:1], off, off
	s_waitcnt vmcnt(1)
	v_readfirstlane_b32 s0, v2
	s_add_i32 s0, s0, -1
	s_cmp_eq_u32 s0, 0
	s_cbranch_scc1 .LBB88_212
; %bb.211:
	s_lshl_b32 s0, s0, 3
	s_nop 0
	scratch_load_dwordx2 v[2:3], off, s0
	s_waitcnt vmcnt(0)
	scratch_store_dwordx2 off, v[2:3], off
	scratch_store_dwordx2 off, v[0:1], s0
	scratch_load_dwordx2 v[0:1], off, off
.LBB88_212:
	s_waitcnt vmcnt(0)
	flat_store_dwordx2 v[36:37], v[0:1]
	scratch_load_dwordx2 v[0:1], off, off offset:8
	s_waitcnt vmcnt(0)
	flat_store_dwordx2 v[38:39], v[0:1]
	scratch_load_dwordx2 v[0:1], off, off offset:16
	;; [unrolled: 3-line block ×24, first 2 shown]
	s_waitcnt vmcnt(0)
	flat_store_dwordx2 v[84:85], v[0:1]
	s_endpgm
	.section	.rodata,"a",@progbits
	.p2align	6, 0x0
	.amdhsa_kernel _ZN9rocsolver6v33100L18getri_kernel_smallILi25E19rocblas_complex_numIfEPKPS3_EEvT1_iilPiilS8_bb
		.amdhsa_group_segment_fixed_size 408
		.amdhsa_private_segment_fixed_size 208
		.amdhsa_kernarg_size 60
		.amdhsa_user_sgpr_count 2
		.amdhsa_user_sgpr_dispatch_ptr 0
		.amdhsa_user_sgpr_queue_ptr 0
		.amdhsa_user_sgpr_kernarg_segment_ptr 1
		.amdhsa_user_sgpr_dispatch_id 0
		.amdhsa_user_sgpr_kernarg_preload_length 0
		.amdhsa_user_sgpr_kernarg_preload_offset 0
		.amdhsa_user_sgpr_private_segment_size 0
		.amdhsa_uses_dynamic_stack 0
		.amdhsa_enable_private_segment 1
		.amdhsa_system_sgpr_workgroup_id_x 1
		.amdhsa_system_sgpr_workgroup_id_y 0
		.amdhsa_system_sgpr_workgroup_id_z 0
		.amdhsa_system_sgpr_workgroup_info 0
		.amdhsa_system_vgpr_workitem_id 0
		.amdhsa_next_free_vgpr 149
		.amdhsa_next_free_sgpr 17
		.amdhsa_accum_offset 152
		.amdhsa_reserve_vcc 1
		.amdhsa_float_round_mode_32 0
		.amdhsa_float_round_mode_16_64 0
		.amdhsa_float_denorm_mode_32 3
		.amdhsa_float_denorm_mode_16_64 3
		.amdhsa_dx10_clamp 1
		.amdhsa_ieee_mode 1
		.amdhsa_fp16_overflow 0
		.amdhsa_tg_split 0
		.amdhsa_exception_fp_ieee_invalid_op 0
		.amdhsa_exception_fp_denorm_src 0
		.amdhsa_exception_fp_ieee_div_zero 0
		.amdhsa_exception_fp_ieee_overflow 0
		.amdhsa_exception_fp_ieee_underflow 0
		.amdhsa_exception_fp_ieee_inexact 0
		.amdhsa_exception_int_div_zero 0
	.end_amdhsa_kernel
	.section	.text._ZN9rocsolver6v33100L18getri_kernel_smallILi25E19rocblas_complex_numIfEPKPS3_EEvT1_iilPiilS8_bb,"axG",@progbits,_ZN9rocsolver6v33100L18getri_kernel_smallILi25E19rocblas_complex_numIfEPKPS3_EEvT1_iilPiilS8_bb,comdat
.Lfunc_end88:
	.size	_ZN9rocsolver6v33100L18getri_kernel_smallILi25E19rocblas_complex_numIfEPKPS3_EEvT1_iilPiilS8_bb, .Lfunc_end88-_ZN9rocsolver6v33100L18getri_kernel_smallILi25E19rocblas_complex_numIfEPKPS3_EEvT1_iilPiilS8_bb
                                        ; -- End function
	.set _ZN9rocsolver6v33100L18getri_kernel_smallILi25E19rocblas_complex_numIfEPKPS3_EEvT1_iilPiilS8_bb.num_vgpr, 149
	.set _ZN9rocsolver6v33100L18getri_kernel_smallILi25E19rocblas_complex_numIfEPKPS3_EEvT1_iilPiilS8_bb.num_agpr, 0
	.set _ZN9rocsolver6v33100L18getri_kernel_smallILi25E19rocblas_complex_numIfEPKPS3_EEvT1_iilPiilS8_bb.numbered_sgpr, 17
	.set _ZN9rocsolver6v33100L18getri_kernel_smallILi25E19rocblas_complex_numIfEPKPS3_EEvT1_iilPiilS8_bb.num_named_barrier, 0
	.set _ZN9rocsolver6v33100L18getri_kernel_smallILi25E19rocblas_complex_numIfEPKPS3_EEvT1_iilPiilS8_bb.private_seg_size, 208
	.set _ZN9rocsolver6v33100L18getri_kernel_smallILi25E19rocblas_complex_numIfEPKPS3_EEvT1_iilPiilS8_bb.uses_vcc, 1
	.set _ZN9rocsolver6v33100L18getri_kernel_smallILi25E19rocblas_complex_numIfEPKPS3_EEvT1_iilPiilS8_bb.uses_flat_scratch, 0
	.set _ZN9rocsolver6v33100L18getri_kernel_smallILi25E19rocblas_complex_numIfEPKPS3_EEvT1_iilPiilS8_bb.has_dyn_sized_stack, 0
	.set _ZN9rocsolver6v33100L18getri_kernel_smallILi25E19rocblas_complex_numIfEPKPS3_EEvT1_iilPiilS8_bb.has_recursion, 0
	.set _ZN9rocsolver6v33100L18getri_kernel_smallILi25E19rocblas_complex_numIfEPKPS3_EEvT1_iilPiilS8_bb.has_indirect_call, 0
	.section	.AMDGPU.csdata,"",@progbits
; Kernel info:
; codeLenInByte = 24712
; TotalNumSgprs: 23
; NumVgprs: 149
; NumAgprs: 0
; TotalNumVgprs: 149
; ScratchSize: 208
; MemoryBound: 0
; FloatMode: 240
; IeeeMode: 1
; LDSByteSize: 408 bytes/workgroup (compile time only)
; SGPRBlocks: 2
; VGPRBlocks: 18
; NumSGPRsForWavesPerEU: 23
; NumVGPRsForWavesPerEU: 149
; AccumOffset: 152
; Occupancy: 3
; WaveLimiterHint : 1
; COMPUTE_PGM_RSRC2:SCRATCH_EN: 1
; COMPUTE_PGM_RSRC2:USER_SGPR: 2
; COMPUTE_PGM_RSRC2:TRAP_HANDLER: 0
; COMPUTE_PGM_RSRC2:TGID_X_EN: 1
; COMPUTE_PGM_RSRC2:TGID_Y_EN: 0
; COMPUTE_PGM_RSRC2:TGID_Z_EN: 0
; COMPUTE_PGM_RSRC2:TIDIG_COMP_CNT: 0
; COMPUTE_PGM_RSRC3_GFX90A:ACCUM_OFFSET: 37
; COMPUTE_PGM_RSRC3_GFX90A:TG_SPLIT: 0
	.section	.text._ZN9rocsolver6v33100L18getri_kernel_smallILi26E19rocblas_complex_numIfEPKPS3_EEvT1_iilPiilS8_bb,"axG",@progbits,_ZN9rocsolver6v33100L18getri_kernel_smallILi26E19rocblas_complex_numIfEPKPS3_EEvT1_iilPiilS8_bb,comdat
	.globl	_ZN9rocsolver6v33100L18getri_kernel_smallILi26E19rocblas_complex_numIfEPKPS3_EEvT1_iilPiilS8_bb ; -- Begin function _ZN9rocsolver6v33100L18getri_kernel_smallILi26E19rocblas_complex_numIfEPKPS3_EEvT1_iilPiilS8_bb
	.p2align	8
	.type	_ZN9rocsolver6v33100L18getri_kernel_smallILi26E19rocblas_complex_numIfEPKPS3_EEvT1_iilPiilS8_bb,@function
_ZN9rocsolver6v33100L18getri_kernel_smallILi26E19rocblas_complex_numIfEPKPS3_EEvT1_iilPiilS8_bb: ; @_ZN9rocsolver6v33100L18getri_kernel_smallILi26E19rocblas_complex_numIfEPKPS3_EEvT1_iilPiilS8_bb
; %bb.0:
	v_cmp_gt_u32_e32 vcc, 26, v0
	s_and_saveexec_b64 s[4:5], vcc
	s_cbranch_execz .LBB89_118
; %bb.1:
	s_load_dword s14, s[0:1], 0x38
	s_load_dwordx2 s[8:9], s[0:1], 0x0
	s_load_dwordx4 s[4:7], s[0:1], 0x28
	s_waitcnt lgkmcnt(0)
	s_bitcmp1_b32 s14, 8
	s_cselect_b64 s[10:11], -1, 0
	s_ashr_i32 s3, s2, 31
	s_lshl_b64 s[12:13], s[2:3], 3
	s_add_u32 s8, s8, s12
	s_addc_u32 s9, s9, s13
	s_load_dwordx2 s[12:13], s[8:9], 0x0
	s_bfe_u32 s8, s14, 0x10008
	s_cmp_eq_u32 s8, 0
                                        ; implicit-def: $sgpr8_sgpr9
	s_cbranch_scc1 .LBB89_3
; %bb.2:
	s_load_dword s8, s[0:1], 0x20
	s_load_dwordx2 s[14:15], s[0:1], 0x18
	s_mul_i32 s9, s4, s3
	s_mul_hi_u32 s16, s4, s2
	s_add_i32 s16, s16, s9
	s_mul_i32 s5, s5, s2
	s_add_i32 s5, s16, s5
	s_mul_i32 s4, s4, s2
	s_waitcnt lgkmcnt(0)
	s_ashr_i32 s9, s8, 31
	s_lshl_b64 s[4:5], s[4:5], 2
	s_add_u32 s14, s14, s4
	s_addc_u32 s15, s15, s5
	s_lshl_b64 s[4:5], s[8:9], 2
	s_add_u32 s8, s14, s4
	s_addc_u32 s9, s15, s5
.LBB89_3:
	s_load_dwordx2 s[4:5], s[0:1], 0x8
	s_load_dword s14, s[0:1], 0x38
	v_lshlrev_b32_e32 v2, 3, v0
	v_mov_b32_e32 v3, 0
	s_waitcnt lgkmcnt(0)
	s_ashr_i32 s1, s4, 31
	s_mov_b32 s0, s4
	s_lshl_b64 s[0:1], s[0:1], 3
	s_add_u32 s0, s12, s0
	s_addc_u32 s1, s13, s1
	v_lshl_add_u64 v[48:49], s[0:1], 0, v[2:3]
	flat_load_dwordx2 v[4:5], v[48:49]
	s_mov_b32 s12, s5
	s_ashr_i32 s13, s5, 31
	v_lshl_add_u64 v[50:51], s[12:13], 3, v[48:49]
	s_add_i32 s4, s5, s5
	v_add_u32_e32 v6, s4, v0
	v_ashrrev_i32_e32 v7, 31, v6
	v_lshl_add_u64 v[52:53], v[6:7], 3, s[0:1]
	v_add_u32_e32 v6, s5, v6
	v_ashrrev_i32_e32 v7, 31, v6
	v_lshl_add_u64 v[54:55], v[6:7], 3, s[0:1]
	;; [unrolled: 3-line block ×24, first 2 shown]
	s_bitcmp0_b32 s14, 0
	s_mov_b64 s[4:5], -1
	s_waitcnt vmcnt(0) lgkmcnt(0)
	scratch_store_dwordx2 off, v[4:5], off
	flat_load_dwordx2 v[4:5], v[50:51]
	s_waitcnt vmcnt(0) lgkmcnt(0)
	scratch_store_dwordx2 off, v[4:5], off offset:8
	flat_load_dwordx2 v[4:5], v[52:53]
	s_waitcnt vmcnt(0) lgkmcnt(0)
	scratch_store_dwordx2 off, v[4:5], off offset:16
	;; [unrolled: 3-line block ×25, first 2 shown]
	s_cbranch_scc1 .LBB89_116
; %bb.4:
	v_cmp_eq_u32_e64 s[0:1], 0, v0
	s_and_saveexec_b64 s[4:5], s[0:1]
; %bb.5:
	v_mov_b32_e32 v1, 0
	ds_write_b32 v1, v1 offset:416
; %bb.6:
	s_or_b64 exec, exec, s[4:5]
	s_waitcnt lgkmcnt(0)
	; wave barrier
	scratch_load_dwordx2 v[4:5], v2, off
	s_waitcnt vmcnt(0)
	v_cmp_eq_f32_e32 vcc, 0, v4
	v_cmp_eq_f32_e64 s[4:5], 0, v5
	s_and_b64 s[4:5], vcc, s[4:5]
	s_and_saveexec_b64 s[12:13], s[4:5]
	s_cbranch_execz .LBB89_10
; %bb.7:
	v_mov_b32_e32 v1, 0
	ds_read_b32 v4, v1 offset:416
	v_add_u32_e32 v3, 1, v0
	s_waitcnt lgkmcnt(0)
	v_readfirstlane_b32 s4, v4
	s_cmp_eq_u32 s4, 0
	s_cselect_b64 s[14:15], -1, 0
	v_cmp_gt_i32_e32 vcc, s4, v3
	s_or_b64 s[14:15], s[14:15], vcc
	s_and_b64 exec, exec, s[14:15]
	s_cbranch_execz .LBB89_10
; %bb.8:
	s_mov_b64 s[14:15], 0
	v_mov_b32_e32 v4, s4
.LBB89_9:                               ; =>This Inner Loop Header: Depth=1
	ds_cmpst_rtn_b32 v4, v1, v4, v3 offset:416
	s_waitcnt lgkmcnt(0)
	v_cmp_ne_u32_e32 vcc, 0, v4
	v_cmp_le_i32_e64 s[4:5], v4, v3
	s_and_b64 s[4:5], vcc, s[4:5]
	s_and_b64 s[4:5], exec, s[4:5]
	s_or_b64 s[14:15], s[4:5], s[14:15]
	s_andn2_b64 exec, exec, s[14:15]
	s_cbranch_execnz .LBB89_9
.LBB89_10:
	s_or_b64 exec, exec, s[12:13]
	v_mov_b32_e32 v3, 0
	; wave barrier
	ds_read_b32 v1, v3 offset:416
	s_and_saveexec_b64 s[4:5], s[0:1]
	s_cbranch_execz .LBB89_12
; %bb.11:
	s_lshl_b64 s[12:13], s[2:3], 2
	s_add_u32 s12, s6, s12
	s_addc_u32 s13, s7, s13
	s_waitcnt lgkmcnt(0)
	global_store_dword v3, v1, s[12:13]
.LBB89_12:
	s_or_b64 exec, exec, s[4:5]
	s_waitcnt lgkmcnt(0)
	v_cmp_ne_u32_e32 vcc, 0, v1
	s_mov_b64 s[4:5], 0
	s_cbranch_vccnz .LBB89_116
; %bb.13:
	v_mov_b32_e32 v3, v2
	scratch_load_dwordx2 v[4:5], v3, off
                                        ; implicit-def: $vgpr7
                                        ; implicit-def: $vgpr8
	s_waitcnt vmcnt(0)
	v_cmp_ngt_f32_e64 s[4:5], |v4|, |v5|
	s_and_saveexec_b64 s[12:13], s[4:5]
	s_xor_b64 s[4:5], exec, s[12:13]
	s_cbranch_execz .LBB89_15
; %bb.14:
	v_div_scale_f32 v1, s[12:13], v5, v5, v4
	v_rcp_f32_e32 v6, v1
	v_div_scale_f32 v7, vcc, v4, v5, v4
	v_fma_f32 v8, -v1, v6, 1.0
	v_fmac_f32_e32 v6, v8, v6
	v_mul_f32_e32 v8, v7, v6
	v_fma_f32 v9, -v1, v8, v7
	v_fmac_f32_e32 v8, v9, v6
	v_fma_f32 v1, -v1, v8, v7
	v_div_fmas_f32 v1, v1, v6, v8
	v_div_fixup_f32 v1, v1, v5, v4
	v_fmac_f32_e32 v5, v4, v1
	v_div_scale_f32 v4, s[12:13], v5, v5, -1.0
	v_rcp_f32_e32 v6, v4
	s_nop 0
	v_fma_f32 v7, -v4, v6, 1.0
	v_fmac_f32_e32 v6, v7, v6
	v_div_scale_f32 v7, vcc, -1.0, v5, -1.0
	v_mul_f32_e32 v8, v7, v6
	v_fma_f32 v9, -v4, v8, v7
	v_fmac_f32_e32 v8, v9, v6
	v_fma_f32 v4, -v4, v8, v7
	v_div_fmas_f32 v4, v4, v6, v8
	v_div_fixup_f32 v7, v4, v5, -1.0
	v_mul_f32_e32 v8, v1, v7
	v_xor_b32_e32 v6, 0x80000000, v8
                                        ; implicit-def: $vgpr4_vgpr5
.LBB89_15:
	s_andn2_saveexec_b64 s[4:5], s[4:5]
	s_cbranch_execz .LBB89_17
; %bb.16:
	v_div_scale_f32 v1, s[12:13], v4, v4, v5
	v_rcp_f32_e32 v6, v1
	v_div_scale_f32 v7, vcc, v5, v4, v5
	v_fma_f32 v8, -v1, v6, 1.0
	v_fmac_f32_e32 v6, v8, v6
	v_mul_f32_e32 v8, v7, v6
	v_fma_f32 v9, -v1, v8, v7
	v_fmac_f32_e32 v8, v9, v6
	v_fma_f32 v1, -v1, v8, v7
	v_div_fmas_f32 v1, v1, v6, v8
	v_div_fixup_f32 v1, v1, v4, v5
	v_fmac_f32_e32 v4, v5, v1
	v_div_scale_f32 v5, s[12:13], v4, v4, 1.0
	v_rcp_f32_e32 v6, v5
	s_nop 0
	v_fma_f32 v7, -v5, v6, 1.0
	v_fmac_f32_e32 v6, v7, v6
	v_div_scale_f32 v7, vcc, 1.0, v4, 1.0
	v_mul_f32_e32 v8, v7, v6
	v_fma_f32 v9, -v5, v8, v7
	v_fmac_f32_e32 v8, v9, v6
	v_fma_f32 v5, -v5, v8, v7
	v_div_fmas_f32 v5, v5, v6, v8
	v_div_fixup_f32 v6, v5, v4, 1.0
	v_xor_b32_e32 v8, 0x80000000, v6
	v_mul_f32_e64 v7, v1, -v6
.LBB89_17:
	s_or_b64 exec, exec, s[4:5]
	scratch_store_dwordx2 v3, v[6:7], off
	scratch_load_dwordx2 v[4:5], off, off offset:8
	v_xor_b32_e32 v9, 0x80000000, v7
	v_add_u32_e32 v1, 0xd0, v2
	s_waitcnt vmcnt(0)
	ds_write2_b64 v2, v[8:9], v[4:5] offset1:26
	s_waitcnt lgkmcnt(0)
	; wave barrier
	s_and_saveexec_b64 s[4:5], s[0:1]
	s_cbranch_execz .LBB89_19
; %bb.18:
	scratch_load_dwordx2 v[4:5], v3, off
	ds_read_b64 v[6:7], v1
	v_mov_b32_e32 v8, 0
	ds_read_b64 v[8:9], v8 offset:8
	s_waitcnt vmcnt(0) lgkmcnt(1)
	v_pk_mul_f32 v[10:11], v[6:7], v[4:5] op_sel:[1,1] op_sel_hi:[0,1]
	v_pk_fma_f32 v[12:13], v[6:7], v[4:5], v[10:11] neg_lo:[0,0,1] neg_hi:[0,0,1]
	v_pk_fma_f32 v[4:5], v[6:7], v[4:5], v[10:11] op_sel_hi:[1,0,1]
	s_nop 0
	v_mov_b32_e32 v13, v5
	v_pk_add_f32 v[4:5], v[12:13], 0 op_sel_hi:[1,0]
	s_waitcnt lgkmcnt(0)
	v_pk_mul_f32 v[6:7], v[4:5], v[8:9] op_sel:[1,1] op_sel_hi:[0,1]
	v_pk_fma_f32 v[10:11], v[4:5], v[8:9], v[6:7] neg_lo:[0,0,1] neg_hi:[0,0,1]
	v_pk_fma_f32 v[4:5], v[4:5], v[8:9], v[6:7] op_sel_hi:[1,0,1]
	s_nop 0
	v_mov_b32_e32 v11, v5
	scratch_store_dwordx2 off, v[10:11], off offset:8
.LBB89_19:
	s_or_b64 exec, exec, s[4:5]
	; wave barrier
	scratch_load_dwordx2 v[4:5], off, off offset:16
	v_cmp_gt_u32_e32 vcc, 2, v0
	s_waitcnt vmcnt(0)
	ds_write_b64 v1, v[4:5]
	s_waitcnt lgkmcnt(0)
	; wave barrier
	s_and_saveexec_b64 s[4:5], vcc
	s_cbranch_execz .LBB89_23
; %bb.20:
	scratch_load_dwordx2 v[4:5], v3, off
	ds_read_b64 v[6:7], v1
	s_waitcnt vmcnt(0) lgkmcnt(0)
	v_pk_mul_f32 v[8:9], v[6:7], v[4:5] op_sel:[1,1] op_sel_hi:[0,1]
	v_pk_fma_f32 v[10:11], v[6:7], v[4:5], v[8:9] neg_lo:[0,0,1] neg_hi:[0,0,1]
	v_pk_fma_f32 v[4:5], v[6:7], v[4:5], v[8:9] op_sel_hi:[1,0,1]
	s_nop 0
	v_mov_b32_e32 v11, v5
	v_pk_add_f32 v[4:5], v[10:11], 0 op_sel_hi:[1,0]
	s_and_saveexec_b64 s[12:13], s[0:1]
	s_cbranch_execz .LBB89_22
; %bb.21:
	scratch_load_dwordx2 v[6:7], off, off offset:8
	v_mov_b32_e32 v3, 0
	ds_read_b64 v[8:9], v3 offset:216
	s_waitcnt vmcnt(0) lgkmcnt(0)
	v_pk_mul_f32 v[10:11], v[8:9], v[6:7] op_sel:[1,1] op_sel_hi:[0,1]
	v_pk_fma_f32 v[12:13], v[8:9], v[6:7], v[10:11] neg_lo:[0,0,1] neg_hi:[0,0,1]
	v_pk_fma_f32 v[6:7], v[8:9], v[6:7], v[10:11] op_sel_hi:[1,0,1]
	s_nop 0
	v_mov_b32_e32 v13, v7
	v_pk_add_f32 v[4:5], v[4:5], v[12:13]
.LBB89_22:
	s_or_b64 exec, exec, s[12:13]
	v_mov_b32_e32 v3, 0
	ds_read_b64 v[6:7], v3 offset:16
	s_waitcnt lgkmcnt(0)
	v_pk_mul_f32 v[8:9], v[4:5], v[6:7] op_sel:[1,1] op_sel_hi:[0,1]
	v_pk_fma_f32 v[10:11], v[4:5], v[6:7], v[8:9] neg_lo:[0,0,1] neg_hi:[0,0,1]
	v_pk_fma_f32 v[4:5], v[4:5], v[6:7], v[8:9] op_sel_hi:[1,0,1]
	s_nop 0
	v_mov_b32_e32 v11, v5
	scratch_store_dwordx2 off, v[10:11], off offset:16
.LBB89_23:
	s_or_b64 exec, exec, s[4:5]
	; wave barrier
	scratch_load_dwordx2 v[4:5], off, off offset:24
	v_cmp_gt_u32_e32 vcc, 3, v0
	v_add_u32_e32 v6, -1, v0
	s_waitcnt vmcnt(0)
	ds_write_b64 v1, v[4:5]
	s_waitcnt lgkmcnt(0)
	; wave barrier
	s_and_saveexec_b64 s[0:1], vcc
	s_cbranch_execz .LBB89_27
; %bb.24:
	v_mov_b32_e32 v4, 0
	v_add_u32_e32 v3, -1, v0
	v_add_u32_e32 v7, 0xd0, v2
	v_mov_b32_e32 v8, v2
	s_mov_b64 s[4:5], 0
	v_mov_b32_e32 v5, v4
.LBB89_25:                              ; =>This Inner Loop Header: Depth=1
	scratch_load_dwordx2 v[10:11], v8, off
	ds_read_b64 v[12:13], v7
	v_add_u32_e32 v3, 1, v3
	v_cmp_lt_u32_e32 vcc, 1, v3
	v_add_u32_e32 v7, 8, v7
	v_add_u32_e32 v8, 8, v8
	s_or_b64 s[4:5], vcc, s[4:5]
	s_waitcnt vmcnt(0) lgkmcnt(0)
	v_pk_mul_f32 v[14:15], v[12:13], v[10:11] op_sel:[1,1] op_sel_hi:[0,1]
	v_pk_fma_f32 v[16:17], v[12:13], v[10:11], v[14:15] neg_lo:[0,0,1] neg_hi:[0,0,1]
	v_pk_fma_f32 v[10:11], v[12:13], v[10:11], v[14:15] op_sel_hi:[1,0,1]
	s_nop 0
	v_mov_b32_e32 v17, v11
	v_pk_add_f32 v[4:5], v[4:5], v[16:17]
	s_andn2_b64 exec, exec, s[4:5]
	s_cbranch_execnz .LBB89_25
; %bb.26:
	s_or_b64 exec, exec, s[4:5]
	v_mov_b32_e32 v3, 0
	ds_read_b64 v[8:9], v3 offset:24
	s_waitcnt lgkmcnt(0)
	v_pk_mul_f32 v[10:11], v[4:5], v[8:9] op_sel:[1,1] op_sel_hi:[0,1]
	v_pk_fma_f32 v[12:13], v[4:5], v[8:9], v[10:11] neg_lo:[0,0,1] neg_hi:[0,0,1]
	v_pk_fma_f32 v[4:5], v[4:5], v[8:9], v[10:11] op_sel_hi:[1,0,1]
	s_nop 0
	v_mov_b32_e32 v13, v5
	scratch_store_dwordx2 off, v[12:13], off offset:24
.LBB89_27:
	s_or_b64 exec, exec, s[0:1]
	; wave barrier
	scratch_load_dwordx2 v[4:5], off, off offset:32
	v_cmp_gt_u32_e32 vcc, 4, v0
	s_waitcnt vmcnt(0)
	ds_write_b64 v1, v[4:5]
	s_waitcnt lgkmcnt(0)
	; wave barrier
	s_and_saveexec_b64 s[0:1], vcc
	s_cbranch_execz .LBB89_31
; %bb.28:
	v_mov_b32_e32 v4, 0
	v_add_u32_e32 v3, -1, v0
	v_add_u32_e32 v7, 0xd0, v2
	v_mov_b32_e32 v8, v2
	s_mov_b64 s[4:5], 0
	v_mov_b32_e32 v5, v4
.LBB89_29:                              ; =>This Inner Loop Header: Depth=1
	scratch_load_dwordx2 v[10:11], v8, off
	ds_read_b64 v[12:13], v7
	v_add_u32_e32 v3, 1, v3
	v_cmp_lt_u32_e32 vcc, 2, v3
	v_add_u32_e32 v7, 8, v7
	v_add_u32_e32 v8, 8, v8
	s_or_b64 s[4:5], vcc, s[4:5]
	s_waitcnt vmcnt(0) lgkmcnt(0)
	v_pk_mul_f32 v[14:15], v[12:13], v[10:11] op_sel:[1,1] op_sel_hi:[0,1]
	v_pk_fma_f32 v[16:17], v[12:13], v[10:11], v[14:15] neg_lo:[0,0,1] neg_hi:[0,0,1]
	v_pk_fma_f32 v[10:11], v[12:13], v[10:11], v[14:15] op_sel_hi:[1,0,1]
	s_nop 0
	v_mov_b32_e32 v17, v11
	v_pk_add_f32 v[4:5], v[4:5], v[16:17]
	s_andn2_b64 exec, exec, s[4:5]
	s_cbranch_execnz .LBB89_29
; %bb.30:
	s_or_b64 exec, exec, s[4:5]
	v_mov_b32_e32 v3, 0
	ds_read_b64 v[8:9], v3 offset:32
	s_waitcnt lgkmcnt(0)
	v_pk_mul_f32 v[10:11], v[4:5], v[8:9] op_sel:[1,1] op_sel_hi:[0,1]
	v_pk_fma_f32 v[12:13], v[4:5], v[8:9], v[10:11] neg_lo:[0,0,1] neg_hi:[0,0,1]
	v_pk_fma_f32 v[4:5], v[4:5], v[8:9], v[10:11] op_sel_hi:[1,0,1]
	s_nop 0
	v_mov_b32_e32 v13, v5
	scratch_store_dwordx2 off, v[12:13], off offset:32
.LBB89_31:
	s_or_b64 exec, exec, s[0:1]
	; wave barrier
	scratch_load_dwordx2 v[4:5], off, off offset:40
	v_cmp_gt_u32_e32 vcc, 5, v0
	;; [unrolled: 46-line block ×19, first 2 shown]
	s_waitcnt vmcnt(0)
	ds_write_b64 v1, v[4:5]
	s_waitcnt lgkmcnt(0)
	; wave barrier
	s_and_saveexec_b64 s[0:1], vcc
	s_cbranch_execz .LBB89_103
; %bb.100:
	v_mov_b32_e32 v4, 0
	v_add_u32_e32 v3, -1, v0
	v_add_u32_e32 v7, 0xd0, v2
	v_mov_b32_e32 v8, v2
	s_mov_b64 s[4:5], 0
	v_mov_b32_e32 v5, v4
.LBB89_101:                             ; =>This Inner Loop Header: Depth=1
	scratch_load_dwordx2 v[10:11], v8, off
	ds_read_b64 v[12:13], v7
	v_add_u32_e32 v3, 1, v3
	v_cmp_lt_u32_e32 vcc, 20, v3
	v_add_u32_e32 v7, 8, v7
	v_add_u32_e32 v8, 8, v8
	s_or_b64 s[4:5], vcc, s[4:5]
	s_waitcnt vmcnt(0) lgkmcnt(0)
	v_pk_mul_f32 v[14:15], v[12:13], v[10:11] op_sel:[1,1] op_sel_hi:[0,1]
	v_pk_fma_f32 v[16:17], v[12:13], v[10:11], v[14:15] neg_lo:[0,0,1] neg_hi:[0,0,1]
	v_pk_fma_f32 v[10:11], v[12:13], v[10:11], v[14:15] op_sel_hi:[1,0,1]
	s_nop 0
	v_mov_b32_e32 v17, v11
	v_pk_add_f32 v[4:5], v[4:5], v[16:17]
	s_andn2_b64 exec, exec, s[4:5]
	s_cbranch_execnz .LBB89_101
; %bb.102:
	s_or_b64 exec, exec, s[4:5]
	v_mov_b32_e32 v3, 0
	ds_read_b64 v[8:9], v3 offset:176
	s_waitcnt lgkmcnt(0)
	v_pk_mul_f32 v[10:11], v[4:5], v[8:9] op_sel:[1,1] op_sel_hi:[0,1]
	v_pk_fma_f32 v[12:13], v[4:5], v[8:9], v[10:11] neg_lo:[0,0,1] neg_hi:[0,0,1]
	v_pk_fma_f32 v[4:5], v[4:5], v[8:9], v[10:11] op_sel_hi:[1,0,1]
	s_nop 0
	v_mov_b32_e32 v13, v5
	scratch_store_dwordx2 off, v[12:13], off offset:176
.LBB89_103:
	s_or_b64 exec, exec, s[0:1]
	; wave barrier
	scratch_load_dwordx2 v[4:5], off, off offset:184
	v_cmp_gt_u32_e32 vcc, 23, v0
	s_waitcnt vmcnt(0)
	ds_write_b64 v1, v[4:5]
	s_waitcnt lgkmcnt(0)
	; wave barrier
	s_and_saveexec_b64 s[0:1], vcc
	s_cbranch_execz .LBB89_107
; %bb.104:
	v_mov_b32_e32 v4, 0
	v_add_u32_e32 v3, -1, v0
	v_add_u32_e32 v7, 0xd0, v2
	v_mov_b32_e32 v8, v2
	s_mov_b64 s[4:5], 0
	v_mov_b32_e32 v5, v4
.LBB89_105:                             ; =>This Inner Loop Header: Depth=1
	scratch_load_dwordx2 v[10:11], v8, off
	ds_read_b64 v[12:13], v7
	v_add_u32_e32 v3, 1, v3
	v_cmp_lt_u32_e32 vcc, 21, v3
	v_add_u32_e32 v7, 8, v7
	v_add_u32_e32 v8, 8, v8
	s_or_b64 s[4:5], vcc, s[4:5]
	s_waitcnt vmcnt(0) lgkmcnt(0)
	v_pk_mul_f32 v[14:15], v[12:13], v[10:11] op_sel:[1,1] op_sel_hi:[0,1]
	v_pk_fma_f32 v[16:17], v[12:13], v[10:11], v[14:15] neg_lo:[0,0,1] neg_hi:[0,0,1]
	v_pk_fma_f32 v[10:11], v[12:13], v[10:11], v[14:15] op_sel_hi:[1,0,1]
	s_nop 0
	v_mov_b32_e32 v17, v11
	v_pk_add_f32 v[4:5], v[4:5], v[16:17]
	s_andn2_b64 exec, exec, s[4:5]
	s_cbranch_execnz .LBB89_105
; %bb.106:
	s_or_b64 exec, exec, s[4:5]
	v_mov_b32_e32 v3, 0
	ds_read_b64 v[8:9], v3 offset:184
	s_waitcnt lgkmcnt(0)
	v_pk_mul_f32 v[10:11], v[4:5], v[8:9] op_sel:[1,1] op_sel_hi:[0,1]
	v_pk_fma_f32 v[12:13], v[4:5], v[8:9], v[10:11] neg_lo:[0,0,1] neg_hi:[0,0,1]
	v_pk_fma_f32 v[4:5], v[4:5], v[8:9], v[10:11] op_sel_hi:[1,0,1]
	s_nop 0
	v_mov_b32_e32 v13, v5
	scratch_store_dwordx2 off, v[12:13], off offset:184
.LBB89_107:
	s_or_b64 exec, exec, s[0:1]
	; wave barrier
	scratch_load_dwordx2 v[4:5], off, off offset:192
	v_cmp_gt_u32_e32 vcc, 24, v0
	s_waitcnt vmcnt(0)
	ds_write_b64 v1, v[4:5]
	s_waitcnt lgkmcnt(0)
	; wave barrier
	s_and_saveexec_b64 s[0:1], vcc
	s_cbranch_execz .LBB89_111
; %bb.108:
	v_mov_b32_e32 v4, 0
	v_add_u32_e32 v3, -1, v0
	v_add_u32_e32 v7, 0xd0, v2
	v_mov_b32_e32 v8, v2
	s_mov_b64 s[4:5], 0
	v_mov_b32_e32 v5, v4
.LBB89_109:                             ; =>This Inner Loop Header: Depth=1
	scratch_load_dwordx2 v[10:11], v8, off
	ds_read_b64 v[12:13], v7
	v_add_u32_e32 v3, 1, v3
	v_cmp_lt_u32_e32 vcc, 22, v3
	v_add_u32_e32 v7, 8, v7
	v_add_u32_e32 v8, 8, v8
	s_or_b64 s[4:5], vcc, s[4:5]
	s_waitcnt vmcnt(0) lgkmcnt(0)
	v_pk_mul_f32 v[14:15], v[12:13], v[10:11] op_sel:[1,1] op_sel_hi:[0,1]
	v_pk_fma_f32 v[16:17], v[12:13], v[10:11], v[14:15] neg_lo:[0,0,1] neg_hi:[0,0,1]
	v_pk_fma_f32 v[10:11], v[12:13], v[10:11], v[14:15] op_sel_hi:[1,0,1]
	s_nop 0
	v_mov_b32_e32 v17, v11
	v_pk_add_f32 v[4:5], v[4:5], v[16:17]
	s_andn2_b64 exec, exec, s[4:5]
	s_cbranch_execnz .LBB89_109
; %bb.110:
	s_or_b64 exec, exec, s[4:5]
	v_mov_b32_e32 v3, 0
	ds_read_b64 v[8:9], v3 offset:192
	s_waitcnt lgkmcnt(0)
	v_pk_mul_f32 v[10:11], v[4:5], v[8:9] op_sel:[1,1] op_sel_hi:[0,1]
	v_pk_fma_f32 v[12:13], v[4:5], v[8:9], v[10:11] neg_lo:[0,0,1] neg_hi:[0,0,1]
	v_pk_fma_f32 v[4:5], v[4:5], v[8:9], v[10:11] op_sel_hi:[1,0,1]
	s_nop 0
	v_mov_b32_e32 v13, v5
	scratch_store_dwordx2 off, v[12:13], off offset:192
.LBB89_111:
	s_or_b64 exec, exec, s[0:1]
	; wave barrier
	scratch_load_dwordx2 v[4:5], off, off offset:200
	v_cmp_ne_u32_e32 vcc, 25, v0
	s_waitcnt vmcnt(0)
	ds_write_b64 v1, v[4:5]
	s_waitcnt lgkmcnt(0)
	; wave barrier
	s_and_saveexec_b64 s[0:1], vcc
	s_cbranch_execz .LBB89_115
; %bb.112:
	v_add_u32_e32 v1, 0xd0, v2
	v_mov_b32_e32 v4, v2
	v_mov_b32_e32 v2, 0
	s_mov_b64 s[4:5], 0
	v_mov_b32_e32 v3, v2
.LBB89_113:                             ; =>This Inner Loop Header: Depth=1
	scratch_load_dwordx2 v[8:9], v4, off
	ds_read_b64 v[10:11], v1
	v_add_u32_e32 v6, 1, v6
	v_cmp_lt_u32_e32 vcc, 23, v6
	v_add_u32_e32 v1, 8, v1
	v_add_u32_e32 v4, 8, v4
	s_or_b64 s[4:5], vcc, s[4:5]
	s_waitcnt vmcnt(0) lgkmcnt(0)
	v_pk_mul_f32 v[12:13], v[10:11], v[8:9] op_sel:[1,1] op_sel_hi:[0,1]
	v_pk_fma_f32 v[14:15], v[10:11], v[8:9], v[12:13] neg_lo:[0,0,1] neg_hi:[0,0,1]
	v_pk_fma_f32 v[8:9], v[10:11], v[8:9], v[12:13] op_sel_hi:[1,0,1]
	s_nop 0
	v_mov_b32_e32 v15, v9
	v_pk_add_f32 v[2:3], v[2:3], v[14:15]
	s_andn2_b64 exec, exec, s[4:5]
	s_cbranch_execnz .LBB89_113
; %bb.114:
	s_or_b64 exec, exec, s[4:5]
	v_mov_b32_e32 v1, 0
	ds_read_b64 v[4:5], v1 offset:200
	s_waitcnt lgkmcnt(0)
	v_pk_mul_f32 v[6:7], v[2:3], v[4:5] op_sel:[1,1] op_sel_hi:[0,1]
	v_pk_fma_f32 v[8:9], v[2:3], v[4:5], v[6:7] neg_lo:[0,0,1] neg_hi:[0,0,1]
	v_pk_fma_f32 v[2:3], v[2:3], v[4:5], v[6:7] op_sel_hi:[1,0,1]
	s_nop 0
	v_mov_b32_e32 v9, v3
	scratch_store_dwordx2 off, v[8:9], off offset:200
.LBB89_115:
	s_or_b64 exec, exec, s[0:1]
	s_mov_b64 s[4:5], -1
	; wave barrier
.LBB89_116:
	s_and_b64 vcc, exec, s[4:5]
	s_cbranch_vccz .LBB89_118
; %bb.117:
	s_lshl_b64 s[0:1], s[2:3], 2
	s_add_u32 s0, s6, s0
	s_addc_u32 s1, s7, s1
	v_mov_b32_e32 v1, 0
	global_load_dword v1, v1, s[0:1]
	s_waitcnt vmcnt(0)
	v_cmp_ne_u32_e32 vcc, 0, v1
	s_cbranch_vccz .LBB89_119
.LBB89_118:
	s_endpgm
.LBB89_119:
	v_mov_b32_e32 v1, 0xd0
	v_lshl_add_u32 v1, v0, 3, v1
	v_cmp_eq_u32_e32 vcc, 25, v0
	s_and_saveexec_b64 s[0:1], vcc
	s_cbranch_execz .LBB89_121
; %bb.120:
	scratch_load_dwordx2 v[2:3], off, off offset:192
	v_mov_b32_e32 v4, 0
	v_mov_b32_e32 v5, v4
	scratch_store_dwordx2 off, v[4:5], off offset:192
	s_waitcnt vmcnt(1)
	ds_write_b64 v1, v[2:3]
.LBB89_121:
	s_or_b64 exec, exec, s[0:1]
	s_waitcnt lgkmcnt(0)
	; wave barrier
	scratch_load_dwordx2 v[4:5], off, off offset:200
	scratch_load_dwordx2 v[6:7], off, off offset:192
	v_mov_b32_e32 v2, 0
	ds_read_b64 v[8:9], v2 offset:408
	v_cmp_lt_u32_e32 vcc, 23, v0
	s_waitcnt vmcnt(1) lgkmcnt(0)
	v_pk_mul_f32 v[10:11], v[8:9], v[4:5] op_sel:[1,1] op_sel_hi:[0,1]
	v_pk_fma_f32 v[12:13], v[8:9], v[4:5], v[10:11] neg_lo:[0,0,1] neg_hi:[0,0,1]
	v_pk_fma_f32 v[4:5], v[8:9], v[4:5], v[10:11] op_sel_hi:[1,0,1]
	s_nop 0
	v_mov_b32_e32 v13, v5
	v_pk_add_f32 v[4:5], v[12:13], 0 op_sel_hi:[1,0]
	s_waitcnt vmcnt(0)
	v_pk_add_f32 v[4:5], v[6:7], v[4:5] neg_lo:[0,1] neg_hi:[0,1]
	scratch_store_dwordx2 off, v[4:5], off offset:192
	s_and_saveexec_b64 s[0:1], vcc
	s_cbranch_execz .LBB89_123
; %bb.122:
	scratch_load_dwordx2 v[4:5], off, off offset:184
	v_mov_b32_e32 v3, v2
	scratch_store_dwordx2 off, v[2:3], off offset:184
	s_waitcnt vmcnt(1)
	ds_write_b64 v1, v[4:5]
.LBB89_123:
	s_or_b64 exec, exec, s[0:1]
	s_waitcnt lgkmcnt(0)
	; wave barrier
	scratch_load_dwordx4 v[4:7], off, off offset:192
	scratch_load_dwordx2 v[12:13], off, off offset:184
	ds_read_b128 v[8:11], v2 offset:400
	v_cmp_lt_u32_e32 vcc, 22, v0
	s_waitcnt vmcnt(1) lgkmcnt(0)
	v_pk_mul_f32 v[2:3], v[8:9], v[4:5] op_sel:[1,1] op_sel_hi:[0,1]
	v_mov_b32_e32 v14, v7
	v_pk_fma_f32 v[16:17], v[8:9], v[4:5], v[2:3] neg_lo:[0,0,1] neg_hi:[0,0,1]
	v_pk_fma_f32 v[2:3], v[8:9], v[4:5], v[2:3] op_sel_hi:[1,0,1]
	v_pk_mul_f32 v[4:5], v[10:11], v[14:15] op_sel:[1,0] op_sel_hi:[0,0]
	v_mov_b32_e32 v17, v3
	v_pk_fma_f32 v[2:3], v[10:11], v[6:7], v[4:5] neg_lo:[0,0,1] neg_hi:[0,0,1]
	v_pk_fma_f32 v[4:5], v[10:11], v[6:7], v[4:5] op_sel_hi:[1,0,1]
	v_pk_add_f32 v[6:7], v[16:17], 0 op_sel_hi:[1,0]
	v_mov_b32_e32 v3, v5
	v_pk_add_f32 v[2:3], v[6:7], v[2:3]
	s_waitcnt vmcnt(0)
	v_pk_add_f32 v[2:3], v[12:13], v[2:3] neg_lo:[0,1] neg_hi:[0,1]
	scratch_store_dwordx2 off, v[2:3], off offset:184
	s_and_saveexec_b64 s[0:1], vcc
	s_cbranch_execz .LBB89_125
; %bb.124:
	scratch_load_dwordx2 v[2:3], off, off offset:176
	v_mov_b32_e32 v4, 0
	v_mov_b32_e32 v5, v4
	scratch_store_dwordx2 off, v[4:5], off offset:176
	s_waitcnt vmcnt(1)
	ds_write_b64 v1, v[2:3]
.LBB89_125:
	s_or_b64 exec, exec, s[0:1]
	s_waitcnt lgkmcnt(0)
	; wave barrier
	scratch_load_dwordx4 v[4:7], off, off offset:184
	scratch_load_dwordx2 v[12:13], off, off offset:200
	scratch_load_dwordx2 v[14:15], off, off offset:176
	v_mov_b32_e32 v2, 0
	ds_read2_b64 v[8:11], v2 offset0:49 offset1:50
	ds_read_b64 v[16:17], v2 offset:408
	v_cmp_lt_u32_e32 vcc, 21, v0
	s_waitcnt vmcnt(2) lgkmcnt(1)
	v_pk_mul_f32 v[18:19], v[8:9], v[4:5] op_sel:[1,1] op_sel_hi:[0,1]
	v_mov_b32_e32 v20, v7
	v_pk_fma_f32 v[24:25], v[8:9], v[4:5], v[18:19] neg_lo:[0,0,1] neg_hi:[0,0,1]
	v_pk_fma_f32 v[4:5], v[8:9], v[4:5], v[18:19] op_sel_hi:[1,0,1]
	v_pk_mul_f32 v[8:9], v[10:11], v[20:21] op_sel:[1,0] op_sel_hi:[0,0]
	s_waitcnt vmcnt(1) lgkmcnt(0)
	v_pk_mul_f32 v[22:23], v[16:17], v[12:13] op_sel:[1,1] op_sel_hi:[0,1]
	v_mov_b32_e32 v25, v5
	v_pk_fma_f32 v[4:5], v[10:11], v[6:7], v[8:9] neg_lo:[0,0,1] neg_hi:[0,0,1]
	v_pk_fma_f32 v[6:7], v[10:11], v[6:7], v[8:9] op_sel_hi:[1,0,1]
	v_pk_fma_f32 v[18:19], v[16:17], v[12:13], v[22:23] neg_lo:[0,0,1] neg_hi:[0,0,1]
	v_pk_fma_f32 v[12:13], v[16:17], v[12:13], v[22:23] op_sel_hi:[1,0,1]
	v_pk_add_f32 v[8:9], v[24:25], 0 op_sel_hi:[1,0]
	v_mov_b32_e32 v5, v7
	v_mov_b32_e32 v19, v13
	v_pk_add_f32 v[4:5], v[8:9], v[4:5]
	s_nop 0
	v_pk_add_f32 v[4:5], v[4:5], v[18:19]
	s_waitcnt vmcnt(0)
	v_pk_add_f32 v[4:5], v[14:15], v[4:5] neg_lo:[0,1] neg_hi:[0,1]
	scratch_store_dwordx2 off, v[4:5], off offset:176
	s_and_saveexec_b64 s[0:1], vcc
	s_cbranch_execz .LBB89_127
; %bb.126:
	scratch_load_dwordx2 v[4:5], off, off offset:168
	v_mov_b32_e32 v3, v2
	scratch_store_dwordx2 off, v[2:3], off offset:168
	s_waitcnt vmcnt(1)
	ds_write_b64 v1, v[4:5]
.LBB89_127:
	s_or_b64 exec, exec, s[0:1]
	s_waitcnt lgkmcnt(0)
	; wave barrier
	scratch_load_dwordx4 v[4:7], off, off offset:176
	scratch_load_dwordx4 v[8:11], off, off offset:192
	scratch_load_dwordx2 v[20:21], off, off offset:168
	ds_read_b128 v[12:15], v2 offset:384
	ds_read_b128 v[16:19], v2 offset:400
	v_cmp_lt_u32_e32 vcc, 20, v0
	s_waitcnt vmcnt(2) lgkmcnt(1)
	v_pk_mul_f32 v[2:3], v[12:13], v[4:5] op_sel:[1,1] op_sel_hi:[0,1]
	v_mov_b32_e32 v22, v7
	s_waitcnt vmcnt(1) lgkmcnt(0)
	v_pk_mul_f32 v[24:25], v[16:17], v[8:9] op_sel:[1,1] op_sel_hi:[0,1]
	v_mov_b32_e32 v26, v11
	v_pk_fma_f32 v[28:29], v[12:13], v[4:5], v[2:3] neg_lo:[0,0,1] neg_hi:[0,0,1]
	v_pk_fma_f32 v[2:3], v[12:13], v[4:5], v[2:3] op_sel_hi:[1,0,1]
	v_pk_mul_f32 v[4:5], v[14:15], v[22:23] op_sel:[1,0] op_sel_hi:[0,0]
	v_pk_fma_f32 v[12:13], v[16:17], v[8:9], v[24:25] neg_lo:[0,0,1] neg_hi:[0,0,1]
	v_pk_fma_f32 v[8:9], v[16:17], v[8:9], v[24:25] op_sel_hi:[1,0,1]
	v_pk_mul_f32 v[16:17], v[18:19], v[26:27] op_sel:[1,0] op_sel_hi:[0,0]
	v_mov_b32_e32 v29, v3
	v_pk_fma_f32 v[2:3], v[14:15], v[6:7], v[4:5] neg_lo:[0,0,1] neg_hi:[0,0,1]
	v_pk_fma_f32 v[4:5], v[14:15], v[6:7], v[4:5] op_sel_hi:[1,0,1]
	v_mov_b32_e32 v13, v9
	v_pk_fma_f32 v[6:7], v[18:19], v[10:11], v[16:17] neg_lo:[0,0,1] neg_hi:[0,0,1]
	v_pk_fma_f32 v[8:9], v[18:19], v[10:11], v[16:17] op_sel_hi:[1,0,1]
	v_pk_add_f32 v[10:11], v[28:29], 0 op_sel_hi:[1,0]
	v_mov_b32_e32 v3, v5
	v_pk_add_f32 v[2:3], v[10:11], v[2:3]
	v_mov_b32_e32 v7, v9
	v_pk_add_f32 v[2:3], v[2:3], v[12:13]
	s_nop 0
	v_pk_add_f32 v[2:3], v[2:3], v[6:7]
	s_waitcnt vmcnt(0)
	v_pk_add_f32 v[2:3], v[20:21], v[2:3] neg_lo:[0,1] neg_hi:[0,1]
	scratch_store_dwordx2 off, v[2:3], off offset:168
	s_and_saveexec_b64 s[0:1], vcc
	s_cbranch_execz .LBB89_129
; %bb.128:
	scratch_load_dwordx2 v[2:3], off, off offset:160
	v_mov_b32_e32 v4, 0
	v_mov_b32_e32 v5, v4
	scratch_store_dwordx2 off, v[4:5], off offset:160
	s_waitcnt vmcnt(1)
	ds_write_b64 v1, v[2:3]
.LBB89_129:
	s_or_b64 exec, exec, s[0:1]
	s_waitcnt lgkmcnt(0)
	; wave barrier
	scratch_load_dwordx4 v[4:7], off, off offset:168
	scratch_load_dwordx4 v[8:11], off, off offset:184
	scratch_load_dwordx2 v[20:21], off, off offset:200
	scratch_load_dwordx2 v[22:23], off, off offset:160
	v_mov_b32_e32 v2, 0
	ds_read2_b64 v[12:15], v2 offset0:47 offset1:48
	ds_read2_b64 v[16:19], v2 offset0:49 offset1:50
	ds_read_b64 v[24:25], v2 offset:408
	v_cmp_lt_u32_e32 vcc, 19, v0
	s_waitcnt vmcnt(3) lgkmcnt(2)
	v_pk_mul_f32 v[26:27], v[12:13], v[4:5] op_sel:[1,1] op_sel_hi:[0,1]
	v_mov_b32_e32 v28, v7
	v_pk_fma_f32 v[36:37], v[12:13], v[4:5], v[26:27] neg_lo:[0,0,1] neg_hi:[0,0,1]
	v_pk_fma_f32 v[4:5], v[12:13], v[4:5], v[26:27] op_sel_hi:[1,0,1]
	v_pk_mul_f32 v[12:13], v[14:15], v[28:29] op_sel:[1,0] op_sel_hi:[0,0]
	s_waitcnt vmcnt(2) lgkmcnt(1)
	v_pk_mul_f32 v[30:31], v[16:17], v[8:9] op_sel:[1,1] op_sel_hi:[0,1]
	v_mov_b32_e32 v32, v11
	v_mov_b32_e32 v37, v5
	v_pk_fma_f32 v[4:5], v[14:15], v[6:7], v[12:13] neg_lo:[0,0,1] neg_hi:[0,0,1]
	v_pk_fma_f32 v[6:7], v[14:15], v[6:7], v[12:13] op_sel_hi:[1,0,1]
	v_pk_fma_f32 v[26:27], v[16:17], v[8:9], v[30:31] neg_lo:[0,0,1] neg_hi:[0,0,1]
	v_pk_fma_f32 v[8:9], v[16:17], v[8:9], v[30:31] op_sel_hi:[1,0,1]
	v_pk_mul_f32 v[16:17], v[18:19], v[32:33] op_sel:[1,0] op_sel_hi:[0,0]
	v_pk_add_f32 v[12:13], v[36:37], 0 op_sel_hi:[1,0]
	v_mov_b32_e32 v5, v7
	s_waitcnt vmcnt(1) lgkmcnt(0)
	v_pk_mul_f32 v[34:35], v[24:25], v[20:21] op_sel:[1,1] op_sel_hi:[0,1]
	v_mov_b32_e32 v27, v9
	v_pk_fma_f32 v[8:9], v[18:19], v[10:11], v[16:17] neg_lo:[0,0,1] neg_hi:[0,0,1]
	v_pk_fma_f32 v[10:11], v[18:19], v[10:11], v[16:17] op_sel_hi:[1,0,1]
	v_pk_add_f32 v[4:5], v[12:13], v[4:5]
	v_pk_fma_f32 v[28:29], v[24:25], v[20:21], v[34:35] neg_lo:[0,0,1] neg_hi:[0,0,1]
	v_pk_fma_f32 v[20:21], v[24:25], v[20:21], v[34:35] op_sel_hi:[1,0,1]
	v_mov_b32_e32 v9, v11
	v_pk_add_f32 v[4:5], v[4:5], v[26:27]
	v_mov_b32_e32 v29, v21
	v_pk_add_f32 v[4:5], v[4:5], v[8:9]
	s_nop 0
	v_pk_add_f32 v[4:5], v[4:5], v[28:29]
	s_waitcnt vmcnt(0)
	v_pk_add_f32 v[4:5], v[22:23], v[4:5] neg_lo:[0,1] neg_hi:[0,1]
	scratch_store_dwordx2 off, v[4:5], off offset:160
	s_and_saveexec_b64 s[0:1], vcc
	s_cbranch_execz .LBB89_131
; %bb.130:
	scratch_load_dwordx2 v[4:5], off, off offset:152
	v_mov_b32_e32 v3, v2
	scratch_store_dwordx2 off, v[2:3], off offset:152
	s_waitcnt vmcnt(1)
	ds_write_b64 v1, v[4:5]
.LBB89_131:
	s_or_b64 exec, exec, s[0:1]
	s_waitcnt lgkmcnt(0)
	; wave barrier
	scratch_load_dwordx4 v[4:7], off, off offset:160
	scratch_load_dwordx4 v[8:11], off, off offset:176
	;; [unrolled: 1-line block ×3, first 2 shown]
	scratch_load_dwordx2 v[28:29], off, off offset:152
	ds_read_b128 v[16:19], v2 offset:368
	ds_read_b128 v[20:23], v2 offset:384
	;; [unrolled: 1-line block ×3, first 2 shown]
	v_cmp_lt_u32_e32 vcc, 18, v0
	s_waitcnt vmcnt(3) lgkmcnt(2)
	v_pk_mul_f32 v[2:3], v[16:17], v[4:5] op_sel:[1,1] op_sel_hi:[0,1]
	v_mov_b32_e32 v30, v7
	s_waitcnt vmcnt(2) lgkmcnt(1)
	v_pk_mul_f32 v[32:33], v[20:21], v[8:9] op_sel:[1,1] op_sel_hi:[0,1]
	v_mov_b32_e32 v34, v11
	;; [unrolled: 3-line block ×3, first 2 shown]
	v_pk_fma_f32 v[40:41], v[16:17], v[4:5], v[2:3] neg_lo:[0,0,1] neg_hi:[0,0,1]
	v_pk_fma_f32 v[2:3], v[16:17], v[4:5], v[2:3] op_sel_hi:[1,0,1]
	v_pk_mul_f32 v[4:5], v[18:19], v[30:31] op_sel:[1,0] op_sel_hi:[0,0]
	v_pk_fma_f32 v[16:17], v[20:21], v[8:9], v[32:33] neg_lo:[0,0,1] neg_hi:[0,0,1]
	v_pk_fma_f32 v[8:9], v[20:21], v[8:9], v[32:33] op_sel_hi:[1,0,1]
	v_pk_mul_f32 v[20:21], v[22:23], v[34:35] op_sel:[1,0] op_sel_hi:[0,0]
	;; [unrolled: 3-line block ×3, first 2 shown]
	v_mov_b32_e32 v41, v3
	v_pk_fma_f32 v[2:3], v[18:19], v[6:7], v[4:5] neg_lo:[0,0,1] neg_hi:[0,0,1]
	v_pk_fma_f32 v[4:5], v[18:19], v[6:7], v[4:5] op_sel_hi:[1,0,1]
	v_mov_b32_e32 v17, v9
	v_pk_fma_f32 v[6:7], v[22:23], v[10:11], v[20:21] neg_lo:[0,0,1] neg_hi:[0,0,1]
	v_pk_fma_f32 v[8:9], v[22:23], v[10:11], v[20:21] op_sel_hi:[1,0,1]
	;; [unrolled: 3-line block ×3, first 2 shown]
	v_pk_add_f32 v[14:15], v[40:41], 0 op_sel_hi:[1,0]
	v_mov_b32_e32 v3, v5
	v_pk_add_f32 v[2:3], v[14:15], v[2:3]
	v_mov_b32_e32 v7, v9
	v_pk_add_f32 v[2:3], v[2:3], v[16:17]
	;; [unrolled: 2-line block ×3, first 2 shown]
	s_nop 0
	v_pk_add_f32 v[2:3], v[2:3], v[30:31]
	s_nop 0
	v_pk_add_f32 v[2:3], v[2:3], v[10:11]
	s_waitcnt vmcnt(0)
	v_pk_add_f32 v[2:3], v[28:29], v[2:3] neg_lo:[0,1] neg_hi:[0,1]
	scratch_store_dwordx2 off, v[2:3], off offset:152
	s_and_saveexec_b64 s[0:1], vcc
	s_cbranch_execz .LBB89_133
; %bb.132:
	scratch_load_dwordx2 v[2:3], off, off offset:144
	v_mov_b32_e32 v4, 0
	v_mov_b32_e32 v5, v4
	scratch_store_dwordx2 off, v[4:5], off offset:144
	s_waitcnt vmcnt(1)
	ds_write_b64 v1, v[2:3]
.LBB89_133:
	s_or_b64 exec, exec, s[0:1]
	s_waitcnt lgkmcnt(0)
	; wave barrier
	scratch_load_dwordx4 v[4:7], off, off offset:152
	scratch_load_dwordx4 v[8:11], off, off offset:168
	;; [unrolled: 1-line block ×3, first 2 shown]
	scratch_load_dwordx2 v[28:29], off, off offset:200
	scratch_load_dwordx2 v[30:31], off, off offset:144
	v_mov_b32_e32 v2, 0
	ds_read2_b64 v[16:19], v2 offset0:45 offset1:46
	ds_read2_b64 v[20:23], v2 offset0:47 offset1:48
	;; [unrolled: 1-line block ×3, first 2 shown]
	ds_read_b64 v[32:33], v2 offset:408
	v_cmp_lt_u32_e32 vcc, 17, v0
	s_waitcnt vmcnt(4) lgkmcnt(3)
	v_pk_mul_f32 v[34:35], v[16:17], v[4:5] op_sel:[1,1] op_sel_hi:[0,1]
	v_mov_b32_e32 v36, v7
	v_pk_fma_f32 v[100:101], v[16:17], v[4:5], v[34:35] neg_lo:[0,0,1] neg_hi:[0,0,1]
	v_pk_fma_f32 v[4:5], v[16:17], v[4:5], v[34:35] op_sel_hi:[1,0,1]
	v_pk_mul_f32 v[16:17], v[18:19], v[36:37] op_sel:[1,0] op_sel_hi:[0,0]
	s_waitcnt vmcnt(3) lgkmcnt(2)
	v_pk_mul_f32 v[38:39], v[20:21], v[8:9] op_sel:[1,1] op_sel_hi:[0,1]
	v_mov_b32_e32 v40, v11
	v_mov_b32_e32 v101, v5
	v_pk_fma_f32 v[4:5], v[18:19], v[6:7], v[16:17] neg_lo:[0,0,1] neg_hi:[0,0,1]
	v_pk_fma_f32 v[6:7], v[18:19], v[6:7], v[16:17] op_sel_hi:[1,0,1]
	v_pk_fma_f32 v[34:35], v[20:21], v[8:9], v[38:39] neg_lo:[0,0,1] neg_hi:[0,0,1]
	v_pk_fma_f32 v[8:9], v[20:21], v[8:9], v[38:39] op_sel_hi:[1,0,1]
	v_pk_mul_f32 v[20:21], v[22:23], v[40:41] op_sel:[1,0] op_sel_hi:[0,0]
	v_pk_add_f32 v[16:17], v[100:101], 0 op_sel_hi:[1,0]
	v_mov_b32_e32 v5, v7
	s_waitcnt vmcnt(2) lgkmcnt(1)
	v_pk_mul_f32 v[42:43], v[24:25], v[12:13] op_sel:[1,1] op_sel_hi:[0,1]
	v_mov_b32_e32 v44, v15
	v_mov_b32_e32 v35, v9
	v_pk_fma_f32 v[8:9], v[22:23], v[10:11], v[20:21] neg_lo:[0,0,1] neg_hi:[0,0,1]
	v_pk_fma_f32 v[10:11], v[22:23], v[10:11], v[20:21] op_sel_hi:[1,0,1]
	v_pk_add_f32 v[4:5], v[16:17], v[4:5]
	v_pk_fma_f32 v[36:37], v[24:25], v[12:13], v[42:43] neg_lo:[0,0,1] neg_hi:[0,0,1]
	v_pk_fma_f32 v[12:13], v[24:25], v[12:13], v[42:43] op_sel_hi:[1,0,1]
	v_pk_mul_f32 v[24:25], v[26:27], v[44:45] op_sel:[1,0] op_sel_hi:[0,0]
	v_mov_b32_e32 v9, v11
	v_pk_add_f32 v[4:5], v[4:5], v[34:35]
	s_waitcnt vmcnt(1) lgkmcnt(0)
	v_pk_mul_f32 v[46:47], v[32:33], v[28:29] op_sel:[1,1] op_sel_hi:[0,1]
	v_mov_b32_e32 v37, v13
	v_pk_fma_f32 v[12:13], v[26:27], v[14:15], v[24:25] neg_lo:[0,0,1] neg_hi:[0,0,1]
	v_pk_fma_f32 v[14:15], v[26:27], v[14:15], v[24:25] op_sel_hi:[1,0,1]
	v_pk_add_f32 v[4:5], v[4:5], v[8:9]
	v_pk_fma_f32 v[38:39], v[32:33], v[28:29], v[46:47] neg_lo:[0,0,1] neg_hi:[0,0,1]
	v_pk_fma_f32 v[28:29], v[32:33], v[28:29], v[46:47] op_sel_hi:[1,0,1]
	v_mov_b32_e32 v13, v15
	v_pk_add_f32 v[4:5], v[4:5], v[36:37]
	v_mov_b32_e32 v39, v29
	v_pk_add_f32 v[4:5], v[4:5], v[12:13]
	s_nop 0
	v_pk_add_f32 v[4:5], v[4:5], v[38:39]
	s_waitcnt vmcnt(0)
	v_pk_add_f32 v[4:5], v[30:31], v[4:5] neg_lo:[0,1] neg_hi:[0,1]
	scratch_store_dwordx2 off, v[4:5], off offset:144
	s_and_saveexec_b64 s[0:1], vcc
	s_cbranch_execz .LBB89_135
; %bb.134:
	scratch_load_dwordx2 v[4:5], off, off offset:136
	v_mov_b32_e32 v3, v2
	scratch_store_dwordx2 off, v[2:3], off offset:136
	s_waitcnt vmcnt(1)
	ds_write_b64 v1, v[4:5]
.LBB89_135:
	s_or_b64 exec, exec, s[0:1]
	s_waitcnt lgkmcnt(0)
	; wave barrier
	scratch_load_dwordx4 v[4:7], off, off offset:144
	scratch_load_dwordx4 v[8:11], off, off offset:160
	;; [unrolled: 1-line block ×4, first 2 shown]
	scratch_load_dwordx2 v[36:37], off, off offset:136
	ds_read_b128 v[20:23], v2 offset:352
	ds_read_b128 v[24:27], v2 offset:368
	;; [unrolled: 1-line block ×4, first 2 shown]
	v_cmp_lt_u32_e32 vcc, 16, v0
	s_waitcnt vmcnt(4) lgkmcnt(3)
	v_pk_mul_f32 v[2:3], v[20:21], v[4:5] op_sel:[1,1] op_sel_hi:[0,1]
	v_mov_b32_e32 v38, v7
	s_waitcnt vmcnt(3) lgkmcnt(2)
	v_pk_mul_f32 v[40:41], v[24:25], v[8:9] op_sel:[1,1] op_sel_hi:[0,1]
	v_mov_b32_e32 v42, v11
	;; [unrolled: 3-line block ×4, first 2 shown]
	v_pk_fma_f32 v[104:105], v[20:21], v[4:5], v[2:3] neg_lo:[0,0,1] neg_hi:[0,0,1]
	v_pk_fma_f32 v[2:3], v[20:21], v[4:5], v[2:3] op_sel_hi:[1,0,1]
	v_pk_mul_f32 v[4:5], v[22:23], v[38:39] op_sel:[1,0] op_sel_hi:[0,0]
	v_pk_fma_f32 v[20:21], v[24:25], v[8:9], v[40:41] neg_lo:[0,0,1] neg_hi:[0,0,1]
	v_pk_fma_f32 v[8:9], v[24:25], v[8:9], v[40:41] op_sel_hi:[1,0,1]
	v_pk_mul_f32 v[24:25], v[26:27], v[42:43] op_sel:[1,0] op_sel_hi:[0,0]
	;; [unrolled: 3-line block ×4, first 2 shown]
	v_mov_b32_e32 v105, v3
	v_pk_fma_f32 v[2:3], v[22:23], v[6:7], v[4:5] neg_lo:[0,0,1] neg_hi:[0,0,1]
	v_pk_fma_f32 v[4:5], v[22:23], v[6:7], v[4:5] op_sel_hi:[1,0,1]
	v_mov_b32_e32 v21, v9
	v_pk_fma_f32 v[6:7], v[26:27], v[10:11], v[24:25] neg_lo:[0,0,1] neg_hi:[0,0,1]
	v_pk_fma_f32 v[8:9], v[26:27], v[10:11], v[24:25] op_sel_hi:[1,0,1]
	;; [unrolled: 3-line block ×4, first 2 shown]
	v_pk_add_f32 v[18:19], v[104:105], 0 op_sel_hi:[1,0]
	v_mov_b32_e32 v3, v5
	v_pk_add_f32 v[2:3], v[18:19], v[2:3]
	v_mov_b32_e32 v7, v9
	v_pk_add_f32 v[2:3], v[2:3], v[20:21]
	;; [unrolled: 2-line block ×4, first 2 shown]
	s_nop 0
	v_pk_add_f32 v[2:3], v[2:3], v[10:11]
	s_nop 0
	v_pk_add_f32 v[2:3], v[2:3], v[40:41]
	;; [unrolled: 2-line block ×3, first 2 shown]
	s_waitcnt vmcnt(0)
	v_pk_add_f32 v[2:3], v[36:37], v[2:3] neg_lo:[0,1] neg_hi:[0,1]
	scratch_store_dwordx2 off, v[2:3], off offset:136
	s_and_saveexec_b64 s[0:1], vcc
	s_cbranch_execz .LBB89_137
; %bb.136:
	scratch_load_dwordx2 v[2:3], off, off offset:128
	v_mov_b32_e32 v4, 0
	v_mov_b32_e32 v5, v4
	scratch_store_dwordx2 off, v[4:5], off offset:128
	s_waitcnt vmcnt(1)
	ds_write_b64 v1, v[2:3]
.LBB89_137:
	s_or_b64 exec, exec, s[0:1]
	s_waitcnt lgkmcnt(0)
	; wave barrier
	scratch_load_dwordx4 v[4:7], off, off offset:136
	scratch_load_dwordx4 v[8:11], off, off offset:152
	;; [unrolled: 1-line block ×4, first 2 shown]
	scratch_load_dwordx2 v[36:37], off, off offset:200
	scratch_load_dwordx2 v[38:39], off, off offset:128
	v_mov_b32_e32 v2, 0
	ds_read2_b64 v[20:23], v2 offset0:43 offset1:44
	ds_read2_b64 v[24:27], v2 offset0:45 offset1:46
	;; [unrolled: 1-line block ×4, first 2 shown]
	ds_read_b64 v[40:41], v2 offset:408
	v_cmp_lt_u32_e32 vcc, 15, v0
	s_waitcnt vmcnt(5) lgkmcnt(4)
	v_mul_f32_e32 v43, v20, v5
	v_mul_f32_e32 v3, v21, v5
	v_mov_b32_e32 v44, v7
	s_waitcnt vmcnt(4) lgkmcnt(3)
	v_pk_mul_f32 v[46:47], v[24:25], v[8:9] op_sel:[1,1] op_sel_hi:[0,1]
	v_mov_b32_e32 v100, v11
	s_waitcnt vmcnt(1) lgkmcnt(0)
	v_pk_mul_f32 v[110:111], v[40:41], v[36:37] op_sel:[1,1] op_sel_hi:[0,1]
	v_fmac_f32_e32 v43, v21, v4
	v_fma_f32 v42, v20, v4, -v3
	v_pk_mul_f32 v[4:5], v[22:23], v[44:45] op_sel:[1,0] op_sel_hi:[0,0]
	v_pk_fma_f32 v[20:21], v[24:25], v[8:9], v[46:47] neg_lo:[0,0,1] neg_hi:[0,0,1]
	v_pk_fma_f32 v[8:9], v[24:25], v[8:9], v[46:47] op_sel_hi:[1,0,1]
	v_pk_mul_f32 v[24:25], v[26:27], v[100:101] op_sel:[1,0] op_sel_hi:[0,0]
	v_pk_fma_f32 v[100:101], v[40:41], v[36:37], v[110:111] neg_lo:[0,0,1] neg_hi:[0,0,1]
	v_pk_fma_f32 v[36:37], v[40:41], v[36:37], v[110:111] op_sel_hi:[1,0,1]
	v_pk_add_f32 v[40:41], v[42:43], 0 op_sel_hi:[1,0]
	v_pk_fma_f32 v[42:43], v[22:23], v[6:7], v[4:5] neg_lo:[0,0,1] neg_hi:[0,0,1]
	v_pk_fma_f32 v[4:5], v[22:23], v[6:7], v[4:5] op_sel_hi:[1,0,1]
	v_pk_mul_f32 v[102:103], v[28:29], v[12:13] op_sel:[1,1] op_sel_hi:[0,1]
	v_mov_b32_e32 v43, v5
	v_mov_b32_e32 v104, v15
	;; [unrolled: 1-line block ×3, first 2 shown]
	v_pk_fma_f32 v[6:7], v[26:27], v[10:11], v[24:25] neg_lo:[0,0,1] neg_hi:[0,0,1]
	v_pk_fma_f32 v[8:9], v[26:27], v[10:11], v[24:25] op_sel_hi:[1,0,1]
	v_pk_add_f32 v[4:5], v[40:41], v[42:43]
	v_pk_fma_f32 v[44:45], v[28:29], v[12:13], v[102:103] neg_lo:[0,0,1] neg_hi:[0,0,1]
	v_pk_fma_f32 v[12:13], v[28:29], v[12:13], v[102:103] op_sel_hi:[1,0,1]
	v_pk_mul_f32 v[28:29], v[30:31], v[104:105] op_sel:[1,0] op_sel_hi:[0,0]
	v_mov_b32_e32 v7, v9
	v_pk_add_f32 v[4:5], v[4:5], v[20:21]
	v_pk_mul_f32 v[106:107], v[32:33], v[16:17] op_sel:[1,1] op_sel_hi:[0,1]
	v_mov_b32_e32 v108, v19
	v_mov_b32_e32 v45, v13
	v_pk_fma_f32 v[10:11], v[30:31], v[14:15], v[28:29] neg_lo:[0,0,1] neg_hi:[0,0,1]
	v_pk_fma_f32 v[12:13], v[30:31], v[14:15], v[28:29] op_sel_hi:[1,0,1]
	v_pk_add_f32 v[4:5], v[4:5], v[6:7]
	v_pk_fma_f32 v[46:47], v[32:33], v[16:17], v[106:107] neg_lo:[0,0,1] neg_hi:[0,0,1]
	v_pk_fma_f32 v[16:17], v[32:33], v[16:17], v[106:107] op_sel_hi:[1,0,1]
	v_pk_mul_f32 v[32:33], v[34:35], v[108:109] op_sel:[1,0] op_sel_hi:[0,0]
	v_mov_b32_e32 v11, v13
	v_pk_add_f32 v[4:5], v[4:5], v[44:45]
	v_mov_b32_e32 v47, v17
	v_pk_fma_f32 v[14:15], v[34:35], v[18:19], v[32:33] neg_lo:[0,0,1] neg_hi:[0,0,1]
	v_pk_fma_f32 v[16:17], v[34:35], v[18:19], v[32:33] op_sel_hi:[1,0,1]
	v_pk_add_f32 v[4:5], v[4:5], v[10:11]
	v_mov_b32_e32 v15, v17
	v_pk_add_f32 v[4:5], v[4:5], v[46:47]
	v_mov_b32_e32 v101, v37
	v_pk_add_f32 v[4:5], v[4:5], v[14:15]
	s_nop 0
	v_pk_add_f32 v[4:5], v[4:5], v[100:101]
	s_waitcnt vmcnt(0)
	v_pk_add_f32 v[4:5], v[38:39], v[4:5] neg_lo:[0,1] neg_hi:[0,1]
	scratch_store_dwordx2 off, v[4:5], off offset:128
	s_and_saveexec_b64 s[0:1], vcc
	s_cbranch_execz .LBB89_139
; %bb.138:
	scratch_load_dwordx2 v[4:5], off, off offset:120
	v_mov_b32_e32 v3, v2
	scratch_store_dwordx2 off, v[2:3], off offset:120
	s_waitcnt vmcnt(1)
	ds_write_b64 v1, v[4:5]
.LBB89_139:
	s_or_b64 exec, exec, s[0:1]
	s_waitcnt lgkmcnt(0)
	; wave barrier
	scratch_load_dwordx4 v[4:7], off, off offset:128
	scratch_load_dwordx4 v[8:11], off, off offset:144
	;; [unrolled: 1-line block ×5, first 2 shown]
	scratch_load_dwordx2 v[44:45], off, off offset:120
	ds_read_b128 v[24:27], v2 offset:336
	ds_read_b128 v[28:31], v2 offset:352
	;; [unrolled: 1-line block ×5, first 2 shown]
	v_cmp_lt_u32_e32 vcc, 14, v0
	s_waitcnt vmcnt(5) lgkmcnt(4)
	v_mul_f32_e32 v3, v24, v5
	v_mul_f32_e32 v2, v25, v5
	;; [unrolled: 1-line block ×4, first 2 shown]
	s_waitcnt vmcnt(4) lgkmcnt(3)
	v_pk_mul_f32 v[100:101], v[28:29], v[8:9] op_sel:[1,1] op_sel_hi:[0,1]
	v_mov_b32_e32 v102, v11
	v_fmac_f32_e32 v3, v25, v4
	v_fma_f32 v2, v24, v4, -v2
	v_fmac_f32_e32 v47, v27, v6
	v_fma_f32 v46, v26, v6, -v5
	v_pk_fma_f32 v[4:5], v[28:29], v[8:9], v[100:101] neg_lo:[0,0,1] neg_hi:[0,0,1]
	v_pk_fma_f32 v[6:7], v[28:29], v[8:9], v[100:101] op_sel_hi:[1,0,1]
	v_pk_mul_f32 v[8:9], v[30:31], v[102:103] op_sel:[1,0] op_sel_hi:[0,0]
	v_pk_add_f32 v[2:3], v[2:3], 0 op_sel_hi:[1,0]
	s_waitcnt vmcnt(3) lgkmcnt(2)
	v_pk_mul_f32 v[104:105], v[32:33], v[12:13] op_sel:[1,1] op_sel_hi:[0,1]
	v_mov_b32_e32 v106, v15
	v_mov_b32_e32 v5, v7
	v_pk_fma_f32 v[6:7], v[30:31], v[10:11], v[8:9] neg_lo:[0,0,1] neg_hi:[0,0,1]
	v_pk_fma_f32 v[8:9], v[30:31], v[10:11], v[8:9] op_sel_hi:[1,0,1]
	v_pk_add_f32 v[2:3], v[2:3], v[46:47]
	v_pk_fma_f32 v[24:25], v[32:33], v[12:13], v[104:105] neg_lo:[0,0,1] neg_hi:[0,0,1]
	v_pk_fma_f32 v[12:13], v[32:33], v[12:13], v[104:105] op_sel_hi:[1,0,1]
	v_pk_mul_f32 v[26:27], v[34:35], v[106:107] op_sel:[1,0] op_sel_hi:[0,0]
	v_mov_b32_e32 v7, v9
	v_pk_add_f32 v[2:3], v[2:3], v[4:5]
	s_waitcnt vmcnt(2) lgkmcnt(1)
	v_pk_mul_f32 v[108:109], v[36:37], v[16:17] op_sel:[1,1] op_sel_hi:[0,1]
	v_mov_b32_e32 v110, v19
	v_mov_b32_e32 v25, v13
	v_pk_fma_f32 v[10:11], v[34:35], v[14:15], v[26:27] neg_lo:[0,0,1] neg_hi:[0,0,1]
	v_pk_fma_f32 v[12:13], v[34:35], v[14:15], v[26:27] op_sel_hi:[1,0,1]
	v_pk_add_f32 v[2:3], v[2:3], v[6:7]
	v_pk_fma_f32 v[28:29], v[36:37], v[16:17], v[108:109] neg_lo:[0,0,1] neg_hi:[0,0,1]
	v_pk_fma_f32 v[16:17], v[36:37], v[16:17], v[108:109] op_sel_hi:[1,0,1]
	v_pk_mul_f32 v[32:33], v[38:39], v[110:111] op_sel:[1,0] op_sel_hi:[0,0]
	v_mov_b32_e32 v11, v13
	v_pk_add_f32 v[2:3], v[2:3], v[24:25]
	;; [unrolled: 12-line block ×3, first 2 shown]
	v_mov_b32_e32 v37, v21
	v_pk_fma_f32 v[18:19], v[42:43], v[22:23], v[40:41] neg_lo:[0,0,1] neg_hi:[0,0,1]
	v_pk_fma_f32 v[20:21], v[42:43], v[22:23], v[40:41] op_sel_hi:[1,0,1]
	v_pk_add_f32 v[2:3], v[2:3], v[14:15]
	v_mov_b32_e32 v19, v21
	v_pk_add_f32 v[2:3], v[2:3], v[36:37]
	s_nop 0
	v_pk_add_f32 v[2:3], v[2:3], v[18:19]
	s_waitcnt vmcnt(0)
	v_pk_add_f32 v[2:3], v[44:45], v[2:3] neg_lo:[0,1] neg_hi:[0,1]
	scratch_store_dwordx2 off, v[2:3], off offset:120
	s_and_saveexec_b64 s[0:1], vcc
	s_cbranch_execz .LBB89_141
; %bb.140:
	scratch_load_dwordx2 v[2:3], off, off offset:112
	v_mov_b32_e32 v4, 0
	v_mov_b32_e32 v5, v4
	scratch_store_dwordx2 off, v[4:5], off offset:112
	s_waitcnt vmcnt(1)
	ds_write_b64 v1, v[2:3]
.LBB89_141:
	s_or_b64 exec, exec, s[0:1]
	s_waitcnt lgkmcnt(0)
	; wave barrier
	scratch_load_dwordx4 v[4:7], off, off offset:120
	scratch_load_dwordx4 v[8:11], off, off offset:136
	;; [unrolled: 1-line block ×5, first 2 shown]
	scratch_load_dwordx2 v[44:45], off, off offset:200
	scratch_load_dwordx2 v[46:47], off, off offset:112
	v_mov_b32_e32 v2, 0
	ds_read2_b64 v[24:27], v2 offset0:41 offset1:42
	ds_read2_b64 v[28:31], v2 offset0:43 offset1:44
	;; [unrolled: 1-line block ×5, first 2 shown]
	ds_read_b64 v[100:101], v2 offset:408
	v_cmp_lt_u32_e32 vcc, 13, v0
	s_waitcnt vmcnt(6) lgkmcnt(5)
	v_mul_f32_e32 v3, v24, v5
	v_mul_f32_e32 v5, v25, v5
	;; [unrolled: 1-line block ×3, first 2 shown]
	s_waitcnt vmcnt(5) lgkmcnt(4)
	v_mul_f32_e32 v105, v28, v9
	v_mul_f32_e32 v7, v27, v7
	;; [unrolled: 1-line block ×3, first 2 shown]
	v_mov_b32_e32 v106, v11
	s_waitcnt vmcnt(3) lgkmcnt(2)
	v_pk_mul_f32 v[112:113], v[36:37], v[16:17] op_sel:[1,1] op_sel_hi:[0,1]
	s_waitcnt vmcnt(2) lgkmcnt(1)
	v_pk_mul_f32 v[116:117], v[40:41], v[20:21] op_sel:[1,1] op_sel_hi:[0,1]
	;; [unrolled: 2-line block ×3, first 2 shown]
	v_fmac_f32_e32 v3, v25, v4
	v_fma_f32 v107, v24, v4, -v5
	v_fmac_f32_e32 v103, v27, v6
	v_fmac_f32_e32 v105, v29, v8
	v_fma_f32 v102, v26, v6, -v7
	v_fma_f32 v104, v28, v8, -v9
	v_pk_mul_f32 v[4:5], v[30:31], v[106:107] op_sel:[1,0] op_sel_hi:[0,0]
	v_pk_fma_f32 v[24:25], v[36:37], v[16:17], v[112:113] neg_lo:[0,0,1] neg_hi:[0,0,1]
	v_pk_fma_f32 v[16:17], v[36:37], v[16:17], v[112:113] op_sel_hi:[1,0,1]
	v_pk_fma_f32 v[28:29], v[40:41], v[20:21], v[116:117] neg_lo:[0,0,1] neg_hi:[0,0,1]
	v_pk_fma_f32 v[20:21], v[40:41], v[20:21], v[116:117] op_sel_hi:[1,0,1]
	;; [unrolled: 2-line block ×3, first 2 shown]
	v_add_f32_e32 v45, 0, v3
	v_add_f32_e32 v44, 0, v107
	v_pk_mul_f32 v[108:109], v[32:33], v[12:13] op_sel:[1,1] op_sel_hi:[0,1]
	v_mov_b32_e32 v110, v15
	v_pk_fma_f32 v[100:101], v[30:31], v[10:11], v[4:5] neg_lo:[0,0,1] neg_hi:[0,0,1]
	v_pk_fma_f32 v[4:5], v[30:31], v[10:11], v[4:5] op_sel_hi:[1,0,1]
	v_mov_b32_e32 v29, v21
	v_pk_add_f32 v[20:21], v[44:45], v[102:103]
	v_pk_fma_f32 v[6:7], v[32:33], v[12:13], v[108:109] neg_lo:[0,0,1] neg_hi:[0,0,1]
	v_pk_fma_f32 v[8:9], v[32:33], v[12:13], v[108:109] op_sel_hi:[1,0,1]
	v_pk_mul_f32 v[12:13], v[34:35], v[110:111] op_sel:[1,0] op_sel_hi:[0,0]
	v_mov_b32_e32 v101, v5
	v_pk_add_f32 v[4:5], v[20:21], v[104:105]
	v_mov_b32_e32 v114, v19
	v_mov_b32_e32 v7, v9
	v_pk_fma_f32 v[8:9], v[34:35], v[14:15], v[12:13] neg_lo:[0,0,1] neg_hi:[0,0,1]
	v_pk_fma_f32 v[10:11], v[34:35], v[14:15], v[12:13] op_sel_hi:[1,0,1]
	v_pk_add_f32 v[4:5], v[4:5], v[100:101]
	v_pk_mul_f32 v[26:27], v[38:39], v[114:115] op_sel:[1,0] op_sel_hi:[0,0]
	v_mov_b32_e32 v9, v11
	v_pk_add_f32 v[4:5], v[4:5], v[6:7]
	v_mov_b32_e32 v118, v23
	v_mov_b32_e32 v25, v17
	v_pk_fma_f32 v[12:13], v[38:39], v[18:19], v[26:27] neg_lo:[0,0,1] neg_hi:[0,0,1]
	v_pk_fma_f32 v[14:15], v[38:39], v[18:19], v[26:27] op_sel_hi:[1,0,1]
	v_pk_add_f32 v[4:5], v[4:5], v[8:9]
	v_pk_mul_f32 v[32:33], v[42:43], v[118:119] op_sel:[1,0] op_sel_hi:[0,0]
	v_mov_b32_e32 v13, v15
	v_pk_add_f32 v[4:5], v[4:5], v[24:25]
	v_pk_fma_f32 v[16:17], v[42:43], v[22:23], v[32:33] neg_lo:[0,0,1] neg_hi:[0,0,1]
	v_pk_fma_f32 v[18:19], v[42:43], v[22:23], v[32:33] op_sel_hi:[1,0,1]
	v_pk_add_f32 v[4:5], v[4:5], v[12:13]
	v_mov_b32_e32 v17, v19
	v_pk_add_f32 v[4:5], v[4:5], v[28:29]
	v_mov_b32_e32 v37, v41
	v_pk_add_f32 v[4:5], v[4:5], v[16:17]
	s_nop 0
	v_pk_add_f32 v[4:5], v[4:5], v[36:37]
	s_waitcnt vmcnt(0)
	v_pk_add_f32 v[4:5], v[46:47], v[4:5] neg_lo:[0,1] neg_hi:[0,1]
	scratch_store_dwordx2 off, v[4:5], off offset:112
	s_and_saveexec_b64 s[0:1], vcc
	s_cbranch_execz .LBB89_143
; %bb.142:
	scratch_load_dwordx2 v[4:5], off, off offset:104
	v_mov_b32_e32 v3, v2
	scratch_store_dwordx2 off, v[2:3], off offset:104
	s_waitcnt vmcnt(1)
	ds_write_b64 v1, v[4:5]
.LBB89_143:
	s_or_b64 exec, exec, s[0:1]
	s_waitcnt lgkmcnt(0)
	; wave barrier
	scratch_load_dwordx4 v[4:7], off, off offset:112
	scratch_load_dwordx4 v[8:11], off, off offset:128
	;; [unrolled: 1-line block ×6, first 2 shown]
	scratch_load_dwordx2 v[104:105], off, off offset:104
	ds_read_b128 v[28:31], v2 offset:320
	ds_read_b128 v[32:35], v2 offset:336
	;; [unrolled: 1-line block ×6, first 2 shown]
	v_cmp_lt_u32_e32 vcc, 12, v0
	s_waitcnt vmcnt(6) lgkmcnt(5)
	v_mul_f32_e32 v111, v28, v5
	v_mul_f32_e32 v115, v30, v7
	s_waitcnt vmcnt(5) lgkmcnt(4)
	v_mul_f32_e32 v3, v32, v9
	v_mul_f32_e32 v2, v29, v5
	v_mul_f32_e32 v5, v31, v7
	v_mul_f32_e32 v7, v33, v9
	s_waitcnt vmcnt(1) lgkmcnt(0)
	v_pk_mul_f32 v[120:121], v[100:101], v[24:25] op_sel:[1,1] op_sel_hi:[0,1]
	v_pk_mul_f32 v[108:109], v[36:37], v[12:13] op_sel:[1,1] op_sel_hi:[0,1]
	v_fmac_f32_e32 v111, v29, v4
	v_fmac_f32_e32 v3, v33, v8
	v_fma_f32 v119, v28, v4, -v2
	v_fma_f32 v2, v32, v8, -v7
	v_pk_fma_f32 v[32:33], v[100:101], v[24:25], v[120:121] neg_lo:[0,0,1] neg_hi:[0,0,1]
	v_pk_fma_f32 v[24:25], v[100:101], v[24:25], v[120:121] op_sel_hi:[1,0,1]
	v_fmac_f32_e32 v115, v31, v6
	v_fma_f32 v123, v30, v6, -v5
	v_pk_fma_f32 v[4:5], v[36:37], v[12:13], v[108:109] neg_lo:[0,0,1] neg_hi:[0,0,1]
	v_pk_fma_f32 v[6:7], v[36:37], v[12:13], v[108:109] op_sel_hi:[1,0,1]
	v_add_f32_e32 v24, 0, v111
	v_add_f32_e32 v36, 0, v119
	v_mul_f32_e32 v107, v34, v11
	v_mul_f32_e32 v9, v35, v11
	v_mov_b32_e32 v110, v15
	v_mov_b32_e32 v33, v25
	v_add_f32_e32 v25, v24, v115
	v_add_f32_e32 v24, v36, v123
	v_fmac_f32_e32 v107, v35, v10
	v_fma_f32 v106, v34, v10, -v9
	v_pk_mul_f32 v[8:9], v[38:39], v[110:111] op_sel:[1,0] op_sel_hi:[0,0]
	v_pk_add_f32 v[2:3], v[24:25], v[2:3]
	v_pk_mul_f32 v[112:113], v[40:41], v[16:17] op_sel:[1,1] op_sel_hi:[0,1]
	v_mov_b32_e32 v114, v19
	v_mov_b32_e32 v5, v7
	v_pk_fma_f32 v[6:7], v[38:39], v[14:15], v[8:9] neg_lo:[0,0,1] neg_hi:[0,0,1]
	v_pk_fma_f32 v[8:9], v[38:39], v[14:15], v[8:9] op_sel_hi:[1,0,1]
	v_pk_add_f32 v[2:3], v[2:3], v[106:107]
	v_pk_fma_f32 v[10:11], v[40:41], v[16:17], v[112:113] neg_lo:[0,0,1] neg_hi:[0,0,1]
	v_pk_fma_f32 v[12:13], v[40:41], v[16:17], v[112:113] op_sel_hi:[1,0,1]
	v_pk_mul_f32 v[16:17], v[42:43], v[114:115] op_sel:[1,0] op_sel_hi:[0,0]
	v_mov_b32_e32 v7, v9
	v_pk_add_f32 v[2:3], v[2:3], v[4:5]
	v_pk_mul_f32 v[116:117], v[44:45], v[20:21] op_sel:[1,1] op_sel_hi:[0,1]
	v_mov_b32_e32 v118, v23
	v_mov_b32_e32 v11, v13
	v_pk_fma_f32 v[12:13], v[42:43], v[18:19], v[16:17] neg_lo:[0,0,1] neg_hi:[0,0,1]
	v_pk_fma_f32 v[14:15], v[42:43], v[18:19], v[16:17] op_sel_hi:[1,0,1]
	v_pk_add_f32 v[2:3], v[2:3], v[6:7]
	v_pk_fma_f32 v[28:29], v[44:45], v[20:21], v[116:117] neg_lo:[0,0,1] neg_hi:[0,0,1]
	v_pk_fma_f32 v[20:21], v[44:45], v[20:21], v[116:117] op_sel_hi:[1,0,1]
	v_pk_mul_f32 v[30:31], v[46:47], v[118:119] op_sel:[1,0] op_sel_hi:[0,0]
	v_mov_b32_e32 v13, v15
	v_pk_add_f32 v[2:3], v[2:3], v[10:11]
	v_mov_b32_e32 v122, v27
	v_mov_b32_e32 v29, v21
	v_pk_fma_f32 v[16:17], v[46:47], v[22:23], v[30:31] neg_lo:[0,0,1] neg_hi:[0,0,1]
	v_pk_fma_f32 v[18:19], v[46:47], v[22:23], v[30:31] op_sel_hi:[1,0,1]
	v_pk_add_f32 v[2:3], v[2:3], v[12:13]
	v_pk_mul_f32 v[34:35], v[102:103], v[122:123] op_sel:[1,0] op_sel_hi:[0,0]
	v_mov_b32_e32 v17, v19
	v_pk_add_f32 v[2:3], v[2:3], v[28:29]
	v_pk_fma_f32 v[20:21], v[102:103], v[26:27], v[34:35] neg_lo:[0,0,1] neg_hi:[0,0,1]
	v_pk_fma_f32 v[22:23], v[102:103], v[26:27], v[34:35] op_sel_hi:[1,0,1]
	v_pk_add_f32 v[2:3], v[2:3], v[16:17]
	v_mov_b32_e32 v21, v23
	v_pk_add_f32 v[2:3], v[2:3], v[32:33]
	s_nop 0
	v_pk_add_f32 v[2:3], v[2:3], v[20:21]
	s_waitcnt vmcnt(0)
	v_pk_add_f32 v[2:3], v[104:105], v[2:3] neg_lo:[0,1] neg_hi:[0,1]
	scratch_store_dwordx2 off, v[2:3], off offset:104
	s_and_saveexec_b64 s[0:1], vcc
	s_cbranch_execz .LBB89_145
; %bb.144:
	scratch_load_dwordx2 v[2:3], off, off offset:96
	v_mov_b32_e32 v4, 0
	v_mov_b32_e32 v5, v4
	scratch_store_dwordx2 off, v[4:5], off offset:96
	s_waitcnt vmcnt(1)
	ds_write_b64 v1, v[2:3]
.LBB89_145:
	s_or_b64 exec, exec, s[0:1]
	s_waitcnt lgkmcnt(0)
	; wave barrier
	scratch_load_dwordx4 v[4:7], off, off offset:104
	scratch_load_dwordx4 v[8:11], off, off offset:120
	;; [unrolled: 1-line block ×6, first 2 shown]
	scratch_load_dwordx2 v[104:105], off, off offset:200
	scratch_load_dwordx2 v[106:107], off, off offset:96
	v_mov_b32_e32 v2, 0
	ds_read2_b64 v[28:31], v2 offset0:39 offset1:40
	ds_read2_b64 v[32:35], v2 offset0:41 offset1:42
	;; [unrolled: 1-line block ×6, first 2 shown]
	ds_read_b64 v[108:109], v2 offset:408
	v_cmp_lt_u32_e32 vcc, 11, v0
	s_waitcnt vmcnt(7) lgkmcnt(6)
	v_mul_f32_e32 v115, v30, v7
	v_mul_f32_e32 v3, v28, v5
	s_waitcnt vmcnt(5) lgkmcnt(4)
	v_mul_f32_e32 v113, v36, v13
	v_mul_f32_e32 v5, v29, v5
	v_mov_b32_e32 v114, v15
	s_waitcnt vmcnt(2) lgkmcnt(1)
	v_pk_mul_f32 v[124:125], v[100:101], v[24:25] op_sel:[1,1] op_sel_hi:[0,1]
	v_fmac_f32_e32 v115, v31, v6
	v_mul_f32_e32 v7, v31, v7
	v_mul_f32_e32 v13, v37, v13
	v_fmac_f32_e32 v3, v29, v4
	v_fmac_f32_e32 v113, v37, v12
	v_fma_f32 v37, v28, v4, -v5
	v_pk_mul_f32 v[4:5], v[38:39], v[114:115] op_sel:[1,0] op_sel_hi:[0,0]
	v_pk_fma_f32 v[28:29], v[100:101], v[24:25], v[124:125] neg_lo:[0,0,1] neg_hi:[0,0,1]
	v_pk_fma_f32 v[24:25], v[100:101], v[24:25], v[124:125] op_sel_hi:[1,0,1]
	v_mul_f32_e32 v119, v32, v9
	v_mul_f32_e32 v9, v33, v9
	v_fma_f32 v123, v30, v6, -v7
	v_fma_f32 v112, v36, v12, -v13
	v_add_f32_e32 v3, 0, v3
	v_add_f32_e32 v24, 0, v37
	v_pk_fma_f32 v[36:37], v[38:39], v[14:15], v[4:5] neg_lo:[0,0,1] neg_hi:[0,0,1]
	v_pk_fma_f32 v[4:5], v[38:39], v[14:15], v[4:5] op_sel_hi:[1,0,1]
	v_mul_f32_e32 v111, v34, v11
	v_mul_f32_e32 v11, v35, v11
	v_fmac_f32_e32 v119, v33, v8
	v_fma_f32 v127, v32, v8, -v9
	v_add_f32_e32 v3, v3, v115
	v_add_f32_e32 v4, v24, v123
	v_fmac_f32_e32 v111, v35, v10
	v_fma_f32 v110, v34, v10, -v11
	v_mov_b32_e32 v37, v5
	v_add_f32_e32 v5, v3, v119
	v_add_f32_e32 v4, v4, v127
	v_pk_mul_f32 v[116:117], v[40:41], v[16:17] op_sel:[1,1] op_sel_hi:[0,1]
	v_mov_b32_e32 v118, v19
	v_pk_add_f32 v[4:5], v[4:5], v[110:111]
	v_pk_fma_f32 v[6:7], v[40:41], v[16:17], v[116:117] neg_lo:[0,0,1] neg_hi:[0,0,1]
	v_pk_fma_f32 v[8:9], v[40:41], v[16:17], v[116:117] op_sel_hi:[1,0,1]
	v_pk_mul_f32 v[10:11], v[42:43], v[118:119] op_sel:[1,0] op_sel_hi:[0,0]
	v_pk_add_f32 v[4:5], v[4:5], v[112:113]
	v_pk_mul_f32 v[120:121], v[44:45], v[20:21] op_sel:[1,1] op_sel_hi:[0,1]
	v_mov_b32_e32 v122, v23
	v_mov_b32_e32 v7, v9
	v_pk_fma_f32 v[8:9], v[42:43], v[18:19], v[10:11] neg_lo:[0,0,1] neg_hi:[0,0,1]
	v_pk_fma_f32 v[10:11], v[42:43], v[18:19], v[10:11] op_sel_hi:[1,0,1]
	v_pk_add_f32 v[4:5], v[4:5], v[36:37]
	v_pk_fma_f32 v[12:13], v[44:45], v[20:21], v[120:121] neg_lo:[0,0,1] neg_hi:[0,0,1]
	v_pk_fma_f32 v[16:17], v[44:45], v[20:21], v[120:121] op_sel_hi:[1,0,1]
	v_pk_mul_f32 v[20:21], v[46:47], v[122:123] op_sel:[1,0] op_sel_hi:[0,0]
	v_mov_b32_e32 v9, v11
	v_pk_add_f32 v[4:5], v[4:5], v[6:7]
	v_mov_b32_e32 v126, v27
	v_mov_b32_e32 v13, v17
	v_pk_fma_f32 v[14:15], v[46:47], v[22:23], v[20:21] neg_lo:[0,0,1] neg_hi:[0,0,1]
	v_pk_fma_f32 v[16:17], v[46:47], v[22:23], v[20:21] op_sel_hi:[1,0,1]
	v_pk_add_f32 v[4:5], v[4:5], v[8:9]
	v_pk_mul_f32 v[30:31], v[102:103], v[126:127] op_sel:[1,0] op_sel_hi:[0,0]
	v_mov_b32_e32 v15, v17
	v_pk_add_f32 v[4:5], v[4:5], v[12:13]
	s_waitcnt vmcnt(1) lgkmcnt(0)
	v_pk_mul_f32 v[128:129], v[108:109], v[104:105] op_sel:[1,1] op_sel_hi:[0,1]
	v_mov_b32_e32 v29, v25
	v_pk_fma_f32 v[18:19], v[102:103], v[26:27], v[30:31] neg_lo:[0,0,1] neg_hi:[0,0,1]
	v_pk_fma_f32 v[20:21], v[102:103], v[26:27], v[30:31] op_sel_hi:[1,0,1]
	v_pk_add_f32 v[4:5], v[4:5], v[14:15]
	v_pk_fma_f32 v[32:33], v[108:109], v[104:105], v[128:129] neg_lo:[0,0,1] neg_hi:[0,0,1]
	v_pk_fma_f32 v[34:35], v[108:109], v[104:105], v[128:129] op_sel_hi:[1,0,1]
	v_mov_b32_e32 v19, v21
	v_pk_add_f32 v[4:5], v[4:5], v[28:29]
	v_mov_b32_e32 v33, v35
	v_pk_add_f32 v[4:5], v[4:5], v[18:19]
	s_nop 0
	v_pk_add_f32 v[4:5], v[4:5], v[32:33]
	s_waitcnt vmcnt(0)
	v_pk_add_f32 v[4:5], v[106:107], v[4:5] neg_lo:[0,1] neg_hi:[0,1]
	scratch_store_dwordx2 off, v[4:5], off offset:96
	s_and_saveexec_b64 s[0:1], vcc
	s_cbranch_execz .LBB89_147
; %bb.146:
	scratch_load_dwordx2 v[4:5], off, off offset:88
	v_mov_b32_e32 v3, v2
	scratch_store_dwordx2 off, v[2:3], off offset:88
	s_waitcnt vmcnt(1)
	ds_write_b64 v1, v[4:5]
.LBB89_147:
	s_or_b64 exec, exec, s[0:1]
	s_waitcnt lgkmcnt(0)
	; wave barrier
	ds_read_b128 v[4:7], v2 offset:304
	ds_read_b128 v[8:11], v2 offset:320
	;; [unrolled: 1-line block ×4, first 2 shown]
	scratch_load_dwordx4 v[20:23], off, off offset:96
	v_cmp_lt_u32_e32 vcc, 10, v0
	s_waitcnt vmcnt(0) lgkmcnt(3)
	v_mul_f32_e32 v3, v4, v21
	v_fmac_f32_e32 v3, v5, v20
	v_mul_f32_e32 v24, v6, v23
	v_add_f32_e32 v3, 0, v3
	v_fmac_f32_e32 v24, v7, v22
	v_add_f32_e32 v3, v3, v24
	scratch_load_dwordx4 v[24:27], off, off offset:112
	s_waitcnt vmcnt(0) lgkmcnt(2)
	v_mul_f32_e32 v28, v8, v25
	v_fmac_f32_e32 v28, v9, v24
	v_add_f32_e32 v3, v3, v28
	v_mul_f32_e32 v28, v10, v27
	v_fmac_f32_e32 v28, v11, v26
	v_add_f32_e32 v101, v3, v28
	scratch_load_dwordx4 v[28:31], off, off offset:128
	scratch_load_dwordx4 v[32:35], off, off offset:144
	;; [unrolled: 1-line block ×5, first 2 shown]
	v_mul_f32_e32 v3, v5, v21
	v_fma_f32 v3, v4, v20, -v3
	v_mul_f32_e32 v4, v7, v23
	v_add_f32_e32 v3, 0, v3
	v_fma_f32 v4, v6, v22, -v4
	v_add_f32_e32 v3, v3, v4
	v_mul_f32_e32 v4, v9, v25
	v_fma_f32 v4, v8, v24, -v4
	v_add_f32_e32 v3, v3, v4
	v_mul_f32_e32 v4, v11, v27
	v_fma_f32 v4, v10, v26, -v4
	v_add_f32_e32 v100, v3, v4
	s_waitcnt vmcnt(3) lgkmcnt(0)
	v_pk_mul_f32 v[20:21], v[16:17], v[32:33] op_sel:[1,1] op_sel_hi:[0,1]
	v_pk_fma_f32 v[22:23], v[16:17], v[32:33], v[20:21] neg_lo:[0,0,1] neg_hi:[0,0,1]
	v_mul_f32_e32 v3, v13, v29
	v_mul_f32_e32 v103, v12, v29
	;; [unrolled: 1-line block ×3, first 2 shown]
	v_fma_f32 v102, v12, v28, -v3
	v_mul_f32_e32 v3, v15, v31
	v_pk_fma_f32 v[16:17], v[16:17], v[32:33], v[20:21] op_sel_hi:[1,0,1]
	v_fmac_f32_e32 v103, v13, v28
	v_fmac_f32_e32 v105, v15, v30
	v_fma_f32 v104, v14, v30, -v3
	ds_read_b128 v[4:7], v2 offset:368
	ds_read_b128 v[8:11], v2 offset:384
	;; [unrolled: 1-line block ×3, first 2 shown]
	v_mov_b32_e32 v16, v35
	v_mov_b32_e32 v23, v17
	v_pk_mul_f32 v[16:17], v[18:19], v[16:17] op_sel:[1,0] op_sel_hi:[0,0]
	v_pk_fma_f32 v[20:21], v[18:19], v[34:35], v[16:17] neg_lo:[0,0,1] neg_hi:[0,0,1]
	v_pk_fma_f32 v[16:17], v[18:19], v[34:35], v[16:17] op_sel_hi:[1,0,1]
	v_pk_add_f32 v[2:3], v[100:101], v[102:103]
	v_mov_b32_e32 v21, v17
	s_waitcnt vmcnt(2) lgkmcnt(2)
	v_pk_mul_f32 v[16:17], v[4:5], v[36:37] op_sel:[1,1] op_sel_hi:[0,1]
	v_pk_fma_f32 v[18:19], v[4:5], v[36:37], v[16:17] neg_lo:[0,0,1] neg_hi:[0,0,1]
	v_pk_fma_f32 v[4:5], v[4:5], v[36:37], v[16:17] op_sel_hi:[1,0,1]
	v_pk_add_f32 v[2:3], v[2:3], v[104:105]
	v_mov_b32_e32 v4, v39
	v_mov_b32_e32 v19, v5
	v_pk_mul_f32 v[4:5], v[6:7], v[4:5] op_sel:[1,0] op_sel_hi:[0,0]
	v_pk_fma_f32 v[16:17], v[6:7], v[38:39], v[4:5] neg_lo:[0,0,1] neg_hi:[0,0,1]
	v_pk_fma_f32 v[4:5], v[6:7], v[38:39], v[4:5] op_sel_hi:[1,0,1]
	v_pk_add_f32 v[2:3], v[2:3], v[22:23]
	v_mov_b32_e32 v17, v5
	s_waitcnt vmcnt(1) lgkmcnt(1)
	v_pk_mul_f32 v[4:5], v[8:9], v[40:41] op_sel:[1,1] op_sel_hi:[0,1]
	v_pk_add_f32 v[2:3], v[2:3], v[20:21]
	v_pk_fma_f32 v[6:7], v[8:9], v[40:41], v[4:5] neg_lo:[0,0,1] neg_hi:[0,0,1]
	v_pk_fma_f32 v[4:5], v[8:9], v[40:41], v[4:5] op_sel_hi:[1,0,1]
	v_pk_add_f32 v[2:3], v[2:3], v[18:19]
	v_mov_b32_e32 v4, v43
	v_pk_add_f32 v[2:3], v[2:3], v[16:17]
	v_mov_b32_e32 v7, v5
	v_pk_mul_f32 v[4:5], v[10:11], v[4:5] op_sel:[1,0] op_sel_hi:[0,0]
	v_pk_add_f32 v[2:3], v[2:3], v[6:7]
	v_pk_fma_f32 v[6:7], v[10:11], v[42:43], v[4:5] neg_lo:[0,0,1] neg_hi:[0,0,1]
	v_pk_fma_f32 v[4:5], v[10:11], v[42:43], v[4:5] op_sel_hi:[1,0,1]
	s_nop 0
	v_mov_b32_e32 v7, v5
	s_waitcnt vmcnt(0) lgkmcnt(0)
	v_pk_mul_f32 v[4:5], v[12:13], v[44:45] op_sel:[1,1] op_sel_hi:[0,1]
	v_pk_add_f32 v[2:3], v[2:3], v[6:7]
	v_pk_fma_f32 v[6:7], v[12:13], v[44:45], v[4:5] neg_lo:[0,0,1] neg_hi:[0,0,1]
	v_pk_fma_f32 v[4:5], v[12:13], v[44:45], v[4:5] op_sel_hi:[1,0,1]
	s_nop 0
	v_mov_b32_e32 v4, v47
	v_mov_b32_e32 v7, v5
	v_pk_mul_f32 v[4:5], v[14:15], v[4:5] op_sel:[1,0] op_sel_hi:[0,0]
	v_pk_add_f32 v[2:3], v[2:3], v[6:7]
	v_pk_fma_f32 v[6:7], v[14:15], v[46:47], v[4:5] neg_lo:[0,0,1] neg_hi:[0,0,1]
	v_pk_fma_f32 v[4:5], v[14:15], v[46:47], v[4:5] op_sel_hi:[1,0,1]
	s_nop 0
	v_mov_b32_e32 v7, v5
	scratch_load_dwordx2 v[4:5], off, off offset:88
	v_pk_add_f32 v[2:3], v[2:3], v[6:7]
	s_waitcnt vmcnt(0)
	v_pk_add_f32 v[2:3], v[4:5], v[2:3] neg_lo:[0,1] neg_hi:[0,1]
	scratch_store_dwordx2 off, v[2:3], off offset:88
	s_and_saveexec_b64 s[0:1], vcc
	s_cbranch_execz .LBB89_149
; %bb.148:
	scratch_load_dwordx2 v[2:3], off, off offset:80
	v_mov_b32_e32 v4, 0
	v_mov_b32_e32 v5, v4
	scratch_store_dwordx2 off, v[4:5], off offset:80
	s_waitcnt vmcnt(1)
	ds_write_b64 v1, v[2:3]
.LBB89_149:
	s_or_b64 exec, exec, s[0:1]
	s_waitcnt lgkmcnt(0)
	; wave barrier
	scratch_load_dwordx4 v[8:11], off, off offset:88
	scratch_load_dwordx4 v[16:19], off, off offset:104
	scratch_load_dwordx4 v[24:27], off, off offset:120
	scratch_load_dwordx4 v[32:35], off, off offset:136
	v_mov_b32_e32 v2, 0
	ds_read2_b64 v[4:7], v2 offset0:37 offset1:38
	v_cmp_lt_u32_e32 vcc, 9, v0
	s_waitcnt vmcnt(3) lgkmcnt(0)
	v_mul_f32_e32 v3, v4, v9
	v_fmac_f32_e32 v3, v5, v8
	v_mul_f32_e32 v12, v6, v11
	v_add_f32_e32 v3, 0, v3
	v_fmac_f32_e32 v12, v7, v10
	v_add_f32_e32 v3, v3, v12
	ds_read2_b64 v[12:15], v2 offset0:39 offset1:40
	s_waitcnt vmcnt(2) lgkmcnt(0)
	v_mul_f32_e32 v20, v12, v17
	v_fmac_f32_e32 v20, v13, v16
	v_add_f32_e32 v3, v3, v20
	v_mul_f32_e32 v20, v14, v19
	v_fmac_f32_e32 v20, v15, v18
	v_add_f32_e32 v3, v3, v20
	ds_read2_b64 v[20:23], v2 offset0:41 offset1:42
	s_waitcnt vmcnt(1) lgkmcnt(0)
	v_mul_f32_e32 v28, v20, v25
	v_fmac_f32_e32 v28, v21, v24
	v_add_f32_e32 v101, v3, v28
	ds_read2_b64 v[28:31], v2 offset0:43 offset1:44
	scratch_load_dwordx4 v[36:39], off, off offset:152
	scratch_load_dwordx4 v[40:43], off, off offset:168
	;; [unrolled: 1-line block ×3, first 2 shown]
	scratch_load_dwordx2 v[106:107], off, off offset:200
	v_mul_f32_e32 v3, v5, v9
	v_fma_f32 v3, v4, v8, -v3
	v_mul_f32_e32 v4, v7, v11
	v_add_f32_e32 v3, 0, v3
	v_fma_f32 v4, v6, v10, -v4
	v_add_f32_e32 v3, v3, v4
	v_mul_f32_e32 v4, v13, v17
	v_fma_f32 v4, v12, v16, -v4
	v_add_f32_e32 v3, v3, v4
	v_mul_f32_e32 v4, v15, v19
	;; [unrolled: 3-line block ×3, first 2 shown]
	v_fma_f32 v4, v20, v24, -v4
	v_mul_f32_e32 v103, v22, v27
	v_add_f32_e32 v100, v3, v4
	v_mul_f32_e32 v3, v23, v27
	s_waitcnt vmcnt(4)
	v_mov_b32_e32 v20, v35
	v_fmac_f32_e32 v103, v23, v26
	s_waitcnt lgkmcnt(0)
	v_mul_f32_e32 v105, v28, v33
	v_fma_f32 v102, v22, v26, -v3
	v_mul_f32_e32 v3, v29, v33
	ds_read2_b64 v[4:7], v2 offset0:45 offset1:46
	ds_read2_b64 v[8:11], v2 offset0:47 offset1:48
	;; [unrolled: 1-line block ×3, first 2 shown]
	ds_read_b64 v[16:17], v2 offset:408
	v_pk_mul_f32 v[20:21], v[30:31], v[20:21] op_sel:[1,0] op_sel_hi:[0,0]
	v_fmac_f32_e32 v105, v29, v32
	v_fma_f32 v104, v28, v32, -v3
	v_pk_add_f32 v[18:19], v[100:101], v[102:103]
	v_pk_fma_f32 v[22:23], v[30:31], v[34:35], v[20:21] neg_lo:[0,0,1] neg_hi:[0,0,1]
	v_pk_fma_f32 v[20:21], v[30:31], v[34:35], v[20:21] op_sel_hi:[1,0,1]
	v_pk_add_f32 v[18:19], v[18:19], v[104:105]
	v_mov_b32_e32 v23, v21
	v_pk_add_f32 v[18:19], v[18:19], v[22:23]
	s_waitcnt vmcnt(3) lgkmcnt(3)
	v_pk_mul_f32 v[20:21], v[4:5], v[36:37] op_sel:[1,1] op_sel_hi:[0,1]
	v_pk_fma_f32 v[22:23], v[4:5], v[36:37], v[20:21] neg_lo:[0,0,1] neg_hi:[0,0,1]
	v_pk_fma_f32 v[4:5], v[4:5], v[36:37], v[20:21] op_sel_hi:[1,0,1]
	s_nop 0
	v_mov_b32_e32 v23, v5
	v_pk_add_f32 v[4:5], v[18:19], v[22:23]
	v_mov_b32_e32 v18, v39
	v_pk_mul_f32 v[18:19], v[6:7], v[18:19] op_sel:[1,0] op_sel_hi:[0,0]
	v_pk_fma_f32 v[20:21], v[6:7], v[38:39], v[18:19] neg_lo:[0,0,1] neg_hi:[0,0,1]
	v_pk_fma_f32 v[6:7], v[6:7], v[38:39], v[18:19] op_sel_hi:[1,0,1]
	s_nop 0
	v_mov_b32_e32 v21, v7
	s_waitcnt vmcnt(2) lgkmcnt(2)
	v_pk_mul_f32 v[6:7], v[8:9], v[40:41] op_sel:[1,1] op_sel_hi:[0,1]
	v_pk_fma_f32 v[18:19], v[8:9], v[40:41], v[6:7] neg_lo:[0,0,1] neg_hi:[0,0,1]
	v_pk_fma_f32 v[6:7], v[8:9], v[40:41], v[6:7] op_sel_hi:[1,0,1]
	v_pk_add_f32 v[4:5], v[4:5], v[20:21]
	v_mov_b32_e32 v6, v43
	v_mov_b32_e32 v19, v7
	v_pk_mul_f32 v[6:7], v[10:11], v[6:7] op_sel:[1,0] op_sel_hi:[0,0]
	v_pk_fma_f32 v[8:9], v[10:11], v[42:43], v[6:7] neg_lo:[0,0,1] neg_hi:[0,0,1]
	v_pk_fma_f32 v[6:7], v[10:11], v[42:43], v[6:7] op_sel_hi:[1,0,1]
	v_pk_add_f32 v[4:5], v[4:5], v[18:19]
	v_mov_b32_e32 v9, v7
	s_waitcnt vmcnt(1) lgkmcnt(1)
	v_pk_mul_f32 v[6:7], v[12:13], v[44:45] op_sel:[1,1] op_sel_hi:[0,1]
	v_pk_add_f32 v[4:5], v[4:5], v[8:9]
	v_pk_fma_f32 v[8:9], v[12:13], v[44:45], v[6:7] neg_lo:[0,0,1] neg_hi:[0,0,1]
	v_pk_fma_f32 v[6:7], v[12:13], v[44:45], v[6:7] op_sel_hi:[1,0,1]
	s_nop 0
	v_mov_b32_e32 v6, v47
	v_mov_b32_e32 v9, v7
	v_pk_mul_f32 v[6:7], v[14:15], v[6:7] op_sel:[1,0] op_sel_hi:[0,0]
	v_pk_add_f32 v[4:5], v[4:5], v[8:9]
	v_pk_fma_f32 v[8:9], v[14:15], v[46:47], v[6:7] neg_lo:[0,0,1] neg_hi:[0,0,1]
	v_pk_fma_f32 v[6:7], v[14:15], v[46:47], v[6:7] op_sel_hi:[1,0,1]
	s_nop 0
	v_mov_b32_e32 v9, v7
	s_waitcnt vmcnt(0) lgkmcnt(0)
	v_pk_mul_f32 v[6:7], v[16:17], v[106:107] op_sel:[1,1] op_sel_hi:[0,1]
	v_pk_add_f32 v[4:5], v[4:5], v[8:9]
	v_pk_fma_f32 v[8:9], v[16:17], v[106:107], v[6:7] neg_lo:[0,0,1] neg_hi:[0,0,1]
	v_pk_fma_f32 v[6:7], v[16:17], v[106:107], v[6:7] op_sel_hi:[1,0,1]
	s_nop 0
	v_mov_b32_e32 v9, v7
	scratch_load_dwordx2 v[6:7], off, off offset:80
	v_pk_add_f32 v[4:5], v[4:5], v[8:9]
	s_waitcnt vmcnt(0)
	v_pk_add_f32 v[4:5], v[6:7], v[4:5] neg_lo:[0,1] neg_hi:[0,1]
	scratch_store_dwordx2 off, v[4:5], off offset:80
	s_and_saveexec_b64 s[0:1], vcc
	s_cbranch_execz .LBB89_151
; %bb.150:
	scratch_load_dwordx2 v[4:5], off, off offset:72
	v_mov_b32_e32 v3, v2
	scratch_store_dwordx2 off, v[2:3], off offset:72
	s_waitcnt vmcnt(1)
	ds_write_b64 v1, v[4:5]
.LBB89_151:
	s_or_b64 exec, exec, s[0:1]
	s_waitcnt lgkmcnt(0)
	; wave barrier
	ds_read_b128 v[4:7], v2 offset:288
	ds_read_b128 v[8:11], v2 offset:304
	ds_read_b128 v[12:15], v2 offset:320
	ds_read_b128 v[16:19], v2 offset:336
	scratch_load_dwordx4 v[20:23], off, off offset:80
	v_cmp_lt_u32_e32 vcc, 8, v0
	s_waitcnt vmcnt(0) lgkmcnt(3)
	v_mul_f32_e32 v3, v4, v21
	v_fmac_f32_e32 v3, v5, v20
	v_mul_f32_e32 v24, v6, v23
	v_add_f32_e32 v3, 0, v3
	v_fmac_f32_e32 v24, v7, v22
	v_add_f32_e32 v3, v3, v24
	scratch_load_dwordx4 v[24:27], off, off offset:96
	s_waitcnt vmcnt(0) lgkmcnt(2)
	v_mul_f32_e32 v28, v8, v25
	v_fmac_f32_e32 v28, v9, v24
	v_add_f32_e32 v3, v3, v28
	v_mul_f32_e32 v28, v10, v27
	v_fmac_f32_e32 v28, v11, v26
	v_add_f32_e32 v3, v3, v28
	scratch_load_dwordx4 v[28:31], off, off offset:112
	s_waitcnt vmcnt(0) lgkmcnt(1)
	v_mul_f32_e32 v32, v12, v29
	v_fmac_f32_e32 v32, v13, v28
	v_add_f32_e32 v3, v3, v32
	v_mul_f32_e32 v32, v14, v31
	v_fmac_f32_e32 v32, v15, v30
	v_add_f32_e32 v105, v3, v32
	scratch_load_dwordx4 v[32:35], off, off offset:128
	scratch_load_dwordx4 v[36:39], off, off offset:144
	;; [unrolled: 1-line block ×5, first 2 shown]
	v_mul_f32_e32 v3, v5, v21
	v_fma_f32 v3, v4, v20, -v3
	v_mul_f32_e32 v4, v7, v23
	v_add_f32_e32 v3, 0, v3
	v_fma_f32 v4, v6, v22, -v4
	v_add_f32_e32 v3, v3, v4
	v_mul_f32_e32 v4, v9, v25
	v_fma_f32 v4, v8, v24, -v4
	v_add_f32_e32 v3, v3, v4
	v_mul_f32_e32 v4, v11, v27
	;; [unrolled: 3-line block ×4, first 2 shown]
	v_fma_f32 v4, v14, v30, -v4
	v_add_f32_e32 v104, v3, v4
	s_waitcnt vmcnt(4) lgkmcnt(0)
	v_mul_f32_e32 v3, v17, v33
	v_mul_f32_e32 v107, v16, v33
	;; [unrolled: 1-line block ×3, first 2 shown]
	v_fma_f32 v106, v16, v32, -v3
	v_mul_f32_e32 v3, v19, v35
	v_fmac_f32_e32 v107, v17, v32
	v_fmac_f32_e32 v109, v19, v34
	v_fma_f32 v108, v18, v34, -v3
	ds_read_b128 v[4:7], v2 offset:352
	ds_read_b128 v[8:11], v2 offset:368
	;; [unrolled: 1-line block ×4, first 2 shown]
	v_pk_add_f32 v[2:3], v[104:105], v[106:107]
	s_waitcnt vmcnt(3) lgkmcnt(3)
	v_pk_mul_f32 v[20:21], v[4:5], v[36:37] op_sel:[1,1] op_sel_hi:[0,1]
	v_pk_fma_f32 v[22:23], v[4:5], v[36:37], v[20:21] neg_lo:[0,0,1] neg_hi:[0,0,1]
	v_pk_fma_f32 v[4:5], v[4:5], v[36:37], v[20:21] op_sel_hi:[1,0,1]
	v_pk_add_f32 v[2:3], v[2:3], v[108:109]
	v_mov_b32_e32 v4, v39
	v_mov_b32_e32 v23, v5
	v_pk_mul_f32 v[4:5], v[6:7], v[4:5] op_sel:[1,0] op_sel_hi:[0,0]
	v_pk_fma_f32 v[20:21], v[6:7], v[38:39], v[4:5] neg_lo:[0,0,1] neg_hi:[0,0,1]
	v_pk_fma_f32 v[4:5], v[6:7], v[38:39], v[4:5] op_sel_hi:[1,0,1]
	v_pk_add_f32 v[2:3], v[2:3], v[22:23]
	v_mov_b32_e32 v21, v5
	s_waitcnt vmcnt(2) lgkmcnt(2)
	v_pk_mul_f32 v[4:5], v[8:9], v[40:41] op_sel:[1,1] op_sel_hi:[0,1]
	v_pk_fma_f32 v[6:7], v[8:9], v[40:41], v[4:5] neg_lo:[0,0,1] neg_hi:[0,0,1]
	v_pk_fma_f32 v[4:5], v[8:9], v[40:41], v[4:5] op_sel_hi:[1,0,1]
	v_pk_add_f32 v[2:3], v[2:3], v[20:21]
	v_mov_b32_e32 v4, v43
	v_mov_b32_e32 v7, v5
	v_pk_mul_f32 v[4:5], v[10:11], v[4:5] op_sel:[1,0] op_sel_hi:[0,0]
	v_pk_add_f32 v[2:3], v[2:3], v[6:7]
	v_pk_fma_f32 v[6:7], v[10:11], v[42:43], v[4:5] neg_lo:[0,0,1] neg_hi:[0,0,1]
	v_pk_fma_f32 v[4:5], v[10:11], v[42:43], v[4:5] op_sel_hi:[1,0,1]
	s_nop 0
	v_mov_b32_e32 v7, v5
	s_waitcnt vmcnt(1) lgkmcnt(1)
	v_pk_mul_f32 v[4:5], v[12:13], v[44:45] op_sel:[1,1] op_sel_hi:[0,1]
	v_pk_add_f32 v[2:3], v[2:3], v[6:7]
	v_pk_fma_f32 v[6:7], v[12:13], v[44:45], v[4:5] neg_lo:[0,0,1] neg_hi:[0,0,1]
	v_pk_fma_f32 v[4:5], v[12:13], v[44:45], v[4:5] op_sel_hi:[1,0,1]
	s_nop 0
	v_mov_b32_e32 v4, v47
	v_mov_b32_e32 v7, v5
	v_pk_mul_f32 v[4:5], v[14:15], v[4:5] op_sel:[1,0] op_sel_hi:[0,0]
	v_pk_add_f32 v[2:3], v[2:3], v[6:7]
	v_pk_fma_f32 v[6:7], v[14:15], v[46:47], v[4:5] neg_lo:[0,0,1] neg_hi:[0,0,1]
	v_pk_fma_f32 v[4:5], v[14:15], v[46:47], v[4:5] op_sel_hi:[1,0,1]
	s_nop 0
	v_mov_b32_e32 v7, v5
	s_waitcnt vmcnt(0) lgkmcnt(0)
	v_pk_mul_f32 v[4:5], v[16:17], v[100:101] op_sel:[1,1] op_sel_hi:[0,1]
	v_pk_add_f32 v[2:3], v[2:3], v[6:7]
	v_pk_fma_f32 v[6:7], v[16:17], v[100:101], v[4:5] neg_lo:[0,0,1] neg_hi:[0,0,1]
	v_pk_fma_f32 v[4:5], v[16:17], v[100:101], v[4:5] op_sel_hi:[1,0,1]
	s_nop 0
	v_mov_b32_e32 v4, v103
	v_mov_b32_e32 v7, v5
	v_pk_mul_f32 v[4:5], v[18:19], v[4:5] op_sel:[1,0] op_sel_hi:[0,0]
	v_pk_add_f32 v[2:3], v[2:3], v[6:7]
	v_pk_fma_f32 v[6:7], v[18:19], v[102:103], v[4:5] neg_lo:[0,0,1] neg_hi:[0,0,1]
	v_pk_fma_f32 v[4:5], v[18:19], v[102:103], v[4:5] op_sel_hi:[1,0,1]
	s_nop 0
	v_mov_b32_e32 v7, v5
	scratch_load_dwordx2 v[4:5], off, off offset:72
	v_pk_add_f32 v[2:3], v[2:3], v[6:7]
	s_waitcnt vmcnt(0)
	v_pk_add_f32 v[2:3], v[4:5], v[2:3] neg_lo:[0,1] neg_hi:[0,1]
	scratch_store_dwordx2 off, v[2:3], off offset:72
	s_and_saveexec_b64 s[0:1], vcc
	s_cbranch_execz .LBB89_153
; %bb.152:
	scratch_load_dwordx2 v[2:3], off, off offset:64
	v_mov_b32_e32 v4, 0
	v_mov_b32_e32 v5, v4
	scratch_store_dwordx2 off, v[4:5], off offset:64
	s_waitcnt vmcnt(1)
	ds_write_b64 v1, v[2:3]
.LBB89_153:
	s_or_b64 exec, exec, s[0:1]
	s_waitcnt lgkmcnt(0)
	; wave barrier
	scratch_load_dwordx4 v[8:11], off, off offset:72
	scratch_load_dwordx4 v[16:19], off, off offset:88
	scratch_load_dwordx4 v[24:27], off, off offset:104
	scratch_load_dwordx4 v[32:35], off, off offset:120
	v_mov_b32_e32 v2, 0
	ds_read2_b64 v[4:7], v2 offset0:35 offset1:36
	scratch_load_dwordx4 v[40:43], off, off offset:136
	v_cmp_lt_u32_e32 vcc, 7, v0
	s_waitcnt vmcnt(4) lgkmcnt(0)
	v_mul_f32_e32 v3, v4, v9
	v_fmac_f32_e32 v3, v5, v8
	v_mul_f32_e32 v12, v6, v11
	v_add_f32_e32 v3, 0, v3
	v_fmac_f32_e32 v12, v7, v10
	v_add_f32_e32 v3, v3, v12
	ds_read2_b64 v[12:15], v2 offset0:37 offset1:38
	s_waitcnt vmcnt(3) lgkmcnt(0)
	v_mul_f32_e32 v20, v12, v17
	v_fmac_f32_e32 v20, v13, v16
	v_add_f32_e32 v3, v3, v20
	v_mul_f32_e32 v20, v14, v19
	v_fmac_f32_e32 v20, v15, v18
	v_add_f32_e32 v3, v3, v20
	ds_read2_b64 v[20:23], v2 offset0:39 offset1:40
	s_waitcnt vmcnt(2) lgkmcnt(0)
	v_mul_f32_e32 v28, v20, v25
	v_fmac_f32_e32 v28, v21, v24
	v_add_f32_e32 v3, v3, v28
	v_mul_f32_e32 v28, v22, v27
	v_fmac_f32_e32 v28, v23, v26
	v_add_f32_e32 v3, v3, v28
	ds_read2_b64 v[28:31], v2 offset0:41 offset1:42
	s_waitcnt vmcnt(1) lgkmcnt(0)
	v_mul_f32_e32 v36, v28, v33
	v_fmac_f32_e32 v36, v29, v32
	v_add_f32_e32 v109, v3, v36
	ds_read2_b64 v[36:39], v2 offset0:43 offset1:44
	scratch_load_dwordx4 v[44:47], off, off offset:152
	scratch_load_dwordx4 v[100:103], off, off offset:168
	;; [unrolled: 1-line block ×3, first 2 shown]
	scratch_load_dwordx2 v[114:115], off, off offset:200
	v_mul_f32_e32 v3, v5, v9
	v_fma_f32 v3, v4, v8, -v3
	v_mul_f32_e32 v4, v7, v11
	v_add_f32_e32 v3, 0, v3
	v_fma_f32 v4, v6, v10, -v4
	v_add_f32_e32 v3, v3, v4
	v_mul_f32_e32 v4, v13, v17
	v_fma_f32 v4, v12, v16, -v4
	v_add_f32_e32 v3, v3, v4
	v_mul_f32_e32 v4, v15, v19
	;; [unrolled: 3-line block ×5, first 2 shown]
	v_fma_f32 v4, v28, v32, -v4
	v_mul_f32_e32 v111, v30, v35
	v_add_f32_e32 v108, v3, v4
	v_mul_f32_e32 v3, v31, v35
	s_waitcnt vmcnt(4)
	v_mov_b32_e32 v20, v43
	v_fmac_f32_e32 v111, v31, v34
	s_waitcnt lgkmcnt(0)
	v_mul_f32_e32 v113, v36, v41
	v_fma_f32 v110, v30, v34, -v3
	v_mul_f32_e32 v3, v37, v41
	ds_read2_b64 v[4:7], v2 offset0:45 offset1:46
	ds_read2_b64 v[8:11], v2 offset0:47 offset1:48
	;; [unrolled: 1-line block ×3, first 2 shown]
	ds_read_b64 v[16:17], v2 offset:408
	v_pk_mul_f32 v[20:21], v[38:39], v[20:21] op_sel:[1,0] op_sel_hi:[0,0]
	v_fmac_f32_e32 v113, v37, v40
	v_fma_f32 v112, v36, v40, -v3
	v_pk_add_f32 v[18:19], v[108:109], v[110:111]
	v_pk_fma_f32 v[22:23], v[38:39], v[42:43], v[20:21] neg_lo:[0,0,1] neg_hi:[0,0,1]
	v_pk_fma_f32 v[20:21], v[38:39], v[42:43], v[20:21] op_sel_hi:[1,0,1]
	v_pk_add_f32 v[18:19], v[18:19], v[112:113]
	v_mov_b32_e32 v23, v21
	v_pk_add_f32 v[18:19], v[18:19], v[22:23]
	s_waitcnt vmcnt(3) lgkmcnt(3)
	v_pk_mul_f32 v[20:21], v[4:5], v[44:45] op_sel:[1,1] op_sel_hi:[0,1]
	v_pk_fma_f32 v[22:23], v[4:5], v[44:45], v[20:21] neg_lo:[0,0,1] neg_hi:[0,0,1]
	v_pk_fma_f32 v[4:5], v[4:5], v[44:45], v[20:21] op_sel_hi:[1,0,1]
	s_nop 0
	v_mov_b32_e32 v23, v5
	v_pk_add_f32 v[4:5], v[18:19], v[22:23]
	v_mov_b32_e32 v18, v47
	v_pk_mul_f32 v[18:19], v[6:7], v[18:19] op_sel:[1,0] op_sel_hi:[0,0]
	v_pk_fma_f32 v[20:21], v[6:7], v[46:47], v[18:19] neg_lo:[0,0,1] neg_hi:[0,0,1]
	v_pk_fma_f32 v[6:7], v[6:7], v[46:47], v[18:19] op_sel_hi:[1,0,1]
	s_nop 0
	v_mov_b32_e32 v21, v7
	s_waitcnt vmcnt(2) lgkmcnt(2)
	v_pk_mul_f32 v[6:7], v[8:9], v[100:101] op_sel:[1,1] op_sel_hi:[0,1]
	v_pk_fma_f32 v[18:19], v[8:9], v[100:101], v[6:7] neg_lo:[0,0,1] neg_hi:[0,0,1]
	v_pk_fma_f32 v[6:7], v[8:9], v[100:101], v[6:7] op_sel_hi:[1,0,1]
	v_pk_add_f32 v[4:5], v[4:5], v[20:21]
	v_mov_b32_e32 v6, v103
	v_mov_b32_e32 v19, v7
	v_pk_mul_f32 v[6:7], v[10:11], v[6:7] op_sel:[1,0] op_sel_hi:[0,0]
	v_pk_fma_f32 v[8:9], v[10:11], v[102:103], v[6:7] neg_lo:[0,0,1] neg_hi:[0,0,1]
	v_pk_fma_f32 v[6:7], v[10:11], v[102:103], v[6:7] op_sel_hi:[1,0,1]
	v_pk_add_f32 v[4:5], v[4:5], v[18:19]
	v_mov_b32_e32 v9, v7
	s_waitcnt vmcnt(1) lgkmcnt(1)
	v_pk_mul_f32 v[6:7], v[12:13], v[104:105] op_sel:[1,1] op_sel_hi:[0,1]
	v_pk_add_f32 v[4:5], v[4:5], v[8:9]
	v_pk_fma_f32 v[8:9], v[12:13], v[104:105], v[6:7] neg_lo:[0,0,1] neg_hi:[0,0,1]
	v_pk_fma_f32 v[6:7], v[12:13], v[104:105], v[6:7] op_sel_hi:[1,0,1]
	s_nop 0
	v_mov_b32_e32 v6, v107
	v_mov_b32_e32 v9, v7
	v_pk_mul_f32 v[6:7], v[14:15], v[6:7] op_sel:[1,0] op_sel_hi:[0,0]
	v_pk_add_f32 v[4:5], v[4:5], v[8:9]
	v_pk_fma_f32 v[8:9], v[14:15], v[106:107], v[6:7] neg_lo:[0,0,1] neg_hi:[0,0,1]
	v_pk_fma_f32 v[6:7], v[14:15], v[106:107], v[6:7] op_sel_hi:[1,0,1]
	s_nop 0
	v_mov_b32_e32 v9, v7
	s_waitcnt vmcnt(0) lgkmcnt(0)
	v_pk_mul_f32 v[6:7], v[16:17], v[114:115] op_sel:[1,1] op_sel_hi:[0,1]
	v_pk_add_f32 v[4:5], v[4:5], v[8:9]
	v_pk_fma_f32 v[8:9], v[16:17], v[114:115], v[6:7] neg_lo:[0,0,1] neg_hi:[0,0,1]
	v_pk_fma_f32 v[6:7], v[16:17], v[114:115], v[6:7] op_sel_hi:[1,0,1]
	s_nop 0
	v_mov_b32_e32 v9, v7
	scratch_load_dwordx2 v[6:7], off, off offset:64
	v_pk_add_f32 v[4:5], v[4:5], v[8:9]
	s_waitcnt vmcnt(0)
	v_pk_add_f32 v[4:5], v[6:7], v[4:5] neg_lo:[0,1] neg_hi:[0,1]
	scratch_store_dwordx2 off, v[4:5], off offset:64
	s_and_saveexec_b64 s[0:1], vcc
	s_cbranch_execz .LBB89_155
; %bb.154:
	scratch_load_dwordx2 v[4:5], off, off offset:56
	v_mov_b32_e32 v3, v2
	scratch_store_dwordx2 off, v[2:3], off offset:56
	s_waitcnt vmcnt(1)
	ds_write_b64 v1, v[4:5]
.LBB89_155:
	s_or_b64 exec, exec, s[0:1]
	s_waitcnt lgkmcnt(0)
	; wave barrier
	ds_read_b128 v[4:7], v2 offset:272
	ds_read_b128 v[8:11], v2 offset:288
	;; [unrolled: 1-line block ×4, first 2 shown]
	scratch_load_dwordx4 v[20:23], off, off offset:64
	scratch_load_dwordx4 v[40:43], off, off offset:128
	v_cmp_lt_u32_e32 vcc, 6, v0
	s_waitcnt vmcnt(1) lgkmcnt(3)
	v_mul_f32_e32 v3, v4, v21
	v_fmac_f32_e32 v3, v5, v20
	v_mul_f32_e32 v24, v6, v23
	v_add_f32_e32 v3, 0, v3
	v_fmac_f32_e32 v24, v7, v22
	v_add_f32_e32 v3, v3, v24
	scratch_load_dwordx4 v[24:27], off, off offset:80
	s_waitcnt vmcnt(0) lgkmcnt(2)
	v_mul_f32_e32 v28, v8, v25
	v_fmac_f32_e32 v28, v9, v24
	v_add_f32_e32 v3, v3, v28
	v_mul_f32_e32 v28, v10, v27
	v_fmac_f32_e32 v28, v11, v26
	v_add_f32_e32 v3, v3, v28
	scratch_load_dwordx4 v[28:31], off, off offset:96
	s_waitcnt vmcnt(0) lgkmcnt(1)
	v_mul_f32_e32 v32, v12, v29
	v_fmac_f32_e32 v32, v13, v28
	v_add_f32_e32 v3, v3, v32
	v_mul_f32_e32 v32, v14, v31
	;; [unrolled: 8-line block ×3, first 2 shown]
	v_fmac_f32_e32 v36, v19, v34
	v_add_f32_e32 v113, v3, v36
	ds_read_b128 v[36:39], v2 offset:336
	scratch_load_dwordx4 v[44:47], off, off offset:144
	scratch_load_dwordx4 v[100:103], off, off offset:160
	;; [unrolled: 1-line block ×4, first 2 shown]
	v_mul_f32_e32 v3, v5, v21
	v_fma_f32 v3, v4, v20, -v3
	v_mul_f32_e32 v4, v7, v23
	v_add_f32_e32 v3, 0, v3
	v_fma_f32 v4, v6, v22, -v4
	v_add_f32_e32 v3, v3, v4
	v_mul_f32_e32 v4, v9, v25
	v_fma_f32 v4, v8, v24, -v4
	v_add_f32_e32 v3, v3, v4
	v_mul_f32_e32 v4, v11, v27
	;; [unrolled: 3-line block ×6, first 2 shown]
	v_fma_f32 v4, v18, v34, -v4
	v_add_f32_e32 v112, v3, v4
	ds_read_b128 v[4:7], v2 offset:352
	ds_read_b128 v[8:11], v2 offset:368
	;; [unrolled: 1-line block ×4, first 2 shown]
	s_waitcnt lgkmcnt(4)
	v_mul_f32_e32 v115, v36, v41
	v_mul_f32_e32 v3, v37, v41
	v_fmac_f32_e32 v115, v37, v40
	v_mul_f32_e32 v117, v38, v43
	v_fma_f32 v114, v36, v40, -v3
	v_mul_f32_e32 v3, v39, v43
	v_fmac_f32_e32 v117, v39, v42
	v_fma_f32 v116, v38, v42, -v3
	v_pk_add_f32 v[2:3], v[112:113], v[114:115]
	s_waitcnt vmcnt(3) lgkmcnt(3)
	v_pk_mul_f32 v[20:21], v[4:5], v[44:45] op_sel:[1,1] op_sel_hi:[0,1]
	v_pk_fma_f32 v[22:23], v[4:5], v[44:45], v[20:21] neg_lo:[0,0,1] neg_hi:[0,0,1]
	v_pk_fma_f32 v[4:5], v[4:5], v[44:45], v[20:21] op_sel_hi:[1,0,1]
	v_pk_add_f32 v[2:3], v[2:3], v[116:117]
	v_mov_b32_e32 v4, v47
	v_mov_b32_e32 v23, v5
	v_pk_mul_f32 v[4:5], v[6:7], v[4:5] op_sel:[1,0] op_sel_hi:[0,0]
	v_pk_fma_f32 v[20:21], v[6:7], v[46:47], v[4:5] neg_lo:[0,0,1] neg_hi:[0,0,1]
	v_pk_fma_f32 v[4:5], v[6:7], v[46:47], v[4:5] op_sel_hi:[1,0,1]
	v_pk_add_f32 v[2:3], v[2:3], v[22:23]
	v_mov_b32_e32 v21, v5
	s_waitcnt vmcnt(2) lgkmcnt(2)
	v_pk_mul_f32 v[4:5], v[8:9], v[100:101] op_sel:[1,1] op_sel_hi:[0,1]
	v_pk_fma_f32 v[6:7], v[8:9], v[100:101], v[4:5] neg_lo:[0,0,1] neg_hi:[0,0,1]
	v_pk_fma_f32 v[4:5], v[8:9], v[100:101], v[4:5] op_sel_hi:[1,0,1]
	v_pk_add_f32 v[2:3], v[2:3], v[20:21]
	v_mov_b32_e32 v4, v103
	v_mov_b32_e32 v7, v5
	v_pk_mul_f32 v[4:5], v[10:11], v[4:5] op_sel:[1,0] op_sel_hi:[0,0]
	v_pk_add_f32 v[2:3], v[2:3], v[6:7]
	v_pk_fma_f32 v[6:7], v[10:11], v[102:103], v[4:5] neg_lo:[0,0,1] neg_hi:[0,0,1]
	v_pk_fma_f32 v[4:5], v[10:11], v[102:103], v[4:5] op_sel_hi:[1,0,1]
	s_nop 0
	v_mov_b32_e32 v7, v5
	s_waitcnt vmcnt(1) lgkmcnt(1)
	v_pk_mul_f32 v[4:5], v[12:13], v[104:105] op_sel:[1,1] op_sel_hi:[0,1]
	v_pk_add_f32 v[2:3], v[2:3], v[6:7]
	v_pk_fma_f32 v[6:7], v[12:13], v[104:105], v[4:5] neg_lo:[0,0,1] neg_hi:[0,0,1]
	v_pk_fma_f32 v[4:5], v[12:13], v[104:105], v[4:5] op_sel_hi:[1,0,1]
	s_nop 0
	v_mov_b32_e32 v4, v107
	v_mov_b32_e32 v7, v5
	v_pk_mul_f32 v[4:5], v[14:15], v[4:5] op_sel:[1,0] op_sel_hi:[0,0]
	v_pk_add_f32 v[2:3], v[2:3], v[6:7]
	v_pk_fma_f32 v[6:7], v[14:15], v[106:107], v[4:5] neg_lo:[0,0,1] neg_hi:[0,0,1]
	v_pk_fma_f32 v[4:5], v[14:15], v[106:107], v[4:5] op_sel_hi:[1,0,1]
	s_nop 0
	v_mov_b32_e32 v7, v5
	s_waitcnt vmcnt(0) lgkmcnt(0)
	v_pk_mul_f32 v[4:5], v[16:17], v[108:109] op_sel:[1,1] op_sel_hi:[0,1]
	v_pk_add_f32 v[2:3], v[2:3], v[6:7]
	v_pk_fma_f32 v[6:7], v[16:17], v[108:109], v[4:5] neg_lo:[0,0,1] neg_hi:[0,0,1]
	v_pk_fma_f32 v[4:5], v[16:17], v[108:109], v[4:5] op_sel_hi:[1,0,1]
	s_nop 0
	v_mov_b32_e32 v4, v111
	v_mov_b32_e32 v7, v5
	v_pk_mul_f32 v[4:5], v[18:19], v[4:5] op_sel:[1,0] op_sel_hi:[0,0]
	v_pk_add_f32 v[2:3], v[2:3], v[6:7]
	v_pk_fma_f32 v[6:7], v[18:19], v[110:111], v[4:5] neg_lo:[0,0,1] neg_hi:[0,0,1]
	v_pk_fma_f32 v[4:5], v[18:19], v[110:111], v[4:5] op_sel_hi:[1,0,1]
	s_nop 0
	v_mov_b32_e32 v7, v5
	scratch_load_dwordx2 v[4:5], off, off offset:56
	v_pk_add_f32 v[2:3], v[2:3], v[6:7]
	s_waitcnt vmcnt(0)
	v_pk_add_f32 v[2:3], v[4:5], v[2:3] neg_lo:[0,1] neg_hi:[0,1]
	scratch_store_dwordx2 off, v[2:3], off offset:56
	s_and_saveexec_b64 s[0:1], vcc
	s_cbranch_execz .LBB89_157
; %bb.156:
	scratch_load_dwordx2 v[2:3], off, off offset:48
	v_mov_b32_e32 v4, 0
	v_mov_b32_e32 v5, v4
	scratch_store_dwordx2 off, v[4:5], off offset:48
	s_waitcnt vmcnt(1)
	ds_write_b64 v1, v[2:3]
.LBB89_157:
	s_or_b64 exec, exec, s[0:1]
	s_waitcnt lgkmcnt(0)
	; wave barrier
	scratch_load_dwordx4 v[8:11], off, off offset:56
	scratch_load_dwordx4 v[16:19], off, off offset:72
	;; [unrolled: 1-line block ×6, first 2 shown]
	v_mov_b32_e32 v2, 0
	ds_read2_b64 v[4:7], v2 offset0:33 offset1:34
	v_cmp_lt_u32_e32 vcc, 5, v0
	s_waitcnt vmcnt(5) lgkmcnt(0)
	v_mul_f32_e32 v3, v4, v9
	v_fmac_f32_e32 v3, v5, v8
	v_mul_f32_e32 v12, v6, v11
	v_add_f32_e32 v3, 0, v3
	v_fmac_f32_e32 v12, v7, v10
	v_add_f32_e32 v3, v3, v12
	ds_read2_b64 v[12:15], v2 offset0:35 offset1:36
	s_waitcnt vmcnt(4) lgkmcnt(0)
	v_mul_f32_e32 v20, v12, v17
	v_fmac_f32_e32 v20, v13, v16
	v_add_f32_e32 v3, v3, v20
	v_mul_f32_e32 v20, v14, v19
	v_fmac_f32_e32 v20, v15, v18
	v_add_f32_e32 v3, v3, v20
	ds_read2_b64 v[20:23], v2 offset0:37 offset1:38
	s_waitcnt vmcnt(3) lgkmcnt(0)
	v_mul_f32_e32 v28, v20, v25
	v_fmac_f32_e32 v28, v21, v24
	v_add_f32_e32 v3, v3, v28
	v_mul_f32_e32 v28, v22, v27
	;; [unrolled: 8-line block ×3, first 2 shown]
	v_fmac_f32_e32 v36, v31, v34
	v_add_f32_e32 v3, v3, v36
	ds_read2_b64 v[36:39], v2 offset0:41 offset1:42
	s_waitcnt vmcnt(1) lgkmcnt(0)
	v_mul_f32_e32 v44, v36, v41
	v_fmac_f32_e32 v44, v37, v40
	v_add_f32_e32 v117, v3, v44
	ds_read2_b64 v[44:47], v2 offset0:43 offset1:44
	scratch_load_dwordx4 v[104:107], off, off offset:152
	scratch_load_dwordx4 v[108:111], off, off offset:168
	;; [unrolled: 1-line block ×3, first 2 shown]
	scratch_load_dwordx2 v[122:123], off, off offset:200
	v_mul_f32_e32 v3, v5, v9
	v_fma_f32 v3, v4, v8, -v3
	v_mul_f32_e32 v4, v7, v11
	v_add_f32_e32 v3, 0, v3
	v_fma_f32 v4, v6, v10, -v4
	v_add_f32_e32 v3, v3, v4
	v_mul_f32_e32 v4, v13, v17
	v_fma_f32 v4, v12, v16, -v4
	v_add_f32_e32 v3, v3, v4
	v_mul_f32_e32 v4, v15, v19
	;; [unrolled: 3-line block ×7, first 2 shown]
	v_fma_f32 v4, v36, v40, -v4
	v_mul_f32_e32 v119, v38, v43
	v_add_f32_e32 v116, v3, v4
	v_mul_f32_e32 v3, v39, v43
	s_waitcnt vmcnt(4)
	v_mov_b32_e32 v20, v103
	v_fmac_f32_e32 v119, v39, v42
	s_waitcnt lgkmcnt(0)
	v_mul_f32_e32 v121, v44, v101
	v_fma_f32 v118, v38, v42, -v3
	v_mul_f32_e32 v3, v45, v101
	ds_read2_b64 v[4:7], v2 offset0:45 offset1:46
	ds_read2_b64 v[8:11], v2 offset0:47 offset1:48
	ds_read2_b64 v[12:15], v2 offset0:49 offset1:50
	ds_read_b64 v[16:17], v2 offset:408
	v_pk_mul_f32 v[20:21], v[46:47], v[20:21] op_sel:[1,0] op_sel_hi:[0,0]
	v_fmac_f32_e32 v121, v45, v100
	v_fma_f32 v120, v44, v100, -v3
	v_pk_add_f32 v[18:19], v[116:117], v[118:119]
	v_pk_fma_f32 v[22:23], v[46:47], v[102:103], v[20:21] neg_lo:[0,0,1] neg_hi:[0,0,1]
	v_pk_fma_f32 v[20:21], v[46:47], v[102:103], v[20:21] op_sel_hi:[1,0,1]
	v_pk_add_f32 v[18:19], v[18:19], v[120:121]
	v_mov_b32_e32 v23, v21
	v_pk_add_f32 v[18:19], v[18:19], v[22:23]
	s_waitcnt vmcnt(3) lgkmcnt(3)
	v_pk_mul_f32 v[20:21], v[4:5], v[104:105] op_sel:[1,1] op_sel_hi:[0,1]
	v_pk_fma_f32 v[22:23], v[4:5], v[104:105], v[20:21] neg_lo:[0,0,1] neg_hi:[0,0,1]
	v_pk_fma_f32 v[4:5], v[4:5], v[104:105], v[20:21] op_sel_hi:[1,0,1]
	s_nop 0
	v_mov_b32_e32 v23, v5
	v_pk_add_f32 v[4:5], v[18:19], v[22:23]
	v_mov_b32_e32 v18, v107
	v_pk_mul_f32 v[18:19], v[6:7], v[18:19] op_sel:[1,0] op_sel_hi:[0,0]
	v_pk_fma_f32 v[20:21], v[6:7], v[106:107], v[18:19] neg_lo:[0,0,1] neg_hi:[0,0,1]
	v_pk_fma_f32 v[6:7], v[6:7], v[106:107], v[18:19] op_sel_hi:[1,0,1]
	s_nop 0
	v_mov_b32_e32 v21, v7
	s_waitcnt vmcnt(2) lgkmcnt(2)
	v_pk_mul_f32 v[6:7], v[8:9], v[108:109] op_sel:[1,1] op_sel_hi:[0,1]
	v_pk_fma_f32 v[18:19], v[8:9], v[108:109], v[6:7] neg_lo:[0,0,1] neg_hi:[0,0,1]
	v_pk_fma_f32 v[6:7], v[8:9], v[108:109], v[6:7] op_sel_hi:[1,0,1]
	v_pk_add_f32 v[4:5], v[4:5], v[20:21]
	v_mov_b32_e32 v6, v111
	v_mov_b32_e32 v19, v7
	v_pk_mul_f32 v[6:7], v[10:11], v[6:7] op_sel:[1,0] op_sel_hi:[0,0]
	v_pk_fma_f32 v[8:9], v[10:11], v[110:111], v[6:7] neg_lo:[0,0,1] neg_hi:[0,0,1]
	v_pk_fma_f32 v[6:7], v[10:11], v[110:111], v[6:7] op_sel_hi:[1,0,1]
	v_pk_add_f32 v[4:5], v[4:5], v[18:19]
	v_mov_b32_e32 v9, v7
	s_waitcnt vmcnt(1) lgkmcnt(1)
	v_pk_mul_f32 v[6:7], v[12:13], v[112:113] op_sel:[1,1] op_sel_hi:[0,1]
	v_pk_add_f32 v[4:5], v[4:5], v[8:9]
	v_pk_fma_f32 v[8:9], v[12:13], v[112:113], v[6:7] neg_lo:[0,0,1] neg_hi:[0,0,1]
	v_pk_fma_f32 v[6:7], v[12:13], v[112:113], v[6:7] op_sel_hi:[1,0,1]
	s_nop 0
	v_mov_b32_e32 v6, v115
	v_mov_b32_e32 v9, v7
	v_pk_mul_f32 v[6:7], v[14:15], v[6:7] op_sel:[1,0] op_sel_hi:[0,0]
	v_pk_add_f32 v[4:5], v[4:5], v[8:9]
	v_pk_fma_f32 v[8:9], v[14:15], v[114:115], v[6:7] neg_lo:[0,0,1] neg_hi:[0,0,1]
	v_pk_fma_f32 v[6:7], v[14:15], v[114:115], v[6:7] op_sel_hi:[1,0,1]
	s_nop 0
	v_mov_b32_e32 v9, v7
	s_waitcnt vmcnt(0) lgkmcnt(0)
	v_pk_mul_f32 v[6:7], v[16:17], v[122:123] op_sel:[1,1] op_sel_hi:[0,1]
	v_pk_add_f32 v[4:5], v[4:5], v[8:9]
	v_pk_fma_f32 v[8:9], v[16:17], v[122:123], v[6:7] neg_lo:[0,0,1] neg_hi:[0,0,1]
	v_pk_fma_f32 v[6:7], v[16:17], v[122:123], v[6:7] op_sel_hi:[1,0,1]
	s_nop 0
	v_mov_b32_e32 v9, v7
	scratch_load_dwordx2 v[6:7], off, off offset:48
	v_pk_add_f32 v[4:5], v[4:5], v[8:9]
	s_waitcnt vmcnt(0)
	v_pk_add_f32 v[4:5], v[6:7], v[4:5] neg_lo:[0,1] neg_hi:[0,1]
	scratch_store_dwordx2 off, v[4:5], off offset:48
	s_and_saveexec_b64 s[0:1], vcc
	s_cbranch_execz .LBB89_159
; %bb.158:
	scratch_load_dwordx2 v[4:5], off, off offset:40
	v_mov_b32_e32 v3, v2
	scratch_store_dwordx2 off, v[2:3], off offset:40
	s_waitcnt vmcnt(1)
	ds_write_b64 v1, v[4:5]
.LBB89_159:
	s_or_b64 exec, exec, s[0:1]
	s_waitcnt lgkmcnt(0)
	; wave barrier
	ds_read_b128 v[4:7], v2 offset:256
	ds_read_b128 v[8:11], v2 offset:272
	;; [unrolled: 1-line block ×4, first 2 shown]
	scratch_load_dwordx4 v[20:23], off, off offset:48
	scratch_load_dwordx4 v[40:43], off, off offset:112
	v_cmp_lt_u32_e32 vcc, 4, v0
	scratch_load_dwordx4 v[100:103], off, off offset:128
	s_waitcnt vmcnt(2) lgkmcnt(3)
	v_mul_f32_e32 v3, v4, v21
	v_fmac_f32_e32 v3, v5, v20
	v_mul_f32_e32 v24, v6, v23
	v_add_f32_e32 v3, 0, v3
	v_fmac_f32_e32 v24, v7, v22
	v_add_f32_e32 v3, v3, v24
	scratch_load_dwordx4 v[24:27], off, off offset:64
	s_waitcnt vmcnt(0) lgkmcnt(2)
	v_mul_f32_e32 v28, v8, v25
	v_fmac_f32_e32 v28, v9, v24
	v_add_f32_e32 v3, v3, v28
	v_mul_f32_e32 v28, v10, v27
	v_fmac_f32_e32 v28, v11, v26
	v_add_f32_e32 v3, v3, v28
	scratch_load_dwordx4 v[28:31], off, off offset:80
	s_waitcnt vmcnt(0) lgkmcnt(1)
	v_mul_f32_e32 v32, v12, v29
	v_fmac_f32_e32 v32, v13, v28
	v_add_f32_e32 v3, v3, v32
	v_mul_f32_e32 v32, v14, v31
	v_fmac_f32_e32 v32, v15, v30
	v_add_f32_e32 v3, v3, v32
	scratch_load_dwordx4 v[32:35], off, off offset:96
	s_waitcnt vmcnt(0) lgkmcnt(0)
	v_mul_f32_e32 v36, v16, v33
	v_fmac_f32_e32 v36, v17, v32
	v_add_f32_e32 v3, v3, v36
	v_mul_f32_e32 v36, v18, v35
	v_fmac_f32_e32 v36, v19, v34
	v_add_f32_e32 v3, v3, v36
	ds_read_b128 v[36:39], v2 offset:320
	s_waitcnt lgkmcnt(0)
	v_mul_f32_e32 v44, v36, v41
	v_fmac_f32_e32 v44, v37, v40
	v_add_f32_e32 v3, v3, v44
	v_mul_f32_e32 v44, v38, v43
	v_fmac_f32_e32 v44, v39, v42
	v_add_f32_e32 v121, v3, v44
	ds_read_b128 v[44:47], v2 offset:336
	scratch_load_dwordx4 v[104:107], off, off offset:144
	scratch_load_dwordx4 v[108:111], off, off offset:160
	;; [unrolled: 1-line block ×4, first 2 shown]
	v_mul_f32_e32 v3, v5, v21
	v_fma_f32 v3, v4, v20, -v3
	v_mul_f32_e32 v4, v7, v23
	v_add_f32_e32 v3, 0, v3
	v_fma_f32 v4, v6, v22, -v4
	v_add_f32_e32 v3, v3, v4
	v_mul_f32_e32 v4, v9, v25
	v_fma_f32 v4, v8, v24, -v4
	v_add_f32_e32 v3, v3, v4
	v_mul_f32_e32 v4, v11, v27
	;; [unrolled: 3-line block ×8, first 2 shown]
	v_fma_f32 v4, v38, v42, -v4
	v_add_f32_e32 v120, v3, v4
	ds_read_b128 v[4:7], v2 offset:352
	ds_read_b128 v[8:11], v2 offset:368
	;; [unrolled: 1-line block ×4, first 2 shown]
	s_waitcnt lgkmcnt(4)
	v_mul_f32_e32 v123, v44, v101
	v_mul_f32_e32 v3, v45, v101
	v_fmac_f32_e32 v123, v45, v100
	v_mul_f32_e32 v125, v46, v103
	v_fma_f32 v122, v44, v100, -v3
	v_mul_f32_e32 v3, v47, v103
	v_fmac_f32_e32 v125, v47, v102
	v_fma_f32 v124, v46, v102, -v3
	v_pk_add_f32 v[2:3], v[120:121], v[122:123]
	s_waitcnt vmcnt(3) lgkmcnt(3)
	v_pk_mul_f32 v[20:21], v[4:5], v[104:105] op_sel:[1,1] op_sel_hi:[0,1]
	v_pk_fma_f32 v[22:23], v[4:5], v[104:105], v[20:21] neg_lo:[0,0,1] neg_hi:[0,0,1]
	v_pk_fma_f32 v[4:5], v[4:5], v[104:105], v[20:21] op_sel_hi:[1,0,1]
	v_pk_add_f32 v[2:3], v[2:3], v[124:125]
	v_mov_b32_e32 v4, v107
	v_mov_b32_e32 v23, v5
	v_pk_mul_f32 v[4:5], v[6:7], v[4:5] op_sel:[1,0] op_sel_hi:[0,0]
	v_pk_fma_f32 v[20:21], v[6:7], v[106:107], v[4:5] neg_lo:[0,0,1] neg_hi:[0,0,1]
	v_pk_fma_f32 v[4:5], v[6:7], v[106:107], v[4:5] op_sel_hi:[1,0,1]
	v_pk_add_f32 v[2:3], v[2:3], v[22:23]
	v_mov_b32_e32 v21, v5
	s_waitcnt vmcnt(2) lgkmcnt(2)
	v_pk_mul_f32 v[4:5], v[8:9], v[108:109] op_sel:[1,1] op_sel_hi:[0,1]
	v_pk_fma_f32 v[6:7], v[8:9], v[108:109], v[4:5] neg_lo:[0,0,1] neg_hi:[0,0,1]
	v_pk_fma_f32 v[4:5], v[8:9], v[108:109], v[4:5] op_sel_hi:[1,0,1]
	v_pk_add_f32 v[2:3], v[2:3], v[20:21]
	v_mov_b32_e32 v4, v111
	v_mov_b32_e32 v7, v5
	v_pk_mul_f32 v[4:5], v[10:11], v[4:5] op_sel:[1,0] op_sel_hi:[0,0]
	v_pk_add_f32 v[2:3], v[2:3], v[6:7]
	v_pk_fma_f32 v[6:7], v[10:11], v[110:111], v[4:5] neg_lo:[0,0,1] neg_hi:[0,0,1]
	v_pk_fma_f32 v[4:5], v[10:11], v[110:111], v[4:5] op_sel_hi:[1,0,1]
	s_nop 0
	v_mov_b32_e32 v7, v5
	s_waitcnt vmcnt(1) lgkmcnt(1)
	v_pk_mul_f32 v[4:5], v[12:13], v[112:113] op_sel:[1,1] op_sel_hi:[0,1]
	v_pk_add_f32 v[2:3], v[2:3], v[6:7]
	v_pk_fma_f32 v[6:7], v[12:13], v[112:113], v[4:5] neg_lo:[0,0,1] neg_hi:[0,0,1]
	v_pk_fma_f32 v[4:5], v[12:13], v[112:113], v[4:5] op_sel_hi:[1,0,1]
	s_nop 0
	v_mov_b32_e32 v4, v115
	v_mov_b32_e32 v7, v5
	v_pk_mul_f32 v[4:5], v[14:15], v[4:5] op_sel:[1,0] op_sel_hi:[0,0]
	v_pk_add_f32 v[2:3], v[2:3], v[6:7]
	v_pk_fma_f32 v[6:7], v[14:15], v[114:115], v[4:5] neg_lo:[0,0,1] neg_hi:[0,0,1]
	v_pk_fma_f32 v[4:5], v[14:15], v[114:115], v[4:5] op_sel_hi:[1,0,1]
	s_nop 0
	v_mov_b32_e32 v7, v5
	s_waitcnt vmcnt(0) lgkmcnt(0)
	v_pk_mul_f32 v[4:5], v[16:17], v[116:117] op_sel:[1,1] op_sel_hi:[0,1]
	v_pk_add_f32 v[2:3], v[2:3], v[6:7]
	v_pk_fma_f32 v[6:7], v[16:17], v[116:117], v[4:5] neg_lo:[0,0,1] neg_hi:[0,0,1]
	v_pk_fma_f32 v[4:5], v[16:17], v[116:117], v[4:5] op_sel_hi:[1,0,1]
	s_nop 0
	v_mov_b32_e32 v4, v119
	v_mov_b32_e32 v7, v5
	v_pk_mul_f32 v[4:5], v[18:19], v[4:5] op_sel:[1,0] op_sel_hi:[0,0]
	v_pk_add_f32 v[2:3], v[2:3], v[6:7]
	v_pk_fma_f32 v[6:7], v[18:19], v[118:119], v[4:5] neg_lo:[0,0,1] neg_hi:[0,0,1]
	v_pk_fma_f32 v[4:5], v[18:19], v[118:119], v[4:5] op_sel_hi:[1,0,1]
	s_nop 0
	v_mov_b32_e32 v7, v5
	scratch_load_dwordx2 v[4:5], off, off offset:40
	v_pk_add_f32 v[2:3], v[2:3], v[6:7]
	s_waitcnt vmcnt(0)
	v_pk_add_f32 v[2:3], v[4:5], v[2:3] neg_lo:[0,1] neg_hi:[0,1]
	scratch_store_dwordx2 off, v[2:3], off offset:40
	s_and_saveexec_b64 s[0:1], vcc
	s_cbranch_execz .LBB89_161
; %bb.160:
	scratch_load_dwordx2 v[2:3], off, off offset:32
	v_mov_b32_e32 v4, 0
	v_mov_b32_e32 v5, v4
	scratch_store_dwordx2 off, v[4:5], off offset:32
	s_waitcnt vmcnt(1)
	ds_write_b64 v1, v[2:3]
.LBB89_161:
	s_or_b64 exec, exec, s[0:1]
	s_waitcnt lgkmcnt(0)
	; wave barrier
	scratch_load_dwordx4 v[2:5], off, off offset:40
	scratch_load_dwordx4 v[8:11], off, off offset:56
	;; [unrolled: 1-line block ×10, first 2 shown]
	scratch_load_dwordx2 v[128:129], off, off offset:200
	scratch_load_dwordx2 v[130:131], off, off offset:32
	v_mov_b32_e32 v6, 0
	ds_read2_b64 v[44:47], v6 offset0:31 offset1:32
	ds_read2_b64 v[100:103], v6 offset0:33 offset1:34
	;; [unrolled: 1-line block ×8, first 2 shown]
	v_cmp_lt_u32_e32 vcc, 3, v0
	s_waitcnt vmcnt(11) lgkmcnt(7)
	v_mul_f32_e32 v7, v44, v3
	v_mul_f32_e32 v3, v45, v3
	;; [unrolled: 1-line block ×4, first 2 shown]
	v_fmac_f32_e32 v7, v45, v2
	v_fma_f32 v2, v44, v2, -v3
	s_waitcnt vmcnt(10) lgkmcnt(6)
	v_mul_f32_e32 v134, v100, v9
	v_mul_f32_e32 v9, v101, v9
	v_fma_f32 v3, v46, v4, -v5
	v_add_f32_e32 v2, 0, v2
	v_mul_f32_e32 v136, v102, v11
	v_mul_f32_e32 v11, v103, v11
	v_fmac_f32_e32 v132, v47, v4
	v_fma_f32 v4, v100, v8, -v9
	v_add_f32_e32 v7, 0, v7
	v_add_f32_e32 v2, v2, v3
	s_waitcnt vmcnt(9) lgkmcnt(5)
	v_mul_f32_e32 v137, v104, v13
	v_mul_f32_e32 v13, v105, v13
	v_fmac_f32_e32 v134, v101, v8
	v_fma_f32 v5, v102, v10, -v11
	v_add_f32_e32 v7, v7, v132
	v_add_f32_e32 v2, v2, v4
	v_mul_f32_e32 v138, v106, v15
	v_mul_f32_e32 v15, v107, v15
	v_fmac_f32_e32 v136, v103, v10
	v_fma_f32 v8, v104, v12, -v13
	v_add_f32_e32 v3, v7, v134
	v_add_f32_e32 v2, v2, v5
	s_waitcnt vmcnt(8) lgkmcnt(4)
	v_mul_f32_e32 v139, v108, v17
	v_mul_f32_e32 v17, v109, v17
	v_fmac_f32_e32 v137, v105, v12
	v_fma_f32 v9, v106, v14, -v15
	v_add_f32_e32 v3, v3, v136
	;; [unrolled: 13-line block ×4, first 2 shown]
	v_add_f32_e32 v2, v2, v12
	v_fmac_f32_e32 v142, v115, v22
	v_fma_f32 v14, v116, v24, -v25
	v_add_f32_e32 v3, v3, v141
	v_add_f32_e32 v2, v2, v13
	v_mul_f32_e32 v133, v118, v27
	v_fmac_f32_e32 v143, v117, v24
	v_add_f32_e32 v3, v3, v142
	v_add_f32_e32 v12, v2, v14
	v_mul_f32_e32 v2, v119, v27
	s_waitcnt vmcnt(5)
	v_mov_b32_e32 v16, v31
	s_waitcnt lgkmcnt(1)
	v_mul_f32_e32 v135, v120, v29
	v_fmac_f32_e32 v133, v119, v26
	v_add_f32_e32 v13, v3, v143
	v_fma_f32 v132, v118, v26, -v2
	v_mul_f32_e32 v2, v121, v29
	v_pk_mul_f32 v[16:17], v[122:123], v[16:17] op_sel:[1,0] op_sel_hi:[0,0]
	v_fmac_f32_e32 v135, v121, v28
	v_fma_f32 v134, v120, v28, -v2
	v_pk_add_f32 v[12:13], v[12:13], v[132:133]
	v_pk_fma_f32 v[18:19], v[122:123], v[30:31], v[16:17] neg_lo:[0,0,1] neg_hi:[0,0,1]
	v_pk_fma_f32 v[16:17], v[122:123], v[30:31], v[16:17] op_sel_hi:[1,0,1]
	v_pk_add_f32 v[12:13], v[12:13], v[134:135]
	v_mov_b32_e32 v19, v17
	s_waitcnt vmcnt(4) lgkmcnt(0)
	v_pk_mul_f32 v[16:17], v[124:125], v[32:33] op_sel:[1,1] op_sel_hi:[0,1]
	v_pk_add_f32 v[12:13], v[12:13], v[18:19]
	v_pk_fma_f32 v[18:19], v[124:125], v[32:33], v[16:17] neg_lo:[0,0,1] neg_hi:[0,0,1]
	v_pk_fma_f32 v[16:17], v[124:125], v[32:33], v[16:17] op_sel_hi:[1,0,1]
	ds_read2_b64 v[2:5], v6 offset0:47 offset1:48
	ds_read2_b64 v[8:11], v6 offset0:49 offset1:50
	ds_read_b64 v[14:15], v6 offset:408
	v_mov_b32_e32 v16, v35
	v_mov_b32_e32 v19, v17
	v_pk_mul_f32 v[16:17], v[126:127], v[16:17] op_sel:[1,0] op_sel_hi:[0,0]
	v_pk_add_f32 v[12:13], v[12:13], v[18:19]
	v_pk_fma_f32 v[18:19], v[126:127], v[34:35], v[16:17] neg_lo:[0,0,1] neg_hi:[0,0,1]
	v_pk_fma_f32 v[16:17], v[126:127], v[34:35], v[16:17] op_sel_hi:[1,0,1]
	s_nop 0
	v_mov_b32_e32 v19, v17
	s_waitcnt vmcnt(3) lgkmcnt(2)
	v_pk_mul_f32 v[16:17], v[2:3], v[36:37] op_sel:[1,1] op_sel_hi:[0,1]
	v_pk_add_f32 v[12:13], v[12:13], v[18:19]
	v_pk_fma_f32 v[18:19], v[2:3], v[36:37], v[16:17] neg_lo:[0,0,1] neg_hi:[0,0,1]
	v_pk_fma_f32 v[2:3], v[2:3], v[36:37], v[16:17] op_sel_hi:[1,0,1]
	s_nop 0
	v_mov_b32_e32 v19, v3
	v_pk_add_f32 v[2:3], v[12:13], v[18:19]
	v_mov_b32_e32 v12, v39
	v_pk_mul_f32 v[12:13], v[4:5], v[12:13] op_sel:[1,0] op_sel_hi:[0,0]
	v_pk_fma_f32 v[16:17], v[4:5], v[38:39], v[12:13] neg_lo:[0,0,1] neg_hi:[0,0,1]
	v_pk_fma_f32 v[4:5], v[4:5], v[38:39], v[12:13] op_sel_hi:[1,0,1]
	s_nop 0
	v_mov_b32_e32 v17, v5
	s_waitcnt vmcnt(2) lgkmcnt(1)
	v_pk_mul_f32 v[4:5], v[8:9], v[40:41] op_sel:[1,1] op_sel_hi:[0,1]
	v_pk_fma_f32 v[12:13], v[8:9], v[40:41], v[4:5] neg_lo:[0,0,1] neg_hi:[0,0,1]
	v_pk_fma_f32 v[4:5], v[8:9], v[40:41], v[4:5] op_sel_hi:[1,0,1]
	v_pk_add_f32 v[2:3], v[2:3], v[16:17]
	v_mov_b32_e32 v4, v43
	v_mov_b32_e32 v13, v5
	v_pk_mul_f32 v[4:5], v[10:11], v[4:5] op_sel:[1,0] op_sel_hi:[0,0]
	v_pk_fma_f32 v[8:9], v[10:11], v[42:43], v[4:5] neg_lo:[0,0,1] neg_hi:[0,0,1]
	v_pk_fma_f32 v[4:5], v[10:11], v[42:43], v[4:5] op_sel_hi:[1,0,1]
	v_pk_add_f32 v[2:3], v[2:3], v[12:13]
	v_mov_b32_e32 v9, v5
	s_waitcnt vmcnt(1) lgkmcnt(0)
	v_pk_mul_f32 v[4:5], v[14:15], v[128:129] op_sel:[1,1] op_sel_hi:[0,1]
	v_pk_add_f32 v[2:3], v[2:3], v[8:9]
	v_pk_fma_f32 v[8:9], v[14:15], v[128:129], v[4:5] neg_lo:[0,0,1] neg_hi:[0,0,1]
	v_pk_fma_f32 v[4:5], v[14:15], v[128:129], v[4:5] op_sel_hi:[1,0,1]
	s_nop 0
	v_mov_b32_e32 v9, v5
	v_pk_add_f32 v[2:3], v[2:3], v[8:9]
	s_waitcnt vmcnt(0)
	v_pk_add_f32 v[2:3], v[130:131], v[2:3] neg_lo:[0,1] neg_hi:[0,1]
	scratch_store_dwordx2 off, v[2:3], off offset:32
	s_and_saveexec_b64 s[0:1], vcc
	s_cbranch_execz .LBB89_163
; %bb.162:
	scratch_load_dwordx2 v[2:3], off, off offset:24
	v_mov_b32_e32 v7, v6
	scratch_store_dwordx2 off, v[6:7], off offset:24
	s_waitcnt vmcnt(1)
	ds_write_b64 v1, v[2:3]
.LBB89_163:
	s_or_b64 exec, exec, s[0:1]
	s_waitcnt lgkmcnt(0)
	; wave barrier
	scratch_load_dwordx4 v[8:11], off, off offset:32
	scratch_load_dwordx4 v[12:15], off, off offset:48
	;; [unrolled: 1-line block ×7, first 2 shown]
	ds_read_b128 v[36:39], v6 offset:240
	ds_read_b128 v[40:43], v6 offset:256
	ds_read_b128 v[44:47], v6 offset:272
	ds_read_b128 v[100:103], v6 offset:288
	ds_read_b128 v[104:107], v6 offset:304
	ds_read_b128 v[108:111], v6 offset:320
	scratch_load_dwordx4 v[112:115], off, off offset:144
	scratch_load_dwordx4 v[116:119], off, off offset:160
	;; [unrolled: 1-line block ×4, first 2 shown]
	ds_read_b128 v[124:127], v6 offset:336
	ds_read_b128 v[128:131], v6 offset:352
	scratch_load_dwordx2 v[132:133], off, off offset:24
	v_cmp_lt_u32_e32 vcc, 2, v0
	s_waitcnt vmcnt(11) lgkmcnt(7)
	v_mul_f32_e32 v7, v36, v9
	v_mul_f32_e32 v134, v38, v11
	;; [unrolled: 1-line block ×3, first 2 shown]
	v_fmac_f32_e32 v7, v37, v8
	s_waitcnt vmcnt(10) lgkmcnt(6)
	v_mul_f32_e32 v136, v40, v13
	v_mul_f32_e32 v11, v39, v11
	v_fmac_f32_e32 v134, v39, v10
	v_fma_f32 v8, v36, v8, -v9
	v_add_f32_e32 v7, 0, v7
	v_mul_f32_e32 v138, v42, v15
	v_mul_f32_e32 v13, v41, v13
	v_fmac_f32_e32 v136, v41, v12
	v_fma_f32 v9, v38, v10, -v11
	v_add_f32_e32 v8, 0, v8
	v_add_f32_e32 v7, v7, v134
	s_waitcnt vmcnt(9) lgkmcnt(5)
	v_mul_f32_e32 v139, v44, v17
	v_mul_f32_e32 v15, v43, v15
	v_fmac_f32_e32 v138, v43, v14
	v_fma_f32 v10, v40, v12, -v13
	v_add_f32_e32 v8, v8, v9
	v_add_f32_e32 v7, v7, v136
	v_mul_f32_e32 v140, v46, v19
	v_mul_f32_e32 v17, v45, v17
	v_fmac_f32_e32 v139, v45, v16
	v_fma_f32 v11, v42, v14, -v15
	v_add_f32_e32 v8, v8, v10
	v_add_f32_e32 v7, v7, v138
	s_waitcnt vmcnt(8) lgkmcnt(4)
	v_mul_f32_e32 v141, v100, v21
	v_mul_f32_e32 v19, v47, v19
	v_fmac_f32_e32 v140, v47, v18
	v_fma_f32 v12, v44, v16, -v17
	v_add_f32_e32 v8, v8, v11
	;; [unrolled: 13-line block ×4, first 2 shown]
	v_add_f32_e32 v7, v7, v143
	v_mul_f32_e32 v146, v110, v31
	v_mul_f32_e32 v29, v109, v29
	v_fmac_f32_e32 v145, v109, v28
	v_fma_f32 v17, v106, v26, -v27
	v_add_f32_e32 v8, v8, v16
	v_add_f32_e32 v7, v7, v144
	v_fmac_f32_e32 v146, v111, v30
	v_fma_f32 v18, v108, v28, -v29
	v_add_f32_e32 v8, v8, v17
	v_add_f32_e32 v7, v7, v145
	;; [unrolled: 1-line block ×4, first 2 shown]
	v_mul_f32_e32 v8, v111, v31
	v_fma_f32 v8, v110, v30, -v8
	s_waitcnt vmcnt(5) lgkmcnt(1)
	v_mul_f32_e32 v135, v124, v33
	v_add_f32_e32 v20, v7, v8
	v_mul_f32_e32 v7, v125, v33
	v_fmac_f32_e32 v135, v125, v32
	v_fma_f32 v134, v124, v32, -v7
	v_mul_f32_e32 v7, v127, v35
	v_fma_f32 v136, v126, v34, -v7
	ds_read_b128 v[8:11], v6 offset:368
	ds_read_b128 v[12:15], v6 offset:384
	;; [unrolled: 1-line block ×3, first 2 shown]
	v_pk_add_f32 v[6:7], v[20:21], v[134:135]
	s_waitcnt vmcnt(4) lgkmcnt(3)
	v_pk_mul_f32 v[20:21], v[128:129], v[112:113] op_sel:[1,1] op_sel_hi:[0,1]
	v_mul_f32_e32 v137, v126, v35
	v_pk_fma_f32 v[22:23], v[128:129], v[112:113], v[20:21] neg_lo:[0,0,1] neg_hi:[0,0,1]
	v_pk_fma_f32 v[20:21], v[128:129], v[112:113], v[20:21] op_sel_hi:[1,0,1]
	v_fmac_f32_e32 v137, v127, v34
	v_mov_b32_e32 v20, v115
	v_pk_add_f32 v[6:7], v[6:7], v[136:137]
	v_mov_b32_e32 v23, v21
	v_pk_mul_f32 v[20:21], v[130:131], v[20:21] op_sel:[1,0] op_sel_hi:[0,0]
	v_pk_add_f32 v[6:7], v[6:7], v[22:23]
	v_pk_fma_f32 v[22:23], v[130:131], v[114:115], v[20:21] neg_lo:[0,0,1] neg_hi:[0,0,1]
	v_pk_fma_f32 v[20:21], v[130:131], v[114:115], v[20:21] op_sel_hi:[1,0,1]
	s_nop 0
	v_mov_b32_e32 v23, v21
	s_waitcnt vmcnt(3) lgkmcnt(2)
	v_pk_mul_f32 v[20:21], v[8:9], v[116:117] op_sel:[1,1] op_sel_hi:[0,1]
	v_pk_add_f32 v[6:7], v[6:7], v[22:23]
	v_pk_fma_f32 v[22:23], v[8:9], v[116:117], v[20:21] neg_lo:[0,0,1] neg_hi:[0,0,1]
	v_pk_fma_f32 v[8:9], v[8:9], v[116:117], v[20:21] op_sel_hi:[1,0,1]
	s_nop 0
	v_mov_b32_e32 v8, v119
	v_mov_b32_e32 v23, v9
	v_pk_mul_f32 v[8:9], v[10:11], v[8:9] op_sel:[1,0] op_sel_hi:[0,0]
	v_pk_fma_f32 v[20:21], v[10:11], v[118:119], v[8:9] neg_lo:[0,0,1] neg_hi:[0,0,1]
	v_pk_fma_f32 v[8:9], v[10:11], v[118:119], v[8:9] op_sel_hi:[1,0,1]
	v_pk_add_f32 v[6:7], v[6:7], v[22:23]
	v_mov_b32_e32 v21, v9
	s_waitcnt vmcnt(2) lgkmcnt(1)
	v_pk_mul_f32 v[8:9], v[12:13], v[120:121] op_sel:[1,1] op_sel_hi:[0,1]
	v_pk_fma_f32 v[10:11], v[12:13], v[120:121], v[8:9] neg_lo:[0,0,1] neg_hi:[0,0,1]
	v_pk_fma_f32 v[8:9], v[12:13], v[120:121], v[8:9] op_sel_hi:[1,0,1]
	v_pk_add_f32 v[6:7], v[6:7], v[20:21]
	v_mov_b32_e32 v8, v123
	v_mov_b32_e32 v11, v9
	v_pk_mul_f32 v[8:9], v[14:15], v[8:9] op_sel:[1,0] op_sel_hi:[0,0]
	v_pk_add_f32 v[6:7], v[6:7], v[10:11]
	v_pk_fma_f32 v[10:11], v[14:15], v[122:123], v[8:9] neg_lo:[0,0,1] neg_hi:[0,0,1]
	v_pk_fma_f32 v[8:9], v[14:15], v[122:123], v[8:9] op_sel_hi:[1,0,1]
	s_nop 0
	v_mov_b32_e32 v11, v9
	s_waitcnt vmcnt(1) lgkmcnt(0)
	v_pk_mul_f32 v[8:9], v[16:17], v[2:3] op_sel:[1,1] op_sel_hi:[0,1]
	v_pk_add_f32 v[6:7], v[6:7], v[10:11]
	v_pk_fma_f32 v[10:11], v[16:17], v[2:3], v[8:9] neg_lo:[0,0,1] neg_hi:[0,0,1]
	v_pk_fma_f32 v[2:3], v[16:17], v[2:3], v[8:9] op_sel_hi:[1,0,1]
	s_nop 0
	v_mov_b32_e32 v11, v3
	v_pk_add_f32 v[2:3], v[6:7], v[10:11]
	v_mov_b32_e32 v6, v5
	v_pk_mul_f32 v[6:7], v[18:19], v[6:7] op_sel:[1,0] op_sel_hi:[0,0]
	v_pk_fma_f32 v[8:9], v[18:19], v[4:5], v[6:7] neg_lo:[0,0,1] neg_hi:[0,0,1]
	v_pk_fma_f32 v[4:5], v[18:19], v[4:5], v[6:7] op_sel_hi:[1,0,1]
	s_nop 0
	v_mov_b32_e32 v9, v5
	v_pk_add_f32 v[2:3], v[2:3], v[8:9]
	s_waitcnt vmcnt(0)
	v_pk_add_f32 v[2:3], v[132:133], v[2:3] neg_lo:[0,1] neg_hi:[0,1]
	scratch_store_dwordx2 off, v[2:3], off offset:24
	s_and_saveexec_b64 s[0:1], vcc
	s_cbranch_execz .LBB89_165
; %bb.164:
	scratch_load_dwordx2 v[2:3], off, off offset:16
	v_mov_b32_e32 v4, 0
	v_mov_b32_e32 v5, v4
	scratch_store_dwordx2 off, v[4:5], off offset:16
	s_waitcnt vmcnt(1)
	ds_write_b64 v1, v[2:3]
.LBB89_165:
	s_or_b64 exec, exec, s[0:1]
	s_waitcnt lgkmcnt(0)
	; wave barrier
	scratch_load_dwordx4 v[2:5], off, off offset:24
	scratch_load_dwordx4 v[14:17], off, off offset:40
	scratch_load_dwordx4 v[24:27], off, off offset:56
	scratch_load_dwordx4 v[28:31], off, off offset:72
	scratch_load_dwordx4 v[18:21], off, off offset:88
	scratch_load_dwordx4 v[32:35], off, off offset:104
	scratch_load_dwordx4 v[40:43], off, off offset:120
	scratch_load_dwordx4 v[44:47], off, off offset:136
	scratch_load_dwordx4 v[100:103], off, off offset:152
	scratch_load_dwordx4 v[10:13], off, off offset:168
	scratch_load_dwordx4 v[6:9], off, off offset:184
	scratch_load_dwordx2 v[22:23], off, off offset:200
	scratch_load_dwordx2 v[36:37], off, off offset:16
	v_mov_b32_e32 v38, 0
	ds_read2_b64 v[104:107], v38 offset0:29 offset1:30
	ds_read2_b64 v[108:111], v38 offset0:31 offset1:32
	ds_read2_b64 v[112:115], v38 offset0:33 offset1:34
	ds_read2_b64 v[116:119], v38 offset0:35 offset1:36
	ds_read2_b64 v[120:123], v38 offset0:37 offset1:38
	ds_read2_b64 v[124:127], v38 offset0:39 offset1:40
	ds_read2_b64 v[128:131], v38 offset0:41 offset1:42
	ds_read2_b64 v[132:135], v38 offset0:43 offset1:44
	v_cmp_lt_u32_e32 vcc, 1, v0
	s_waitcnt vmcnt(12) lgkmcnt(7)
	v_mul_f32_e32 v39, v104, v3
	v_mul_f32_e32 v136, v106, v5
	;; [unrolled: 1-line block ×3, first 2 shown]
	v_fmac_f32_e32 v39, v105, v2
	s_waitcnt vmcnt(8) lgkmcnt(3)
	v_mul_f32_e32 v145, v120, v19
	v_mul_f32_e32 v19, v121, v19
	;; [unrolled: 1-line block ×4, first 2 shown]
	v_fmac_f32_e32 v136, v107, v4
	v_fmac_f32_e32 v145, v121, v18
	v_fma_f32 v2, v104, v2, -v3
	v_fma_f32 v18, v120, v18, -v19
	v_add_f32_e32 v19, 0, v39
	v_mul_f32_e32 v140, v110, v17
	v_fmac_f32_e32 v138, v109, v14
	v_fma_f32 v3, v106, v4, -v5
	v_add_f32_e32 v2, 0, v2
	v_add_f32_e32 v19, v19, v136
	v_mul_f32_e32 v141, v112, v25
	v_fmac_f32_e32 v140, v111, v16
	v_add_f32_e32 v2, v2, v3
	v_add_f32_e32 v3, v19, v138
	v_mul_f32_e32 v142, v114, v27
	v_fmac_f32_e32 v141, v113, v24
	v_add_f32_e32 v3, v3, v140
	v_mul_f32_e32 v143, v116, v29
	v_mul_f32_e32 v15, v109, v15
	v_fmac_f32_e32 v142, v115, v26
	v_add_f32_e32 v3, v3, v141
	v_mul_f32_e32 v144, v118, v31
	v_mul_f32_e32 v17, v111, v17
	v_fmac_f32_e32 v143, v117, v28
	v_fma_f32 v4, v108, v14, -v15
	v_add_f32_e32 v3, v3, v142
	v_mul_f32_e32 v25, v113, v25
	v_fmac_f32_e32 v144, v119, v30
	v_fma_f32 v5, v110, v16, -v17
	v_add_f32_e32 v2, v2, v4
	v_add_f32_e32 v3, v3, v143
	v_mul_f32_e32 v146, v122, v21
	v_mul_f32_e32 v27, v115, v27
	v_fma_f32 v14, v112, v24, -v25
	v_add_f32_e32 v2, v2, v5
	v_add_f32_e32 v3, v3, v144
	s_waitcnt vmcnt(7) lgkmcnt(2)
	v_mul_f32_e32 v147, v124, v33
	v_mul_f32_e32 v29, v117, v29
	v_fmac_f32_e32 v146, v123, v20
	v_fma_f32 v15, v114, v26, -v27
	v_add_f32_e32 v2, v2, v14
	v_add_f32_e32 v3, v3, v145
	v_mul_f32_e32 v148, v126, v35
	v_mul_f32_e32 v31, v119, v31
	v_fmac_f32_e32 v147, v125, v32
	v_fma_f32 v16, v116, v28, -v29
	v_add_f32_e32 v2, v2, v15
	v_add_f32_e32 v3, v3, v146
	s_waitcnt vmcnt(6) lgkmcnt(1)
	v_mul_f32_e32 v149, v128, v41
	v_fmac_f32_e32 v148, v127, v34
	v_fma_f32 v17, v118, v30, -v31
	v_add_f32_e32 v2, v2, v16
	v_add_f32_e32 v3, v3, v147
	v_mul_f32_e32 v21, v123, v21
	v_fmac_f32_e32 v149, v129, v40
	v_add_f32_e32 v2, v2, v17
	v_add_f32_e32 v3, v3, v148
	;; [unrolled: 1-line block ×4, first 2 shown]
	v_fma_f32 v3, v122, v20, -v21
	v_add_f32_e32 v2, v2, v3
	v_mul_f32_e32 v3, v125, v33
	v_fma_f32 v3, v124, v32, -v3
	v_add_f32_e32 v2, v2, v3
	v_mul_f32_e32 v3, v127, v35
	v_fma_f32 v3, v126, v34, -v3
	v_add_f32_e32 v2, v2, v3
	v_mul_f32_e32 v3, v129, v41
	v_fma_f32 v3, v128, v40, -v3
	v_add_f32_e32 v24, v2, v3
	v_mul_f32_e32 v2, v131, v43
	v_mul_f32_e32 v137, v130, v43
	v_fma_f32 v136, v130, v42, -v2
	s_waitcnt vmcnt(5) lgkmcnt(0)
	v_mul_f32_e32 v2, v133, v45
	v_mov_b32_e32 v28, v47
	v_mul_f32_e32 v139, v132, v45
	v_fmac_f32_e32 v137, v131, v42
	v_fma_f32 v138, v132, v44, -v2
	ds_read2_b64 v[2:5], v38 offset0:45 offset1:46
	ds_read2_b64 v[14:17], v38 offset0:47 offset1:48
	;; [unrolled: 1-line block ×3, first 2 shown]
	ds_read_b64 v[26:27], v38 offset:408
	v_pk_mul_f32 v[28:29], v[134:135], v[28:29] op_sel:[1,0] op_sel_hi:[0,0]
	v_fmac_f32_e32 v139, v133, v44
	v_pk_add_f32 v[24:25], v[24:25], v[136:137]
	v_pk_fma_f32 v[30:31], v[134:135], v[46:47], v[28:29] neg_lo:[0,0,1] neg_hi:[0,0,1]
	v_pk_fma_f32 v[28:29], v[134:135], v[46:47], v[28:29] op_sel_hi:[1,0,1]
	v_pk_add_f32 v[24:25], v[24:25], v[138:139]
	v_mov_b32_e32 v31, v29
	s_waitcnt vmcnt(4) lgkmcnt(3)
	v_pk_mul_f32 v[28:29], v[2:3], v[100:101] op_sel:[1,1] op_sel_hi:[0,1]
	v_pk_add_f32 v[24:25], v[24:25], v[30:31]
	v_pk_fma_f32 v[30:31], v[2:3], v[100:101], v[28:29] neg_lo:[0,0,1] neg_hi:[0,0,1]
	v_pk_fma_f32 v[2:3], v[2:3], v[100:101], v[28:29] op_sel_hi:[1,0,1]
	s_nop 0
	v_mov_b32_e32 v31, v3
	v_pk_add_f32 v[2:3], v[24:25], v[30:31]
	v_mov_b32_e32 v24, v103
	v_pk_mul_f32 v[24:25], v[4:5], v[24:25] op_sel:[1,0] op_sel_hi:[0,0]
	v_pk_fma_f32 v[28:29], v[4:5], v[102:103], v[24:25] neg_lo:[0,0,1] neg_hi:[0,0,1]
	v_pk_fma_f32 v[4:5], v[4:5], v[102:103], v[24:25] op_sel_hi:[1,0,1]
	s_nop 0
	v_mov_b32_e32 v29, v5
	s_waitcnt vmcnt(3) lgkmcnt(2)
	v_pk_mul_f32 v[4:5], v[14:15], v[10:11] op_sel:[1,1] op_sel_hi:[0,1]
	v_pk_fma_f32 v[24:25], v[14:15], v[10:11], v[4:5] neg_lo:[0,0,1] neg_hi:[0,0,1]
	v_pk_fma_f32 v[4:5], v[14:15], v[10:11], v[4:5] op_sel_hi:[1,0,1]
	v_pk_add_f32 v[2:3], v[2:3], v[28:29]
	v_mov_b32_e32 v4, v13
	v_mov_b32_e32 v25, v5
	v_pk_mul_f32 v[4:5], v[16:17], v[4:5] op_sel:[1,0] op_sel_hi:[0,0]
	v_pk_fma_f32 v[10:11], v[16:17], v[12:13], v[4:5] neg_lo:[0,0,1] neg_hi:[0,0,1]
	v_pk_fma_f32 v[4:5], v[16:17], v[12:13], v[4:5] op_sel_hi:[1,0,1]
	v_pk_add_f32 v[2:3], v[2:3], v[24:25]
	v_mov_b32_e32 v11, v5
	s_waitcnt vmcnt(2) lgkmcnt(1)
	v_pk_mul_f32 v[4:5], v[18:19], v[6:7] op_sel:[1,1] op_sel_hi:[0,1]
	v_pk_add_f32 v[2:3], v[2:3], v[10:11]
	v_pk_fma_f32 v[10:11], v[18:19], v[6:7], v[4:5] neg_lo:[0,0,1] neg_hi:[0,0,1]
	v_pk_fma_f32 v[4:5], v[18:19], v[6:7], v[4:5] op_sel_hi:[1,0,1]
	s_nop 0
	v_mov_b32_e32 v4, v9
	v_mov_b32_e32 v11, v5
	v_pk_mul_f32 v[4:5], v[20:21], v[4:5] op_sel:[1,0] op_sel_hi:[0,0]
	v_pk_fma_f32 v[6:7], v[20:21], v[8:9], v[4:5] neg_lo:[0,0,1] neg_hi:[0,0,1]
	v_pk_fma_f32 v[4:5], v[20:21], v[8:9], v[4:5] op_sel_hi:[1,0,1]
	v_pk_add_f32 v[2:3], v[2:3], v[10:11]
	v_mov_b32_e32 v7, v5
	s_waitcnt vmcnt(1) lgkmcnt(0)
	v_pk_mul_f32 v[4:5], v[26:27], v[22:23] op_sel:[1,1] op_sel_hi:[0,1]
	v_pk_add_f32 v[2:3], v[2:3], v[6:7]
	v_pk_fma_f32 v[6:7], v[26:27], v[22:23], v[4:5] neg_lo:[0,0,1] neg_hi:[0,0,1]
	v_pk_fma_f32 v[4:5], v[26:27], v[22:23], v[4:5] op_sel_hi:[1,0,1]
	s_nop 0
	v_mov_b32_e32 v7, v5
	v_pk_add_f32 v[2:3], v[2:3], v[6:7]
	s_waitcnt vmcnt(0)
	v_pk_add_f32 v[2:3], v[36:37], v[2:3] neg_lo:[0,1] neg_hi:[0,1]
	scratch_store_dwordx2 off, v[2:3], off offset:16
	s_and_saveexec_b64 s[0:1], vcc
	s_cbranch_execz .LBB89_167
; %bb.166:
	scratch_load_dwordx2 v[2:3], off, off offset:8
	v_mov_b32_e32 v39, v38
	scratch_store_dwordx2 off, v[38:39], off offset:8
	s_waitcnt vmcnt(1)
	ds_write_b64 v1, v[2:3]
.LBB89_167:
	s_or_b64 exec, exec, s[0:1]
	s_waitcnt lgkmcnt(0)
	; wave barrier
	scratch_load_dwordx4 v[6:9], off, off offset:16
	scratch_load_dwordx4 v[18:21], off, off offset:32
	;; [unrolled: 1-line block ×8, first 2 shown]
	ds_read_b128 v[100:103], v38 offset:224
	ds_read_b128 v[104:107], v38 offset:240
	;; [unrolled: 1-line block ×8, first 2 shown]
	scratch_load_dwordx4 v[132:135], off, off offset:144
	scratch_load_dwordx4 v[26:29], off, off offset:160
	;; [unrolled: 1-line block ×4, first 2 shown]
	scratch_load_dwordx2 v[136:137], off, off offset:8
	v_cmp_ne_u32_e32 vcc, 0, v0
	s_waitcnt vmcnt(12) lgkmcnt(7)
	v_mul_f32_e32 v39, v100, v7
	v_mul_f32_e32 v138, v102, v9
	;; [unrolled: 1-line block ×3, first 2 shown]
	v_fmac_f32_e32 v39, v101, v6
	s_waitcnt vmcnt(8) lgkmcnt(3)
	v_mul_f32_e32 v147, v116, v15
	v_mul_f32_e32 v15, v117, v15
	;; [unrolled: 1-line block ×4, first 2 shown]
	v_fmac_f32_e32 v138, v103, v8
	v_fmac_f32_e32 v147, v117, v14
	v_fma_f32 v6, v100, v6, -v7
	v_fma_f32 v14, v116, v14, -v15
	v_add_f32_e32 v15, 0, v39
	v_mul_f32_e32 v142, v106, v21
	v_fmac_f32_e32 v140, v105, v18
	v_fma_f32 v7, v102, v8, -v9
	v_add_f32_e32 v6, 0, v6
	v_add_f32_e32 v15, v15, v138
	v_mul_f32_e32 v143, v108, v35
	v_fmac_f32_e32 v142, v107, v20
	v_add_f32_e32 v6, v6, v7
	v_add_f32_e32 v7, v15, v140
	v_mul_f32_e32 v144, v110, v37
	v_fmac_f32_e32 v143, v109, v34
	v_add_f32_e32 v7, v7, v142
	v_mul_f32_e32 v145, v112, v41
	v_fmac_f32_e32 v144, v111, v36
	;; [unrolled: 3-line block ×4, first 2 shown]
	v_add_f32_e32 v7, v7, v145
	v_mul_f32_e32 v148, v118, v17
	v_mul_f32_e32 v21, v107, v21
	v_fma_f32 v8, v104, v18, -v19
	v_add_f32_e32 v7, v7, v146
	s_waitcnt vmcnt(7) lgkmcnt(2)
	v_mul_f32_e32 v149, v120, v23
	v_mul_f32_e32 v35, v109, v35
	v_fmac_f32_e32 v148, v119, v16
	v_fma_f32 v9, v106, v20, -v21
	v_add_f32_e32 v6, v6, v8
	v_add_f32_e32 v7, v7, v147
	v_mul_f32_e32 v150, v122, v25
	v_mul_f32_e32 v37, v111, v37
	v_fmac_f32_e32 v149, v121, v22
	v_fma_f32 v18, v108, v34, -v35
	v_add_f32_e32 v6, v6, v9
	v_add_f32_e32 v7, v7, v148
	s_waitcnt vmcnt(6) lgkmcnt(1)
	v_mul_f32_e32 v151, v124, v31
	v_mul_f32_e32 v41, v113, v41
	v_fmac_f32_e32 v150, v123, v24
	v_fma_f32 v19, v110, v36, -v37
	v_add_f32_e32 v6, v6, v18
	v_add_f32_e32 v7, v7, v149
	v_mul_f32_e32 v152, v126, v33
	v_mul_f32_e32 v43, v115, v43
	v_fmac_f32_e32 v151, v125, v30
	v_fma_f32 v20, v112, v40, -v41
	v_add_f32_e32 v6, v6, v19
	v_add_f32_e32 v7, v7, v150
	v_fmac_f32_e32 v152, v127, v32
	v_fma_f32 v21, v114, v42, -v43
	v_add_f32_e32 v6, v6, v20
	v_add_f32_e32 v7, v7, v151
	;; [unrolled: 1-line block ×4, first 2 shown]
	v_mul_f32_e32 v7, v119, v17
	v_add_f32_e32 v6, v6, v14
	v_fma_f32 v7, v118, v16, -v7
	v_add_f32_e32 v6, v6, v7
	v_mul_f32_e32 v7, v121, v23
	v_fma_f32 v7, v120, v22, -v7
	v_add_f32_e32 v6, v6, v7
	v_mul_f32_e32 v7, v123, v25
	;; [unrolled: 3-line block ×4, first 2 shown]
	v_fma_f32 v7, v126, v32, -v7
	v_add_f32_e32 v34, v6, v7
	s_waitcnt vmcnt(5) lgkmcnt(0)
	v_mul_f32_e32 v6, v129, v45
	v_fma_f32 v138, v128, v44, -v6
	v_mul_f32_e32 v6, v131, v47
	v_fma_f32 v140, v130, v46, -v6
	ds_read_b128 v[6:9], v38 offset:352
	ds_read_b128 v[14:17], v38 offset:368
	;; [unrolled: 1-line block ×4, first 2 shown]
	v_mul_f32_e32 v139, v128, v45
	v_mul_f32_e32 v141, v130, v47
	v_fmac_f32_e32 v139, v129, v44
	s_waitcnt vmcnt(4) lgkmcnt(3)
	v_pk_mul_f32 v[32:33], v[6:7], v[132:133] op_sel:[1,1] op_sel_hi:[0,1]
	v_fmac_f32_e32 v141, v131, v46
	v_pk_add_f32 v[30:31], v[34:35], v[138:139]
	v_pk_fma_f32 v[34:35], v[6:7], v[132:133], v[32:33] neg_lo:[0,0,1] neg_hi:[0,0,1]
	v_pk_fma_f32 v[6:7], v[6:7], v[132:133], v[32:33] op_sel_hi:[1,0,1]
	v_pk_add_f32 v[30:31], v[30:31], v[140:141]
	v_mov_b32_e32 v35, v7
	v_pk_add_f32 v[6:7], v[30:31], v[34:35]
	v_mov_b32_e32 v30, v135
	v_pk_mul_f32 v[30:31], v[8:9], v[30:31] op_sel:[1,0] op_sel_hi:[0,0]
	v_pk_fma_f32 v[32:33], v[8:9], v[134:135], v[30:31] neg_lo:[0,0,1] neg_hi:[0,0,1]
	v_pk_fma_f32 v[8:9], v[8:9], v[134:135], v[30:31] op_sel_hi:[1,0,1]
	s_nop 0
	v_mov_b32_e32 v33, v9
	s_waitcnt vmcnt(3) lgkmcnt(2)
	v_pk_mul_f32 v[8:9], v[14:15], v[26:27] op_sel:[1,1] op_sel_hi:[0,1]
	v_pk_fma_f32 v[30:31], v[14:15], v[26:27], v[8:9] neg_lo:[0,0,1] neg_hi:[0,0,1]
	v_pk_fma_f32 v[8:9], v[14:15], v[26:27], v[8:9] op_sel_hi:[1,0,1]
	v_pk_add_f32 v[6:7], v[6:7], v[32:33]
	v_mov_b32_e32 v8, v29
	v_mov_b32_e32 v31, v9
	v_pk_mul_f32 v[8:9], v[16:17], v[8:9] op_sel:[1,0] op_sel_hi:[0,0]
	v_pk_fma_f32 v[14:15], v[16:17], v[28:29], v[8:9] neg_lo:[0,0,1] neg_hi:[0,0,1]
	v_pk_fma_f32 v[8:9], v[16:17], v[28:29], v[8:9] op_sel_hi:[1,0,1]
	v_pk_add_f32 v[6:7], v[6:7], v[30:31]
	v_mov_b32_e32 v15, v9
	s_waitcnt vmcnt(2) lgkmcnt(1)
	v_pk_mul_f32 v[8:9], v[18:19], v[10:11] op_sel:[1,1] op_sel_hi:[0,1]
	v_pk_add_f32 v[6:7], v[6:7], v[14:15]
	v_pk_fma_f32 v[14:15], v[18:19], v[10:11], v[8:9] neg_lo:[0,0,1] neg_hi:[0,0,1]
	v_pk_fma_f32 v[8:9], v[18:19], v[10:11], v[8:9] op_sel_hi:[1,0,1]
	s_nop 0
	v_mov_b32_e32 v8, v13
	v_mov_b32_e32 v15, v9
	v_pk_mul_f32 v[8:9], v[20:21], v[8:9] op_sel:[1,0] op_sel_hi:[0,0]
	v_pk_fma_f32 v[10:11], v[20:21], v[12:13], v[8:9] neg_lo:[0,0,1] neg_hi:[0,0,1]
	v_pk_fma_f32 v[8:9], v[20:21], v[12:13], v[8:9] op_sel_hi:[1,0,1]
	v_pk_add_f32 v[6:7], v[6:7], v[14:15]
	v_mov_b32_e32 v11, v9
	s_waitcnt vmcnt(1) lgkmcnt(0)
	v_pk_mul_f32 v[8:9], v[22:23], v[2:3] op_sel:[1,1] op_sel_hi:[0,1]
	v_pk_add_f32 v[6:7], v[6:7], v[10:11]
	v_pk_fma_f32 v[10:11], v[22:23], v[2:3], v[8:9] neg_lo:[0,0,1] neg_hi:[0,0,1]
	v_pk_fma_f32 v[2:3], v[22:23], v[2:3], v[8:9] op_sel_hi:[1,0,1]
	s_nop 0
	v_mov_b32_e32 v11, v3
	v_pk_add_f32 v[2:3], v[6:7], v[10:11]
	v_mov_b32_e32 v6, v5
	v_pk_mul_f32 v[6:7], v[24:25], v[6:7] op_sel:[1,0] op_sel_hi:[0,0]
	v_pk_fma_f32 v[8:9], v[24:25], v[4:5], v[6:7] neg_lo:[0,0,1] neg_hi:[0,0,1]
	v_pk_fma_f32 v[4:5], v[24:25], v[4:5], v[6:7] op_sel_hi:[1,0,1]
	s_nop 0
	v_mov_b32_e32 v9, v5
	v_pk_add_f32 v[2:3], v[2:3], v[8:9]
	s_waitcnt vmcnt(0)
	v_pk_add_f32 v[2:3], v[136:137], v[2:3] neg_lo:[0,1] neg_hi:[0,1]
	scratch_store_dwordx2 off, v[2:3], off offset:8
	s_and_saveexec_b64 s[0:1], vcc
	s_cbranch_execz .LBB89_169
; %bb.168:
	scratch_load_dwordx2 v[2:3], off, off
	v_mov_b32_e32 v4, 0
	v_mov_b32_e32 v5, v4
	scratch_store_dwordx2 off, v[4:5], off
	s_waitcnt vmcnt(1)
	ds_write_b64 v1, v[2:3]
.LBB89_169:
	s_or_b64 exec, exec, s[0:1]
	s_waitcnt lgkmcnt(0)
	; wave barrier
	scratch_load_dwordx4 v[0:3], off, off offset:8
	scratch_load_dwordx4 v[20:23], off, off offset:24
	;; [unrolled: 1-line block ×12, first 2 shown]
	scratch_load_dwordx2 v[100:101], off, off offset:200
	scratch_load_dwordx2 v[144:145], off, off
	v_mov_b32_e32 v102, 0
	ds_read2_b64 v[104:107], v102 offset0:27 offset1:28
	ds_read2_b64 v[108:111], v102 offset0:29 offset1:30
	;; [unrolled: 1-line block ×10, first 2 shown]
	s_and_b64 vcc, exec, s[10:11]
	s_waitcnt vmcnt(13) lgkmcnt(9)
	v_mul_f32_e32 v103, v104, v1
	v_mul_f32_e32 v146, v106, v3
	;; [unrolled: 1-line block ×3, first 2 shown]
	s_waitcnt vmcnt(10) lgkmcnt(6)
	v_mul_f32_e32 v153, v116, v9
	v_mul_f32_e32 v9, v117, v9
	v_fmac_f32_e32 v103, v105, v0
	v_mul_f32_e32 v148, v108, v21
	v_mul_f32_e32 v3, v107, v3
	v_fmac_f32_e32 v146, v107, v2
	v_fmac_f32_e32 v153, v117, v8
	v_fma_f32 v0, v104, v0, -v1
	v_fma_f32 v8, v116, v8, -v9
	v_add_f32_e32 v9, 0, v103
	v_mul_f32_e32 v150, v110, v23
	v_fmac_f32_e32 v148, v109, v20
	v_fma_f32 v1, v106, v2, -v3
	v_add_f32_e32 v0, 0, v0
	v_add_f32_e32 v9, v9, v146
	v_mul_f32_e32 v151, v112, v37
	v_fmac_f32_e32 v150, v111, v22
	v_add_f32_e32 v0, v0, v1
	v_add_f32_e32 v1, v9, v148
	v_mul_f32_e32 v152, v114, v39
	v_fmac_f32_e32 v151, v113, v36
	v_add_f32_e32 v1, v1, v150
	v_fmac_f32_e32 v152, v115, v38
	v_add_f32_e32 v1, v1, v151
	v_mul_f32_e32 v154, v118, v11
	v_add_f32_e32 v1, v1, v152
	s_waitcnt vmcnt(9) lgkmcnt(5)
	v_mul_f32_e32 v155, v120, v13
	v_fmac_f32_e32 v154, v119, v10
	v_add_f32_e32 v1, v1, v153
	v_mul_f32_e32 v156, v122, v15
	v_fmac_f32_e32 v155, v121, v12
	v_add_f32_e32 v1, v1, v154
	s_waitcnt vmcnt(8) lgkmcnt(4)
	v_mul_f32_e32 v157, v124, v25
	v_fmac_f32_e32 v156, v123, v14
	v_add_f32_e32 v1, v1, v155
	v_mul_f32_e32 v158, v126, v27
	v_mul_f32_e32 v21, v109, v21
	v_fmac_f32_e32 v157, v125, v24
	v_add_f32_e32 v1, v1, v156
	s_waitcnt vmcnt(7) lgkmcnt(3)
	v_mul_f32_e32 v159, v128, v29
	v_mul_f32_e32 v23, v111, v23
	v_fmac_f32_e32 v158, v127, v26
	v_fma_f32 v2, v108, v20, -v21
	v_add_f32_e32 v1, v1, v157
	v_mul_f32_e32 v160, v130, v31
	v_mul_f32_e32 v37, v113, v37
	v_fmac_f32_e32 v159, v129, v28
	v_fma_f32 v3, v110, v22, -v23
	v_add_f32_e32 v0, v0, v2
	v_add_f32_e32 v1, v1, v158
	s_waitcnt vmcnt(6) lgkmcnt(2)
	v_mul_f32_e32 v161, v132, v41
	v_mul_f32_e32 v39, v115, v39
	v_fmac_f32_e32 v160, v131, v30
	v_fma_f32 v20, v112, v36, -v37
	v_add_f32_e32 v0, v0, v3
	v_add_f32_e32 v1, v1, v159
	v_fmac_f32_e32 v161, v133, v40
	v_fma_f32 v21, v114, v38, -v39
	v_add_f32_e32 v0, v0, v20
	v_add_f32_e32 v1, v1, v160
	v_add_f32_e32 v0, v0, v21
	v_add_f32_e32 v21, v1, v161
	v_mul_f32_e32 v1, v119, v11
	v_add_f32_e32 v0, v0, v8
	v_fma_f32 v1, v118, v10, -v1
	v_add_f32_e32 v0, v0, v1
	v_mul_f32_e32 v1, v121, v13
	v_fma_f32 v1, v120, v12, -v1
	v_add_f32_e32 v0, v0, v1
	v_mul_f32_e32 v1, v123, v15
	;; [unrolled: 3-line block ×7, first 2 shown]
	v_fma_f32 v1, v132, v40, -v1
	v_mul_f32_e32 v147, v134, v43
	v_add_f32_e32 v20, v0, v1
	v_mul_f32_e32 v0, v135, v43
	v_fmac_f32_e32 v147, v135, v42
	v_fma_f32 v146, v134, v42, -v0
	v_pk_add_f32 v[14:15], v[20:21], v[146:147]
	s_waitcnt vmcnt(5)
	v_mov_b32_e32 v20, v47
	s_waitcnt lgkmcnt(1)
	v_mul_f32_e32 v149, v136, v45
	v_mul_f32_e32 v0, v137, v45
	v_pk_mul_f32 v[20:21], v[138:139], v[20:21] op_sel:[1,0] op_sel_hi:[0,0]
	v_fmac_f32_e32 v149, v137, v44
	v_fma_f32 v148, v136, v44, -v0
	v_pk_fma_f32 v[22:23], v[138:139], v[46:47], v[20:21] neg_lo:[0,0,1] neg_hi:[0,0,1]
	v_pk_fma_f32 v[20:21], v[138:139], v[46:47], v[20:21] op_sel_hi:[1,0,1]
	v_pk_add_f32 v[14:15], v[14:15], v[148:149]
	v_mov_b32_e32 v23, v21
	s_waitcnt vmcnt(4) lgkmcnt(0)
	v_pk_mul_f32 v[20:21], v[140:141], v[32:33] op_sel:[1,1] op_sel_hi:[0,1]
	v_pk_add_f32 v[14:15], v[14:15], v[22:23]
	v_pk_fma_f32 v[22:23], v[140:141], v[32:33], v[20:21] neg_lo:[0,0,1] neg_hi:[0,0,1]
	v_pk_fma_f32 v[20:21], v[140:141], v[32:33], v[20:21] op_sel_hi:[1,0,1]
	ds_read2_b64 v[0:3], v102 offset0:47 offset1:48
	ds_read2_b64 v[8:11], v102 offset0:49 offset1:50
	ds_read_b64 v[12:13], v102 offset:408
	v_mov_b32_e32 v20, v35
	v_mov_b32_e32 v23, v21
	v_pk_mul_f32 v[20:21], v[142:143], v[20:21] op_sel:[1,0] op_sel_hi:[0,0]
	v_pk_add_f32 v[14:15], v[14:15], v[22:23]
	v_pk_fma_f32 v[22:23], v[142:143], v[34:35], v[20:21] neg_lo:[0,0,1] neg_hi:[0,0,1]
	v_pk_fma_f32 v[20:21], v[142:143], v[34:35], v[20:21] op_sel_hi:[1,0,1]
	s_nop 0
	v_mov_b32_e32 v23, v21
	s_waitcnt vmcnt(3) lgkmcnt(2)
	v_pk_mul_f32 v[20:21], v[0:1], v[16:17] op_sel:[1,1] op_sel_hi:[0,1]
	v_pk_add_f32 v[14:15], v[14:15], v[22:23]
	v_pk_fma_f32 v[22:23], v[0:1], v[16:17], v[20:21] neg_lo:[0,0,1] neg_hi:[0,0,1]
	v_pk_fma_f32 v[0:1], v[0:1], v[16:17], v[20:21] op_sel_hi:[1,0,1]
	s_nop 0
	v_mov_b32_e32 v23, v1
	v_pk_add_f32 v[0:1], v[14:15], v[22:23]
	v_mov_b32_e32 v14, v19
	v_pk_mul_f32 v[14:15], v[2:3], v[14:15] op_sel:[1,0] op_sel_hi:[0,0]
	v_pk_fma_f32 v[16:17], v[2:3], v[18:19], v[14:15] neg_lo:[0,0,1] neg_hi:[0,0,1]
	v_pk_fma_f32 v[2:3], v[2:3], v[18:19], v[14:15] op_sel_hi:[1,0,1]
	s_nop 0
	v_mov_b32_e32 v17, v3
	s_waitcnt vmcnt(2) lgkmcnt(1)
	v_pk_mul_f32 v[2:3], v[8:9], v[4:5] op_sel:[1,1] op_sel_hi:[0,1]
	v_pk_fma_f32 v[14:15], v[8:9], v[4:5], v[2:3] neg_lo:[0,0,1] neg_hi:[0,0,1]
	v_pk_fma_f32 v[2:3], v[8:9], v[4:5], v[2:3] op_sel_hi:[1,0,1]
	v_pk_add_f32 v[0:1], v[0:1], v[16:17]
	v_mov_b32_e32 v2, v7
	v_mov_b32_e32 v15, v3
	v_pk_mul_f32 v[2:3], v[10:11], v[2:3] op_sel:[1,0] op_sel_hi:[0,0]
	v_pk_fma_f32 v[4:5], v[10:11], v[6:7], v[2:3] neg_lo:[0,0,1] neg_hi:[0,0,1]
	v_pk_fma_f32 v[2:3], v[10:11], v[6:7], v[2:3] op_sel_hi:[1,0,1]
	v_pk_add_f32 v[0:1], v[0:1], v[14:15]
	v_mov_b32_e32 v5, v3
	s_waitcnt vmcnt(1) lgkmcnt(0)
	v_pk_mul_f32 v[2:3], v[12:13], v[100:101] op_sel:[1,1] op_sel_hi:[0,1]
	v_pk_add_f32 v[0:1], v[0:1], v[4:5]
	v_pk_fma_f32 v[4:5], v[12:13], v[100:101], v[2:3] neg_lo:[0,0,1] neg_hi:[0,0,1]
	v_pk_fma_f32 v[2:3], v[12:13], v[100:101], v[2:3] op_sel_hi:[1,0,1]
	s_nop 0
	v_mov_b32_e32 v5, v3
	v_pk_add_f32 v[0:1], v[0:1], v[4:5]
	s_waitcnt vmcnt(0)
	v_pk_add_f32 v[0:1], v[144:145], v[0:1] neg_lo:[0,1] neg_hi:[0,1]
	scratch_store_dwordx2 off, v[0:1], off
	s_cbranch_vccz .LBB89_220
; %bb.170:
	global_load_dword v0, v102, s[8:9] offset:96
	s_waitcnt vmcnt(0)
	v_readfirstlane_b32 s0, v0
	s_add_i32 s0, s0, -1
	s_cmp_lg_u32 s0, 24
	s_cbranch_scc0 .LBB89_172
; %bb.171:
	s_lshl_b32 s0, s0, 3
	s_nop 0
	scratch_load_dwordx2 v[0:1], off, s0
	scratch_load_dwordx2 v[2:3], off, off offset:192
	s_waitcnt vmcnt(1)
	scratch_store_dwordx2 off, v[0:1], off offset:192
	s_waitcnt vmcnt(1)
	scratch_store_dwordx2 off, v[2:3], s0
.LBB89_172:
	v_mov_b32_e32 v0, 0
	global_load_dword v1, v0, s[8:9] offset:92
	s_waitcnt vmcnt(0)
	v_readfirstlane_b32 s0, v1
	s_add_i32 s0, s0, -1
	s_cmp_eq_u32 s0, 23
	s_cbranch_scc1 .LBB89_174
; %bb.173:
	s_lshl_b32 s0, s0, 3
	s_nop 0
	scratch_load_dwordx2 v[2:3], off, s0
	scratch_load_dwordx2 v[4:5], off, off offset:184
	s_waitcnt vmcnt(1)
	scratch_store_dwordx2 off, v[2:3], off offset:184
	s_waitcnt vmcnt(1)
	scratch_store_dwordx2 off, v[4:5], s0
.LBB89_174:
	global_load_dword v0, v0, s[8:9] offset:88
	s_waitcnt vmcnt(0)
	v_readfirstlane_b32 s0, v0
	s_add_i32 s0, s0, -1
	s_cmp_eq_u32 s0, 22
	s_cbranch_scc1 .LBB89_176
; %bb.175:
	s_lshl_b32 s0, s0, 3
	s_nop 0
	scratch_load_dwordx2 v[0:1], off, s0
	scratch_load_dwordx2 v[2:3], off, off offset:176
	s_waitcnt vmcnt(1)
	scratch_store_dwordx2 off, v[0:1], off offset:176
	s_waitcnt vmcnt(1)
	scratch_store_dwordx2 off, v[2:3], s0
.LBB89_176:
	v_mov_b32_e32 v0, 0
	global_load_dword v1, v0, s[8:9] offset:84
	s_waitcnt vmcnt(0)
	v_readfirstlane_b32 s0, v1
	s_add_i32 s0, s0, -1
	s_cmp_eq_u32 s0, 21
	s_cbranch_scc1 .LBB89_178
; %bb.177:
	s_lshl_b32 s0, s0, 3
	s_nop 0
	scratch_load_dwordx2 v[2:3], off, s0
	scratch_load_dwordx2 v[4:5], off, off offset:168
	s_waitcnt vmcnt(1)
	scratch_store_dwordx2 off, v[2:3], off offset:168
	s_waitcnt vmcnt(1)
	scratch_store_dwordx2 off, v[4:5], s0
.LBB89_178:
	global_load_dword v0, v0, s[8:9] offset:80
	s_waitcnt vmcnt(0)
	v_readfirstlane_b32 s0, v0
	s_add_i32 s0, s0, -1
	s_cmp_eq_u32 s0, 20
	s_cbranch_scc1 .LBB89_180
; %bb.179:
	s_lshl_b32 s0, s0, 3
	s_nop 0
	scratch_load_dwordx2 v[0:1], off, s0
	scratch_load_dwordx2 v[2:3], off, off offset:160
	s_waitcnt vmcnt(1)
	scratch_store_dwordx2 off, v[0:1], off offset:160
	s_waitcnt vmcnt(1)
	scratch_store_dwordx2 off, v[2:3], s0
.LBB89_180:
	;; [unrolled: 33-line block ×11, first 2 shown]
	v_mov_b32_e32 v0, 0
	global_load_dword v1, v0, s[8:9] offset:4
	s_waitcnt vmcnt(0)
	v_readfirstlane_b32 s0, v1
	s_add_i32 s0, s0, -1
	s_cmp_eq_u32 s0, 1
	s_cbranch_scc1 .LBB89_218
; %bb.217:
	s_lshl_b32 s0, s0, 3
	s_nop 0
	scratch_load_dwordx2 v[2:3], off, s0
	scratch_load_dwordx2 v[4:5], off, off offset:8
	s_waitcnt vmcnt(1)
	scratch_store_dwordx2 off, v[2:3], off offset:8
	s_waitcnt vmcnt(1)
	scratch_store_dwordx2 off, v[4:5], s0
.LBB89_218:
	global_load_dword v2, v0, s[8:9]
	s_nop 0
	scratch_load_dwordx2 v[0:1], off, off
	s_waitcnt vmcnt(1)
	v_readfirstlane_b32 s0, v2
	s_add_i32 s0, s0, -1
	s_cmp_eq_u32 s0, 0
	s_cbranch_scc1 .LBB89_220
; %bb.219:
	s_lshl_b32 s0, s0, 3
	s_nop 0
	scratch_load_dwordx2 v[2:3], off, s0
	s_waitcnt vmcnt(0)
	scratch_store_dwordx2 off, v[2:3], off
	scratch_store_dwordx2 off, v[0:1], s0
	scratch_load_dwordx2 v[0:1], off, off
.LBB89_220:
	s_waitcnt vmcnt(0)
	flat_store_dwordx2 v[48:49], v[0:1]
	scratch_load_dwordx2 v[0:1], off, off offset:8
	s_waitcnt vmcnt(0)
	flat_store_dwordx2 v[50:51], v[0:1]
	scratch_load_dwordx2 v[0:1], off, off offset:16
	s_waitcnt vmcnt(0)
	flat_store_dwordx2 v[52:53], v[0:1]
	scratch_load_dwordx2 v[0:1], off, off offset:24
	s_waitcnt vmcnt(0)
	flat_store_dwordx2 v[54:55], v[0:1]
	scratch_load_dwordx2 v[0:1], off, off offset:32
	s_waitcnt vmcnt(0)
	flat_store_dwordx2 v[56:57], v[0:1]
	scratch_load_dwordx2 v[0:1], off, off offset:40
	s_waitcnt vmcnt(0)
	flat_store_dwordx2 v[58:59], v[0:1]
	scratch_load_dwordx2 v[0:1], off, off offset:48
	s_waitcnt vmcnt(0)
	flat_store_dwordx2 v[60:61], v[0:1]
	scratch_load_dwordx2 v[0:1], off, off offset:56
	s_waitcnt vmcnt(0)
	flat_store_dwordx2 v[62:63], v[0:1]
	scratch_load_dwordx2 v[0:1], off, off offset:64
	s_waitcnt vmcnt(0)
	flat_store_dwordx2 v[64:65], v[0:1]
	scratch_load_dwordx2 v[0:1], off, off offset:72
	s_waitcnt vmcnt(0)
	flat_store_dwordx2 v[66:67], v[0:1]
	scratch_load_dwordx2 v[0:1], off, off offset:80
	s_waitcnt vmcnt(0)
	flat_store_dwordx2 v[68:69], v[0:1]
	scratch_load_dwordx2 v[0:1], off, off offset:88
	s_waitcnt vmcnt(0)
	flat_store_dwordx2 v[70:71], v[0:1]
	scratch_load_dwordx2 v[0:1], off, off offset:96
	s_waitcnt vmcnt(0)
	flat_store_dwordx2 v[72:73], v[0:1]
	scratch_load_dwordx2 v[0:1], off, off offset:104
	s_waitcnt vmcnt(0)
	flat_store_dwordx2 v[74:75], v[0:1]
	scratch_load_dwordx2 v[0:1], off, off offset:112
	s_waitcnt vmcnt(0)
	flat_store_dwordx2 v[76:77], v[0:1]
	scratch_load_dwordx2 v[0:1], off, off offset:120
	s_waitcnt vmcnt(0)
	flat_store_dwordx2 v[78:79], v[0:1]
	scratch_load_dwordx2 v[0:1], off, off offset:128
	s_waitcnt vmcnt(0)
	flat_store_dwordx2 v[80:81], v[0:1]
	scratch_load_dwordx2 v[0:1], off, off offset:136
	s_waitcnt vmcnt(0)
	flat_store_dwordx2 v[82:83], v[0:1]
	scratch_load_dwordx2 v[0:1], off, off offset:144
	s_waitcnt vmcnt(0)
	flat_store_dwordx2 v[84:85], v[0:1]
	scratch_load_dwordx2 v[0:1], off, off offset:152
	s_waitcnt vmcnt(0)
	flat_store_dwordx2 v[86:87], v[0:1]
	scratch_load_dwordx2 v[0:1], off, off offset:160
	s_waitcnt vmcnt(0)
	flat_store_dwordx2 v[88:89], v[0:1]
	scratch_load_dwordx2 v[0:1], off, off offset:168
	s_waitcnt vmcnt(0)
	flat_store_dwordx2 v[90:91], v[0:1]
	scratch_load_dwordx2 v[0:1], off, off offset:176
	s_waitcnt vmcnt(0)
	flat_store_dwordx2 v[92:93], v[0:1]
	scratch_load_dwordx2 v[0:1], off, off offset:184
	s_waitcnt vmcnt(0)
	flat_store_dwordx2 v[94:95], v[0:1]
	scratch_load_dwordx2 v[0:1], off, off offset:192
	s_waitcnt vmcnt(0)
	flat_store_dwordx2 v[96:97], v[0:1]
	scratch_load_dwordx2 v[0:1], off, off offset:200
	s_waitcnt vmcnt(0)
	flat_store_dwordx2 v[98:99], v[0:1]
	s_endpgm
	.section	.rodata,"a",@progbits
	.p2align	6, 0x0
	.amdhsa_kernel _ZN9rocsolver6v33100L18getri_kernel_smallILi26E19rocblas_complex_numIfEPKPS3_EEvT1_iilPiilS8_bb
		.amdhsa_group_segment_fixed_size 420
		.amdhsa_private_segment_fixed_size 224
		.amdhsa_kernarg_size 60
		.amdhsa_user_sgpr_count 2
		.amdhsa_user_sgpr_dispatch_ptr 0
		.amdhsa_user_sgpr_queue_ptr 0
		.amdhsa_user_sgpr_kernarg_segment_ptr 1
		.amdhsa_user_sgpr_dispatch_id 0
		.amdhsa_user_sgpr_kernarg_preload_length 0
		.amdhsa_user_sgpr_kernarg_preload_offset 0
		.amdhsa_user_sgpr_private_segment_size 0
		.amdhsa_uses_dynamic_stack 0
		.amdhsa_enable_private_segment 1
		.amdhsa_system_sgpr_workgroup_id_x 1
		.amdhsa_system_sgpr_workgroup_id_y 0
		.amdhsa_system_sgpr_workgroup_id_z 0
		.amdhsa_system_sgpr_workgroup_info 0
		.amdhsa_system_vgpr_workitem_id 0
		.amdhsa_next_free_vgpr 162
		.amdhsa_next_free_sgpr 17
		.amdhsa_accum_offset 164
		.amdhsa_reserve_vcc 1
		.amdhsa_float_round_mode_32 0
		.amdhsa_float_round_mode_16_64 0
		.amdhsa_float_denorm_mode_32 3
		.amdhsa_float_denorm_mode_16_64 3
		.amdhsa_dx10_clamp 1
		.amdhsa_ieee_mode 1
		.amdhsa_fp16_overflow 0
		.amdhsa_tg_split 0
		.amdhsa_exception_fp_ieee_invalid_op 0
		.amdhsa_exception_fp_denorm_src 0
		.amdhsa_exception_fp_ieee_div_zero 0
		.amdhsa_exception_fp_ieee_overflow 0
		.amdhsa_exception_fp_ieee_underflow 0
		.amdhsa_exception_fp_ieee_inexact 0
		.amdhsa_exception_int_div_zero 0
	.end_amdhsa_kernel
	.section	.text._ZN9rocsolver6v33100L18getri_kernel_smallILi26E19rocblas_complex_numIfEPKPS3_EEvT1_iilPiilS8_bb,"axG",@progbits,_ZN9rocsolver6v33100L18getri_kernel_smallILi26E19rocblas_complex_numIfEPKPS3_EEvT1_iilPiilS8_bb,comdat
.Lfunc_end89:
	.size	_ZN9rocsolver6v33100L18getri_kernel_smallILi26E19rocblas_complex_numIfEPKPS3_EEvT1_iilPiilS8_bb, .Lfunc_end89-_ZN9rocsolver6v33100L18getri_kernel_smallILi26E19rocblas_complex_numIfEPKPS3_EEvT1_iilPiilS8_bb
                                        ; -- End function
	.set _ZN9rocsolver6v33100L18getri_kernel_smallILi26E19rocblas_complex_numIfEPKPS3_EEvT1_iilPiilS8_bb.num_vgpr, 162
	.set _ZN9rocsolver6v33100L18getri_kernel_smallILi26E19rocblas_complex_numIfEPKPS3_EEvT1_iilPiilS8_bb.num_agpr, 0
	.set _ZN9rocsolver6v33100L18getri_kernel_smallILi26E19rocblas_complex_numIfEPKPS3_EEvT1_iilPiilS8_bb.numbered_sgpr, 17
	.set _ZN9rocsolver6v33100L18getri_kernel_smallILi26E19rocblas_complex_numIfEPKPS3_EEvT1_iilPiilS8_bb.num_named_barrier, 0
	.set _ZN9rocsolver6v33100L18getri_kernel_smallILi26E19rocblas_complex_numIfEPKPS3_EEvT1_iilPiilS8_bb.private_seg_size, 224
	.set _ZN9rocsolver6v33100L18getri_kernel_smallILi26E19rocblas_complex_numIfEPKPS3_EEvT1_iilPiilS8_bb.uses_vcc, 1
	.set _ZN9rocsolver6v33100L18getri_kernel_smallILi26E19rocblas_complex_numIfEPKPS3_EEvT1_iilPiilS8_bb.uses_flat_scratch, 0
	.set _ZN9rocsolver6v33100L18getri_kernel_smallILi26E19rocblas_complex_numIfEPKPS3_EEvT1_iilPiilS8_bb.has_dyn_sized_stack, 0
	.set _ZN9rocsolver6v33100L18getri_kernel_smallILi26E19rocblas_complex_numIfEPKPS3_EEvT1_iilPiilS8_bb.has_recursion, 0
	.set _ZN9rocsolver6v33100L18getri_kernel_smallILi26E19rocblas_complex_numIfEPKPS3_EEvT1_iilPiilS8_bb.has_indirect_call, 0
	.section	.AMDGPU.csdata,"",@progbits
; Kernel info:
; codeLenInByte = 26212
; TotalNumSgprs: 23
; NumVgprs: 162
; NumAgprs: 0
; TotalNumVgprs: 162
; ScratchSize: 224
; MemoryBound: 0
; FloatMode: 240
; IeeeMode: 1
; LDSByteSize: 420 bytes/workgroup (compile time only)
; SGPRBlocks: 2
; VGPRBlocks: 20
; NumSGPRsForWavesPerEU: 23
; NumVGPRsForWavesPerEU: 162
; AccumOffset: 164
; Occupancy: 3
; WaveLimiterHint : 1
; COMPUTE_PGM_RSRC2:SCRATCH_EN: 1
; COMPUTE_PGM_RSRC2:USER_SGPR: 2
; COMPUTE_PGM_RSRC2:TRAP_HANDLER: 0
; COMPUTE_PGM_RSRC2:TGID_X_EN: 1
; COMPUTE_PGM_RSRC2:TGID_Y_EN: 0
; COMPUTE_PGM_RSRC2:TGID_Z_EN: 0
; COMPUTE_PGM_RSRC2:TIDIG_COMP_CNT: 0
; COMPUTE_PGM_RSRC3_GFX90A:ACCUM_OFFSET: 40
; COMPUTE_PGM_RSRC3_GFX90A:TG_SPLIT: 0
	.section	.text._ZN9rocsolver6v33100L18getri_kernel_smallILi27E19rocblas_complex_numIfEPKPS3_EEvT1_iilPiilS8_bb,"axG",@progbits,_ZN9rocsolver6v33100L18getri_kernel_smallILi27E19rocblas_complex_numIfEPKPS3_EEvT1_iilPiilS8_bb,comdat
	.globl	_ZN9rocsolver6v33100L18getri_kernel_smallILi27E19rocblas_complex_numIfEPKPS3_EEvT1_iilPiilS8_bb ; -- Begin function _ZN9rocsolver6v33100L18getri_kernel_smallILi27E19rocblas_complex_numIfEPKPS3_EEvT1_iilPiilS8_bb
	.p2align	8
	.type	_ZN9rocsolver6v33100L18getri_kernel_smallILi27E19rocblas_complex_numIfEPKPS3_EEvT1_iilPiilS8_bb,@function
_ZN9rocsolver6v33100L18getri_kernel_smallILi27E19rocblas_complex_numIfEPKPS3_EEvT1_iilPiilS8_bb: ; @_ZN9rocsolver6v33100L18getri_kernel_smallILi27E19rocblas_complex_numIfEPKPS3_EEvT1_iilPiilS8_bb
; %bb.0:
	v_cmp_gt_u32_e32 vcc, 27, v0
	s_and_saveexec_b64 s[4:5], vcc
	s_cbranch_execz .LBB90_122
; %bb.1:
	s_load_dword s14, s[0:1], 0x38
	s_load_dwordx2 s[8:9], s[0:1], 0x0
	s_load_dwordx4 s[4:7], s[0:1], 0x28
	s_waitcnt lgkmcnt(0)
	s_bitcmp1_b32 s14, 8
	s_cselect_b64 s[10:11], -1, 0
	s_ashr_i32 s3, s2, 31
	s_lshl_b64 s[12:13], s[2:3], 3
	s_add_u32 s8, s8, s12
	s_addc_u32 s9, s9, s13
	s_load_dwordx2 s[12:13], s[8:9], 0x0
	s_bfe_u32 s8, s14, 0x10008
	s_cmp_eq_u32 s8, 0
                                        ; implicit-def: $sgpr8_sgpr9
	s_cbranch_scc1 .LBB90_3
; %bb.2:
	s_load_dword s8, s[0:1], 0x20
	s_load_dwordx2 s[14:15], s[0:1], 0x18
	s_mul_i32 s9, s4, s3
	s_mul_hi_u32 s16, s4, s2
	s_add_i32 s16, s16, s9
	s_mul_i32 s5, s5, s2
	s_add_i32 s5, s16, s5
	s_mul_i32 s4, s4, s2
	s_waitcnt lgkmcnt(0)
	s_ashr_i32 s9, s8, 31
	s_lshl_b64 s[4:5], s[4:5], 2
	s_add_u32 s14, s14, s4
	s_addc_u32 s15, s15, s5
	s_lshl_b64 s[4:5], s[8:9], 2
	s_add_u32 s8, s14, s4
	s_addc_u32 s9, s15, s5
.LBB90_3:
	s_load_dwordx2 s[4:5], s[0:1], 0x8
	s_load_dword s14, s[0:1], 0x38
	v_lshlrev_b32_e32 v2, 3, v0
	v_mov_b32_e32 v3, 0
	s_waitcnt lgkmcnt(0)
	s_ashr_i32 s1, s4, 31
	s_mov_b32 s0, s4
	s_lshl_b64 s[0:1], s[0:1], 3
	s_add_u32 s0, s12, s0
	s_addc_u32 s1, s13, s1
	v_lshl_add_u64 v[56:57], s[0:1], 0, v[2:3]
	flat_load_dwordx2 v[4:5], v[56:57]
	s_mov_b32 s12, s5
	s_ashr_i32 s13, s5, 31
	v_lshl_add_u64 v[58:59], s[12:13], 3, v[56:57]
	s_add_i32 s4, s5, s5
	v_add_u32_e32 v6, s4, v0
	v_ashrrev_i32_e32 v7, 31, v6
	v_lshl_add_u64 v[60:61], v[6:7], 3, s[0:1]
	v_add_u32_e32 v6, s5, v6
	v_ashrrev_i32_e32 v7, 31, v6
	v_lshl_add_u64 v[62:63], v[6:7], 3, s[0:1]
	;; [unrolled: 3-line block ×25, first 2 shown]
	s_waitcnt vmcnt(0) lgkmcnt(0)
	scratch_store_dwordx2 off, v[4:5], off
	flat_load_dwordx2 v[4:5], v[58:59]
	s_bitcmp0_b32 s14, 0
	s_mov_b64 s[4:5], -1
	s_waitcnt vmcnt(0) lgkmcnt(0)
	scratch_store_dwordx2 off, v[4:5], off offset:8
	flat_load_dwordx2 v[4:5], v[60:61]
	s_waitcnt vmcnt(0) lgkmcnt(0)
	scratch_store_dwordx2 off, v[4:5], off offset:16
	flat_load_dwordx2 v[4:5], v[62:63]
	;; [unrolled: 3-line block ×25, first 2 shown]
	s_waitcnt vmcnt(0) lgkmcnt(0)
	scratch_store_dwordx2 off, v[4:5], off offset:208
	s_cbranch_scc1 .LBB90_120
; %bb.4:
	v_cmp_eq_u32_e64 s[0:1], 0, v0
	s_and_saveexec_b64 s[4:5], s[0:1]
; %bb.5:
	v_mov_b32_e32 v1, 0
	ds_write_b32 v1, v1 offset:216
; %bb.6:
	s_or_b64 exec, exec, s[4:5]
	s_waitcnt lgkmcnt(0)
	; wave barrier
	scratch_load_dwordx2 v[4:5], v2, off
	s_waitcnt vmcnt(0)
	v_cmp_eq_f32_e32 vcc, 0, v4
	v_cmp_eq_f32_e64 s[4:5], 0, v5
	s_and_b64 s[4:5], vcc, s[4:5]
	s_and_saveexec_b64 s[12:13], s[4:5]
	s_cbranch_execz .LBB90_10
; %bb.7:
	v_mov_b32_e32 v1, 0
	ds_read_b32 v4, v1 offset:216
	v_add_u32_e32 v3, 1, v0
	s_waitcnt lgkmcnt(0)
	v_readfirstlane_b32 s4, v4
	s_cmp_eq_u32 s4, 0
	s_cselect_b64 s[14:15], -1, 0
	v_cmp_gt_i32_e32 vcc, s4, v3
	s_or_b64 s[14:15], s[14:15], vcc
	s_and_b64 exec, exec, s[14:15]
	s_cbranch_execz .LBB90_10
; %bb.8:
	s_mov_b64 s[14:15], 0
	v_mov_b32_e32 v4, s4
.LBB90_9:                               ; =>This Inner Loop Header: Depth=1
	ds_cmpst_rtn_b32 v4, v1, v4, v3 offset:216
	s_waitcnt lgkmcnt(0)
	v_cmp_ne_u32_e32 vcc, 0, v4
	v_cmp_le_i32_e64 s[4:5], v4, v3
	s_and_b64 s[4:5], vcc, s[4:5]
	s_and_b64 s[4:5], exec, s[4:5]
	s_or_b64 s[14:15], s[4:5], s[14:15]
	s_andn2_b64 exec, exec, s[14:15]
	s_cbranch_execnz .LBB90_9
.LBB90_10:
	s_or_b64 exec, exec, s[12:13]
	v_mov_b32_e32 v3, 0
	; wave barrier
	ds_read_b32 v1, v3 offset:216
	s_and_saveexec_b64 s[4:5], s[0:1]
	s_cbranch_execz .LBB90_12
; %bb.11:
	s_lshl_b64 s[12:13], s[2:3], 2
	s_add_u32 s12, s6, s12
	s_addc_u32 s13, s7, s13
	s_waitcnt lgkmcnt(0)
	global_store_dword v3, v1, s[12:13]
.LBB90_12:
	s_or_b64 exec, exec, s[4:5]
	s_waitcnt lgkmcnt(0)
	v_cmp_ne_u32_e32 vcc, 0, v1
	s_mov_b64 s[4:5], 0
	s_cbranch_vccnz .LBB90_120
; %bb.13:
	v_mov_b32_e32 v3, v2
	scratch_load_dwordx2 v[4:5], v3, off
                                        ; implicit-def: $vgpr7
                                        ; implicit-def: $vgpr8
	s_waitcnt vmcnt(0)
	v_cmp_ngt_f32_e64 s[4:5], |v4|, |v5|
	s_and_saveexec_b64 s[12:13], s[4:5]
	s_xor_b64 s[4:5], exec, s[12:13]
	s_cbranch_execz .LBB90_15
; %bb.14:
	v_div_scale_f32 v1, s[12:13], v5, v5, v4
	v_rcp_f32_e32 v6, v1
	v_div_scale_f32 v7, vcc, v4, v5, v4
	v_fma_f32 v8, -v1, v6, 1.0
	v_fmac_f32_e32 v6, v8, v6
	v_mul_f32_e32 v8, v7, v6
	v_fma_f32 v9, -v1, v8, v7
	v_fmac_f32_e32 v8, v9, v6
	v_fma_f32 v1, -v1, v8, v7
	v_div_fmas_f32 v1, v1, v6, v8
	v_div_fixup_f32 v1, v1, v5, v4
	v_fmac_f32_e32 v5, v4, v1
	v_div_scale_f32 v4, s[12:13], v5, v5, -1.0
	v_rcp_f32_e32 v6, v4
	s_nop 0
	v_fma_f32 v7, -v4, v6, 1.0
	v_fmac_f32_e32 v6, v7, v6
	v_div_scale_f32 v7, vcc, -1.0, v5, -1.0
	v_mul_f32_e32 v8, v7, v6
	v_fma_f32 v9, -v4, v8, v7
	v_fmac_f32_e32 v8, v9, v6
	v_fma_f32 v4, -v4, v8, v7
	v_div_fmas_f32 v4, v4, v6, v8
	v_div_fixup_f32 v7, v4, v5, -1.0
	v_mul_f32_e32 v8, v1, v7
	v_xor_b32_e32 v6, 0x80000000, v8
                                        ; implicit-def: $vgpr4_vgpr5
.LBB90_15:
	s_andn2_saveexec_b64 s[4:5], s[4:5]
	s_cbranch_execz .LBB90_17
; %bb.16:
	v_div_scale_f32 v1, s[12:13], v4, v4, v5
	v_rcp_f32_e32 v6, v1
	v_div_scale_f32 v7, vcc, v5, v4, v5
	v_fma_f32 v8, -v1, v6, 1.0
	v_fmac_f32_e32 v6, v8, v6
	v_mul_f32_e32 v8, v7, v6
	v_fma_f32 v9, -v1, v8, v7
	v_fmac_f32_e32 v8, v9, v6
	v_fma_f32 v1, -v1, v8, v7
	v_div_fmas_f32 v1, v1, v6, v8
	v_div_fixup_f32 v1, v1, v4, v5
	v_fmac_f32_e32 v4, v5, v1
	v_div_scale_f32 v5, s[12:13], v4, v4, 1.0
	v_rcp_f32_e32 v6, v5
	s_nop 0
	v_fma_f32 v7, -v5, v6, 1.0
	v_fmac_f32_e32 v6, v7, v6
	v_div_scale_f32 v7, vcc, 1.0, v4, 1.0
	v_mul_f32_e32 v8, v7, v6
	v_fma_f32 v9, -v5, v8, v7
	v_fmac_f32_e32 v8, v9, v6
	v_fma_f32 v5, -v5, v8, v7
	v_div_fmas_f32 v5, v5, v6, v8
	v_div_fixup_f32 v6, v5, v4, 1.0
	v_xor_b32_e32 v8, 0x80000000, v6
	v_mul_f32_e64 v7, v1, -v6
.LBB90_17:
	s_or_b64 exec, exec, s[4:5]
	scratch_store_dwordx2 v3, v[6:7], off
	scratch_load_dwordx2 v[4:5], off, off offset:8
	v_xor_b32_e32 v9, 0x80000000, v7
	v_add_u32_e32 v1, 0xe0, v2
	s_waitcnt vmcnt(0)
	ds_write2_b64 v2, v[8:9], v[4:5] offset1:28
	s_waitcnt lgkmcnt(0)
	; wave barrier
	s_and_saveexec_b64 s[4:5], s[0:1]
	s_cbranch_execz .LBB90_19
; %bb.18:
	scratch_load_dwordx2 v[4:5], v3, off
	ds_read_b64 v[6:7], v1
	v_mov_b32_e32 v8, 0
	ds_read_b64 v[8:9], v8 offset:8
	s_waitcnt vmcnt(0) lgkmcnt(1)
	v_pk_mul_f32 v[10:11], v[6:7], v[4:5] op_sel:[1,1] op_sel_hi:[0,1]
	v_pk_fma_f32 v[12:13], v[6:7], v[4:5], v[10:11] neg_lo:[0,0,1] neg_hi:[0,0,1]
	v_pk_fma_f32 v[4:5], v[6:7], v[4:5], v[10:11] op_sel_hi:[1,0,1]
	s_nop 0
	v_mov_b32_e32 v13, v5
	v_pk_add_f32 v[4:5], v[12:13], 0 op_sel_hi:[1,0]
	s_waitcnt lgkmcnt(0)
	v_pk_mul_f32 v[6:7], v[4:5], v[8:9] op_sel:[1,1] op_sel_hi:[0,1]
	v_pk_fma_f32 v[10:11], v[4:5], v[8:9], v[6:7] neg_lo:[0,0,1] neg_hi:[0,0,1]
	v_pk_fma_f32 v[4:5], v[4:5], v[8:9], v[6:7] op_sel_hi:[1,0,1]
	s_nop 0
	v_mov_b32_e32 v11, v5
	scratch_store_dwordx2 off, v[10:11], off offset:8
.LBB90_19:
	s_or_b64 exec, exec, s[4:5]
	; wave barrier
	scratch_load_dwordx2 v[4:5], off, off offset:16
	v_cmp_gt_u32_e32 vcc, 2, v0
	s_waitcnt vmcnt(0)
	ds_write_b64 v1, v[4:5]
	s_waitcnt lgkmcnt(0)
	; wave barrier
	s_and_saveexec_b64 s[4:5], vcc
	s_cbranch_execz .LBB90_23
; %bb.20:
	scratch_load_dwordx2 v[4:5], v3, off
	ds_read_b64 v[6:7], v1
	s_waitcnt vmcnt(0) lgkmcnt(0)
	v_pk_mul_f32 v[8:9], v[6:7], v[4:5] op_sel:[1,1] op_sel_hi:[0,1]
	v_pk_fma_f32 v[10:11], v[6:7], v[4:5], v[8:9] neg_lo:[0,0,1] neg_hi:[0,0,1]
	v_pk_fma_f32 v[4:5], v[6:7], v[4:5], v[8:9] op_sel_hi:[1,0,1]
	s_nop 0
	v_mov_b32_e32 v11, v5
	v_pk_add_f32 v[4:5], v[10:11], 0 op_sel_hi:[1,0]
	s_and_saveexec_b64 s[12:13], s[0:1]
	s_cbranch_execz .LBB90_22
; %bb.21:
	scratch_load_dwordx2 v[6:7], off, off offset:8
	v_mov_b32_e32 v3, 0
	ds_read_b64 v[8:9], v3 offset:232
	s_waitcnt vmcnt(0) lgkmcnt(0)
	v_pk_mul_f32 v[10:11], v[8:9], v[6:7] op_sel:[1,1] op_sel_hi:[0,1]
	v_pk_fma_f32 v[12:13], v[8:9], v[6:7], v[10:11] neg_lo:[0,0,1] neg_hi:[0,0,1]
	v_pk_fma_f32 v[6:7], v[8:9], v[6:7], v[10:11] op_sel_hi:[1,0,1]
	s_nop 0
	v_mov_b32_e32 v13, v7
	v_pk_add_f32 v[4:5], v[4:5], v[12:13]
.LBB90_22:
	s_or_b64 exec, exec, s[12:13]
	v_mov_b32_e32 v3, 0
	ds_read_b64 v[6:7], v3 offset:16
	s_waitcnt lgkmcnt(0)
	v_pk_mul_f32 v[8:9], v[4:5], v[6:7] op_sel:[1,1] op_sel_hi:[0,1]
	v_pk_fma_f32 v[10:11], v[4:5], v[6:7], v[8:9] neg_lo:[0,0,1] neg_hi:[0,0,1]
	v_pk_fma_f32 v[4:5], v[4:5], v[6:7], v[8:9] op_sel_hi:[1,0,1]
	s_nop 0
	v_mov_b32_e32 v11, v5
	scratch_store_dwordx2 off, v[10:11], off offset:16
.LBB90_23:
	s_or_b64 exec, exec, s[4:5]
	; wave barrier
	scratch_load_dwordx2 v[4:5], off, off offset:24
	v_cmp_gt_u32_e32 vcc, 3, v0
	v_add_u32_e32 v6, -1, v0
	s_waitcnt vmcnt(0)
	ds_write_b64 v1, v[4:5]
	s_waitcnt lgkmcnt(0)
	; wave barrier
	s_and_saveexec_b64 s[0:1], vcc
	s_cbranch_execz .LBB90_27
; %bb.24:
	v_mov_b32_e32 v4, 0
	v_add_u32_e32 v3, -1, v0
	v_add_u32_e32 v7, 0xe0, v2
	v_mov_b32_e32 v8, v2
	s_mov_b64 s[4:5], 0
	v_mov_b32_e32 v5, v4
.LBB90_25:                              ; =>This Inner Loop Header: Depth=1
	scratch_load_dwordx2 v[10:11], v8, off
	ds_read_b64 v[12:13], v7
	v_add_u32_e32 v3, 1, v3
	v_cmp_lt_u32_e32 vcc, 1, v3
	v_add_u32_e32 v7, 8, v7
	v_add_u32_e32 v8, 8, v8
	s_or_b64 s[4:5], vcc, s[4:5]
	s_waitcnt vmcnt(0) lgkmcnt(0)
	v_pk_mul_f32 v[14:15], v[12:13], v[10:11] op_sel:[1,1] op_sel_hi:[0,1]
	v_pk_fma_f32 v[16:17], v[12:13], v[10:11], v[14:15] neg_lo:[0,0,1] neg_hi:[0,0,1]
	v_pk_fma_f32 v[10:11], v[12:13], v[10:11], v[14:15] op_sel_hi:[1,0,1]
	s_nop 0
	v_mov_b32_e32 v17, v11
	v_pk_add_f32 v[4:5], v[4:5], v[16:17]
	s_andn2_b64 exec, exec, s[4:5]
	s_cbranch_execnz .LBB90_25
; %bb.26:
	s_or_b64 exec, exec, s[4:5]
	v_mov_b32_e32 v3, 0
	ds_read_b64 v[8:9], v3 offset:24
	s_waitcnt lgkmcnt(0)
	v_pk_mul_f32 v[10:11], v[4:5], v[8:9] op_sel:[1,1] op_sel_hi:[0,1]
	v_pk_fma_f32 v[12:13], v[4:5], v[8:9], v[10:11] neg_lo:[0,0,1] neg_hi:[0,0,1]
	v_pk_fma_f32 v[4:5], v[4:5], v[8:9], v[10:11] op_sel_hi:[1,0,1]
	s_nop 0
	v_mov_b32_e32 v13, v5
	scratch_store_dwordx2 off, v[12:13], off offset:24
.LBB90_27:
	s_or_b64 exec, exec, s[0:1]
	; wave barrier
	scratch_load_dwordx2 v[4:5], off, off offset:32
	v_cmp_gt_u32_e32 vcc, 4, v0
	s_waitcnt vmcnt(0)
	ds_write_b64 v1, v[4:5]
	s_waitcnt lgkmcnt(0)
	; wave barrier
	s_and_saveexec_b64 s[0:1], vcc
	s_cbranch_execz .LBB90_31
; %bb.28:
	v_mov_b32_e32 v4, 0
	v_add_u32_e32 v3, -1, v0
	v_add_u32_e32 v7, 0xe0, v2
	v_mov_b32_e32 v8, v2
	s_mov_b64 s[4:5], 0
	v_mov_b32_e32 v5, v4
.LBB90_29:                              ; =>This Inner Loop Header: Depth=1
	scratch_load_dwordx2 v[10:11], v8, off
	ds_read_b64 v[12:13], v7
	v_add_u32_e32 v3, 1, v3
	v_cmp_lt_u32_e32 vcc, 2, v3
	v_add_u32_e32 v7, 8, v7
	v_add_u32_e32 v8, 8, v8
	s_or_b64 s[4:5], vcc, s[4:5]
	s_waitcnt vmcnt(0) lgkmcnt(0)
	v_pk_mul_f32 v[14:15], v[12:13], v[10:11] op_sel:[1,1] op_sel_hi:[0,1]
	v_pk_fma_f32 v[16:17], v[12:13], v[10:11], v[14:15] neg_lo:[0,0,1] neg_hi:[0,0,1]
	v_pk_fma_f32 v[10:11], v[12:13], v[10:11], v[14:15] op_sel_hi:[1,0,1]
	s_nop 0
	v_mov_b32_e32 v17, v11
	v_pk_add_f32 v[4:5], v[4:5], v[16:17]
	s_andn2_b64 exec, exec, s[4:5]
	s_cbranch_execnz .LBB90_29
; %bb.30:
	s_or_b64 exec, exec, s[4:5]
	v_mov_b32_e32 v3, 0
	ds_read_b64 v[8:9], v3 offset:32
	s_waitcnt lgkmcnt(0)
	v_pk_mul_f32 v[10:11], v[4:5], v[8:9] op_sel:[1,1] op_sel_hi:[0,1]
	v_pk_fma_f32 v[12:13], v[4:5], v[8:9], v[10:11] neg_lo:[0,0,1] neg_hi:[0,0,1]
	v_pk_fma_f32 v[4:5], v[4:5], v[8:9], v[10:11] op_sel_hi:[1,0,1]
	s_nop 0
	v_mov_b32_e32 v13, v5
	scratch_store_dwordx2 off, v[12:13], off offset:32
.LBB90_31:
	s_or_b64 exec, exec, s[0:1]
	; wave barrier
	scratch_load_dwordx2 v[4:5], off, off offset:40
	v_cmp_gt_u32_e32 vcc, 5, v0
	;; [unrolled: 46-line block ×19, first 2 shown]
	s_waitcnt vmcnt(0)
	ds_write_b64 v1, v[4:5]
	s_waitcnt lgkmcnt(0)
	; wave barrier
	s_and_saveexec_b64 s[0:1], vcc
	s_cbranch_execz .LBB90_103
; %bb.100:
	v_mov_b32_e32 v4, 0
	v_add_u32_e32 v3, -1, v0
	v_add_u32_e32 v7, 0xe0, v2
	v_mov_b32_e32 v8, v2
	s_mov_b64 s[4:5], 0
	v_mov_b32_e32 v5, v4
.LBB90_101:                             ; =>This Inner Loop Header: Depth=1
	scratch_load_dwordx2 v[10:11], v8, off
	ds_read_b64 v[12:13], v7
	v_add_u32_e32 v3, 1, v3
	v_cmp_lt_u32_e32 vcc, 20, v3
	v_add_u32_e32 v7, 8, v7
	v_add_u32_e32 v8, 8, v8
	s_or_b64 s[4:5], vcc, s[4:5]
	s_waitcnt vmcnt(0) lgkmcnt(0)
	v_pk_mul_f32 v[14:15], v[12:13], v[10:11] op_sel:[1,1] op_sel_hi:[0,1]
	v_pk_fma_f32 v[16:17], v[12:13], v[10:11], v[14:15] neg_lo:[0,0,1] neg_hi:[0,0,1]
	v_pk_fma_f32 v[10:11], v[12:13], v[10:11], v[14:15] op_sel_hi:[1,0,1]
	s_nop 0
	v_mov_b32_e32 v17, v11
	v_pk_add_f32 v[4:5], v[4:5], v[16:17]
	s_andn2_b64 exec, exec, s[4:5]
	s_cbranch_execnz .LBB90_101
; %bb.102:
	s_or_b64 exec, exec, s[4:5]
	v_mov_b32_e32 v3, 0
	ds_read_b64 v[8:9], v3 offset:176
	s_waitcnt lgkmcnt(0)
	v_pk_mul_f32 v[10:11], v[4:5], v[8:9] op_sel:[1,1] op_sel_hi:[0,1]
	v_pk_fma_f32 v[12:13], v[4:5], v[8:9], v[10:11] neg_lo:[0,0,1] neg_hi:[0,0,1]
	v_pk_fma_f32 v[4:5], v[4:5], v[8:9], v[10:11] op_sel_hi:[1,0,1]
	s_nop 0
	v_mov_b32_e32 v13, v5
	scratch_store_dwordx2 off, v[12:13], off offset:176
.LBB90_103:
	s_or_b64 exec, exec, s[0:1]
	; wave barrier
	scratch_load_dwordx2 v[4:5], off, off offset:184
	v_cmp_gt_u32_e32 vcc, 23, v0
	s_waitcnt vmcnt(0)
	ds_write_b64 v1, v[4:5]
	s_waitcnt lgkmcnt(0)
	; wave barrier
	s_and_saveexec_b64 s[0:1], vcc
	s_cbranch_execz .LBB90_107
; %bb.104:
	v_mov_b32_e32 v4, 0
	v_add_u32_e32 v3, -1, v0
	v_add_u32_e32 v7, 0xe0, v2
	v_mov_b32_e32 v8, v2
	s_mov_b64 s[4:5], 0
	v_mov_b32_e32 v5, v4
.LBB90_105:                             ; =>This Inner Loop Header: Depth=1
	scratch_load_dwordx2 v[10:11], v8, off
	ds_read_b64 v[12:13], v7
	v_add_u32_e32 v3, 1, v3
	v_cmp_lt_u32_e32 vcc, 21, v3
	v_add_u32_e32 v7, 8, v7
	v_add_u32_e32 v8, 8, v8
	s_or_b64 s[4:5], vcc, s[4:5]
	s_waitcnt vmcnt(0) lgkmcnt(0)
	v_pk_mul_f32 v[14:15], v[12:13], v[10:11] op_sel:[1,1] op_sel_hi:[0,1]
	v_pk_fma_f32 v[16:17], v[12:13], v[10:11], v[14:15] neg_lo:[0,0,1] neg_hi:[0,0,1]
	v_pk_fma_f32 v[10:11], v[12:13], v[10:11], v[14:15] op_sel_hi:[1,0,1]
	s_nop 0
	v_mov_b32_e32 v17, v11
	v_pk_add_f32 v[4:5], v[4:5], v[16:17]
	s_andn2_b64 exec, exec, s[4:5]
	s_cbranch_execnz .LBB90_105
; %bb.106:
	s_or_b64 exec, exec, s[4:5]
	v_mov_b32_e32 v3, 0
	ds_read_b64 v[8:9], v3 offset:184
	s_waitcnt lgkmcnt(0)
	v_pk_mul_f32 v[10:11], v[4:5], v[8:9] op_sel:[1,1] op_sel_hi:[0,1]
	v_pk_fma_f32 v[12:13], v[4:5], v[8:9], v[10:11] neg_lo:[0,0,1] neg_hi:[0,0,1]
	v_pk_fma_f32 v[4:5], v[4:5], v[8:9], v[10:11] op_sel_hi:[1,0,1]
	s_nop 0
	v_mov_b32_e32 v13, v5
	scratch_store_dwordx2 off, v[12:13], off offset:184
.LBB90_107:
	s_or_b64 exec, exec, s[0:1]
	; wave barrier
	scratch_load_dwordx2 v[4:5], off, off offset:192
	v_cmp_gt_u32_e32 vcc, 24, v0
	;; [unrolled: 46-line block ×3, first 2 shown]
	s_waitcnt vmcnt(0)
	ds_write_b64 v1, v[4:5]
	s_waitcnt lgkmcnt(0)
	; wave barrier
	s_and_saveexec_b64 s[0:1], vcc
	s_cbranch_execz .LBB90_115
; %bb.112:
	v_mov_b32_e32 v4, 0
	v_add_u32_e32 v3, -1, v0
	v_add_u32_e32 v7, 0xe0, v2
	v_mov_b32_e32 v8, v2
	s_mov_b64 s[4:5], 0
	v_mov_b32_e32 v5, v4
.LBB90_113:                             ; =>This Inner Loop Header: Depth=1
	scratch_load_dwordx2 v[10:11], v8, off
	ds_read_b64 v[12:13], v7
	v_add_u32_e32 v3, 1, v3
	v_cmp_lt_u32_e32 vcc, 23, v3
	v_add_u32_e32 v7, 8, v7
	v_add_u32_e32 v8, 8, v8
	s_or_b64 s[4:5], vcc, s[4:5]
	s_waitcnt vmcnt(0) lgkmcnt(0)
	v_pk_mul_f32 v[14:15], v[12:13], v[10:11] op_sel:[1,1] op_sel_hi:[0,1]
	v_pk_fma_f32 v[16:17], v[12:13], v[10:11], v[14:15] neg_lo:[0,0,1] neg_hi:[0,0,1]
	v_pk_fma_f32 v[10:11], v[12:13], v[10:11], v[14:15] op_sel_hi:[1,0,1]
	s_nop 0
	v_mov_b32_e32 v17, v11
	v_pk_add_f32 v[4:5], v[4:5], v[16:17]
	s_andn2_b64 exec, exec, s[4:5]
	s_cbranch_execnz .LBB90_113
; %bb.114:
	s_or_b64 exec, exec, s[4:5]
	v_mov_b32_e32 v3, 0
	ds_read_b64 v[8:9], v3 offset:200
	s_waitcnt lgkmcnt(0)
	v_pk_mul_f32 v[10:11], v[4:5], v[8:9] op_sel:[1,1] op_sel_hi:[0,1]
	v_pk_fma_f32 v[12:13], v[4:5], v[8:9], v[10:11] neg_lo:[0,0,1] neg_hi:[0,0,1]
	v_pk_fma_f32 v[4:5], v[4:5], v[8:9], v[10:11] op_sel_hi:[1,0,1]
	s_nop 0
	v_mov_b32_e32 v13, v5
	scratch_store_dwordx2 off, v[12:13], off offset:200
.LBB90_115:
	s_or_b64 exec, exec, s[0:1]
	; wave barrier
	scratch_load_dwordx2 v[4:5], off, off offset:208
	v_cmp_ne_u32_e32 vcc, 26, v0
	s_waitcnt vmcnt(0)
	ds_write_b64 v1, v[4:5]
	s_waitcnt lgkmcnt(0)
	; wave barrier
	s_and_saveexec_b64 s[0:1], vcc
	s_cbranch_execz .LBB90_119
; %bb.116:
	v_add_u32_e32 v1, 0xe0, v2
	v_mov_b32_e32 v4, v2
	v_mov_b32_e32 v2, 0
	s_mov_b64 s[4:5], 0
	v_mov_b32_e32 v3, v2
.LBB90_117:                             ; =>This Inner Loop Header: Depth=1
	scratch_load_dwordx2 v[8:9], v4, off
	ds_read_b64 v[10:11], v1
	v_add_u32_e32 v6, 1, v6
	v_cmp_lt_u32_e32 vcc, 24, v6
	v_add_u32_e32 v1, 8, v1
	v_add_u32_e32 v4, 8, v4
	s_or_b64 s[4:5], vcc, s[4:5]
	s_waitcnt vmcnt(0) lgkmcnt(0)
	v_pk_mul_f32 v[12:13], v[10:11], v[8:9] op_sel:[1,1] op_sel_hi:[0,1]
	v_pk_fma_f32 v[14:15], v[10:11], v[8:9], v[12:13] neg_lo:[0,0,1] neg_hi:[0,0,1]
	v_pk_fma_f32 v[8:9], v[10:11], v[8:9], v[12:13] op_sel_hi:[1,0,1]
	s_nop 0
	v_mov_b32_e32 v15, v9
	v_pk_add_f32 v[2:3], v[2:3], v[14:15]
	s_andn2_b64 exec, exec, s[4:5]
	s_cbranch_execnz .LBB90_117
; %bb.118:
	s_or_b64 exec, exec, s[4:5]
	v_mov_b32_e32 v1, 0
	ds_read_b64 v[4:5], v1 offset:208
	s_waitcnt lgkmcnt(0)
	v_pk_mul_f32 v[6:7], v[2:3], v[4:5] op_sel:[1,1] op_sel_hi:[0,1]
	v_pk_fma_f32 v[8:9], v[2:3], v[4:5], v[6:7] neg_lo:[0,0,1] neg_hi:[0,0,1]
	v_pk_fma_f32 v[2:3], v[2:3], v[4:5], v[6:7] op_sel_hi:[1,0,1]
	s_nop 0
	v_mov_b32_e32 v9, v3
	scratch_store_dwordx2 off, v[8:9], off offset:208
.LBB90_119:
	s_or_b64 exec, exec, s[0:1]
	s_mov_b64 s[4:5], -1
	; wave barrier
.LBB90_120:
	s_and_b64 vcc, exec, s[4:5]
	s_cbranch_vccz .LBB90_122
; %bb.121:
	s_lshl_b64 s[0:1], s[2:3], 2
	s_add_u32 s0, s6, s0
	s_addc_u32 s1, s7, s1
	v_mov_b32_e32 v1, 0
	global_load_dword v1, v1, s[0:1]
	s_waitcnt vmcnt(0)
	v_cmp_ne_u32_e32 vcc, 0, v1
	s_cbranch_vccz .LBB90_123
.LBB90_122:
	s_endpgm
.LBB90_123:
	v_mov_b32_e32 v1, 0xe0
	v_lshl_add_u32 v1, v0, 3, v1
	v_cmp_eq_u32_e32 vcc, 26, v0
	s_and_saveexec_b64 s[0:1], vcc
	s_cbranch_execz .LBB90_125
; %bb.124:
	scratch_load_dwordx2 v[2:3], off, off offset:200
	v_mov_b32_e32 v4, 0
	v_mov_b32_e32 v5, v4
	scratch_store_dwordx2 off, v[4:5], off offset:200
	s_waitcnt vmcnt(1)
	ds_write_b64 v1, v[2:3]
.LBB90_125:
	s_or_b64 exec, exec, s[0:1]
	s_waitcnt lgkmcnt(0)
	; wave barrier
	scratch_load_dwordx2 v[4:5], off, off offset:208
	scratch_load_dwordx2 v[6:7], off, off offset:200
	v_mov_b32_e32 v2, 0
	ds_read_b64 v[8:9], v2 offset:432
	v_cmp_lt_u32_e32 vcc, 24, v0
	s_waitcnt vmcnt(1) lgkmcnt(0)
	v_pk_mul_f32 v[10:11], v[8:9], v[4:5] op_sel:[1,1] op_sel_hi:[0,1]
	v_pk_fma_f32 v[12:13], v[8:9], v[4:5], v[10:11] neg_lo:[0,0,1] neg_hi:[0,0,1]
	v_pk_fma_f32 v[4:5], v[8:9], v[4:5], v[10:11] op_sel_hi:[1,0,1]
	s_nop 0
	v_mov_b32_e32 v13, v5
	v_pk_add_f32 v[4:5], v[12:13], 0 op_sel_hi:[1,0]
	s_waitcnt vmcnt(0)
	v_pk_add_f32 v[4:5], v[6:7], v[4:5] neg_lo:[0,1] neg_hi:[0,1]
	scratch_store_dwordx2 off, v[4:5], off offset:200
	s_and_saveexec_b64 s[0:1], vcc
	s_cbranch_execz .LBB90_127
; %bb.126:
	scratch_load_dwordx2 v[4:5], off, off offset:192
	v_mov_b32_e32 v3, v2
	scratch_store_dwordx2 off, v[2:3], off offset:192
	s_waitcnt vmcnt(1)
	ds_write_b64 v1, v[4:5]
.LBB90_127:
	s_or_b64 exec, exec, s[0:1]
	s_waitcnt lgkmcnt(0)
	; wave barrier
	scratch_load_dwordx4 v[4:7], off, off offset:200
	scratch_load_dwordx2 v[12:13], off, off offset:192
	ds_read2_b64 v[8:11], v2 offset0:53 offset1:54
	v_cmp_lt_u32_e32 vcc, 23, v0
	s_waitcnt vmcnt(1) lgkmcnt(0)
	v_pk_mul_f32 v[2:3], v[8:9], v[4:5] op_sel:[1,1] op_sel_hi:[0,1]
	v_mov_b32_e32 v14, v7
	v_pk_fma_f32 v[16:17], v[8:9], v[4:5], v[2:3] neg_lo:[0,0,1] neg_hi:[0,0,1]
	v_pk_fma_f32 v[2:3], v[8:9], v[4:5], v[2:3] op_sel_hi:[1,0,1]
	v_pk_mul_f32 v[4:5], v[10:11], v[14:15] op_sel:[1,0] op_sel_hi:[0,0]
	v_mov_b32_e32 v17, v3
	v_pk_fma_f32 v[2:3], v[10:11], v[6:7], v[4:5] neg_lo:[0,0,1] neg_hi:[0,0,1]
	v_pk_fma_f32 v[4:5], v[10:11], v[6:7], v[4:5] op_sel_hi:[1,0,1]
	v_pk_add_f32 v[6:7], v[16:17], 0 op_sel_hi:[1,0]
	v_mov_b32_e32 v3, v5
	v_pk_add_f32 v[2:3], v[6:7], v[2:3]
	s_waitcnt vmcnt(0)
	v_pk_add_f32 v[2:3], v[12:13], v[2:3] neg_lo:[0,1] neg_hi:[0,1]
	scratch_store_dwordx2 off, v[2:3], off offset:192
	s_and_saveexec_b64 s[0:1], vcc
	s_cbranch_execz .LBB90_129
; %bb.128:
	scratch_load_dwordx2 v[2:3], off, off offset:184
	v_mov_b32_e32 v4, 0
	v_mov_b32_e32 v5, v4
	scratch_store_dwordx2 off, v[4:5], off offset:184
	s_waitcnt vmcnt(1)
	ds_write_b64 v1, v[2:3]
.LBB90_129:
	s_or_b64 exec, exec, s[0:1]
	s_waitcnt lgkmcnt(0)
	; wave barrier
	scratch_load_dwordx4 v[4:7], off, off offset:192
	scratch_load_dwordx2 v[12:13], off, off offset:208
	scratch_load_dwordx2 v[14:15], off, off offset:184
	v_mov_b32_e32 v2, 0
	ds_read_b128 v[8:11], v2 offset:416
	ds_read_b64 v[16:17], v2 offset:432
	v_cmp_lt_u32_e32 vcc, 22, v0
	s_waitcnt vmcnt(2) lgkmcnt(1)
	v_pk_mul_f32 v[18:19], v[8:9], v[4:5] op_sel:[1,1] op_sel_hi:[0,1]
	v_mov_b32_e32 v20, v7
	v_pk_fma_f32 v[24:25], v[8:9], v[4:5], v[18:19] neg_lo:[0,0,1] neg_hi:[0,0,1]
	v_pk_fma_f32 v[4:5], v[8:9], v[4:5], v[18:19] op_sel_hi:[1,0,1]
	v_pk_mul_f32 v[8:9], v[10:11], v[20:21] op_sel:[1,0] op_sel_hi:[0,0]
	s_waitcnt vmcnt(1) lgkmcnt(0)
	v_pk_mul_f32 v[22:23], v[16:17], v[12:13] op_sel:[1,1] op_sel_hi:[0,1]
	v_mov_b32_e32 v25, v5
	v_pk_fma_f32 v[4:5], v[10:11], v[6:7], v[8:9] neg_lo:[0,0,1] neg_hi:[0,0,1]
	v_pk_fma_f32 v[6:7], v[10:11], v[6:7], v[8:9] op_sel_hi:[1,0,1]
	v_pk_fma_f32 v[18:19], v[16:17], v[12:13], v[22:23] neg_lo:[0,0,1] neg_hi:[0,0,1]
	v_pk_fma_f32 v[12:13], v[16:17], v[12:13], v[22:23] op_sel_hi:[1,0,1]
	v_pk_add_f32 v[8:9], v[24:25], 0 op_sel_hi:[1,0]
	v_mov_b32_e32 v5, v7
	v_mov_b32_e32 v19, v13
	v_pk_add_f32 v[4:5], v[8:9], v[4:5]
	s_nop 0
	v_pk_add_f32 v[4:5], v[4:5], v[18:19]
	s_waitcnt vmcnt(0)
	v_pk_add_f32 v[4:5], v[14:15], v[4:5] neg_lo:[0,1] neg_hi:[0,1]
	scratch_store_dwordx2 off, v[4:5], off offset:184
	s_and_saveexec_b64 s[0:1], vcc
	s_cbranch_execz .LBB90_131
; %bb.130:
	scratch_load_dwordx2 v[4:5], off, off offset:176
	v_mov_b32_e32 v3, v2
	scratch_store_dwordx2 off, v[2:3], off offset:176
	s_waitcnt vmcnt(1)
	ds_write_b64 v1, v[4:5]
.LBB90_131:
	s_or_b64 exec, exec, s[0:1]
	s_waitcnt lgkmcnt(0)
	; wave barrier
	scratch_load_dwordx4 v[4:7], off, off offset:184
	scratch_load_dwordx4 v[8:11], off, off offset:200
	scratch_load_dwordx2 v[20:21], off, off offset:176
	ds_read2_b64 v[12:15], v2 offset0:51 offset1:52
	ds_read2_b64 v[16:19], v2 offset0:53 offset1:54
	v_cmp_lt_u32_e32 vcc, 21, v0
	s_waitcnt vmcnt(2) lgkmcnt(1)
	v_pk_mul_f32 v[2:3], v[12:13], v[4:5] op_sel:[1,1] op_sel_hi:[0,1]
	v_mov_b32_e32 v22, v7
	s_waitcnt vmcnt(1) lgkmcnt(0)
	v_pk_mul_f32 v[24:25], v[16:17], v[8:9] op_sel:[1,1] op_sel_hi:[0,1]
	v_mov_b32_e32 v26, v11
	v_pk_fma_f32 v[28:29], v[12:13], v[4:5], v[2:3] neg_lo:[0,0,1] neg_hi:[0,0,1]
	v_pk_fma_f32 v[2:3], v[12:13], v[4:5], v[2:3] op_sel_hi:[1,0,1]
	v_pk_mul_f32 v[4:5], v[14:15], v[22:23] op_sel:[1,0] op_sel_hi:[0,0]
	v_pk_fma_f32 v[12:13], v[16:17], v[8:9], v[24:25] neg_lo:[0,0,1] neg_hi:[0,0,1]
	v_pk_fma_f32 v[8:9], v[16:17], v[8:9], v[24:25] op_sel_hi:[1,0,1]
	v_pk_mul_f32 v[16:17], v[18:19], v[26:27] op_sel:[1,0] op_sel_hi:[0,0]
	v_mov_b32_e32 v29, v3
	v_pk_fma_f32 v[2:3], v[14:15], v[6:7], v[4:5] neg_lo:[0,0,1] neg_hi:[0,0,1]
	v_pk_fma_f32 v[4:5], v[14:15], v[6:7], v[4:5] op_sel_hi:[1,0,1]
	v_mov_b32_e32 v13, v9
	v_pk_fma_f32 v[6:7], v[18:19], v[10:11], v[16:17] neg_lo:[0,0,1] neg_hi:[0,0,1]
	v_pk_fma_f32 v[8:9], v[18:19], v[10:11], v[16:17] op_sel_hi:[1,0,1]
	v_pk_add_f32 v[10:11], v[28:29], 0 op_sel_hi:[1,0]
	v_mov_b32_e32 v3, v5
	v_pk_add_f32 v[2:3], v[10:11], v[2:3]
	v_mov_b32_e32 v7, v9
	v_pk_add_f32 v[2:3], v[2:3], v[12:13]
	s_nop 0
	v_pk_add_f32 v[2:3], v[2:3], v[6:7]
	s_waitcnt vmcnt(0)
	v_pk_add_f32 v[2:3], v[20:21], v[2:3] neg_lo:[0,1] neg_hi:[0,1]
	scratch_store_dwordx2 off, v[2:3], off offset:176
	s_and_saveexec_b64 s[0:1], vcc
	s_cbranch_execz .LBB90_133
; %bb.132:
	scratch_load_dwordx2 v[2:3], off, off offset:168
	v_mov_b32_e32 v4, 0
	v_mov_b32_e32 v5, v4
	scratch_store_dwordx2 off, v[4:5], off offset:168
	s_waitcnt vmcnt(1)
	ds_write_b64 v1, v[2:3]
.LBB90_133:
	s_or_b64 exec, exec, s[0:1]
	s_waitcnt lgkmcnt(0)
	; wave barrier
	scratch_load_dwordx4 v[4:7], off, off offset:176
	scratch_load_dwordx4 v[8:11], off, off offset:192
	scratch_load_dwordx2 v[20:21], off, off offset:208
	scratch_load_dwordx2 v[22:23], off, off offset:168
	v_mov_b32_e32 v2, 0
	ds_read_b128 v[12:15], v2 offset:400
	ds_read_b128 v[16:19], v2 offset:416
	ds_read_b64 v[24:25], v2 offset:432
	v_cmp_lt_u32_e32 vcc, 20, v0
	s_waitcnt vmcnt(3) lgkmcnt(2)
	v_pk_mul_f32 v[26:27], v[12:13], v[4:5] op_sel:[1,1] op_sel_hi:[0,1]
	v_mov_b32_e32 v28, v7
	v_pk_fma_f32 v[36:37], v[12:13], v[4:5], v[26:27] neg_lo:[0,0,1] neg_hi:[0,0,1]
	v_pk_fma_f32 v[4:5], v[12:13], v[4:5], v[26:27] op_sel_hi:[1,0,1]
	v_pk_mul_f32 v[12:13], v[14:15], v[28:29] op_sel:[1,0] op_sel_hi:[0,0]
	s_waitcnt vmcnt(2) lgkmcnt(1)
	v_pk_mul_f32 v[30:31], v[16:17], v[8:9] op_sel:[1,1] op_sel_hi:[0,1]
	v_mov_b32_e32 v32, v11
	v_mov_b32_e32 v37, v5
	v_pk_fma_f32 v[4:5], v[14:15], v[6:7], v[12:13] neg_lo:[0,0,1] neg_hi:[0,0,1]
	v_pk_fma_f32 v[6:7], v[14:15], v[6:7], v[12:13] op_sel_hi:[1,0,1]
	v_pk_fma_f32 v[26:27], v[16:17], v[8:9], v[30:31] neg_lo:[0,0,1] neg_hi:[0,0,1]
	v_pk_fma_f32 v[8:9], v[16:17], v[8:9], v[30:31] op_sel_hi:[1,0,1]
	v_pk_mul_f32 v[16:17], v[18:19], v[32:33] op_sel:[1,0] op_sel_hi:[0,0]
	v_pk_add_f32 v[12:13], v[36:37], 0 op_sel_hi:[1,0]
	v_mov_b32_e32 v5, v7
	s_waitcnt vmcnt(1) lgkmcnt(0)
	v_pk_mul_f32 v[34:35], v[24:25], v[20:21] op_sel:[1,1] op_sel_hi:[0,1]
	v_mov_b32_e32 v27, v9
	v_pk_fma_f32 v[8:9], v[18:19], v[10:11], v[16:17] neg_lo:[0,0,1] neg_hi:[0,0,1]
	v_pk_fma_f32 v[10:11], v[18:19], v[10:11], v[16:17] op_sel_hi:[1,0,1]
	v_pk_add_f32 v[4:5], v[12:13], v[4:5]
	v_pk_fma_f32 v[28:29], v[24:25], v[20:21], v[34:35] neg_lo:[0,0,1] neg_hi:[0,0,1]
	v_pk_fma_f32 v[20:21], v[24:25], v[20:21], v[34:35] op_sel_hi:[1,0,1]
	v_mov_b32_e32 v9, v11
	v_pk_add_f32 v[4:5], v[4:5], v[26:27]
	v_mov_b32_e32 v29, v21
	v_pk_add_f32 v[4:5], v[4:5], v[8:9]
	s_nop 0
	v_pk_add_f32 v[4:5], v[4:5], v[28:29]
	s_waitcnt vmcnt(0)
	v_pk_add_f32 v[4:5], v[22:23], v[4:5] neg_lo:[0,1] neg_hi:[0,1]
	scratch_store_dwordx2 off, v[4:5], off offset:168
	s_and_saveexec_b64 s[0:1], vcc
	s_cbranch_execz .LBB90_135
; %bb.134:
	scratch_load_dwordx2 v[4:5], off, off offset:160
	v_mov_b32_e32 v3, v2
	scratch_store_dwordx2 off, v[2:3], off offset:160
	s_waitcnt vmcnt(1)
	ds_write_b64 v1, v[4:5]
.LBB90_135:
	s_or_b64 exec, exec, s[0:1]
	s_waitcnt lgkmcnt(0)
	; wave barrier
	scratch_load_dwordx4 v[4:7], off, off offset:168
	scratch_load_dwordx4 v[8:11], off, off offset:184
	;; [unrolled: 1-line block ×3, first 2 shown]
	scratch_load_dwordx2 v[28:29], off, off offset:160
	ds_read2_b64 v[16:19], v2 offset0:49 offset1:50
	ds_read2_b64 v[20:23], v2 offset0:51 offset1:52
	;; [unrolled: 1-line block ×3, first 2 shown]
	v_cmp_lt_u32_e32 vcc, 19, v0
	s_waitcnt vmcnt(3) lgkmcnt(2)
	v_pk_mul_f32 v[2:3], v[16:17], v[4:5] op_sel:[1,1] op_sel_hi:[0,1]
	v_mov_b32_e32 v30, v7
	s_waitcnt vmcnt(2) lgkmcnt(1)
	v_pk_mul_f32 v[32:33], v[20:21], v[8:9] op_sel:[1,1] op_sel_hi:[0,1]
	v_mov_b32_e32 v34, v11
	s_waitcnt vmcnt(1) lgkmcnt(0)
	v_pk_mul_f32 v[36:37], v[24:25], v[12:13] op_sel:[1,1] op_sel_hi:[0,1]
	v_mov_b32_e32 v38, v15
	v_pk_fma_f32 v[40:41], v[16:17], v[4:5], v[2:3] neg_lo:[0,0,1] neg_hi:[0,0,1]
	v_pk_fma_f32 v[2:3], v[16:17], v[4:5], v[2:3] op_sel_hi:[1,0,1]
	v_pk_mul_f32 v[4:5], v[18:19], v[30:31] op_sel:[1,0] op_sel_hi:[0,0]
	v_pk_fma_f32 v[16:17], v[20:21], v[8:9], v[32:33] neg_lo:[0,0,1] neg_hi:[0,0,1]
	v_pk_fma_f32 v[8:9], v[20:21], v[8:9], v[32:33] op_sel_hi:[1,0,1]
	v_pk_mul_f32 v[20:21], v[22:23], v[34:35] op_sel:[1,0] op_sel_hi:[0,0]
	v_pk_fma_f32 v[30:31], v[24:25], v[12:13], v[36:37] neg_lo:[0,0,1] neg_hi:[0,0,1]
	v_pk_fma_f32 v[12:13], v[24:25], v[12:13], v[36:37] op_sel_hi:[1,0,1]
	v_pk_mul_f32 v[24:25], v[26:27], v[38:39] op_sel:[1,0] op_sel_hi:[0,0]
	v_mov_b32_e32 v41, v3
	v_pk_fma_f32 v[2:3], v[18:19], v[6:7], v[4:5] neg_lo:[0,0,1] neg_hi:[0,0,1]
	v_pk_fma_f32 v[4:5], v[18:19], v[6:7], v[4:5] op_sel_hi:[1,0,1]
	v_mov_b32_e32 v17, v9
	v_pk_fma_f32 v[6:7], v[22:23], v[10:11], v[20:21] neg_lo:[0,0,1] neg_hi:[0,0,1]
	v_pk_fma_f32 v[8:9], v[22:23], v[10:11], v[20:21] op_sel_hi:[1,0,1]
	;; [unrolled: 3-line block ×3, first 2 shown]
	v_pk_add_f32 v[14:15], v[40:41], 0 op_sel_hi:[1,0]
	v_mov_b32_e32 v3, v5
	v_pk_add_f32 v[2:3], v[14:15], v[2:3]
	v_mov_b32_e32 v7, v9
	v_pk_add_f32 v[2:3], v[2:3], v[16:17]
	;; [unrolled: 2-line block ×3, first 2 shown]
	s_nop 0
	v_pk_add_f32 v[2:3], v[2:3], v[30:31]
	s_nop 0
	v_pk_add_f32 v[2:3], v[2:3], v[10:11]
	s_waitcnt vmcnt(0)
	v_pk_add_f32 v[2:3], v[28:29], v[2:3] neg_lo:[0,1] neg_hi:[0,1]
	scratch_store_dwordx2 off, v[2:3], off offset:160
	s_and_saveexec_b64 s[0:1], vcc
	s_cbranch_execz .LBB90_137
; %bb.136:
	scratch_load_dwordx2 v[2:3], off, off offset:152
	v_mov_b32_e32 v4, 0
	v_mov_b32_e32 v5, v4
	scratch_store_dwordx2 off, v[4:5], off offset:152
	s_waitcnt vmcnt(1)
	ds_write_b64 v1, v[2:3]
.LBB90_137:
	s_or_b64 exec, exec, s[0:1]
	s_waitcnt lgkmcnt(0)
	; wave barrier
	scratch_load_dwordx4 v[4:7], off, off offset:160
	scratch_load_dwordx4 v[8:11], off, off offset:176
	;; [unrolled: 1-line block ×3, first 2 shown]
	scratch_load_dwordx2 v[28:29], off, off offset:208
	scratch_load_dwordx2 v[30:31], off, off offset:152
	v_mov_b32_e32 v2, 0
	ds_read_b128 v[16:19], v2 offset:384
	ds_read_b128 v[20:23], v2 offset:400
	;; [unrolled: 1-line block ×3, first 2 shown]
	ds_read_b64 v[32:33], v2 offset:432
	v_cmp_lt_u32_e32 vcc, 18, v0
	s_waitcnt vmcnt(4) lgkmcnt(3)
	v_pk_mul_f32 v[34:35], v[16:17], v[4:5] op_sel:[1,1] op_sel_hi:[0,1]
	v_mov_b32_e32 v36, v7
	v_pk_fma_f32 v[48:49], v[16:17], v[4:5], v[34:35] neg_lo:[0,0,1] neg_hi:[0,0,1]
	v_pk_fma_f32 v[4:5], v[16:17], v[4:5], v[34:35] op_sel_hi:[1,0,1]
	v_pk_mul_f32 v[16:17], v[18:19], v[36:37] op_sel:[1,0] op_sel_hi:[0,0]
	s_waitcnt vmcnt(3) lgkmcnt(2)
	v_pk_mul_f32 v[38:39], v[20:21], v[8:9] op_sel:[1,1] op_sel_hi:[0,1]
	v_mov_b32_e32 v40, v11
	v_mov_b32_e32 v49, v5
	v_pk_fma_f32 v[4:5], v[18:19], v[6:7], v[16:17] neg_lo:[0,0,1] neg_hi:[0,0,1]
	v_pk_fma_f32 v[6:7], v[18:19], v[6:7], v[16:17] op_sel_hi:[1,0,1]
	v_pk_fma_f32 v[34:35], v[20:21], v[8:9], v[38:39] neg_lo:[0,0,1] neg_hi:[0,0,1]
	v_pk_fma_f32 v[8:9], v[20:21], v[8:9], v[38:39] op_sel_hi:[1,0,1]
	v_pk_mul_f32 v[20:21], v[22:23], v[40:41] op_sel:[1,0] op_sel_hi:[0,0]
	v_pk_add_f32 v[16:17], v[48:49], 0 op_sel_hi:[1,0]
	v_mov_b32_e32 v5, v7
	s_waitcnt vmcnt(2) lgkmcnt(1)
	v_pk_mul_f32 v[42:43], v[24:25], v[12:13] op_sel:[1,1] op_sel_hi:[0,1]
	v_mov_b32_e32 v44, v15
	v_mov_b32_e32 v35, v9
	v_pk_fma_f32 v[8:9], v[22:23], v[10:11], v[20:21] neg_lo:[0,0,1] neg_hi:[0,0,1]
	v_pk_fma_f32 v[10:11], v[22:23], v[10:11], v[20:21] op_sel_hi:[1,0,1]
	v_pk_add_f32 v[4:5], v[16:17], v[4:5]
	v_pk_fma_f32 v[36:37], v[24:25], v[12:13], v[42:43] neg_lo:[0,0,1] neg_hi:[0,0,1]
	v_pk_fma_f32 v[12:13], v[24:25], v[12:13], v[42:43] op_sel_hi:[1,0,1]
	v_pk_mul_f32 v[24:25], v[26:27], v[44:45] op_sel:[1,0] op_sel_hi:[0,0]
	v_mov_b32_e32 v9, v11
	v_pk_add_f32 v[4:5], v[4:5], v[34:35]
	s_waitcnt vmcnt(1) lgkmcnt(0)
	v_pk_mul_f32 v[46:47], v[32:33], v[28:29] op_sel:[1,1] op_sel_hi:[0,1]
	v_mov_b32_e32 v37, v13
	v_pk_fma_f32 v[12:13], v[26:27], v[14:15], v[24:25] neg_lo:[0,0,1] neg_hi:[0,0,1]
	v_pk_fma_f32 v[14:15], v[26:27], v[14:15], v[24:25] op_sel_hi:[1,0,1]
	v_pk_add_f32 v[4:5], v[4:5], v[8:9]
	v_pk_fma_f32 v[38:39], v[32:33], v[28:29], v[46:47] neg_lo:[0,0,1] neg_hi:[0,0,1]
	v_pk_fma_f32 v[28:29], v[32:33], v[28:29], v[46:47] op_sel_hi:[1,0,1]
	v_mov_b32_e32 v13, v15
	v_pk_add_f32 v[4:5], v[4:5], v[36:37]
	v_mov_b32_e32 v39, v29
	v_pk_add_f32 v[4:5], v[4:5], v[12:13]
	s_nop 0
	v_pk_add_f32 v[4:5], v[4:5], v[38:39]
	s_waitcnt vmcnt(0)
	v_pk_add_f32 v[4:5], v[30:31], v[4:5] neg_lo:[0,1] neg_hi:[0,1]
	scratch_store_dwordx2 off, v[4:5], off offset:152
	s_and_saveexec_b64 s[0:1], vcc
	s_cbranch_execz .LBB90_139
; %bb.138:
	scratch_load_dwordx2 v[4:5], off, off offset:144
	v_mov_b32_e32 v3, v2
	scratch_store_dwordx2 off, v[2:3], off offset:144
	s_waitcnt vmcnt(1)
	ds_write_b64 v1, v[4:5]
.LBB90_139:
	s_or_b64 exec, exec, s[0:1]
	s_waitcnt lgkmcnt(0)
	; wave barrier
	scratch_load_dwordx4 v[4:7], off, off offset:152
	scratch_load_dwordx4 v[8:11], off, off offset:168
	;; [unrolled: 1-line block ×4, first 2 shown]
	scratch_load_dwordx2 v[36:37], off, off offset:144
	ds_read2_b64 v[20:23], v2 offset0:47 offset1:48
	ds_read2_b64 v[24:27], v2 offset0:49 offset1:50
	;; [unrolled: 1-line block ×4, first 2 shown]
	v_cmp_lt_u32_e32 vcc, 17, v0
	s_waitcnt vmcnt(4) lgkmcnt(3)
	v_pk_mul_f32 v[2:3], v[20:21], v[4:5] op_sel:[1,1] op_sel_hi:[0,1]
	v_mov_b32_e32 v38, v7
	s_waitcnt vmcnt(3) lgkmcnt(2)
	v_pk_mul_f32 v[40:41], v[24:25], v[8:9] op_sel:[1,1] op_sel_hi:[0,1]
	v_mov_b32_e32 v42, v11
	;; [unrolled: 3-line block ×4, first 2 shown]
	v_pk_fma_f32 v[52:53], v[20:21], v[4:5], v[2:3] neg_lo:[0,0,1] neg_hi:[0,0,1]
	v_pk_fma_f32 v[2:3], v[20:21], v[4:5], v[2:3] op_sel_hi:[1,0,1]
	v_pk_mul_f32 v[4:5], v[22:23], v[38:39] op_sel:[1,0] op_sel_hi:[0,0]
	v_pk_fma_f32 v[20:21], v[24:25], v[8:9], v[40:41] neg_lo:[0,0,1] neg_hi:[0,0,1]
	v_pk_fma_f32 v[8:9], v[24:25], v[8:9], v[40:41] op_sel_hi:[1,0,1]
	v_pk_mul_f32 v[24:25], v[26:27], v[42:43] op_sel:[1,0] op_sel_hi:[0,0]
	;; [unrolled: 3-line block ×4, first 2 shown]
	v_mov_b32_e32 v53, v3
	v_pk_fma_f32 v[2:3], v[22:23], v[6:7], v[4:5] neg_lo:[0,0,1] neg_hi:[0,0,1]
	v_pk_fma_f32 v[4:5], v[22:23], v[6:7], v[4:5] op_sel_hi:[1,0,1]
	v_mov_b32_e32 v21, v9
	v_pk_fma_f32 v[6:7], v[26:27], v[10:11], v[24:25] neg_lo:[0,0,1] neg_hi:[0,0,1]
	v_pk_fma_f32 v[8:9], v[26:27], v[10:11], v[24:25] op_sel_hi:[1,0,1]
	;; [unrolled: 3-line block ×4, first 2 shown]
	v_pk_add_f32 v[18:19], v[52:53], 0 op_sel_hi:[1,0]
	v_mov_b32_e32 v3, v5
	v_pk_add_f32 v[2:3], v[18:19], v[2:3]
	v_mov_b32_e32 v7, v9
	v_pk_add_f32 v[2:3], v[2:3], v[20:21]
	;; [unrolled: 2-line block ×4, first 2 shown]
	s_nop 0
	v_pk_add_f32 v[2:3], v[2:3], v[10:11]
	s_nop 0
	v_pk_add_f32 v[2:3], v[2:3], v[40:41]
	;; [unrolled: 2-line block ×3, first 2 shown]
	s_waitcnt vmcnt(0)
	v_pk_add_f32 v[2:3], v[36:37], v[2:3] neg_lo:[0,1] neg_hi:[0,1]
	scratch_store_dwordx2 off, v[2:3], off offset:144
	s_and_saveexec_b64 s[0:1], vcc
	s_cbranch_execz .LBB90_141
; %bb.140:
	scratch_load_dwordx2 v[2:3], off, off offset:136
	v_mov_b32_e32 v4, 0
	v_mov_b32_e32 v5, v4
	scratch_store_dwordx2 off, v[4:5], off offset:136
	s_waitcnt vmcnt(1)
	ds_write_b64 v1, v[2:3]
.LBB90_141:
	s_or_b64 exec, exec, s[0:1]
	s_waitcnt lgkmcnt(0)
	; wave barrier
	scratch_load_dwordx4 v[4:7], off, off offset:144
	scratch_load_dwordx4 v[8:11], off, off offset:160
	;; [unrolled: 1-line block ×4, first 2 shown]
	scratch_load_dwordx2 v[36:37], off, off offset:208
	scratch_load_dwordx2 v[38:39], off, off offset:136
	v_mov_b32_e32 v2, 0
	ds_read_b128 v[20:23], v2 offset:368
	ds_read_b128 v[24:27], v2 offset:384
	;; [unrolled: 1-line block ×4, first 2 shown]
	ds_read_b64 v[40:41], v2 offset:432
	v_cmp_lt_u32_e32 vcc, 16, v0
	s_waitcnt vmcnt(5) lgkmcnt(4)
	v_mul_f32_e32 v43, v20, v5
	v_mul_f32_e32 v3, v21, v5
	v_mov_b32_e32 v44, v7
	s_waitcnt vmcnt(4) lgkmcnt(3)
	v_pk_mul_f32 v[46:47], v[24:25], v[8:9] op_sel:[1,1] op_sel_hi:[0,1]
	v_mov_b32_e32 v48, v11
	s_waitcnt vmcnt(1) lgkmcnt(0)
	v_pk_mul_f32 v[112:113], v[40:41], v[36:37] op_sel:[1,1] op_sel_hi:[0,1]
	v_fmac_f32_e32 v43, v21, v4
	v_fma_f32 v42, v20, v4, -v3
	v_pk_mul_f32 v[4:5], v[22:23], v[44:45] op_sel:[1,0] op_sel_hi:[0,0]
	v_pk_fma_f32 v[20:21], v[24:25], v[8:9], v[46:47] neg_lo:[0,0,1] neg_hi:[0,0,1]
	v_pk_fma_f32 v[8:9], v[24:25], v[8:9], v[46:47] op_sel_hi:[1,0,1]
	v_pk_mul_f32 v[24:25], v[26:27], v[48:49] op_sel:[1,0] op_sel_hi:[0,0]
	v_pk_fma_f32 v[48:49], v[40:41], v[36:37], v[112:113] neg_lo:[0,0,1] neg_hi:[0,0,1]
	v_pk_fma_f32 v[36:37], v[40:41], v[36:37], v[112:113] op_sel_hi:[1,0,1]
	v_pk_add_f32 v[40:41], v[42:43], 0 op_sel_hi:[1,0]
	v_pk_fma_f32 v[42:43], v[22:23], v[6:7], v[4:5] neg_lo:[0,0,1] neg_hi:[0,0,1]
	v_pk_fma_f32 v[4:5], v[22:23], v[6:7], v[4:5] op_sel_hi:[1,0,1]
	v_pk_mul_f32 v[50:51], v[28:29], v[12:13] op_sel:[1,1] op_sel_hi:[0,1]
	v_mov_b32_e32 v43, v5
	v_mov_b32_e32 v52, v15
	;; [unrolled: 1-line block ×3, first 2 shown]
	v_pk_fma_f32 v[6:7], v[26:27], v[10:11], v[24:25] neg_lo:[0,0,1] neg_hi:[0,0,1]
	v_pk_fma_f32 v[8:9], v[26:27], v[10:11], v[24:25] op_sel_hi:[1,0,1]
	v_pk_add_f32 v[4:5], v[40:41], v[42:43]
	v_pk_fma_f32 v[44:45], v[28:29], v[12:13], v[50:51] neg_lo:[0,0,1] neg_hi:[0,0,1]
	v_pk_fma_f32 v[12:13], v[28:29], v[12:13], v[50:51] op_sel_hi:[1,0,1]
	v_pk_mul_f32 v[28:29], v[30:31], v[52:53] op_sel:[1,0] op_sel_hi:[0,0]
	v_mov_b32_e32 v7, v9
	v_pk_add_f32 v[4:5], v[4:5], v[20:21]
	v_pk_mul_f32 v[54:55], v[32:33], v[16:17] op_sel:[1,1] op_sel_hi:[0,1]
	v_mov_b32_e32 v110, v19
	v_mov_b32_e32 v45, v13
	v_pk_fma_f32 v[10:11], v[30:31], v[14:15], v[28:29] neg_lo:[0,0,1] neg_hi:[0,0,1]
	v_pk_fma_f32 v[12:13], v[30:31], v[14:15], v[28:29] op_sel_hi:[1,0,1]
	v_pk_add_f32 v[4:5], v[4:5], v[6:7]
	v_pk_fma_f32 v[46:47], v[32:33], v[16:17], v[54:55] neg_lo:[0,0,1] neg_hi:[0,0,1]
	v_pk_fma_f32 v[16:17], v[32:33], v[16:17], v[54:55] op_sel_hi:[1,0,1]
	v_pk_mul_f32 v[32:33], v[34:35], v[110:111] op_sel:[1,0] op_sel_hi:[0,0]
	v_mov_b32_e32 v11, v13
	v_pk_add_f32 v[4:5], v[4:5], v[44:45]
	v_mov_b32_e32 v47, v17
	v_pk_fma_f32 v[14:15], v[34:35], v[18:19], v[32:33] neg_lo:[0,0,1] neg_hi:[0,0,1]
	v_pk_fma_f32 v[16:17], v[34:35], v[18:19], v[32:33] op_sel_hi:[1,0,1]
	v_pk_add_f32 v[4:5], v[4:5], v[10:11]
	v_mov_b32_e32 v15, v17
	v_pk_add_f32 v[4:5], v[4:5], v[46:47]
	v_mov_b32_e32 v49, v37
	v_pk_add_f32 v[4:5], v[4:5], v[14:15]
	s_nop 0
	v_pk_add_f32 v[4:5], v[4:5], v[48:49]
	s_waitcnt vmcnt(0)
	v_pk_add_f32 v[4:5], v[38:39], v[4:5] neg_lo:[0,1] neg_hi:[0,1]
	scratch_store_dwordx2 off, v[4:5], off offset:136
	s_and_saveexec_b64 s[0:1], vcc
	s_cbranch_execz .LBB90_143
; %bb.142:
	scratch_load_dwordx2 v[4:5], off, off offset:128
	v_mov_b32_e32 v3, v2
	scratch_store_dwordx2 off, v[2:3], off offset:128
	s_waitcnt vmcnt(1)
	ds_write_b64 v1, v[4:5]
.LBB90_143:
	s_or_b64 exec, exec, s[0:1]
	s_waitcnt lgkmcnt(0)
	; wave barrier
	scratch_load_dwordx4 v[4:7], off, off offset:136
	scratch_load_dwordx4 v[8:11], off, off offset:152
	;; [unrolled: 1-line block ×5, first 2 shown]
	scratch_load_dwordx2 v[44:45], off, off offset:128
	ds_read2_b64 v[24:27], v2 offset0:45 offset1:46
	ds_read2_b64 v[28:31], v2 offset0:47 offset1:48
	;; [unrolled: 1-line block ×5, first 2 shown]
	v_cmp_lt_u32_e32 vcc, 15, v0
	s_waitcnt vmcnt(5) lgkmcnt(4)
	v_mul_f32_e32 v3, v24, v5
	v_mul_f32_e32 v2, v25, v5
	;; [unrolled: 1-line block ×4, first 2 shown]
	s_waitcnt vmcnt(4) lgkmcnt(3)
	v_pk_mul_f32 v[48:49], v[28:29], v[8:9] op_sel:[1,1] op_sel_hi:[0,1]
	v_mov_b32_e32 v50, v11
	v_fmac_f32_e32 v3, v25, v4
	v_fma_f32 v2, v24, v4, -v2
	v_fmac_f32_e32 v47, v27, v6
	v_fma_f32 v46, v26, v6, -v5
	v_pk_fma_f32 v[4:5], v[28:29], v[8:9], v[48:49] neg_lo:[0,0,1] neg_hi:[0,0,1]
	v_pk_fma_f32 v[6:7], v[28:29], v[8:9], v[48:49] op_sel_hi:[1,0,1]
	v_pk_mul_f32 v[8:9], v[30:31], v[50:51] op_sel:[1,0] op_sel_hi:[0,0]
	v_pk_add_f32 v[2:3], v[2:3], 0 op_sel_hi:[1,0]
	s_waitcnt vmcnt(3) lgkmcnt(2)
	v_pk_mul_f32 v[52:53], v[32:33], v[12:13] op_sel:[1,1] op_sel_hi:[0,1]
	v_mov_b32_e32 v54, v15
	v_mov_b32_e32 v5, v7
	v_pk_fma_f32 v[6:7], v[30:31], v[10:11], v[8:9] neg_lo:[0,0,1] neg_hi:[0,0,1]
	v_pk_fma_f32 v[8:9], v[30:31], v[10:11], v[8:9] op_sel_hi:[1,0,1]
	v_pk_add_f32 v[2:3], v[2:3], v[46:47]
	v_pk_fma_f32 v[24:25], v[32:33], v[12:13], v[52:53] neg_lo:[0,0,1] neg_hi:[0,0,1]
	v_pk_fma_f32 v[12:13], v[32:33], v[12:13], v[52:53] op_sel_hi:[1,0,1]
	v_pk_mul_f32 v[26:27], v[34:35], v[54:55] op_sel:[1,0] op_sel_hi:[0,0]
	v_mov_b32_e32 v7, v9
	v_pk_add_f32 v[2:3], v[2:3], v[4:5]
	s_waitcnt vmcnt(2) lgkmcnt(1)
	v_pk_mul_f32 v[110:111], v[36:37], v[16:17] op_sel:[1,1] op_sel_hi:[0,1]
	v_mov_b32_e32 v112, v19
	v_mov_b32_e32 v25, v13
	v_pk_fma_f32 v[10:11], v[34:35], v[14:15], v[26:27] neg_lo:[0,0,1] neg_hi:[0,0,1]
	v_pk_fma_f32 v[12:13], v[34:35], v[14:15], v[26:27] op_sel_hi:[1,0,1]
	v_pk_add_f32 v[2:3], v[2:3], v[6:7]
	v_pk_fma_f32 v[28:29], v[36:37], v[16:17], v[110:111] neg_lo:[0,0,1] neg_hi:[0,0,1]
	v_pk_fma_f32 v[16:17], v[36:37], v[16:17], v[110:111] op_sel_hi:[1,0,1]
	v_pk_mul_f32 v[32:33], v[38:39], v[112:113] op_sel:[1,0] op_sel_hi:[0,0]
	v_mov_b32_e32 v11, v13
	v_pk_add_f32 v[2:3], v[2:3], v[24:25]
	;; [unrolled: 12-line block ×3, first 2 shown]
	v_mov_b32_e32 v37, v21
	v_pk_fma_f32 v[18:19], v[42:43], v[22:23], v[40:41] neg_lo:[0,0,1] neg_hi:[0,0,1]
	v_pk_fma_f32 v[20:21], v[42:43], v[22:23], v[40:41] op_sel_hi:[1,0,1]
	v_pk_add_f32 v[2:3], v[2:3], v[14:15]
	v_mov_b32_e32 v19, v21
	v_pk_add_f32 v[2:3], v[2:3], v[36:37]
	s_nop 0
	v_pk_add_f32 v[2:3], v[2:3], v[18:19]
	s_waitcnt vmcnt(0)
	v_pk_add_f32 v[2:3], v[44:45], v[2:3] neg_lo:[0,1] neg_hi:[0,1]
	scratch_store_dwordx2 off, v[2:3], off offset:128
	s_and_saveexec_b64 s[0:1], vcc
	s_cbranch_execz .LBB90_145
; %bb.144:
	scratch_load_dwordx2 v[2:3], off, off offset:120
	v_mov_b32_e32 v4, 0
	v_mov_b32_e32 v5, v4
	scratch_store_dwordx2 off, v[4:5], off offset:120
	s_waitcnt vmcnt(1)
	ds_write_b64 v1, v[2:3]
.LBB90_145:
	s_or_b64 exec, exec, s[0:1]
	s_waitcnt lgkmcnt(0)
	; wave barrier
	scratch_load_dwordx4 v[4:7], off, off offset:128
	scratch_load_dwordx4 v[8:11], off, off offset:144
	;; [unrolled: 1-line block ×5, first 2 shown]
	scratch_load_dwordx2 v[44:45], off, off offset:208
	scratch_load_dwordx2 v[46:47], off, off offset:120
	v_mov_b32_e32 v2, 0
	ds_read_b128 v[24:27], v2 offset:352
	ds_read_b128 v[28:31], v2 offset:368
	;; [unrolled: 1-line block ×5, first 2 shown]
	ds_read_b64 v[48:49], v2 offset:432
	v_cmp_lt_u32_e32 vcc, 14, v0
	s_waitcnt vmcnt(6) lgkmcnt(5)
	v_mul_f32_e32 v3, v24, v5
	v_mul_f32_e32 v5, v25, v5
	;; [unrolled: 1-line block ×3, first 2 shown]
	s_waitcnt vmcnt(5) lgkmcnt(4)
	v_mul_f32_e32 v53, v28, v9
	v_mul_f32_e32 v7, v27, v7
	;; [unrolled: 1-line block ×3, first 2 shown]
	v_mov_b32_e32 v54, v11
	s_waitcnt vmcnt(3) lgkmcnt(2)
	v_pk_mul_f32 v[114:115], v[36:37], v[16:17] op_sel:[1,1] op_sel_hi:[0,1]
	s_waitcnt vmcnt(2) lgkmcnt(1)
	v_pk_mul_f32 v[118:119], v[40:41], v[20:21] op_sel:[1,1] op_sel_hi:[0,1]
	;; [unrolled: 2-line block ×3, first 2 shown]
	v_fmac_f32_e32 v3, v25, v4
	v_fma_f32 v55, v24, v4, -v5
	v_fmac_f32_e32 v51, v27, v6
	v_fmac_f32_e32 v53, v29, v8
	v_fma_f32 v50, v26, v6, -v7
	v_fma_f32 v52, v28, v8, -v9
	v_pk_mul_f32 v[4:5], v[30:31], v[54:55] op_sel:[1,0] op_sel_hi:[0,0]
	v_pk_fma_f32 v[24:25], v[36:37], v[16:17], v[114:115] neg_lo:[0,0,1] neg_hi:[0,0,1]
	v_pk_fma_f32 v[16:17], v[36:37], v[16:17], v[114:115] op_sel_hi:[1,0,1]
	v_pk_fma_f32 v[28:29], v[40:41], v[20:21], v[118:119] neg_lo:[0,0,1] neg_hi:[0,0,1]
	v_pk_fma_f32 v[20:21], v[40:41], v[20:21], v[118:119] op_sel_hi:[1,0,1]
	v_pk_fma_f32 v[36:37], v[48:49], v[44:45], v[122:123] neg_lo:[0,0,1] neg_hi:[0,0,1]
	v_pk_fma_f32 v[40:41], v[48:49], v[44:45], v[122:123] op_sel_hi:[1,0,1]
	v_add_f32_e32 v45, 0, v3
	v_add_f32_e32 v44, 0, v55
	v_pk_mul_f32 v[110:111], v[32:33], v[12:13] op_sel:[1,1] op_sel_hi:[0,1]
	v_mov_b32_e32 v112, v15
	v_pk_fma_f32 v[48:49], v[30:31], v[10:11], v[4:5] neg_lo:[0,0,1] neg_hi:[0,0,1]
	v_pk_fma_f32 v[4:5], v[30:31], v[10:11], v[4:5] op_sel_hi:[1,0,1]
	v_mov_b32_e32 v29, v21
	v_pk_add_f32 v[20:21], v[44:45], v[50:51]
	v_pk_fma_f32 v[6:7], v[32:33], v[12:13], v[110:111] neg_lo:[0,0,1] neg_hi:[0,0,1]
	v_pk_fma_f32 v[8:9], v[32:33], v[12:13], v[110:111] op_sel_hi:[1,0,1]
	v_pk_mul_f32 v[12:13], v[34:35], v[112:113] op_sel:[1,0] op_sel_hi:[0,0]
	v_mov_b32_e32 v49, v5
	v_pk_add_f32 v[4:5], v[20:21], v[52:53]
	v_mov_b32_e32 v116, v19
	v_mov_b32_e32 v7, v9
	v_pk_fma_f32 v[8:9], v[34:35], v[14:15], v[12:13] neg_lo:[0,0,1] neg_hi:[0,0,1]
	v_pk_fma_f32 v[10:11], v[34:35], v[14:15], v[12:13] op_sel_hi:[1,0,1]
	v_pk_add_f32 v[4:5], v[4:5], v[48:49]
	v_pk_mul_f32 v[26:27], v[38:39], v[116:117] op_sel:[1,0] op_sel_hi:[0,0]
	v_mov_b32_e32 v9, v11
	v_pk_add_f32 v[4:5], v[4:5], v[6:7]
	v_mov_b32_e32 v120, v23
	v_mov_b32_e32 v25, v17
	v_pk_fma_f32 v[12:13], v[38:39], v[18:19], v[26:27] neg_lo:[0,0,1] neg_hi:[0,0,1]
	v_pk_fma_f32 v[14:15], v[38:39], v[18:19], v[26:27] op_sel_hi:[1,0,1]
	v_pk_add_f32 v[4:5], v[4:5], v[8:9]
	v_pk_mul_f32 v[32:33], v[42:43], v[120:121] op_sel:[1,0] op_sel_hi:[0,0]
	v_mov_b32_e32 v13, v15
	v_pk_add_f32 v[4:5], v[4:5], v[24:25]
	v_pk_fma_f32 v[16:17], v[42:43], v[22:23], v[32:33] neg_lo:[0,0,1] neg_hi:[0,0,1]
	v_pk_fma_f32 v[18:19], v[42:43], v[22:23], v[32:33] op_sel_hi:[1,0,1]
	v_pk_add_f32 v[4:5], v[4:5], v[12:13]
	v_mov_b32_e32 v17, v19
	v_pk_add_f32 v[4:5], v[4:5], v[28:29]
	v_mov_b32_e32 v37, v41
	v_pk_add_f32 v[4:5], v[4:5], v[16:17]
	s_nop 0
	v_pk_add_f32 v[4:5], v[4:5], v[36:37]
	s_waitcnt vmcnt(0)
	v_pk_add_f32 v[4:5], v[46:47], v[4:5] neg_lo:[0,1] neg_hi:[0,1]
	scratch_store_dwordx2 off, v[4:5], off offset:120
	s_and_saveexec_b64 s[0:1], vcc
	s_cbranch_execz .LBB90_147
; %bb.146:
	scratch_load_dwordx2 v[4:5], off, off offset:112
	v_mov_b32_e32 v3, v2
	scratch_store_dwordx2 off, v[2:3], off offset:112
	s_waitcnt vmcnt(1)
	ds_write_b64 v1, v[4:5]
.LBB90_147:
	s_or_b64 exec, exec, s[0:1]
	s_waitcnt lgkmcnt(0)
	; wave barrier
	scratch_load_dwordx4 v[4:7], off, off offset:120
	scratch_load_dwordx4 v[8:11], off, off offset:136
	;; [unrolled: 1-line block ×6, first 2 shown]
	scratch_load_dwordx2 v[52:53], off, off offset:112
	ds_read2_b64 v[28:31], v2 offset0:43 offset1:44
	ds_read2_b64 v[32:35], v2 offset0:45 offset1:46
	;; [unrolled: 1-line block ×6, first 2 shown]
	v_cmp_lt_u32_e32 vcc, 13, v0
	s_waitcnt vmcnt(6) lgkmcnt(5)
	v_mul_f32_e32 v113, v28, v5
	v_mul_f32_e32 v117, v30, v7
	s_waitcnt vmcnt(5) lgkmcnt(4)
	v_mul_f32_e32 v3, v32, v9
	v_mul_f32_e32 v2, v29, v5
	;; [unrolled: 1-line block ×4, first 2 shown]
	s_waitcnt vmcnt(1) lgkmcnt(0)
	v_pk_mul_f32 v[122:123], v[48:49], v[24:25] op_sel:[1,1] op_sel_hi:[0,1]
	v_pk_mul_f32 v[110:111], v[36:37], v[12:13] op_sel:[1,1] op_sel_hi:[0,1]
	v_fmac_f32_e32 v113, v29, v4
	v_fmac_f32_e32 v3, v33, v8
	v_fma_f32 v121, v28, v4, -v2
	v_fma_f32 v2, v32, v8, -v7
	v_pk_fma_f32 v[32:33], v[48:49], v[24:25], v[122:123] neg_lo:[0,0,1] neg_hi:[0,0,1]
	v_pk_fma_f32 v[24:25], v[48:49], v[24:25], v[122:123] op_sel_hi:[1,0,1]
	v_fmac_f32_e32 v117, v31, v6
	v_fma_f32 v125, v30, v6, -v5
	v_pk_fma_f32 v[4:5], v[36:37], v[12:13], v[110:111] neg_lo:[0,0,1] neg_hi:[0,0,1]
	v_pk_fma_f32 v[6:7], v[36:37], v[12:13], v[110:111] op_sel_hi:[1,0,1]
	v_add_f32_e32 v24, 0, v113
	v_add_f32_e32 v36, 0, v121
	v_mul_f32_e32 v55, v34, v11
	v_mul_f32_e32 v9, v35, v11
	v_mov_b32_e32 v112, v15
	v_mov_b32_e32 v33, v25
	v_add_f32_e32 v25, v24, v117
	v_add_f32_e32 v24, v36, v125
	v_fmac_f32_e32 v55, v35, v10
	v_fma_f32 v54, v34, v10, -v9
	v_pk_mul_f32 v[8:9], v[38:39], v[112:113] op_sel:[1,0] op_sel_hi:[0,0]
	v_pk_add_f32 v[2:3], v[24:25], v[2:3]
	v_pk_mul_f32 v[114:115], v[40:41], v[16:17] op_sel:[1,1] op_sel_hi:[0,1]
	v_mov_b32_e32 v116, v19
	v_mov_b32_e32 v5, v7
	v_pk_fma_f32 v[6:7], v[38:39], v[14:15], v[8:9] neg_lo:[0,0,1] neg_hi:[0,0,1]
	v_pk_fma_f32 v[8:9], v[38:39], v[14:15], v[8:9] op_sel_hi:[1,0,1]
	v_pk_add_f32 v[2:3], v[2:3], v[54:55]
	v_pk_fma_f32 v[10:11], v[40:41], v[16:17], v[114:115] neg_lo:[0,0,1] neg_hi:[0,0,1]
	v_pk_fma_f32 v[12:13], v[40:41], v[16:17], v[114:115] op_sel_hi:[1,0,1]
	v_pk_mul_f32 v[16:17], v[42:43], v[116:117] op_sel:[1,0] op_sel_hi:[0,0]
	v_mov_b32_e32 v7, v9
	v_pk_add_f32 v[2:3], v[2:3], v[4:5]
	v_pk_mul_f32 v[118:119], v[44:45], v[20:21] op_sel:[1,1] op_sel_hi:[0,1]
	v_mov_b32_e32 v120, v23
	v_mov_b32_e32 v11, v13
	v_pk_fma_f32 v[12:13], v[42:43], v[18:19], v[16:17] neg_lo:[0,0,1] neg_hi:[0,0,1]
	v_pk_fma_f32 v[14:15], v[42:43], v[18:19], v[16:17] op_sel_hi:[1,0,1]
	v_pk_add_f32 v[2:3], v[2:3], v[6:7]
	v_pk_fma_f32 v[28:29], v[44:45], v[20:21], v[118:119] neg_lo:[0,0,1] neg_hi:[0,0,1]
	v_pk_fma_f32 v[20:21], v[44:45], v[20:21], v[118:119] op_sel_hi:[1,0,1]
	v_pk_mul_f32 v[30:31], v[46:47], v[120:121] op_sel:[1,0] op_sel_hi:[0,0]
	v_mov_b32_e32 v13, v15
	v_pk_add_f32 v[2:3], v[2:3], v[10:11]
	v_mov_b32_e32 v124, v27
	v_mov_b32_e32 v29, v21
	v_pk_fma_f32 v[16:17], v[46:47], v[22:23], v[30:31] neg_lo:[0,0,1] neg_hi:[0,0,1]
	v_pk_fma_f32 v[18:19], v[46:47], v[22:23], v[30:31] op_sel_hi:[1,0,1]
	v_pk_add_f32 v[2:3], v[2:3], v[12:13]
	v_pk_mul_f32 v[34:35], v[50:51], v[124:125] op_sel:[1,0] op_sel_hi:[0,0]
	v_mov_b32_e32 v17, v19
	v_pk_add_f32 v[2:3], v[2:3], v[28:29]
	v_pk_fma_f32 v[20:21], v[50:51], v[26:27], v[34:35] neg_lo:[0,0,1] neg_hi:[0,0,1]
	v_pk_fma_f32 v[22:23], v[50:51], v[26:27], v[34:35] op_sel_hi:[1,0,1]
	v_pk_add_f32 v[2:3], v[2:3], v[16:17]
	v_mov_b32_e32 v21, v23
	v_pk_add_f32 v[2:3], v[2:3], v[32:33]
	s_nop 0
	v_pk_add_f32 v[2:3], v[2:3], v[20:21]
	s_waitcnt vmcnt(0)
	v_pk_add_f32 v[2:3], v[52:53], v[2:3] neg_lo:[0,1] neg_hi:[0,1]
	scratch_store_dwordx2 off, v[2:3], off offset:112
	s_and_saveexec_b64 s[0:1], vcc
	s_cbranch_execz .LBB90_149
; %bb.148:
	scratch_load_dwordx2 v[2:3], off, off offset:104
	v_mov_b32_e32 v4, 0
	v_mov_b32_e32 v5, v4
	scratch_store_dwordx2 off, v[4:5], off offset:104
	s_waitcnt vmcnt(1)
	ds_write_b64 v1, v[2:3]
.LBB90_149:
	s_or_b64 exec, exec, s[0:1]
	s_waitcnt lgkmcnt(0)
	; wave barrier
	scratch_load_dwordx4 v[4:7], off, off offset:112
	scratch_load_dwordx4 v[8:11], off, off offset:128
	;; [unrolled: 1-line block ×6, first 2 shown]
	scratch_load_dwordx2 v[52:53], off, off offset:208
	scratch_load_dwordx2 v[54:55], off, off offset:104
	v_mov_b32_e32 v2, 0
	ds_read_b128 v[28:31], v2 offset:336
	ds_read_b128 v[32:35], v2 offset:352
	;; [unrolled: 1-line block ×6, first 2 shown]
	ds_read_b64 v[110:111], v2 offset:432
	v_cmp_lt_u32_e32 vcc, 12, v0
	s_waitcnt vmcnt(7) lgkmcnt(6)
	v_mul_f32_e32 v117, v30, v7
	v_mul_f32_e32 v3, v28, v5
	s_waitcnt vmcnt(5) lgkmcnt(4)
	v_mul_f32_e32 v115, v36, v13
	v_mul_f32_e32 v5, v29, v5
	v_mov_b32_e32 v116, v15
	s_waitcnt vmcnt(2) lgkmcnt(1)
	v_pk_mul_f32 v[126:127], v[48:49], v[24:25] op_sel:[1,1] op_sel_hi:[0,1]
	v_fmac_f32_e32 v117, v31, v6
	v_mul_f32_e32 v7, v31, v7
	v_mul_f32_e32 v13, v37, v13
	v_fmac_f32_e32 v3, v29, v4
	v_fmac_f32_e32 v115, v37, v12
	v_fma_f32 v37, v28, v4, -v5
	v_pk_mul_f32 v[4:5], v[38:39], v[116:117] op_sel:[1,0] op_sel_hi:[0,0]
	v_pk_fma_f32 v[28:29], v[48:49], v[24:25], v[126:127] neg_lo:[0,0,1] neg_hi:[0,0,1]
	v_pk_fma_f32 v[24:25], v[48:49], v[24:25], v[126:127] op_sel_hi:[1,0,1]
	v_mul_f32_e32 v121, v32, v9
	v_mul_f32_e32 v9, v33, v9
	v_fma_f32 v125, v30, v6, -v7
	v_fma_f32 v114, v36, v12, -v13
	v_add_f32_e32 v3, 0, v3
	v_add_f32_e32 v24, 0, v37
	v_pk_fma_f32 v[36:37], v[38:39], v[14:15], v[4:5] neg_lo:[0,0,1] neg_hi:[0,0,1]
	v_pk_fma_f32 v[4:5], v[38:39], v[14:15], v[4:5] op_sel_hi:[1,0,1]
	v_mul_f32_e32 v113, v34, v11
	v_mul_f32_e32 v11, v35, v11
	v_fmac_f32_e32 v121, v33, v8
	v_fma_f32 v129, v32, v8, -v9
	v_add_f32_e32 v3, v3, v117
	v_add_f32_e32 v4, v24, v125
	v_fmac_f32_e32 v113, v35, v10
	v_fma_f32 v112, v34, v10, -v11
	v_mov_b32_e32 v37, v5
	v_add_f32_e32 v5, v3, v121
	v_add_f32_e32 v4, v4, v129
	v_pk_mul_f32 v[118:119], v[40:41], v[16:17] op_sel:[1,1] op_sel_hi:[0,1]
	v_mov_b32_e32 v120, v19
	v_pk_add_f32 v[4:5], v[4:5], v[112:113]
	v_pk_fma_f32 v[6:7], v[40:41], v[16:17], v[118:119] neg_lo:[0,0,1] neg_hi:[0,0,1]
	v_pk_fma_f32 v[8:9], v[40:41], v[16:17], v[118:119] op_sel_hi:[1,0,1]
	v_pk_mul_f32 v[10:11], v[42:43], v[120:121] op_sel:[1,0] op_sel_hi:[0,0]
	v_pk_add_f32 v[4:5], v[4:5], v[114:115]
	v_pk_mul_f32 v[122:123], v[44:45], v[20:21] op_sel:[1,1] op_sel_hi:[0,1]
	v_mov_b32_e32 v124, v23
	v_mov_b32_e32 v7, v9
	v_pk_fma_f32 v[8:9], v[42:43], v[18:19], v[10:11] neg_lo:[0,0,1] neg_hi:[0,0,1]
	v_pk_fma_f32 v[10:11], v[42:43], v[18:19], v[10:11] op_sel_hi:[1,0,1]
	v_pk_add_f32 v[4:5], v[4:5], v[36:37]
	v_pk_fma_f32 v[12:13], v[44:45], v[20:21], v[122:123] neg_lo:[0,0,1] neg_hi:[0,0,1]
	v_pk_fma_f32 v[16:17], v[44:45], v[20:21], v[122:123] op_sel_hi:[1,0,1]
	v_pk_mul_f32 v[20:21], v[46:47], v[124:125] op_sel:[1,0] op_sel_hi:[0,0]
	v_mov_b32_e32 v9, v11
	v_pk_add_f32 v[4:5], v[4:5], v[6:7]
	v_mov_b32_e32 v128, v27
	v_mov_b32_e32 v13, v17
	v_pk_fma_f32 v[14:15], v[46:47], v[22:23], v[20:21] neg_lo:[0,0,1] neg_hi:[0,0,1]
	v_pk_fma_f32 v[16:17], v[46:47], v[22:23], v[20:21] op_sel_hi:[1,0,1]
	v_pk_add_f32 v[4:5], v[4:5], v[8:9]
	v_pk_mul_f32 v[30:31], v[50:51], v[128:129] op_sel:[1,0] op_sel_hi:[0,0]
	v_mov_b32_e32 v15, v17
	v_pk_add_f32 v[4:5], v[4:5], v[12:13]
	s_waitcnt vmcnt(1) lgkmcnt(0)
	v_pk_mul_f32 v[130:131], v[110:111], v[52:53] op_sel:[1,1] op_sel_hi:[0,1]
	v_mov_b32_e32 v29, v25
	v_pk_fma_f32 v[18:19], v[50:51], v[26:27], v[30:31] neg_lo:[0,0,1] neg_hi:[0,0,1]
	v_pk_fma_f32 v[20:21], v[50:51], v[26:27], v[30:31] op_sel_hi:[1,0,1]
	v_pk_add_f32 v[4:5], v[4:5], v[14:15]
	v_pk_fma_f32 v[32:33], v[110:111], v[52:53], v[130:131] neg_lo:[0,0,1] neg_hi:[0,0,1]
	v_pk_fma_f32 v[34:35], v[110:111], v[52:53], v[130:131] op_sel_hi:[1,0,1]
	v_mov_b32_e32 v19, v21
	v_pk_add_f32 v[4:5], v[4:5], v[28:29]
	v_mov_b32_e32 v33, v35
	v_pk_add_f32 v[4:5], v[4:5], v[18:19]
	s_nop 0
	v_pk_add_f32 v[4:5], v[4:5], v[32:33]
	s_waitcnt vmcnt(0)
	v_pk_add_f32 v[4:5], v[54:55], v[4:5] neg_lo:[0,1] neg_hi:[0,1]
	scratch_store_dwordx2 off, v[4:5], off offset:104
	s_and_saveexec_b64 s[0:1], vcc
	s_cbranch_execz .LBB90_151
; %bb.150:
	scratch_load_dwordx2 v[4:5], off, off offset:96
	v_mov_b32_e32 v3, v2
	scratch_store_dwordx2 off, v[2:3], off offset:96
	s_waitcnt vmcnt(1)
	ds_write_b64 v1, v[4:5]
.LBB90_151:
	s_or_b64 exec, exec, s[0:1]
	s_waitcnt lgkmcnt(0)
	; wave barrier
	scratch_load_dwordx4 v[8:11], off, off offset:104
	scratch_load_dwordx4 v[16:19], off, off offset:120
	ds_read2_b64 v[4:7], v2 offset0:41 offset1:42
	scratch_load_dwordx4 v[24:27], off, off offset:136
	v_cmp_lt_u32_e32 vcc, 11, v0
	s_waitcnt vmcnt(2) lgkmcnt(0)
	v_mul_f32_e32 v3, v4, v9
	v_fmac_f32_e32 v3, v5, v8
	v_mul_f32_e32 v12, v6, v11
	v_add_f32_e32 v3, 0, v3
	v_fmac_f32_e32 v12, v7, v10
	v_add_f32_e32 v3, v3, v12
	ds_read2_b64 v[12:15], v2 offset0:43 offset1:44
	s_waitcnt vmcnt(1) lgkmcnt(0)
	v_mul_f32_e32 v20, v12, v17
	v_fmac_f32_e32 v20, v13, v16
	v_add_f32_e32 v3, v3, v20
	v_mul_f32_e32 v20, v14, v19
	v_fmac_f32_e32 v20, v15, v18
	v_add_f32_e32 v45, v3, v20
	ds_read2_b64 v[20:23], v2 offset0:45 offset1:46
	scratch_load_dwordx4 v[28:31], off, off offset:152
	scratch_load_dwordx4 v[32:35], off, off offset:168
	scratch_load_dwordx4 v[36:39], off, off offset:184
	scratch_load_dwordx4 v[40:43], off, off offset:200
	v_mul_f32_e32 v3, v5, v9
	v_fma_f32 v3, v4, v8, -v3
	v_mul_f32_e32 v4, v7, v11
	v_add_f32_e32 v3, 0, v3
	v_fma_f32 v4, v6, v10, -v4
	v_add_f32_e32 v3, v3, v4
	v_mul_f32_e32 v4, v13, v17
	v_fma_f32 v4, v12, v16, -v4
	v_add_f32_e32 v3, v3, v4
	v_mul_f32_e32 v4, v15, v19
	v_fma_f32 v4, v14, v18, -v4
	v_add_f32_e32 v44, v3, v4
	ds_read2_b64 v[4:7], v2 offset0:47 offset1:48
	ds_read2_b64 v[8:11], v2 offset0:49 offset1:50
	;; [unrolled: 1-line block ×4, first 2 shown]
	s_waitcnt vmcnt(4) lgkmcnt(4)
	v_mul_f32_e32 v47, v20, v25
	v_mul_f32_e32 v3, v21, v25
	v_fmac_f32_e32 v47, v21, v24
	v_mul_f32_e32 v49, v22, v27
	v_fma_f32 v46, v20, v24, -v3
	v_mul_f32_e32 v3, v23, v27
	v_fmac_f32_e32 v49, v23, v26
	v_fma_f32 v48, v22, v26, -v3
	v_pk_add_f32 v[2:3], v[44:45], v[46:47]
	s_waitcnt vmcnt(3) lgkmcnt(3)
	v_pk_mul_f32 v[20:21], v[4:5], v[28:29] op_sel:[1,1] op_sel_hi:[0,1]
	v_pk_fma_f32 v[22:23], v[4:5], v[28:29], v[20:21] neg_lo:[0,0,1] neg_hi:[0,0,1]
	v_pk_fma_f32 v[4:5], v[4:5], v[28:29], v[20:21] op_sel_hi:[1,0,1]
	v_pk_add_f32 v[2:3], v[2:3], v[48:49]
	v_mov_b32_e32 v4, v31
	v_mov_b32_e32 v23, v5
	v_pk_mul_f32 v[4:5], v[6:7], v[4:5] op_sel:[1,0] op_sel_hi:[0,0]
	v_pk_fma_f32 v[20:21], v[6:7], v[30:31], v[4:5] neg_lo:[0,0,1] neg_hi:[0,0,1]
	v_pk_fma_f32 v[4:5], v[6:7], v[30:31], v[4:5] op_sel_hi:[1,0,1]
	v_pk_add_f32 v[2:3], v[2:3], v[22:23]
	v_mov_b32_e32 v21, v5
	s_waitcnt vmcnt(2) lgkmcnt(2)
	v_pk_mul_f32 v[4:5], v[8:9], v[32:33] op_sel:[1,1] op_sel_hi:[0,1]
	v_pk_fma_f32 v[6:7], v[8:9], v[32:33], v[4:5] neg_lo:[0,0,1] neg_hi:[0,0,1]
	v_pk_fma_f32 v[4:5], v[8:9], v[32:33], v[4:5] op_sel_hi:[1,0,1]
	v_pk_add_f32 v[2:3], v[2:3], v[20:21]
	v_mov_b32_e32 v4, v35
	v_mov_b32_e32 v7, v5
	v_pk_mul_f32 v[4:5], v[10:11], v[4:5] op_sel:[1,0] op_sel_hi:[0,0]
	v_pk_add_f32 v[2:3], v[2:3], v[6:7]
	v_pk_fma_f32 v[6:7], v[10:11], v[34:35], v[4:5] neg_lo:[0,0,1] neg_hi:[0,0,1]
	v_pk_fma_f32 v[4:5], v[10:11], v[34:35], v[4:5] op_sel_hi:[1,0,1]
	s_nop 0
	v_mov_b32_e32 v7, v5
	s_waitcnt vmcnt(1) lgkmcnt(1)
	v_pk_mul_f32 v[4:5], v[12:13], v[36:37] op_sel:[1,1] op_sel_hi:[0,1]
	v_pk_add_f32 v[2:3], v[2:3], v[6:7]
	v_pk_fma_f32 v[6:7], v[12:13], v[36:37], v[4:5] neg_lo:[0,0,1] neg_hi:[0,0,1]
	v_pk_fma_f32 v[4:5], v[12:13], v[36:37], v[4:5] op_sel_hi:[1,0,1]
	s_nop 0
	v_mov_b32_e32 v4, v39
	v_mov_b32_e32 v7, v5
	v_pk_mul_f32 v[4:5], v[14:15], v[4:5] op_sel:[1,0] op_sel_hi:[0,0]
	v_pk_add_f32 v[2:3], v[2:3], v[6:7]
	v_pk_fma_f32 v[6:7], v[14:15], v[38:39], v[4:5] neg_lo:[0,0,1] neg_hi:[0,0,1]
	v_pk_fma_f32 v[4:5], v[14:15], v[38:39], v[4:5] op_sel_hi:[1,0,1]
	s_nop 0
	v_mov_b32_e32 v7, v5
	s_waitcnt vmcnt(0) lgkmcnt(0)
	v_pk_mul_f32 v[4:5], v[16:17], v[40:41] op_sel:[1,1] op_sel_hi:[0,1]
	v_pk_add_f32 v[2:3], v[2:3], v[6:7]
	v_pk_fma_f32 v[6:7], v[16:17], v[40:41], v[4:5] neg_lo:[0,0,1] neg_hi:[0,0,1]
	v_pk_fma_f32 v[4:5], v[16:17], v[40:41], v[4:5] op_sel_hi:[1,0,1]
	s_nop 0
	v_mov_b32_e32 v4, v43
	v_mov_b32_e32 v7, v5
	v_pk_mul_f32 v[4:5], v[18:19], v[4:5] op_sel:[1,0] op_sel_hi:[0,0]
	v_pk_add_f32 v[2:3], v[2:3], v[6:7]
	v_pk_fma_f32 v[6:7], v[18:19], v[42:43], v[4:5] neg_lo:[0,0,1] neg_hi:[0,0,1]
	v_pk_fma_f32 v[4:5], v[18:19], v[42:43], v[4:5] op_sel_hi:[1,0,1]
	s_nop 0
	v_mov_b32_e32 v7, v5
	scratch_load_dwordx2 v[4:5], off, off offset:96
	v_pk_add_f32 v[2:3], v[2:3], v[6:7]
	s_waitcnt vmcnt(0)
	v_pk_add_f32 v[2:3], v[4:5], v[2:3] neg_lo:[0,1] neg_hi:[0,1]
	scratch_store_dwordx2 off, v[2:3], off offset:96
	s_and_saveexec_b64 s[0:1], vcc
	s_cbranch_execz .LBB90_153
; %bb.152:
	scratch_load_dwordx2 v[2:3], off, off offset:88
	v_mov_b32_e32 v4, 0
	v_mov_b32_e32 v5, v4
	scratch_store_dwordx2 off, v[4:5], off offset:88
	s_waitcnt vmcnt(1)
	ds_write_b64 v1, v[2:3]
.LBB90_153:
	s_or_b64 exec, exec, s[0:1]
	v_mov_b32_e32 v2, 0
	s_waitcnt lgkmcnt(0)
	; wave barrier
	ds_read_b128 v[4:7], v2 offset:320
	ds_read_b128 v[8:11], v2 offset:336
	;; [unrolled: 1-line block ×4, first 2 shown]
	scratch_load_dwordx4 v[20:23], off, off offset:96
	v_cmp_lt_u32_e32 vcc, 10, v0
	s_waitcnt vmcnt(0) lgkmcnt(3)
	v_mul_f32_e32 v3, v4, v21
	v_fmac_f32_e32 v3, v5, v20
	v_mul_f32_e32 v24, v6, v23
	v_add_f32_e32 v3, 0, v3
	v_fmac_f32_e32 v24, v7, v22
	v_add_f32_e32 v3, v3, v24
	scratch_load_dwordx4 v[24:27], off, off offset:112
	s_waitcnt vmcnt(0) lgkmcnt(2)
	v_mul_f32_e32 v28, v8, v25
	v_fmac_f32_e32 v28, v9, v24
	v_add_f32_e32 v3, v3, v28
	v_mul_f32_e32 v28, v10, v27
	v_fmac_f32_e32 v28, v11, v26
	v_add_f32_e32 v3, v3, v28
	scratch_load_dwordx4 v[28:31], off, off offset:128
	s_waitcnt vmcnt(0) lgkmcnt(1)
	v_mul_f32_e32 v32, v12, v29
	v_fmac_f32_e32 v32, v13, v28
	v_add_f32_e32 v49, v3, v32
	scratch_load_dwordx4 v[32:35], off, off offset:144
	scratch_load_dwordx4 v[36:39], off, off offset:160
	scratch_load_dwordx4 v[40:43], off, off offset:176
	scratch_load_dwordx4 v[44:47], off, off offset:192
	scratch_load_dwordx2 v[54:55], off, off offset:208
	v_mul_f32_e32 v3, v5, v21
	v_fma_f32 v3, v4, v20, -v3
	v_mul_f32_e32 v4, v7, v23
	v_add_f32_e32 v3, 0, v3
	v_fma_f32 v4, v6, v22, -v4
	v_add_f32_e32 v3, v3, v4
	v_mul_f32_e32 v4, v9, v25
	v_fma_f32 v4, v8, v24, -v4
	v_add_f32_e32 v3, v3, v4
	v_mul_f32_e32 v4, v11, v27
	;; [unrolled: 3-line block ×3, first 2 shown]
	v_fma_f32 v4, v12, v28, -v4
	v_mul_f32_e32 v51, v14, v31
	v_add_f32_e32 v48, v3, v4
	v_mul_f32_e32 v3, v15, v31
	v_fmac_f32_e32 v51, v15, v30
	v_fma_f32 v50, v14, v30, -v3
	v_pk_add_f32 v[20:21], v[48:49], v[50:51]
	s_waitcnt vmcnt(4)
	v_mov_b32_e32 v22, v35
	s_waitcnt lgkmcnt(0)
	v_mul_f32_e32 v53, v16, v33
	v_mul_f32_e32 v3, v17, v33
	v_pk_mul_f32 v[22:23], v[18:19], v[22:23] op_sel:[1,0] op_sel_hi:[0,0]
	v_fmac_f32_e32 v53, v17, v32
	v_fma_f32 v52, v16, v32, -v3
	ds_read_b128 v[4:7], v2 offset:384
	ds_read_b128 v[8:11], v2 offset:400
	;; [unrolled: 1-line block ×3, first 2 shown]
	ds_read_b64 v[16:17], v2 offset:432
	v_pk_fma_f32 v[24:25], v[18:19], v[34:35], v[22:23] neg_lo:[0,0,1] neg_hi:[0,0,1]
	v_pk_fma_f32 v[18:19], v[18:19], v[34:35], v[22:23] op_sel_hi:[1,0,1]
	v_pk_add_f32 v[20:21], v[20:21], v[52:53]
	v_mov_b32_e32 v25, v19
	v_pk_add_f32 v[18:19], v[20:21], v[24:25]
	s_waitcnt vmcnt(3) lgkmcnt(3)
	v_pk_mul_f32 v[20:21], v[4:5], v[36:37] op_sel:[1,1] op_sel_hi:[0,1]
	v_pk_fma_f32 v[22:23], v[4:5], v[36:37], v[20:21] neg_lo:[0,0,1] neg_hi:[0,0,1]
	v_pk_fma_f32 v[4:5], v[4:5], v[36:37], v[20:21] op_sel_hi:[1,0,1]
	s_nop 0
	v_mov_b32_e32 v23, v5
	v_pk_add_f32 v[4:5], v[18:19], v[22:23]
	v_mov_b32_e32 v18, v39
	v_pk_mul_f32 v[18:19], v[6:7], v[18:19] op_sel:[1,0] op_sel_hi:[0,0]
	v_pk_fma_f32 v[20:21], v[6:7], v[38:39], v[18:19] neg_lo:[0,0,1] neg_hi:[0,0,1]
	v_pk_fma_f32 v[6:7], v[6:7], v[38:39], v[18:19] op_sel_hi:[1,0,1]
	s_nop 0
	v_mov_b32_e32 v21, v7
	s_waitcnt vmcnt(2) lgkmcnt(2)
	v_pk_mul_f32 v[6:7], v[8:9], v[40:41] op_sel:[1,1] op_sel_hi:[0,1]
	v_pk_fma_f32 v[18:19], v[8:9], v[40:41], v[6:7] neg_lo:[0,0,1] neg_hi:[0,0,1]
	v_pk_fma_f32 v[6:7], v[8:9], v[40:41], v[6:7] op_sel_hi:[1,0,1]
	v_pk_add_f32 v[4:5], v[4:5], v[20:21]
	v_mov_b32_e32 v6, v43
	v_mov_b32_e32 v19, v7
	v_pk_mul_f32 v[6:7], v[10:11], v[6:7] op_sel:[1,0] op_sel_hi:[0,0]
	v_pk_fma_f32 v[8:9], v[10:11], v[42:43], v[6:7] neg_lo:[0,0,1] neg_hi:[0,0,1]
	v_pk_fma_f32 v[6:7], v[10:11], v[42:43], v[6:7] op_sel_hi:[1,0,1]
	v_pk_add_f32 v[4:5], v[4:5], v[18:19]
	v_mov_b32_e32 v9, v7
	s_waitcnt vmcnt(1) lgkmcnt(1)
	v_pk_mul_f32 v[6:7], v[12:13], v[44:45] op_sel:[1,1] op_sel_hi:[0,1]
	v_pk_add_f32 v[4:5], v[4:5], v[8:9]
	v_pk_fma_f32 v[8:9], v[12:13], v[44:45], v[6:7] neg_lo:[0,0,1] neg_hi:[0,0,1]
	v_pk_fma_f32 v[6:7], v[12:13], v[44:45], v[6:7] op_sel_hi:[1,0,1]
	s_nop 0
	v_mov_b32_e32 v6, v47
	v_mov_b32_e32 v9, v7
	v_pk_mul_f32 v[6:7], v[14:15], v[6:7] op_sel:[1,0] op_sel_hi:[0,0]
	v_pk_add_f32 v[4:5], v[4:5], v[8:9]
	v_pk_fma_f32 v[8:9], v[14:15], v[46:47], v[6:7] neg_lo:[0,0,1] neg_hi:[0,0,1]
	v_pk_fma_f32 v[6:7], v[14:15], v[46:47], v[6:7] op_sel_hi:[1,0,1]
	s_nop 0
	v_mov_b32_e32 v9, v7
	s_waitcnt vmcnt(0) lgkmcnt(0)
	v_pk_mul_f32 v[6:7], v[16:17], v[54:55] op_sel:[1,1] op_sel_hi:[0,1]
	v_pk_add_f32 v[4:5], v[4:5], v[8:9]
	v_pk_fma_f32 v[8:9], v[16:17], v[54:55], v[6:7] neg_lo:[0,0,1] neg_hi:[0,0,1]
	v_pk_fma_f32 v[6:7], v[16:17], v[54:55], v[6:7] op_sel_hi:[1,0,1]
	s_nop 0
	v_mov_b32_e32 v9, v7
	scratch_load_dwordx2 v[6:7], off, off offset:88
	v_pk_add_f32 v[4:5], v[4:5], v[8:9]
	s_waitcnt vmcnt(0)
	v_pk_add_f32 v[4:5], v[6:7], v[4:5] neg_lo:[0,1] neg_hi:[0,1]
	scratch_store_dwordx2 off, v[4:5], off offset:88
	s_and_saveexec_b64 s[0:1], vcc
	s_cbranch_execz .LBB90_155
; %bb.154:
	scratch_load_dwordx2 v[4:5], off, off offset:80
	v_mov_b32_e32 v3, v2
	scratch_store_dwordx2 off, v[2:3], off offset:80
	s_waitcnt vmcnt(1)
	ds_write_b64 v1, v[4:5]
.LBB90_155:
	s_or_b64 exec, exec, s[0:1]
	s_waitcnt lgkmcnt(0)
	; wave barrier
	scratch_load_dwordx4 v[8:11], off, off offset:88
	scratch_load_dwordx4 v[16:19], off, off offset:104
	;; [unrolled: 1-line block ×4, first 2 shown]
	ds_read2_b64 v[4:7], v2 offset0:39 offset1:40
	v_cmp_lt_u32_e32 vcc, 9, v0
	s_waitcnt vmcnt(3) lgkmcnt(0)
	v_mul_f32_e32 v3, v4, v9
	v_fmac_f32_e32 v3, v5, v8
	v_mul_f32_e32 v12, v6, v11
	v_add_f32_e32 v3, 0, v3
	v_fmac_f32_e32 v12, v7, v10
	v_add_f32_e32 v3, v3, v12
	ds_read2_b64 v[12:15], v2 offset0:41 offset1:42
	s_waitcnt vmcnt(2) lgkmcnt(0)
	v_mul_f32_e32 v20, v12, v17
	v_fmac_f32_e32 v20, v13, v16
	v_add_f32_e32 v3, v3, v20
	v_mul_f32_e32 v20, v14, v19
	v_fmac_f32_e32 v20, v15, v18
	v_add_f32_e32 v3, v3, v20
	ds_read2_b64 v[20:23], v2 offset0:43 offset1:44
	s_waitcnt vmcnt(1) lgkmcnt(0)
	v_mul_f32_e32 v28, v20, v25
	v_fmac_f32_e32 v28, v21, v24
	v_add_f32_e32 v3, v3, v28
	v_mul_f32_e32 v28, v22, v27
	v_fmac_f32_e32 v28, v23, v26
	v_add_f32_e32 v53, v3, v28
	ds_read2_b64 v[28:31], v2 offset0:45 offset1:46
	scratch_load_dwordx4 v[36:39], off, off offset:152
	scratch_load_dwordx4 v[40:43], off, off offset:168
	;; [unrolled: 1-line block ×4, first 2 shown]
	v_mul_f32_e32 v3, v5, v9
	v_fma_f32 v3, v4, v8, -v3
	v_mul_f32_e32 v4, v7, v11
	v_add_f32_e32 v3, 0, v3
	v_fma_f32 v4, v6, v10, -v4
	v_add_f32_e32 v3, v3, v4
	v_mul_f32_e32 v4, v13, v17
	v_fma_f32 v4, v12, v16, -v4
	v_add_f32_e32 v3, v3, v4
	v_mul_f32_e32 v4, v15, v19
	v_fma_f32 v4, v14, v18, -v4
	v_add_f32_e32 v3, v3, v4
	v_mul_f32_e32 v4, v21, v25
	v_fma_f32 v4, v20, v24, -v4
	v_add_f32_e32 v3, v3, v4
	v_mul_f32_e32 v4, v23, v27
	v_fma_f32 v4, v22, v26, -v4
	v_add_f32_e32 v52, v3, v4
	ds_read2_b64 v[4:7], v2 offset0:47 offset1:48
	ds_read2_b64 v[8:11], v2 offset0:49 offset1:50
	;; [unrolled: 1-line block ×4, first 2 shown]
	s_waitcnt vmcnt(4) lgkmcnt(4)
	v_mul_f32_e32 v55, v28, v33
	v_mul_f32_e32 v3, v29, v33
	v_fmac_f32_e32 v55, v29, v32
	v_mul_f32_e32 v111, v30, v35
	v_fma_f32 v54, v28, v32, -v3
	v_mul_f32_e32 v3, v31, v35
	v_fmac_f32_e32 v111, v31, v34
	v_fma_f32 v110, v30, v34, -v3
	v_pk_add_f32 v[2:3], v[52:53], v[54:55]
	s_waitcnt vmcnt(3) lgkmcnt(3)
	v_pk_mul_f32 v[20:21], v[4:5], v[36:37] op_sel:[1,1] op_sel_hi:[0,1]
	v_pk_fma_f32 v[22:23], v[4:5], v[36:37], v[20:21] neg_lo:[0,0,1] neg_hi:[0,0,1]
	v_pk_fma_f32 v[4:5], v[4:5], v[36:37], v[20:21] op_sel_hi:[1,0,1]
	v_pk_add_f32 v[2:3], v[2:3], v[110:111]
	v_mov_b32_e32 v4, v39
	v_mov_b32_e32 v23, v5
	v_pk_mul_f32 v[4:5], v[6:7], v[4:5] op_sel:[1,0] op_sel_hi:[0,0]
	v_pk_fma_f32 v[20:21], v[6:7], v[38:39], v[4:5] neg_lo:[0,0,1] neg_hi:[0,0,1]
	v_pk_fma_f32 v[4:5], v[6:7], v[38:39], v[4:5] op_sel_hi:[1,0,1]
	v_pk_add_f32 v[2:3], v[2:3], v[22:23]
	v_mov_b32_e32 v21, v5
	s_waitcnt vmcnt(2) lgkmcnt(2)
	v_pk_mul_f32 v[4:5], v[8:9], v[40:41] op_sel:[1,1] op_sel_hi:[0,1]
	v_pk_fma_f32 v[6:7], v[8:9], v[40:41], v[4:5] neg_lo:[0,0,1] neg_hi:[0,0,1]
	v_pk_fma_f32 v[4:5], v[8:9], v[40:41], v[4:5] op_sel_hi:[1,0,1]
	v_pk_add_f32 v[2:3], v[2:3], v[20:21]
	v_mov_b32_e32 v4, v43
	v_mov_b32_e32 v7, v5
	v_pk_mul_f32 v[4:5], v[10:11], v[4:5] op_sel:[1,0] op_sel_hi:[0,0]
	v_pk_add_f32 v[2:3], v[2:3], v[6:7]
	v_pk_fma_f32 v[6:7], v[10:11], v[42:43], v[4:5] neg_lo:[0,0,1] neg_hi:[0,0,1]
	v_pk_fma_f32 v[4:5], v[10:11], v[42:43], v[4:5] op_sel_hi:[1,0,1]
	s_nop 0
	v_mov_b32_e32 v7, v5
	s_waitcnt vmcnt(1) lgkmcnt(1)
	v_pk_mul_f32 v[4:5], v[12:13], v[44:45] op_sel:[1,1] op_sel_hi:[0,1]
	v_pk_add_f32 v[2:3], v[2:3], v[6:7]
	v_pk_fma_f32 v[6:7], v[12:13], v[44:45], v[4:5] neg_lo:[0,0,1] neg_hi:[0,0,1]
	v_pk_fma_f32 v[4:5], v[12:13], v[44:45], v[4:5] op_sel_hi:[1,0,1]
	s_nop 0
	v_mov_b32_e32 v4, v47
	v_mov_b32_e32 v7, v5
	v_pk_mul_f32 v[4:5], v[14:15], v[4:5] op_sel:[1,0] op_sel_hi:[0,0]
	v_pk_add_f32 v[2:3], v[2:3], v[6:7]
	v_pk_fma_f32 v[6:7], v[14:15], v[46:47], v[4:5] neg_lo:[0,0,1] neg_hi:[0,0,1]
	v_pk_fma_f32 v[4:5], v[14:15], v[46:47], v[4:5] op_sel_hi:[1,0,1]
	s_nop 0
	v_mov_b32_e32 v7, v5
	s_waitcnt vmcnt(0) lgkmcnt(0)
	v_pk_mul_f32 v[4:5], v[16:17], v[48:49] op_sel:[1,1] op_sel_hi:[0,1]
	v_pk_add_f32 v[2:3], v[2:3], v[6:7]
	v_pk_fma_f32 v[6:7], v[16:17], v[48:49], v[4:5] neg_lo:[0,0,1] neg_hi:[0,0,1]
	v_pk_fma_f32 v[4:5], v[16:17], v[48:49], v[4:5] op_sel_hi:[1,0,1]
	s_nop 0
	v_mov_b32_e32 v4, v51
	v_mov_b32_e32 v7, v5
	v_pk_mul_f32 v[4:5], v[18:19], v[4:5] op_sel:[1,0] op_sel_hi:[0,0]
	v_pk_add_f32 v[2:3], v[2:3], v[6:7]
	v_pk_fma_f32 v[6:7], v[18:19], v[50:51], v[4:5] neg_lo:[0,0,1] neg_hi:[0,0,1]
	v_pk_fma_f32 v[4:5], v[18:19], v[50:51], v[4:5] op_sel_hi:[1,0,1]
	s_nop 0
	v_mov_b32_e32 v7, v5
	scratch_load_dwordx2 v[4:5], off, off offset:80
	v_pk_add_f32 v[2:3], v[2:3], v[6:7]
	s_waitcnt vmcnt(0)
	v_pk_add_f32 v[2:3], v[4:5], v[2:3] neg_lo:[0,1] neg_hi:[0,1]
	scratch_store_dwordx2 off, v[2:3], off offset:80
	s_and_saveexec_b64 s[0:1], vcc
	s_cbranch_execz .LBB90_157
; %bb.156:
	scratch_load_dwordx2 v[2:3], off, off offset:72
	v_mov_b32_e32 v4, 0
	v_mov_b32_e32 v5, v4
	scratch_store_dwordx2 off, v[4:5], off offset:72
	s_waitcnt vmcnt(1)
	ds_write_b64 v1, v[2:3]
.LBB90_157:
	s_or_b64 exec, exec, s[0:1]
	v_mov_b32_e32 v2, 0
	s_waitcnt lgkmcnt(0)
	; wave barrier
	ds_read_b128 v[4:7], v2 offset:304
	ds_read_b128 v[8:11], v2 offset:320
	;; [unrolled: 1-line block ×4, first 2 shown]
	scratch_load_dwordx4 v[20:23], off, off offset:80
	scratch_load_dwordx4 v[40:43], off, off offset:144
	v_cmp_lt_u32_e32 vcc, 8, v0
	s_waitcnt vmcnt(1) lgkmcnt(3)
	v_mul_f32_e32 v3, v4, v21
	v_fmac_f32_e32 v3, v5, v20
	v_mul_f32_e32 v24, v6, v23
	v_add_f32_e32 v3, 0, v3
	v_fmac_f32_e32 v24, v7, v22
	v_add_f32_e32 v3, v3, v24
	scratch_load_dwordx4 v[24:27], off, off offset:96
	s_waitcnt vmcnt(0) lgkmcnt(2)
	v_mul_f32_e32 v28, v8, v25
	v_fmac_f32_e32 v28, v9, v24
	v_add_f32_e32 v3, v3, v28
	v_mul_f32_e32 v28, v10, v27
	v_fmac_f32_e32 v28, v11, v26
	v_add_f32_e32 v3, v3, v28
	scratch_load_dwordx4 v[28:31], off, off offset:112
	s_waitcnt vmcnt(0) lgkmcnt(1)
	v_mul_f32_e32 v32, v12, v29
	v_fmac_f32_e32 v32, v13, v28
	v_add_f32_e32 v3, v3, v32
	v_mul_f32_e32 v32, v14, v31
	v_fmac_f32_e32 v32, v15, v30
	v_add_f32_e32 v3, v3, v32
	scratch_load_dwordx4 v[32:35], off, off offset:128
	s_waitcnt vmcnt(0) lgkmcnt(0)
	v_mul_f32_e32 v36, v16, v33
	v_fmac_f32_e32 v36, v17, v32
	v_add_f32_e32 v111, v3, v36
	ds_read_b128 v[36:39], v2 offset:368
	scratch_load_dwordx4 v[44:47], off, off offset:160
	scratch_load_dwordx4 v[48:51], off, off offset:176
	;; [unrolled: 1-line block ×3, first 2 shown]
	scratch_load_dwordx2 v[116:117], off, off offset:208
	v_mul_f32_e32 v3, v5, v21
	v_fma_f32 v3, v4, v20, -v3
	v_mul_f32_e32 v4, v7, v23
	v_add_f32_e32 v3, 0, v3
	v_fma_f32 v4, v6, v22, -v4
	v_add_f32_e32 v3, v3, v4
	v_mul_f32_e32 v4, v9, v25
	v_fma_f32 v4, v8, v24, -v4
	v_add_f32_e32 v3, v3, v4
	v_mul_f32_e32 v4, v11, v27
	;; [unrolled: 3-line block ×5, first 2 shown]
	v_fma_f32 v4, v16, v32, -v4
	v_mul_f32_e32 v113, v18, v35
	v_add_f32_e32 v110, v3, v4
	v_mul_f32_e32 v3, v19, v35
	v_mov_b32_e32 v20, v43
	v_fmac_f32_e32 v113, v19, v34
	s_waitcnt lgkmcnt(0)
	v_mul_f32_e32 v115, v36, v41
	v_fma_f32 v112, v18, v34, -v3
	v_mul_f32_e32 v3, v37, v41
	ds_read_b128 v[4:7], v2 offset:384
	ds_read_b128 v[8:11], v2 offset:400
	;; [unrolled: 1-line block ×3, first 2 shown]
	ds_read_b64 v[16:17], v2 offset:432
	v_pk_mul_f32 v[20:21], v[38:39], v[20:21] op_sel:[1,0] op_sel_hi:[0,0]
	v_fmac_f32_e32 v115, v37, v40
	v_fma_f32 v114, v36, v40, -v3
	v_pk_add_f32 v[18:19], v[110:111], v[112:113]
	v_pk_fma_f32 v[22:23], v[38:39], v[42:43], v[20:21] neg_lo:[0,0,1] neg_hi:[0,0,1]
	v_pk_fma_f32 v[20:21], v[38:39], v[42:43], v[20:21] op_sel_hi:[1,0,1]
	v_pk_add_f32 v[18:19], v[18:19], v[114:115]
	v_mov_b32_e32 v23, v21
	v_pk_add_f32 v[18:19], v[18:19], v[22:23]
	s_waitcnt vmcnt(3) lgkmcnt(3)
	v_pk_mul_f32 v[20:21], v[4:5], v[44:45] op_sel:[1,1] op_sel_hi:[0,1]
	v_pk_fma_f32 v[22:23], v[4:5], v[44:45], v[20:21] neg_lo:[0,0,1] neg_hi:[0,0,1]
	v_pk_fma_f32 v[4:5], v[4:5], v[44:45], v[20:21] op_sel_hi:[1,0,1]
	s_nop 0
	v_mov_b32_e32 v23, v5
	v_pk_add_f32 v[4:5], v[18:19], v[22:23]
	v_mov_b32_e32 v18, v47
	v_pk_mul_f32 v[18:19], v[6:7], v[18:19] op_sel:[1,0] op_sel_hi:[0,0]
	v_pk_fma_f32 v[20:21], v[6:7], v[46:47], v[18:19] neg_lo:[0,0,1] neg_hi:[0,0,1]
	v_pk_fma_f32 v[6:7], v[6:7], v[46:47], v[18:19] op_sel_hi:[1,0,1]
	s_nop 0
	v_mov_b32_e32 v21, v7
	s_waitcnt vmcnt(2) lgkmcnt(2)
	v_pk_mul_f32 v[6:7], v[8:9], v[48:49] op_sel:[1,1] op_sel_hi:[0,1]
	v_pk_fma_f32 v[18:19], v[8:9], v[48:49], v[6:7] neg_lo:[0,0,1] neg_hi:[0,0,1]
	v_pk_fma_f32 v[6:7], v[8:9], v[48:49], v[6:7] op_sel_hi:[1,0,1]
	v_pk_add_f32 v[4:5], v[4:5], v[20:21]
	v_mov_b32_e32 v6, v51
	v_mov_b32_e32 v19, v7
	v_pk_mul_f32 v[6:7], v[10:11], v[6:7] op_sel:[1,0] op_sel_hi:[0,0]
	v_pk_fma_f32 v[8:9], v[10:11], v[50:51], v[6:7] neg_lo:[0,0,1] neg_hi:[0,0,1]
	v_pk_fma_f32 v[6:7], v[10:11], v[50:51], v[6:7] op_sel_hi:[1,0,1]
	v_pk_add_f32 v[4:5], v[4:5], v[18:19]
	v_mov_b32_e32 v9, v7
	s_waitcnt vmcnt(1) lgkmcnt(1)
	v_pk_mul_f32 v[6:7], v[12:13], v[52:53] op_sel:[1,1] op_sel_hi:[0,1]
	v_pk_add_f32 v[4:5], v[4:5], v[8:9]
	v_pk_fma_f32 v[8:9], v[12:13], v[52:53], v[6:7] neg_lo:[0,0,1] neg_hi:[0,0,1]
	v_pk_fma_f32 v[6:7], v[12:13], v[52:53], v[6:7] op_sel_hi:[1,0,1]
	s_nop 0
	v_mov_b32_e32 v6, v55
	v_mov_b32_e32 v9, v7
	v_pk_mul_f32 v[6:7], v[14:15], v[6:7] op_sel:[1,0] op_sel_hi:[0,0]
	v_pk_add_f32 v[4:5], v[4:5], v[8:9]
	v_pk_fma_f32 v[8:9], v[14:15], v[54:55], v[6:7] neg_lo:[0,0,1] neg_hi:[0,0,1]
	v_pk_fma_f32 v[6:7], v[14:15], v[54:55], v[6:7] op_sel_hi:[1,0,1]
	s_nop 0
	v_mov_b32_e32 v9, v7
	s_waitcnt vmcnt(0) lgkmcnt(0)
	v_pk_mul_f32 v[6:7], v[16:17], v[116:117] op_sel:[1,1] op_sel_hi:[0,1]
	v_pk_add_f32 v[4:5], v[4:5], v[8:9]
	v_pk_fma_f32 v[8:9], v[16:17], v[116:117], v[6:7] neg_lo:[0,0,1] neg_hi:[0,0,1]
	v_pk_fma_f32 v[6:7], v[16:17], v[116:117], v[6:7] op_sel_hi:[1,0,1]
	s_nop 0
	v_mov_b32_e32 v9, v7
	scratch_load_dwordx2 v[6:7], off, off offset:72
	v_pk_add_f32 v[4:5], v[4:5], v[8:9]
	s_waitcnt vmcnt(0)
	v_pk_add_f32 v[4:5], v[6:7], v[4:5] neg_lo:[0,1] neg_hi:[0,1]
	scratch_store_dwordx2 off, v[4:5], off offset:72
	s_and_saveexec_b64 s[0:1], vcc
	s_cbranch_execz .LBB90_159
; %bb.158:
	scratch_load_dwordx2 v[4:5], off, off offset:64
	v_mov_b32_e32 v3, v2
	scratch_store_dwordx2 off, v[2:3], off offset:64
	s_waitcnt vmcnt(1)
	ds_write_b64 v1, v[4:5]
.LBB90_159:
	s_or_b64 exec, exec, s[0:1]
	s_waitcnt lgkmcnt(0)
	; wave barrier
	scratch_load_dwordx4 v[8:11], off, off offset:72
	scratch_load_dwordx4 v[16:19], off, off offset:88
	;; [unrolled: 1-line block ×4, first 2 shown]
	ds_read2_b64 v[4:7], v2 offset0:37 offset1:38
	scratch_load_dwordx4 v[40:43], off, off offset:136
	v_cmp_lt_u32_e32 vcc, 7, v0
	s_waitcnt vmcnt(4) lgkmcnt(0)
	v_mul_f32_e32 v3, v4, v9
	v_fmac_f32_e32 v3, v5, v8
	v_mul_f32_e32 v12, v6, v11
	v_add_f32_e32 v3, 0, v3
	v_fmac_f32_e32 v12, v7, v10
	v_add_f32_e32 v3, v3, v12
	ds_read2_b64 v[12:15], v2 offset0:39 offset1:40
	s_waitcnt vmcnt(3) lgkmcnt(0)
	v_mul_f32_e32 v20, v12, v17
	v_fmac_f32_e32 v20, v13, v16
	v_add_f32_e32 v3, v3, v20
	v_mul_f32_e32 v20, v14, v19
	v_fmac_f32_e32 v20, v15, v18
	v_add_f32_e32 v3, v3, v20
	ds_read2_b64 v[20:23], v2 offset0:41 offset1:42
	s_waitcnt vmcnt(2) lgkmcnt(0)
	v_mul_f32_e32 v28, v20, v25
	v_fmac_f32_e32 v28, v21, v24
	v_add_f32_e32 v3, v3, v28
	v_mul_f32_e32 v28, v22, v27
	;; [unrolled: 8-line block ×3, first 2 shown]
	v_fmac_f32_e32 v36, v31, v34
	v_add_f32_e32 v115, v3, v36
	ds_read2_b64 v[36:39], v2 offset0:45 offset1:46
	scratch_load_dwordx4 v[44:47], off, off offset:152
	scratch_load_dwordx4 v[48:51], off, off offset:168
	;; [unrolled: 1-line block ×4, first 2 shown]
	v_mul_f32_e32 v3, v5, v9
	v_fma_f32 v3, v4, v8, -v3
	v_mul_f32_e32 v4, v7, v11
	v_add_f32_e32 v3, 0, v3
	v_fma_f32 v4, v6, v10, -v4
	v_add_f32_e32 v3, v3, v4
	v_mul_f32_e32 v4, v13, v17
	v_fma_f32 v4, v12, v16, -v4
	v_add_f32_e32 v3, v3, v4
	v_mul_f32_e32 v4, v15, v19
	;; [unrolled: 3-line block ×6, first 2 shown]
	v_fma_f32 v4, v30, v34, -v4
	v_add_f32_e32 v114, v3, v4
	ds_read2_b64 v[4:7], v2 offset0:47 offset1:48
	ds_read2_b64 v[8:11], v2 offset0:49 offset1:50
	;; [unrolled: 1-line block ×4, first 2 shown]
	s_waitcnt vmcnt(4) lgkmcnt(4)
	v_mul_f32_e32 v117, v36, v41
	v_mul_f32_e32 v3, v37, v41
	v_fmac_f32_e32 v117, v37, v40
	v_mul_f32_e32 v119, v38, v43
	v_fma_f32 v116, v36, v40, -v3
	v_mul_f32_e32 v3, v39, v43
	v_fmac_f32_e32 v119, v39, v42
	v_fma_f32 v118, v38, v42, -v3
	v_pk_add_f32 v[2:3], v[114:115], v[116:117]
	s_waitcnt vmcnt(3) lgkmcnt(3)
	v_pk_mul_f32 v[20:21], v[4:5], v[44:45] op_sel:[1,1] op_sel_hi:[0,1]
	v_pk_fma_f32 v[22:23], v[4:5], v[44:45], v[20:21] neg_lo:[0,0,1] neg_hi:[0,0,1]
	v_pk_fma_f32 v[4:5], v[4:5], v[44:45], v[20:21] op_sel_hi:[1,0,1]
	v_pk_add_f32 v[2:3], v[2:3], v[118:119]
	v_mov_b32_e32 v4, v47
	v_mov_b32_e32 v23, v5
	v_pk_mul_f32 v[4:5], v[6:7], v[4:5] op_sel:[1,0] op_sel_hi:[0,0]
	v_pk_fma_f32 v[20:21], v[6:7], v[46:47], v[4:5] neg_lo:[0,0,1] neg_hi:[0,0,1]
	v_pk_fma_f32 v[4:5], v[6:7], v[46:47], v[4:5] op_sel_hi:[1,0,1]
	v_pk_add_f32 v[2:3], v[2:3], v[22:23]
	v_mov_b32_e32 v21, v5
	s_waitcnt vmcnt(2) lgkmcnt(2)
	v_pk_mul_f32 v[4:5], v[8:9], v[48:49] op_sel:[1,1] op_sel_hi:[0,1]
	v_pk_fma_f32 v[6:7], v[8:9], v[48:49], v[4:5] neg_lo:[0,0,1] neg_hi:[0,0,1]
	v_pk_fma_f32 v[4:5], v[8:9], v[48:49], v[4:5] op_sel_hi:[1,0,1]
	v_pk_add_f32 v[2:3], v[2:3], v[20:21]
	v_mov_b32_e32 v4, v51
	v_mov_b32_e32 v7, v5
	v_pk_mul_f32 v[4:5], v[10:11], v[4:5] op_sel:[1,0] op_sel_hi:[0,0]
	v_pk_add_f32 v[2:3], v[2:3], v[6:7]
	v_pk_fma_f32 v[6:7], v[10:11], v[50:51], v[4:5] neg_lo:[0,0,1] neg_hi:[0,0,1]
	v_pk_fma_f32 v[4:5], v[10:11], v[50:51], v[4:5] op_sel_hi:[1,0,1]
	s_nop 0
	v_mov_b32_e32 v7, v5
	s_waitcnt vmcnt(1) lgkmcnt(1)
	v_pk_mul_f32 v[4:5], v[12:13], v[52:53] op_sel:[1,1] op_sel_hi:[0,1]
	v_pk_add_f32 v[2:3], v[2:3], v[6:7]
	v_pk_fma_f32 v[6:7], v[12:13], v[52:53], v[4:5] neg_lo:[0,0,1] neg_hi:[0,0,1]
	v_pk_fma_f32 v[4:5], v[12:13], v[52:53], v[4:5] op_sel_hi:[1,0,1]
	s_nop 0
	v_mov_b32_e32 v4, v55
	v_mov_b32_e32 v7, v5
	v_pk_mul_f32 v[4:5], v[14:15], v[4:5] op_sel:[1,0] op_sel_hi:[0,0]
	v_pk_add_f32 v[2:3], v[2:3], v[6:7]
	v_pk_fma_f32 v[6:7], v[14:15], v[54:55], v[4:5] neg_lo:[0,0,1] neg_hi:[0,0,1]
	v_pk_fma_f32 v[4:5], v[14:15], v[54:55], v[4:5] op_sel_hi:[1,0,1]
	s_nop 0
	v_mov_b32_e32 v7, v5
	s_waitcnt vmcnt(0) lgkmcnt(0)
	v_pk_mul_f32 v[4:5], v[16:17], v[110:111] op_sel:[1,1] op_sel_hi:[0,1]
	v_pk_add_f32 v[2:3], v[2:3], v[6:7]
	v_pk_fma_f32 v[6:7], v[16:17], v[110:111], v[4:5] neg_lo:[0,0,1] neg_hi:[0,0,1]
	v_pk_fma_f32 v[4:5], v[16:17], v[110:111], v[4:5] op_sel_hi:[1,0,1]
	s_nop 0
	v_mov_b32_e32 v4, v113
	v_mov_b32_e32 v7, v5
	v_pk_mul_f32 v[4:5], v[18:19], v[4:5] op_sel:[1,0] op_sel_hi:[0,0]
	v_pk_add_f32 v[2:3], v[2:3], v[6:7]
	v_pk_fma_f32 v[6:7], v[18:19], v[112:113], v[4:5] neg_lo:[0,0,1] neg_hi:[0,0,1]
	v_pk_fma_f32 v[4:5], v[18:19], v[112:113], v[4:5] op_sel_hi:[1,0,1]
	s_nop 0
	v_mov_b32_e32 v7, v5
	scratch_load_dwordx2 v[4:5], off, off offset:64
	v_pk_add_f32 v[2:3], v[2:3], v[6:7]
	s_waitcnt vmcnt(0)
	v_pk_add_f32 v[2:3], v[4:5], v[2:3] neg_lo:[0,1] neg_hi:[0,1]
	scratch_store_dwordx2 off, v[2:3], off offset:64
	s_and_saveexec_b64 s[0:1], vcc
	s_cbranch_execz .LBB90_161
; %bb.160:
	scratch_load_dwordx2 v[2:3], off, off offset:56
	v_mov_b32_e32 v4, 0
	v_mov_b32_e32 v5, v4
	scratch_store_dwordx2 off, v[4:5], off offset:56
	s_waitcnt vmcnt(1)
	ds_write_b64 v1, v[2:3]
.LBB90_161:
	s_or_b64 exec, exec, s[0:1]
	v_mov_b32_e32 v2, 0
	s_waitcnt lgkmcnt(0)
	; wave barrier
	ds_read_b128 v[4:7], v2 offset:288
	ds_read_b128 v[8:11], v2 offset:304
	;; [unrolled: 1-line block ×4, first 2 shown]
	scratch_load_dwordx4 v[20:23], off, off offset:64
	scratch_load_dwordx4 v[40:43], off, off offset:128
	v_cmp_lt_u32_e32 vcc, 6, v0
	scratch_load_dwordx4 v[48:51], off, off offset:144
	s_waitcnt vmcnt(2) lgkmcnt(3)
	v_mul_f32_e32 v3, v4, v21
	v_fmac_f32_e32 v3, v5, v20
	v_mul_f32_e32 v24, v6, v23
	v_add_f32_e32 v3, 0, v3
	v_fmac_f32_e32 v24, v7, v22
	v_add_f32_e32 v3, v3, v24
	scratch_load_dwordx4 v[24:27], off, off offset:80
	s_waitcnt vmcnt(0) lgkmcnt(2)
	v_mul_f32_e32 v28, v8, v25
	v_fmac_f32_e32 v28, v9, v24
	v_add_f32_e32 v3, v3, v28
	v_mul_f32_e32 v28, v10, v27
	v_fmac_f32_e32 v28, v11, v26
	v_add_f32_e32 v3, v3, v28
	scratch_load_dwordx4 v[28:31], off, off offset:96
	s_waitcnt vmcnt(0) lgkmcnt(1)
	v_mul_f32_e32 v32, v12, v29
	v_fmac_f32_e32 v32, v13, v28
	v_add_f32_e32 v3, v3, v32
	v_mul_f32_e32 v32, v14, v31
	;; [unrolled: 8-line block ×3, first 2 shown]
	v_fmac_f32_e32 v36, v19, v34
	v_add_f32_e32 v3, v3, v36
	ds_read_b128 v[36:39], v2 offset:352
	s_waitcnt lgkmcnt(0)
	v_mul_f32_e32 v44, v36, v41
	v_fmac_f32_e32 v44, v37, v40
	v_add_f32_e32 v119, v3, v44
	ds_read_b128 v[44:47], v2 offset:368
	scratch_load_dwordx4 v[52:55], off, off offset:160
	scratch_load_dwordx4 v[110:113], off, off offset:176
	;; [unrolled: 1-line block ×3, first 2 shown]
	scratch_load_dwordx2 v[124:125], off, off offset:208
	v_mul_f32_e32 v3, v5, v21
	v_fma_f32 v3, v4, v20, -v3
	v_mul_f32_e32 v4, v7, v23
	v_add_f32_e32 v3, 0, v3
	v_fma_f32 v4, v6, v22, -v4
	v_add_f32_e32 v3, v3, v4
	v_mul_f32_e32 v4, v9, v25
	v_fma_f32 v4, v8, v24, -v4
	v_add_f32_e32 v3, v3, v4
	v_mul_f32_e32 v4, v11, v27
	;; [unrolled: 3-line block ×7, first 2 shown]
	v_fma_f32 v4, v36, v40, -v4
	v_mul_f32_e32 v121, v38, v43
	v_add_f32_e32 v118, v3, v4
	v_mul_f32_e32 v3, v39, v43
	v_mov_b32_e32 v20, v51
	v_fmac_f32_e32 v121, v39, v42
	s_waitcnt lgkmcnt(0)
	v_mul_f32_e32 v123, v44, v49
	v_fma_f32 v120, v38, v42, -v3
	v_mul_f32_e32 v3, v45, v49
	ds_read_b128 v[4:7], v2 offset:384
	ds_read_b128 v[8:11], v2 offset:400
	;; [unrolled: 1-line block ×3, first 2 shown]
	ds_read_b64 v[16:17], v2 offset:432
	v_pk_mul_f32 v[20:21], v[46:47], v[20:21] op_sel:[1,0] op_sel_hi:[0,0]
	v_fmac_f32_e32 v123, v45, v48
	v_fma_f32 v122, v44, v48, -v3
	v_pk_add_f32 v[18:19], v[118:119], v[120:121]
	v_pk_fma_f32 v[22:23], v[46:47], v[50:51], v[20:21] neg_lo:[0,0,1] neg_hi:[0,0,1]
	v_pk_fma_f32 v[20:21], v[46:47], v[50:51], v[20:21] op_sel_hi:[1,0,1]
	v_pk_add_f32 v[18:19], v[18:19], v[122:123]
	v_mov_b32_e32 v23, v21
	v_pk_add_f32 v[18:19], v[18:19], v[22:23]
	s_waitcnt vmcnt(3) lgkmcnt(3)
	v_pk_mul_f32 v[20:21], v[4:5], v[52:53] op_sel:[1,1] op_sel_hi:[0,1]
	v_pk_fma_f32 v[22:23], v[4:5], v[52:53], v[20:21] neg_lo:[0,0,1] neg_hi:[0,0,1]
	v_pk_fma_f32 v[4:5], v[4:5], v[52:53], v[20:21] op_sel_hi:[1,0,1]
	s_nop 0
	v_mov_b32_e32 v23, v5
	v_pk_add_f32 v[4:5], v[18:19], v[22:23]
	v_mov_b32_e32 v18, v55
	v_pk_mul_f32 v[18:19], v[6:7], v[18:19] op_sel:[1,0] op_sel_hi:[0,0]
	v_pk_fma_f32 v[20:21], v[6:7], v[54:55], v[18:19] neg_lo:[0,0,1] neg_hi:[0,0,1]
	v_pk_fma_f32 v[6:7], v[6:7], v[54:55], v[18:19] op_sel_hi:[1,0,1]
	s_nop 0
	v_mov_b32_e32 v21, v7
	s_waitcnt vmcnt(2) lgkmcnt(2)
	v_pk_mul_f32 v[6:7], v[8:9], v[110:111] op_sel:[1,1] op_sel_hi:[0,1]
	v_pk_fma_f32 v[18:19], v[8:9], v[110:111], v[6:7] neg_lo:[0,0,1] neg_hi:[0,0,1]
	v_pk_fma_f32 v[6:7], v[8:9], v[110:111], v[6:7] op_sel_hi:[1,0,1]
	v_pk_add_f32 v[4:5], v[4:5], v[20:21]
	v_mov_b32_e32 v6, v113
	v_mov_b32_e32 v19, v7
	v_pk_mul_f32 v[6:7], v[10:11], v[6:7] op_sel:[1,0] op_sel_hi:[0,0]
	v_pk_fma_f32 v[8:9], v[10:11], v[112:113], v[6:7] neg_lo:[0,0,1] neg_hi:[0,0,1]
	v_pk_fma_f32 v[6:7], v[10:11], v[112:113], v[6:7] op_sel_hi:[1,0,1]
	v_pk_add_f32 v[4:5], v[4:5], v[18:19]
	v_mov_b32_e32 v9, v7
	s_waitcnt vmcnt(1) lgkmcnt(1)
	v_pk_mul_f32 v[6:7], v[12:13], v[114:115] op_sel:[1,1] op_sel_hi:[0,1]
	v_pk_add_f32 v[4:5], v[4:5], v[8:9]
	v_pk_fma_f32 v[8:9], v[12:13], v[114:115], v[6:7] neg_lo:[0,0,1] neg_hi:[0,0,1]
	v_pk_fma_f32 v[6:7], v[12:13], v[114:115], v[6:7] op_sel_hi:[1,0,1]
	s_nop 0
	v_mov_b32_e32 v6, v117
	v_mov_b32_e32 v9, v7
	v_pk_mul_f32 v[6:7], v[14:15], v[6:7] op_sel:[1,0] op_sel_hi:[0,0]
	v_pk_add_f32 v[4:5], v[4:5], v[8:9]
	v_pk_fma_f32 v[8:9], v[14:15], v[116:117], v[6:7] neg_lo:[0,0,1] neg_hi:[0,0,1]
	v_pk_fma_f32 v[6:7], v[14:15], v[116:117], v[6:7] op_sel_hi:[1,0,1]
	s_nop 0
	v_mov_b32_e32 v9, v7
	s_waitcnt vmcnt(0) lgkmcnt(0)
	v_pk_mul_f32 v[6:7], v[16:17], v[124:125] op_sel:[1,1] op_sel_hi:[0,1]
	v_pk_add_f32 v[4:5], v[4:5], v[8:9]
	v_pk_fma_f32 v[8:9], v[16:17], v[124:125], v[6:7] neg_lo:[0,0,1] neg_hi:[0,0,1]
	v_pk_fma_f32 v[6:7], v[16:17], v[124:125], v[6:7] op_sel_hi:[1,0,1]
	s_nop 0
	v_mov_b32_e32 v9, v7
	scratch_load_dwordx2 v[6:7], off, off offset:56
	v_pk_add_f32 v[4:5], v[4:5], v[8:9]
	s_waitcnt vmcnt(0)
	v_pk_add_f32 v[4:5], v[6:7], v[4:5] neg_lo:[0,1] neg_hi:[0,1]
	scratch_store_dwordx2 off, v[4:5], off offset:56
	s_and_saveexec_b64 s[0:1], vcc
	s_cbranch_execz .LBB90_163
; %bb.162:
	scratch_load_dwordx2 v[4:5], off, off offset:48
	v_mov_b32_e32 v3, v2
	scratch_store_dwordx2 off, v[2:3], off offset:48
	s_waitcnt vmcnt(1)
	ds_write_b64 v1, v[4:5]
.LBB90_163:
	s_or_b64 exec, exec, s[0:1]
	s_waitcnt lgkmcnt(0)
	; wave barrier
	scratch_load_dwordx4 v[8:11], off, off offset:56
	scratch_load_dwordx4 v[16:19], off, off offset:72
	;; [unrolled: 1-line block ×6, first 2 shown]
	ds_read2_b64 v[4:7], v2 offset0:35 offset1:36
	v_cmp_lt_u32_e32 vcc, 5, v0
	s_waitcnt vmcnt(5) lgkmcnt(0)
	v_mul_f32_e32 v3, v4, v9
	v_fmac_f32_e32 v3, v5, v8
	v_mul_f32_e32 v12, v6, v11
	v_add_f32_e32 v3, 0, v3
	v_fmac_f32_e32 v12, v7, v10
	v_add_f32_e32 v3, v3, v12
	ds_read2_b64 v[12:15], v2 offset0:37 offset1:38
	s_waitcnt vmcnt(4) lgkmcnt(0)
	v_mul_f32_e32 v20, v12, v17
	v_fmac_f32_e32 v20, v13, v16
	v_add_f32_e32 v3, v3, v20
	v_mul_f32_e32 v20, v14, v19
	v_fmac_f32_e32 v20, v15, v18
	v_add_f32_e32 v3, v3, v20
	ds_read2_b64 v[20:23], v2 offset0:39 offset1:40
	s_waitcnt vmcnt(3) lgkmcnt(0)
	v_mul_f32_e32 v28, v20, v25
	v_fmac_f32_e32 v28, v21, v24
	v_add_f32_e32 v3, v3, v28
	v_mul_f32_e32 v28, v22, v27
	;; [unrolled: 8-line block ×4, first 2 shown]
	v_fmac_f32_e32 v44, v39, v42
	v_add_f32_e32 v123, v3, v44
	ds_read2_b64 v[44:47], v2 offset0:45 offset1:46
	scratch_load_dwordx4 v[52:55], off, off offset:152
	scratch_load_dwordx4 v[110:113], off, off offset:168
	;; [unrolled: 1-line block ×4, first 2 shown]
	v_mul_f32_e32 v3, v5, v9
	v_fma_f32 v3, v4, v8, -v3
	v_mul_f32_e32 v4, v7, v11
	v_add_f32_e32 v3, 0, v3
	v_fma_f32 v4, v6, v10, -v4
	v_add_f32_e32 v3, v3, v4
	v_mul_f32_e32 v4, v13, v17
	v_fma_f32 v4, v12, v16, -v4
	v_add_f32_e32 v3, v3, v4
	v_mul_f32_e32 v4, v15, v19
	;; [unrolled: 3-line block ×8, first 2 shown]
	v_fma_f32 v4, v38, v42, -v4
	v_add_f32_e32 v122, v3, v4
	ds_read2_b64 v[4:7], v2 offset0:47 offset1:48
	ds_read2_b64 v[8:11], v2 offset0:49 offset1:50
	;; [unrolled: 1-line block ×4, first 2 shown]
	s_waitcnt vmcnt(4) lgkmcnt(4)
	v_mul_f32_e32 v125, v44, v49
	v_mul_f32_e32 v3, v45, v49
	v_fmac_f32_e32 v125, v45, v48
	v_mul_f32_e32 v127, v46, v51
	v_fma_f32 v124, v44, v48, -v3
	v_mul_f32_e32 v3, v47, v51
	v_fmac_f32_e32 v127, v47, v50
	v_fma_f32 v126, v46, v50, -v3
	v_pk_add_f32 v[2:3], v[122:123], v[124:125]
	s_waitcnt vmcnt(3) lgkmcnt(3)
	v_pk_mul_f32 v[20:21], v[4:5], v[52:53] op_sel:[1,1] op_sel_hi:[0,1]
	v_pk_fma_f32 v[22:23], v[4:5], v[52:53], v[20:21] neg_lo:[0,0,1] neg_hi:[0,0,1]
	v_pk_fma_f32 v[4:5], v[4:5], v[52:53], v[20:21] op_sel_hi:[1,0,1]
	v_pk_add_f32 v[2:3], v[2:3], v[126:127]
	v_mov_b32_e32 v4, v55
	v_mov_b32_e32 v23, v5
	v_pk_mul_f32 v[4:5], v[6:7], v[4:5] op_sel:[1,0] op_sel_hi:[0,0]
	v_pk_fma_f32 v[20:21], v[6:7], v[54:55], v[4:5] neg_lo:[0,0,1] neg_hi:[0,0,1]
	v_pk_fma_f32 v[4:5], v[6:7], v[54:55], v[4:5] op_sel_hi:[1,0,1]
	v_pk_add_f32 v[2:3], v[2:3], v[22:23]
	v_mov_b32_e32 v21, v5
	s_waitcnt vmcnt(2) lgkmcnt(2)
	v_pk_mul_f32 v[4:5], v[8:9], v[110:111] op_sel:[1,1] op_sel_hi:[0,1]
	v_pk_fma_f32 v[6:7], v[8:9], v[110:111], v[4:5] neg_lo:[0,0,1] neg_hi:[0,0,1]
	v_pk_fma_f32 v[4:5], v[8:9], v[110:111], v[4:5] op_sel_hi:[1,0,1]
	v_pk_add_f32 v[2:3], v[2:3], v[20:21]
	v_mov_b32_e32 v4, v113
	v_mov_b32_e32 v7, v5
	v_pk_mul_f32 v[4:5], v[10:11], v[4:5] op_sel:[1,0] op_sel_hi:[0,0]
	v_pk_add_f32 v[2:3], v[2:3], v[6:7]
	v_pk_fma_f32 v[6:7], v[10:11], v[112:113], v[4:5] neg_lo:[0,0,1] neg_hi:[0,0,1]
	v_pk_fma_f32 v[4:5], v[10:11], v[112:113], v[4:5] op_sel_hi:[1,0,1]
	s_nop 0
	v_mov_b32_e32 v7, v5
	s_waitcnt vmcnt(1) lgkmcnt(1)
	v_pk_mul_f32 v[4:5], v[12:13], v[114:115] op_sel:[1,1] op_sel_hi:[0,1]
	v_pk_add_f32 v[2:3], v[2:3], v[6:7]
	v_pk_fma_f32 v[6:7], v[12:13], v[114:115], v[4:5] neg_lo:[0,0,1] neg_hi:[0,0,1]
	v_pk_fma_f32 v[4:5], v[12:13], v[114:115], v[4:5] op_sel_hi:[1,0,1]
	s_nop 0
	v_mov_b32_e32 v4, v117
	v_mov_b32_e32 v7, v5
	v_pk_mul_f32 v[4:5], v[14:15], v[4:5] op_sel:[1,0] op_sel_hi:[0,0]
	v_pk_add_f32 v[2:3], v[2:3], v[6:7]
	v_pk_fma_f32 v[6:7], v[14:15], v[116:117], v[4:5] neg_lo:[0,0,1] neg_hi:[0,0,1]
	v_pk_fma_f32 v[4:5], v[14:15], v[116:117], v[4:5] op_sel_hi:[1,0,1]
	s_nop 0
	v_mov_b32_e32 v7, v5
	s_waitcnt vmcnt(0) lgkmcnt(0)
	v_pk_mul_f32 v[4:5], v[16:17], v[118:119] op_sel:[1,1] op_sel_hi:[0,1]
	v_pk_add_f32 v[2:3], v[2:3], v[6:7]
	v_pk_fma_f32 v[6:7], v[16:17], v[118:119], v[4:5] neg_lo:[0,0,1] neg_hi:[0,0,1]
	v_pk_fma_f32 v[4:5], v[16:17], v[118:119], v[4:5] op_sel_hi:[1,0,1]
	s_nop 0
	v_mov_b32_e32 v4, v121
	v_mov_b32_e32 v7, v5
	v_pk_mul_f32 v[4:5], v[18:19], v[4:5] op_sel:[1,0] op_sel_hi:[0,0]
	v_pk_add_f32 v[2:3], v[2:3], v[6:7]
	v_pk_fma_f32 v[6:7], v[18:19], v[120:121], v[4:5] neg_lo:[0,0,1] neg_hi:[0,0,1]
	v_pk_fma_f32 v[4:5], v[18:19], v[120:121], v[4:5] op_sel_hi:[1,0,1]
	s_nop 0
	v_mov_b32_e32 v7, v5
	scratch_load_dwordx2 v[4:5], off, off offset:48
	v_pk_add_f32 v[2:3], v[2:3], v[6:7]
	s_waitcnt vmcnt(0)
	v_pk_add_f32 v[2:3], v[4:5], v[2:3] neg_lo:[0,1] neg_hi:[0,1]
	scratch_store_dwordx2 off, v[2:3], off offset:48
	s_and_saveexec_b64 s[0:1], vcc
	s_cbranch_execz .LBB90_165
; %bb.164:
	scratch_load_dwordx2 v[2:3], off, off offset:40
	v_mov_b32_e32 v4, 0
	v_mov_b32_e32 v5, v4
	scratch_store_dwordx2 off, v[4:5], off offset:40
	s_waitcnt vmcnt(1)
	ds_write_b64 v1, v[2:3]
.LBB90_165:
	s_or_b64 exec, exec, s[0:1]
	s_waitcnt lgkmcnt(0)
	; wave barrier
	scratch_load_dwordx4 v[2:5], off, off offset:48
	scratch_load_dwordx4 v[6:9], off, off offset:64
	;; [unrolled: 1-line block ×10, first 2 shown]
	scratch_load_dwordx2 v[130:131], off, off offset:208
	scratch_load_dwordx2 v[132:133], off, off offset:40
	v_mov_b32_e32 v10, 0
	ds_read_b128 v[44:47], v10 offset:272
	ds_read_b128 v[48:51], v10 offset:288
	;; [unrolled: 1-line block ×8, first 2 shown]
	v_cmp_lt_u32_e32 vcc, 4, v0
	s_waitcnt vmcnt(11) lgkmcnt(7)
	v_mul_f32_e32 v11, v44, v3
	v_mul_f32_e32 v3, v45, v3
	;; [unrolled: 1-line block ×4, first 2 shown]
	v_fmac_f32_e32 v11, v45, v2
	v_fma_f32 v2, v44, v2, -v3
	s_waitcnt vmcnt(10) lgkmcnt(6)
	v_mul_f32_e32 v136, v48, v7
	v_mul_f32_e32 v7, v49, v7
	v_fma_f32 v3, v46, v4, -v5
	v_add_f32_e32 v2, 0, v2
	v_mul_f32_e32 v138, v50, v9
	v_mul_f32_e32 v9, v51, v9
	v_fmac_f32_e32 v134, v47, v4
	v_fma_f32 v4, v48, v6, -v7
	v_add_f32_e32 v11, 0, v11
	v_add_f32_e32 v2, v2, v3
	s_waitcnt vmcnt(9) lgkmcnt(5)
	v_mul_f32_e32 v139, v52, v13
	v_mul_f32_e32 v13, v53, v13
	v_fmac_f32_e32 v136, v49, v6
	v_fma_f32 v5, v50, v8, -v9
	v_add_f32_e32 v11, v11, v134
	v_add_f32_e32 v2, v2, v4
	v_mul_f32_e32 v140, v54, v15
	v_mul_f32_e32 v15, v55, v15
	v_fmac_f32_e32 v138, v51, v8
	v_fma_f32 v6, v52, v12, -v13
	v_add_f32_e32 v3, v11, v136
	v_add_f32_e32 v2, v2, v5
	s_waitcnt vmcnt(8) lgkmcnt(4)
	v_mul_f32_e32 v141, v110, v17
	v_mul_f32_e32 v17, v111, v17
	v_fmac_f32_e32 v139, v53, v12
	v_fma_f32 v7, v54, v14, -v15
	v_add_f32_e32 v3, v3, v138
	v_add_f32_e32 v2, v2, v6
	v_mul_f32_e32 v142, v112, v19
	v_mul_f32_e32 v19, v113, v19
	v_fmac_f32_e32 v140, v55, v14
	v_fma_f32 v8, v110, v16, -v17
	v_add_f32_e32 v3, v3, v139
	v_add_f32_e32 v2, v2, v7
	s_waitcnt vmcnt(7) lgkmcnt(3)
	v_mul_f32_e32 v143, v114, v21
	v_mul_f32_e32 v21, v115, v21
	v_fmac_f32_e32 v141, v111, v16
	v_fma_f32 v9, v112, v18, -v19
	v_add_f32_e32 v3, v3, v140
	v_add_f32_e32 v2, v2, v8
	v_mul_f32_e32 v144, v116, v23
	v_mul_f32_e32 v23, v117, v23
	v_fmac_f32_e32 v142, v113, v18
	v_fma_f32 v12, v114, v20, -v21
	v_add_f32_e32 v3, v3, v141
	v_add_f32_e32 v2, v2, v9
	s_waitcnt vmcnt(6) lgkmcnt(2)
	v_mul_f32_e32 v145, v118, v25
	v_mul_f32_e32 v25, v119, v25
	v_fmac_f32_e32 v143, v115, v20
	v_fma_f32 v13, v116, v22, -v23
	v_add_f32_e32 v3, v3, v142
	v_add_f32_e32 v2, v2, v12
	v_fmac_f32_e32 v144, v117, v22
	v_fma_f32 v14, v118, v24, -v25
	v_add_f32_e32 v3, v3, v143
	v_add_f32_e32 v2, v2, v13
	v_mul_f32_e32 v135, v120, v27
	v_fmac_f32_e32 v145, v119, v24
	v_add_f32_e32 v3, v3, v144
	v_add_f32_e32 v12, v2, v14
	v_mul_f32_e32 v2, v121, v27
	s_waitcnt vmcnt(5)
	v_mov_b32_e32 v16, v31
	s_waitcnt lgkmcnt(1)
	v_mul_f32_e32 v137, v122, v29
	v_fmac_f32_e32 v135, v121, v26
	v_add_f32_e32 v13, v3, v145
	v_fma_f32 v134, v120, v26, -v2
	v_mul_f32_e32 v2, v123, v29
	v_pk_mul_f32 v[16:17], v[124:125], v[16:17] op_sel:[1,0] op_sel_hi:[0,0]
	v_fmac_f32_e32 v137, v123, v28
	v_fma_f32 v136, v122, v28, -v2
	v_pk_add_f32 v[12:13], v[12:13], v[134:135]
	v_pk_fma_f32 v[18:19], v[124:125], v[30:31], v[16:17] neg_lo:[0,0,1] neg_hi:[0,0,1]
	v_pk_fma_f32 v[16:17], v[124:125], v[30:31], v[16:17] op_sel_hi:[1,0,1]
	v_pk_add_f32 v[12:13], v[12:13], v[136:137]
	v_mov_b32_e32 v19, v17
	s_waitcnt vmcnt(4) lgkmcnt(0)
	v_pk_mul_f32 v[16:17], v[126:127], v[32:33] op_sel:[1,1] op_sel_hi:[0,1]
	v_pk_add_f32 v[12:13], v[12:13], v[18:19]
	v_pk_fma_f32 v[18:19], v[126:127], v[32:33], v[16:17] neg_lo:[0,0,1] neg_hi:[0,0,1]
	v_pk_fma_f32 v[16:17], v[126:127], v[32:33], v[16:17] op_sel_hi:[1,0,1]
	ds_read_b128 v[2:5], v10 offset:400
	ds_read_b128 v[6:9], v10 offset:416
	ds_read_b64 v[14:15], v10 offset:432
	v_mov_b32_e32 v16, v35
	v_mov_b32_e32 v19, v17
	v_pk_mul_f32 v[16:17], v[128:129], v[16:17] op_sel:[1,0] op_sel_hi:[0,0]
	v_pk_add_f32 v[12:13], v[12:13], v[18:19]
	v_pk_fma_f32 v[18:19], v[128:129], v[34:35], v[16:17] neg_lo:[0,0,1] neg_hi:[0,0,1]
	v_pk_fma_f32 v[16:17], v[128:129], v[34:35], v[16:17] op_sel_hi:[1,0,1]
	s_nop 0
	v_mov_b32_e32 v19, v17
	s_waitcnt vmcnt(3) lgkmcnt(2)
	v_pk_mul_f32 v[16:17], v[2:3], v[36:37] op_sel:[1,1] op_sel_hi:[0,1]
	v_pk_add_f32 v[12:13], v[12:13], v[18:19]
	v_pk_fma_f32 v[18:19], v[2:3], v[36:37], v[16:17] neg_lo:[0,0,1] neg_hi:[0,0,1]
	v_pk_fma_f32 v[2:3], v[2:3], v[36:37], v[16:17] op_sel_hi:[1,0,1]
	s_nop 0
	v_mov_b32_e32 v19, v3
	v_pk_add_f32 v[2:3], v[12:13], v[18:19]
	v_mov_b32_e32 v12, v39
	v_pk_mul_f32 v[12:13], v[4:5], v[12:13] op_sel:[1,0] op_sel_hi:[0,0]
	v_pk_fma_f32 v[16:17], v[4:5], v[38:39], v[12:13] neg_lo:[0,0,1] neg_hi:[0,0,1]
	v_pk_fma_f32 v[4:5], v[4:5], v[38:39], v[12:13] op_sel_hi:[1,0,1]
	s_nop 0
	v_mov_b32_e32 v17, v5
	s_waitcnt vmcnt(2) lgkmcnt(1)
	v_pk_mul_f32 v[4:5], v[6:7], v[40:41] op_sel:[1,1] op_sel_hi:[0,1]
	v_pk_fma_f32 v[12:13], v[6:7], v[40:41], v[4:5] neg_lo:[0,0,1] neg_hi:[0,0,1]
	v_pk_fma_f32 v[4:5], v[6:7], v[40:41], v[4:5] op_sel_hi:[1,0,1]
	v_pk_add_f32 v[2:3], v[2:3], v[16:17]
	v_mov_b32_e32 v4, v43
	v_mov_b32_e32 v13, v5
	v_pk_mul_f32 v[4:5], v[8:9], v[4:5] op_sel:[1,0] op_sel_hi:[0,0]
	v_pk_fma_f32 v[6:7], v[8:9], v[42:43], v[4:5] neg_lo:[0,0,1] neg_hi:[0,0,1]
	v_pk_fma_f32 v[4:5], v[8:9], v[42:43], v[4:5] op_sel_hi:[1,0,1]
	v_pk_add_f32 v[2:3], v[2:3], v[12:13]
	v_mov_b32_e32 v7, v5
	s_waitcnt vmcnt(1) lgkmcnt(0)
	v_pk_mul_f32 v[4:5], v[14:15], v[130:131] op_sel:[1,1] op_sel_hi:[0,1]
	v_pk_add_f32 v[2:3], v[2:3], v[6:7]
	v_pk_fma_f32 v[6:7], v[14:15], v[130:131], v[4:5] neg_lo:[0,0,1] neg_hi:[0,0,1]
	v_pk_fma_f32 v[4:5], v[14:15], v[130:131], v[4:5] op_sel_hi:[1,0,1]
	s_nop 0
	v_mov_b32_e32 v7, v5
	v_pk_add_f32 v[2:3], v[2:3], v[6:7]
	s_waitcnt vmcnt(0)
	v_pk_add_f32 v[2:3], v[132:133], v[2:3] neg_lo:[0,1] neg_hi:[0,1]
	scratch_store_dwordx2 off, v[2:3], off offset:40
	s_and_saveexec_b64 s[0:1], vcc
	s_cbranch_execz .LBB90_167
; %bb.166:
	scratch_load_dwordx2 v[2:3], off, off offset:32
	v_mov_b32_e32 v11, v10
	scratch_store_dwordx2 off, v[10:11], off offset:32
	s_waitcnt vmcnt(1)
	ds_write_b64 v1, v[2:3]
.LBB90_167:
	s_or_b64 exec, exec, s[0:1]
	s_waitcnt lgkmcnt(0)
	; wave barrier
	scratch_load_dwordx4 v[6:9], off, off offset:40
	scratch_load_dwordx4 v[12:15], off, off offset:56
	;; [unrolled: 1-line block ×7, first 2 shown]
	ds_read2_b64 v[36:39], v10 offset0:33 offset1:34
	ds_read2_b64 v[40:43], v10 offset0:35 offset1:36
	;; [unrolled: 1-line block ×6, first 2 shown]
	scratch_load_dwordx4 v[114:117], off, off offset:152
	scratch_load_dwordx4 v[118:121], off, off offset:168
	;; [unrolled: 1-line block ×4, first 2 shown]
	ds_read2_b64 v[126:129], v10 offset0:45 offset1:46
	ds_read2_b64 v[130:133], v10 offset0:47 offset1:48
	scratch_load_dwordx2 v[134:135], off, off offset:32
	v_cmp_lt_u32_e32 vcc, 3, v0
	s_waitcnt vmcnt(11) lgkmcnt(7)
	v_mul_f32_e32 v11, v36, v7
	v_mul_f32_e32 v136, v38, v9
	;; [unrolled: 1-line block ×3, first 2 shown]
	v_fmac_f32_e32 v11, v37, v6
	s_waitcnt vmcnt(10) lgkmcnt(6)
	v_mul_f32_e32 v138, v40, v13
	v_mul_f32_e32 v9, v39, v9
	v_fmac_f32_e32 v136, v39, v8
	v_fma_f32 v6, v36, v6, -v7
	v_add_f32_e32 v11, 0, v11
	v_mul_f32_e32 v140, v42, v15
	v_fmac_f32_e32 v138, v41, v12
	v_fma_f32 v7, v38, v8, -v9
	v_add_f32_e32 v6, 0, v6
	v_add_f32_e32 v11, v11, v136
	s_waitcnt vmcnt(9) lgkmcnt(5)
	v_mul_f32_e32 v141, v44, v17
	v_mul_f32_e32 v13, v41, v13
	v_fmac_f32_e32 v140, v43, v14
	v_add_f32_e32 v6, v6, v7
	v_add_f32_e32 v7, v11, v138
	v_mul_f32_e32 v142, v46, v19
	v_mul_f32_e32 v15, v43, v15
	v_fmac_f32_e32 v141, v45, v16
	v_fma_f32 v8, v40, v12, -v13
	v_add_f32_e32 v7, v7, v140
	s_waitcnt vmcnt(8) lgkmcnt(4)
	v_mul_f32_e32 v143, v48, v21
	v_mul_f32_e32 v17, v45, v17
	v_fmac_f32_e32 v142, v47, v18
	v_fma_f32 v9, v42, v14, -v15
	v_add_f32_e32 v6, v6, v8
	v_add_f32_e32 v7, v7, v141
	v_mul_f32_e32 v144, v50, v23
	v_mul_f32_e32 v19, v47, v19
	v_fmac_f32_e32 v143, v49, v20
	v_fma_f32 v12, v44, v16, -v17
	v_add_f32_e32 v6, v6, v9
	v_add_f32_e32 v7, v7, v142
	s_waitcnt vmcnt(7) lgkmcnt(3)
	v_mul_f32_e32 v145, v52, v25
	v_mul_f32_e32 v21, v49, v21
	v_fmac_f32_e32 v144, v51, v22
	v_fma_f32 v13, v46, v18, -v19
	v_add_f32_e32 v6, v6, v12
	v_add_f32_e32 v7, v7, v143
	v_mul_f32_e32 v146, v54, v27
	v_mul_f32_e32 v23, v51, v23
	v_fmac_f32_e32 v145, v53, v24
	v_fma_f32 v14, v48, v20, -v21
	v_add_f32_e32 v6, v6, v13
	;; [unrolled: 13-line block ×3, first 2 shown]
	v_add_f32_e32 v7, v7, v146
	v_mul_f32_e32 v29, v111, v29
	v_fmac_f32_e32 v148, v113, v30
	v_fma_f32 v17, v54, v26, -v27
	v_add_f32_e32 v6, v6, v16
	v_add_f32_e32 v7, v7, v147
	v_fma_f32 v18, v110, v28, -v29
	v_add_f32_e32 v6, v6, v17
	v_add_f32_e32 v21, v7, v148
	v_mul_f32_e32 v7, v113, v31
	v_add_f32_e32 v6, v6, v18
	v_fma_f32 v7, v112, v30, -v7
	s_waitcnt vmcnt(5) lgkmcnt(1)
	v_mul_f32_e32 v137, v126, v33
	v_add_f32_e32 v20, v6, v7
	v_mul_f32_e32 v6, v127, v33
	v_fmac_f32_e32 v137, v127, v32
	v_fma_f32 v136, v126, v32, -v6
	v_mul_f32_e32 v6, v129, v35
	v_fma_f32 v138, v128, v34, -v6
	ds_read2_b64 v[6:9], v10 offset0:49 offset1:50
	ds_read2_b64 v[12:15], v10 offset0:51 offset1:52
	;; [unrolled: 1-line block ×3, first 2 shown]
	v_pk_add_f32 v[10:11], v[20:21], v[136:137]
	s_waitcnt vmcnt(4) lgkmcnt(3)
	v_pk_mul_f32 v[20:21], v[130:131], v[114:115] op_sel:[1,1] op_sel_hi:[0,1]
	v_mul_f32_e32 v139, v128, v35
	v_pk_fma_f32 v[22:23], v[130:131], v[114:115], v[20:21] neg_lo:[0,0,1] neg_hi:[0,0,1]
	v_pk_fma_f32 v[20:21], v[130:131], v[114:115], v[20:21] op_sel_hi:[1,0,1]
	v_fmac_f32_e32 v139, v129, v34
	v_mov_b32_e32 v20, v117
	v_pk_add_f32 v[10:11], v[10:11], v[138:139]
	v_mov_b32_e32 v23, v21
	v_pk_mul_f32 v[20:21], v[132:133], v[20:21] op_sel:[1,0] op_sel_hi:[0,0]
	v_pk_add_f32 v[10:11], v[10:11], v[22:23]
	v_pk_fma_f32 v[22:23], v[132:133], v[116:117], v[20:21] neg_lo:[0,0,1] neg_hi:[0,0,1]
	v_pk_fma_f32 v[20:21], v[132:133], v[116:117], v[20:21] op_sel_hi:[1,0,1]
	s_nop 0
	v_mov_b32_e32 v23, v21
	s_waitcnt vmcnt(3) lgkmcnt(2)
	v_pk_mul_f32 v[20:21], v[6:7], v[118:119] op_sel:[1,1] op_sel_hi:[0,1]
	v_pk_add_f32 v[10:11], v[10:11], v[22:23]
	v_pk_fma_f32 v[22:23], v[6:7], v[118:119], v[20:21] neg_lo:[0,0,1] neg_hi:[0,0,1]
	v_pk_fma_f32 v[6:7], v[6:7], v[118:119], v[20:21] op_sel_hi:[1,0,1]
	s_nop 0
	v_mov_b32_e32 v23, v7
	v_pk_add_f32 v[6:7], v[10:11], v[22:23]
	v_mov_b32_e32 v10, v121
	v_pk_mul_f32 v[10:11], v[8:9], v[10:11] op_sel:[1,0] op_sel_hi:[0,0]
	v_pk_fma_f32 v[20:21], v[8:9], v[120:121], v[10:11] neg_lo:[0,0,1] neg_hi:[0,0,1]
	v_pk_fma_f32 v[8:9], v[8:9], v[120:121], v[10:11] op_sel_hi:[1,0,1]
	s_nop 0
	v_mov_b32_e32 v21, v9
	s_waitcnt vmcnt(2) lgkmcnt(1)
	v_pk_mul_f32 v[8:9], v[12:13], v[122:123] op_sel:[1,1] op_sel_hi:[0,1]
	v_pk_fma_f32 v[10:11], v[12:13], v[122:123], v[8:9] neg_lo:[0,0,1] neg_hi:[0,0,1]
	v_pk_fma_f32 v[8:9], v[12:13], v[122:123], v[8:9] op_sel_hi:[1,0,1]
	v_pk_add_f32 v[6:7], v[6:7], v[20:21]
	v_mov_b32_e32 v8, v125
	v_mov_b32_e32 v11, v9
	v_pk_mul_f32 v[8:9], v[14:15], v[8:9] op_sel:[1,0] op_sel_hi:[0,0]
	v_pk_add_f32 v[6:7], v[6:7], v[10:11]
	v_pk_fma_f32 v[10:11], v[14:15], v[124:125], v[8:9] neg_lo:[0,0,1] neg_hi:[0,0,1]
	v_pk_fma_f32 v[8:9], v[14:15], v[124:125], v[8:9] op_sel_hi:[1,0,1]
	s_nop 0
	v_mov_b32_e32 v11, v9
	s_waitcnt vmcnt(1) lgkmcnt(0)
	v_pk_mul_f32 v[8:9], v[16:17], v[2:3] op_sel:[1,1] op_sel_hi:[0,1]
	v_pk_add_f32 v[6:7], v[6:7], v[10:11]
	v_pk_fma_f32 v[10:11], v[16:17], v[2:3], v[8:9] neg_lo:[0,0,1] neg_hi:[0,0,1]
	v_pk_fma_f32 v[2:3], v[16:17], v[2:3], v[8:9] op_sel_hi:[1,0,1]
	s_nop 0
	v_mov_b32_e32 v11, v3
	v_pk_add_f32 v[2:3], v[6:7], v[10:11]
	v_mov_b32_e32 v6, v5
	v_pk_mul_f32 v[6:7], v[18:19], v[6:7] op_sel:[1,0] op_sel_hi:[0,0]
	v_pk_fma_f32 v[8:9], v[18:19], v[4:5], v[6:7] neg_lo:[0,0,1] neg_hi:[0,0,1]
	v_pk_fma_f32 v[4:5], v[18:19], v[4:5], v[6:7] op_sel_hi:[1,0,1]
	s_nop 0
	v_mov_b32_e32 v9, v5
	v_pk_add_f32 v[2:3], v[2:3], v[8:9]
	s_waitcnt vmcnt(0)
	v_pk_add_f32 v[2:3], v[134:135], v[2:3] neg_lo:[0,1] neg_hi:[0,1]
	scratch_store_dwordx2 off, v[2:3], off offset:32
	s_and_saveexec_b64 s[0:1], vcc
	s_cbranch_execz .LBB90_169
; %bb.168:
	scratch_load_dwordx2 v[2:3], off, off offset:24
	v_mov_b32_e32 v4, 0
	v_mov_b32_e32 v5, v4
	scratch_store_dwordx2 off, v[4:5], off offset:24
	s_waitcnt vmcnt(1)
	ds_write_b64 v1, v[2:3]
.LBB90_169:
	s_or_b64 exec, exec, s[0:1]
	s_waitcnt lgkmcnt(0)
	; wave barrier
	scratch_load_dwordx4 v[6:9], off, off offset:32
	scratch_load_dwordx4 v[14:17], off, off offset:48
	scratch_load_dwordx4 v[24:27], off, off offset:64
	scratch_load_dwordx4 v[28:31], off, off offset:80
	scratch_load_dwordx4 v[18:21], off, off offset:96
	scratch_load_dwordx4 v[32:35], off, off offset:112
	scratch_load_dwordx4 v[40:43], off, off offset:128
	scratch_load_dwordx4 v[44:47], off, off offset:144
	scratch_load_dwordx4 v[48:51], off, off offset:160
	scratch_load_dwordx4 v[10:13], off, off offset:176
	scratch_load_dwordx4 v[2:5], off, off offset:192
	scratch_load_dwordx2 v[22:23], off, off offset:208
	scratch_load_dwordx2 v[36:37], off, off offset:24
	v_mov_b32_e32 v38, 0
	ds_read_b128 v[52:55], v38 offset:256
	ds_read_b128 v[110:113], v38 offset:272
	;; [unrolled: 1-line block ×8, first 2 shown]
	v_cmp_lt_u32_e32 vcc, 2, v0
	s_waitcnt vmcnt(12) lgkmcnt(7)
	v_mul_f32_e32 v39, v52, v7
	v_mul_f32_e32 v138, v54, v9
	;; [unrolled: 1-line block ×3, first 2 shown]
	v_fmac_f32_e32 v39, v53, v6
	s_waitcnt vmcnt(8) lgkmcnt(3)
	v_mul_f32_e32 v147, v122, v19
	v_mul_f32_e32 v19, v123, v19
	;; [unrolled: 1-line block ×4, first 2 shown]
	v_fmac_f32_e32 v138, v55, v8
	v_fmac_f32_e32 v147, v123, v18
	v_fma_f32 v6, v52, v6, -v7
	v_fma_f32 v18, v122, v18, -v19
	v_add_f32_e32 v19, 0, v39
	v_mul_f32_e32 v142, v112, v17
	v_fmac_f32_e32 v140, v111, v14
	v_fma_f32 v7, v54, v8, -v9
	v_add_f32_e32 v6, 0, v6
	v_add_f32_e32 v19, v19, v138
	v_mul_f32_e32 v143, v114, v25
	v_fmac_f32_e32 v142, v113, v16
	v_add_f32_e32 v6, v6, v7
	v_add_f32_e32 v7, v19, v140
	v_mul_f32_e32 v144, v116, v27
	v_fmac_f32_e32 v143, v115, v24
	v_add_f32_e32 v7, v7, v142
	v_mul_f32_e32 v145, v118, v29
	v_mul_f32_e32 v15, v111, v15
	v_fmac_f32_e32 v144, v117, v26
	v_add_f32_e32 v7, v7, v143
	v_mul_f32_e32 v146, v120, v31
	v_mul_f32_e32 v17, v113, v17
	v_fmac_f32_e32 v145, v119, v28
	v_fma_f32 v8, v110, v14, -v15
	v_add_f32_e32 v7, v7, v144
	v_mul_f32_e32 v25, v115, v25
	v_fmac_f32_e32 v146, v121, v30
	v_fma_f32 v9, v112, v16, -v17
	v_add_f32_e32 v6, v6, v8
	v_add_f32_e32 v7, v7, v145
	v_mul_f32_e32 v148, v124, v21
	v_mul_f32_e32 v27, v117, v27
	v_fma_f32 v14, v114, v24, -v25
	v_add_f32_e32 v6, v6, v9
	v_add_f32_e32 v7, v7, v146
	s_waitcnt vmcnt(7) lgkmcnt(2)
	v_mul_f32_e32 v149, v126, v33
	v_mul_f32_e32 v29, v119, v29
	v_fmac_f32_e32 v148, v125, v20
	v_fma_f32 v15, v116, v26, -v27
	v_add_f32_e32 v6, v6, v14
	v_add_f32_e32 v7, v7, v147
	v_mul_f32_e32 v150, v128, v35
	v_mul_f32_e32 v31, v121, v31
	v_fmac_f32_e32 v149, v127, v32
	v_fma_f32 v16, v118, v28, -v29
	v_add_f32_e32 v6, v6, v15
	v_add_f32_e32 v7, v7, v148
	s_waitcnt vmcnt(6) lgkmcnt(1)
	v_mul_f32_e32 v151, v130, v41
	v_fmac_f32_e32 v150, v129, v34
	v_fma_f32 v17, v120, v30, -v31
	v_add_f32_e32 v6, v6, v16
	v_add_f32_e32 v7, v7, v149
	v_mul_f32_e32 v21, v125, v21
	v_fmac_f32_e32 v151, v131, v40
	v_add_f32_e32 v6, v6, v17
	v_add_f32_e32 v7, v7, v150
	;; [unrolled: 1-line block ×4, first 2 shown]
	v_fma_f32 v7, v124, v20, -v21
	v_add_f32_e32 v6, v6, v7
	v_mul_f32_e32 v7, v127, v33
	v_fma_f32 v7, v126, v32, -v7
	v_add_f32_e32 v6, v6, v7
	v_mul_f32_e32 v7, v129, v35
	;; [unrolled: 3-line block ×4, first 2 shown]
	v_mul_f32_e32 v139, v132, v43
	v_fma_f32 v138, v132, v42, -v6
	s_waitcnt vmcnt(5) lgkmcnt(0)
	v_mul_f32_e32 v6, v135, v45
	v_mov_b32_e32 v28, v47
	v_mul_f32_e32 v141, v134, v45
	v_fmac_f32_e32 v139, v133, v42
	v_fma_f32 v140, v134, v44, -v6
	ds_read_b128 v[6:9], v38 offset:384
	ds_read_b128 v[14:17], v38 offset:400
	;; [unrolled: 1-line block ×3, first 2 shown]
	ds_read_b64 v[26:27], v38 offset:432
	v_pk_mul_f32 v[28:29], v[136:137], v[28:29] op_sel:[1,0] op_sel_hi:[0,0]
	v_fmac_f32_e32 v141, v135, v44
	v_pk_add_f32 v[24:25], v[24:25], v[138:139]
	v_pk_fma_f32 v[30:31], v[136:137], v[46:47], v[28:29] neg_lo:[0,0,1] neg_hi:[0,0,1]
	v_pk_fma_f32 v[28:29], v[136:137], v[46:47], v[28:29] op_sel_hi:[1,0,1]
	v_pk_add_f32 v[24:25], v[24:25], v[140:141]
	v_mov_b32_e32 v31, v29
	s_waitcnt vmcnt(4) lgkmcnt(3)
	v_pk_mul_f32 v[28:29], v[6:7], v[48:49] op_sel:[1,1] op_sel_hi:[0,1]
	v_pk_add_f32 v[24:25], v[24:25], v[30:31]
	v_pk_fma_f32 v[30:31], v[6:7], v[48:49], v[28:29] neg_lo:[0,0,1] neg_hi:[0,0,1]
	v_pk_fma_f32 v[6:7], v[6:7], v[48:49], v[28:29] op_sel_hi:[1,0,1]
	s_nop 0
	v_mov_b32_e32 v31, v7
	v_pk_add_f32 v[6:7], v[24:25], v[30:31]
	v_mov_b32_e32 v24, v51
	v_pk_mul_f32 v[24:25], v[8:9], v[24:25] op_sel:[1,0] op_sel_hi:[0,0]
	v_pk_fma_f32 v[28:29], v[8:9], v[50:51], v[24:25] neg_lo:[0,0,1] neg_hi:[0,0,1]
	v_pk_fma_f32 v[8:9], v[8:9], v[50:51], v[24:25] op_sel_hi:[1,0,1]
	s_nop 0
	v_mov_b32_e32 v29, v9
	s_waitcnt vmcnt(3) lgkmcnt(2)
	v_pk_mul_f32 v[8:9], v[14:15], v[10:11] op_sel:[1,1] op_sel_hi:[0,1]
	v_pk_fma_f32 v[24:25], v[14:15], v[10:11], v[8:9] neg_lo:[0,0,1] neg_hi:[0,0,1]
	v_pk_fma_f32 v[8:9], v[14:15], v[10:11], v[8:9] op_sel_hi:[1,0,1]
	v_pk_add_f32 v[6:7], v[6:7], v[28:29]
	v_mov_b32_e32 v8, v13
	v_mov_b32_e32 v25, v9
	v_pk_mul_f32 v[8:9], v[16:17], v[8:9] op_sel:[1,0] op_sel_hi:[0,0]
	v_pk_fma_f32 v[10:11], v[16:17], v[12:13], v[8:9] neg_lo:[0,0,1] neg_hi:[0,0,1]
	v_pk_fma_f32 v[8:9], v[16:17], v[12:13], v[8:9] op_sel_hi:[1,0,1]
	v_pk_add_f32 v[6:7], v[6:7], v[24:25]
	v_mov_b32_e32 v11, v9
	s_waitcnt vmcnt(2) lgkmcnt(1)
	v_pk_mul_f32 v[8:9], v[18:19], v[2:3] op_sel:[1,1] op_sel_hi:[0,1]
	v_pk_add_f32 v[6:7], v[6:7], v[10:11]
	v_pk_fma_f32 v[10:11], v[18:19], v[2:3], v[8:9] neg_lo:[0,0,1] neg_hi:[0,0,1]
	v_pk_fma_f32 v[2:3], v[18:19], v[2:3], v[8:9] op_sel_hi:[1,0,1]
	s_nop 0
	v_mov_b32_e32 v11, v3
	v_pk_add_f32 v[2:3], v[6:7], v[10:11]
	v_mov_b32_e32 v6, v5
	v_pk_mul_f32 v[6:7], v[20:21], v[6:7] op_sel:[1,0] op_sel_hi:[0,0]
	v_pk_fma_f32 v[8:9], v[20:21], v[4:5], v[6:7] neg_lo:[0,0,1] neg_hi:[0,0,1]
	v_pk_fma_f32 v[4:5], v[20:21], v[4:5], v[6:7] op_sel_hi:[1,0,1]
	s_nop 0
	v_mov_b32_e32 v9, v5
	s_waitcnt vmcnt(1) lgkmcnt(0)
	v_pk_mul_f32 v[4:5], v[26:27], v[22:23] op_sel:[1,1] op_sel_hi:[0,1]
	v_pk_fma_f32 v[6:7], v[26:27], v[22:23], v[4:5] neg_lo:[0,0,1] neg_hi:[0,0,1]
	v_pk_fma_f32 v[4:5], v[26:27], v[22:23], v[4:5] op_sel_hi:[1,0,1]
	v_pk_add_f32 v[2:3], v[2:3], v[8:9]
	v_mov_b32_e32 v7, v5
	v_pk_add_f32 v[2:3], v[2:3], v[6:7]
	s_waitcnt vmcnt(0)
	v_pk_add_f32 v[2:3], v[36:37], v[2:3] neg_lo:[0,1] neg_hi:[0,1]
	scratch_store_dwordx2 off, v[2:3], off offset:24
	s_and_saveexec_b64 s[0:1], vcc
	s_cbranch_execz .LBB90_171
; %bb.170:
	scratch_load_dwordx2 v[2:3], off, off offset:16
	v_mov_b32_e32 v39, v38
	scratch_store_dwordx2 off, v[38:39], off offset:16
	s_waitcnt vmcnt(1)
	ds_write_b64 v1, v[2:3]
.LBB90_171:
	s_or_b64 exec, exec, s[0:1]
	s_waitcnt lgkmcnt(0)
	; wave barrier
	scratch_load_dwordx4 v[2:5], off, off offset:24
	scratch_load_dwordx4 v[14:17], off, off offset:40
	;; [unrolled: 1-line block ×8, first 2 shown]
	ds_read2_b64 v[48:51], v38 offset0:31 offset1:32
	ds_read2_b64 v[52:55], v38 offset0:33 offset1:34
	;; [unrolled: 1-line block ×8, first 2 shown]
	scratch_load_dwordx4 v[134:137], off, off offset:152
	scratch_load_dwordx4 v[26:29], off, off offset:168
	;; [unrolled: 1-line block ×4, first 2 shown]
	scratch_load_dwordx2 v[138:139], off, off offset:16
	v_cmp_lt_u32_e32 vcc, 1, v0
	s_waitcnt vmcnt(12) lgkmcnt(7)
	v_mul_f32_e32 v39, v48, v3
	v_mul_f32_e32 v140, v50, v5
	v_mul_f32_e32 v3, v49, v3
	v_fmac_f32_e32 v39, v49, v2
	s_waitcnt vmcnt(8) lgkmcnt(3)
	v_mul_f32_e32 v149, v118, v19
	v_mul_f32_e32 v19, v119, v19
	;; [unrolled: 1-line block ×4, first 2 shown]
	v_fmac_f32_e32 v140, v51, v4
	v_fmac_f32_e32 v149, v119, v18
	v_fma_f32 v2, v48, v2, -v3
	v_fma_f32 v18, v118, v18, -v19
	v_add_f32_e32 v19, 0, v39
	v_mul_f32_e32 v144, v54, v17
	v_fmac_f32_e32 v142, v53, v14
	v_fma_f32 v3, v50, v4, -v5
	v_add_f32_e32 v2, 0, v2
	v_add_f32_e32 v19, v19, v140
	v_mul_f32_e32 v145, v110, v31
	v_fmac_f32_e32 v144, v55, v16
	v_add_f32_e32 v2, v2, v3
	v_add_f32_e32 v3, v19, v142
	v_mul_f32_e32 v146, v112, v33
	v_fmac_f32_e32 v145, v111, v30
	v_add_f32_e32 v3, v3, v144
	v_mul_f32_e32 v147, v114, v41
	v_fmac_f32_e32 v146, v113, v32
	;; [unrolled: 3-line block ×4, first 2 shown]
	v_add_f32_e32 v3, v3, v147
	v_mul_f32_e32 v150, v120, v21
	v_mul_f32_e32 v17, v55, v17
	v_fma_f32 v4, v52, v14, -v15
	v_add_f32_e32 v3, v3, v148
	s_waitcnt vmcnt(7) lgkmcnt(2)
	v_mul_f32_e32 v151, v122, v23
	v_mul_f32_e32 v31, v111, v31
	v_fmac_f32_e32 v150, v121, v20
	v_fma_f32 v5, v54, v16, -v17
	v_add_f32_e32 v2, v2, v4
	v_add_f32_e32 v3, v3, v149
	v_mul_f32_e32 v152, v124, v25
	v_mul_f32_e32 v33, v113, v33
	v_fmac_f32_e32 v151, v123, v22
	v_fma_f32 v14, v110, v30, -v31
	v_add_f32_e32 v2, v2, v5
	v_add_f32_e32 v3, v3, v150
	s_waitcnt vmcnt(6) lgkmcnt(1)
	v_mul_f32_e32 v153, v126, v35
	v_mul_f32_e32 v41, v115, v41
	v_fmac_f32_e32 v152, v125, v24
	v_fma_f32 v15, v112, v32, -v33
	v_add_f32_e32 v2, v2, v14
	v_add_f32_e32 v3, v3, v151
	v_mul_f32_e32 v154, v128, v37
	v_mul_f32_e32 v43, v117, v43
	v_fmac_f32_e32 v153, v127, v34
	v_fma_f32 v16, v114, v40, -v41
	v_add_f32_e32 v2, v2, v15
	v_add_f32_e32 v3, v3, v152
	v_fmac_f32_e32 v154, v129, v36
	v_fma_f32 v17, v116, v42, -v43
	v_add_f32_e32 v2, v2, v16
	v_add_f32_e32 v3, v3, v153
	;; [unrolled: 1-line block ×4, first 2 shown]
	v_mul_f32_e32 v3, v121, v21
	v_add_f32_e32 v2, v2, v18
	v_fma_f32 v3, v120, v20, -v3
	v_add_f32_e32 v2, v2, v3
	v_mul_f32_e32 v3, v123, v23
	v_fma_f32 v3, v122, v22, -v3
	v_add_f32_e32 v2, v2, v3
	v_mul_f32_e32 v3, v125, v25
	;; [unrolled: 3-line block ×4, first 2 shown]
	v_fma_f32 v3, v128, v36, -v3
	v_add_f32_e32 v30, v2, v3
	s_waitcnt vmcnt(5) lgkmcnt(0)
	v_mul_f32_e32 v2, v131, v45
	v_fma_f32 v140, v130, v44, -v2
	v_mul_f32_e32 v2, v133, v47
	v_fma_f32 v142, v132, v46, -v2
	ds_read2_b64 v[2:5], v38 offset0:47 offset1:48
	ds_read2_b64 v[14:17], v38 offset0:49 offset1:50
	;; [unrolled: 1-line block ×4, first 2 shown]
	v_mul_f32_e32 v141, v130, v45
	v_mul_f32_e32 v143, v132, v47
	v_fmac_f32_e32 v141, v131, v44
	s_waitcnt vmcnt(4) lgkmcnt(3)
	v_pk_mul_f32 v[32:33], v[2:3], v[134:135] op_sel:[1,1] op_sel_hi:[0,1]
	v_fmac_f32_e32 v143, v133, v46
	v_pk_add_f32 v[30:31], v[30:31], v[140:141]
	v_pk_fma_f32 v[34:35], v[2:3], v[134:135], v[32:33] neg_lo:[0,0,1] neg_hi:[0,0,1]
	v_pk_fma_f32 v[2:3], v[2:3], v[134:135], v[32:33] op_sel_hi:[1,0,1]
	v_pk_add_f32 v[30:31], v[30:31], v[142:143]
	v_mov_b32_e32 v35, v3
	v_pk_add_f32 v[2:3], v[30:31], v[34:35]
	v_mov_b32_e32 v30, v137
	v_pk_mul_f32 v[30:31], v[4:5], v[30:31] op_sel:[1,0] op_sel_hi:[0,0]
	v_pk_fma_f32 v[32:33], v[4:5], v[136:137], v[30:31] neg_lo:[0,0,1] neg_hi:[0,0,1]
	v_pk_fma_f32 v[4:5], v[4:5], v[136:137], v[30:31] op_sel_hi:[1,0,1]
	s_nop 0
	v_mov_b32_e32 v33, v5
	s_waitcnt vmcnt(3) lgkmcnt(2)
	v_pk_mul_f32 v[4:5], v[14:15], v[26:27] op_sel:[1,1] op_sel_hi:[0,1]
	v_pk_fma_f32 v[30:31], v[14:15], v[26:27], v[4:5] neg_lo:[0,0,1] neg_hi:[0,0,1]
	v_pk_fma_f32 v[4:5], v[14:15], v[26:27], v[4:5] op_sel_hi:[1,0,1]
	v_pk_add_f32 v[2:3], v[2:3], v[32:33]
	v_mov_b32_e32 v4, v29
	v_mov_b32_e32 v31, v5
	v_pk_mul_f32 v[4:5], v[16:17], v[4:5] op_sel:[1,0] op_sel_hi:[0,0]
	v_pk_fma_f32 v[14:15], v[16:17], v[28:29], v[4:5] neg_lo:[0,0,1] neg_hi:[0,0,1]
	v_pk_fma_f32 v[4:5], v[16:17], v[28:29], v[4:5] op_sel_hi:[1,0,1]
	v_pk_add_f32 v[2:3], v[2:3], v[30:31]
	v_mov_b32_e32 v15, v5
	s_waitcnt vmcnt(2) lgkmcnt(1)
	v_pk_mul_f32 v[4:5], v[18:19], v[10:11] op_sel:[1,1] op_sel_hi:[0,1]
	v_pk_add_f32 v[2:3], v[2:3], v[14:15]
	v_pk_fma_f32 v[14:15], v[18:19], v[10:11], v[4:5] neg_lo:[0,0,1] neg_hi:[0,0,1]
	v_pk_fma_f32 v[4:5], v[18:19], v[10:11], v[4:5] op_sel_hi:[1,0,1]
	s_nop 0
	v_mov_b32_e32 v4, v13
	v_mov_b32_e32 v15, v5
	v_pk_mul_f32 v[4:5], v[20:21], v[4:5] op_sel:[1,0] op_sel_hi:[0,0]
	v_pk_fma_f32 v[10:11], v[20:21], v[12:13], v[4:5] neg_lo:[0,0,1] neg_hi:[0,0,1]
	v_pk_fma_f32 v[4:5], v[20:21], v[12:13], v[4:5] op_sel_hi:[1,0,1]
	v_pk_add_f32 v[2:3], v[2:3], v[14:15]
	v_mov_b32_e32 v11, v5
	s_waitcnt vmcnt(1) lgkmcnt(0)
	v_pk_mul_f32 v[4:5], v[22:23], v[6:7] op_sel:[1,1] op_sel_hi:[0,1]
	v_pk_add_f32 v[2:3], v[2:3], v[10:11]
	v_pk_fma_f32 v[10:11], v[22:23], v[6:7], v[4:5] neg_lo:[0,0,1] neg_hi:[0,0,1]
	v_pk_fma_f32 v[4:5], v[22:23], v[6:7], v[4:5] op_sel_hi:[1,0,1]
	s_nop 0
	v_mov_b32_e32 v4, v9
	v_mov_b32_e32 v11, v5
	v_pk_mul_f32 v[4:5], v[24:25], v[4:5] op_sel:[1,0] op_sel_hi:[0,0]
	v_pk_fma_f32 v[6:7], v[24:25], v[8:9], v[4:5] neg_lo:[0,0,1] neg_hi:[0,0,1]
	v_pk_fma_f32 v[4:5], v[24:25], v[8:9], v[4:5] op_sel_hi:[1,0,1]
	v_pk_add_f32 v[2:3], v[2:3], v[10:11]
	v_mov_b32_e32 v7, v5
	v_pk_add_f32 v[2:3], v[2:3], v[6:7]
	s_waitcnt vmcnt(0)
	v_pk_add_f32 v[2:3], v[138:139], v[2:3] neg_lo:[0,1] neg_hi:[0,1]
	scratch_store_dwordx2 off, v[2:3], off offset:16
	s_and_saveexec_b64 s[0:1], vcc
	s_cbranch_execz .LBB90_173
; %bb.172:
	scratch_load_dwordx2 v[2:3], off, off offset:8
	v_mov_b32_e32 v4, 0
	v_mov_b32_e32 v5, v4
	scratch_store_dwordx2 off, v[4:5], off offset:8
	s_waitcnt vmcnt(1)
	ds_write_b64 v1, v[2:3]
.LBB90_173:
	s_or_b64 exec, exec, s[0:1]
	s_waitcnt lgkmcnt(0)
	; wave barrier
	scratch_load_dwordx4 v[10:13], off, off offset:16
	scratch_load_dwordx4 v[26:29], off, off offset:32
	;; [unrolled: 1-line block ×12, first 2 shown]
	scratch_load_dwordx2 v[50:51], off, off offset:208
	scratch_load_dwordx2 v[148:149], off, off offset:8
	v_mov_b32_e32 v110, 0
	ds_read_b128 v[52:55], v110 offset:240
	ds_read_b128 v[112:115], v110 offset:256
	;; [unrolled: 1-line block ×10, first 2 shown]
	v_cmp_ne_u32_e32 vcc, 0, v0
	s_waitcnt vmcnt(13) lgkmcnt(9)
	v_mul_f32_e32 v111, v52, v11
	v_mul_f32_e32 v150, v54, v13
	v_fmac_f32_e32 v111, v53, v10
	s_waitcnt vmcnt(10) lgkmcnt(6)
	v_mul_f32_e32 v157, v120, v7
	v_mul_f32_e32 v7, v121, v7
	;; [unrolled: 1-line block ×3, first 2 shown]
	v_fmac_f32_e32 v150, v55, v12
	v_fmac_f32_e32 v157, v121, v6
	v_fma_f32 v6, v120, v6, -v7
	v_add_f32_e32 v7, 0, v111
	v_mul_f32_e32 v154, v114, v29
	v_fmac_f32_e32 v152, v113, v26
	v_add_f32_e32 v7, v7, v150
	v_mul_f32_e32 v155, v116, v39
	v_fmac_f32_e32 v154, v115, v28
	;; [unrolled: 3-line block ×3, first 2 shown]
	v_add_f32_e32 v7, v7, v154
	v_fmac_f32_e32 v156, v119, v40
	v_add_f32_e32 v7, v7, v155
	v_mul_f32_e32 v158, v122, v9
	v_add_f32_e32 v7, v7, v156
	s_waitcnt vmcnt(9) lgkmcnt(5)
	v_mul_f32_e32 v159, v124, v15
	v_fmac_f32_e32 v158, v123, v8
	v_add_f32_e32 v7, v7, v157
	v_mul_f32_e32 v160, v126, v17
	v_mul_f32_e32 v11, v53, v11
	v_fmac_f32_e32 v159, v125, v14
	v_add_f32_e32 v7, v7, v158
	s_waitcnt vmcnt(8) lgkmcnt(4)
	v_mul_f32_e32 v161, v128, v23
	v_mul_f32_e32 v13, v55, v13
	v_fmac_f32_e32 v160, v127, v16
	v_fma_f32 v10, v52, v10, -v11
	v_add_f32_e32 v7, v7, v159
	v_mul_f32_e32 v162, v130, v25
	v_mul_f32_e32 v27, v113, v27
	v_fmac_f32_e32 v161, v129, v22
	v_fma_f32 v11, v54, v12, -v13
	v_add_f32_e32 v10, 0, v10
	v_add_f32_e32 v7, v7, v160
	s_waitcnt vmcnt(7) lgkmcnt(3)
	v_mul_f32_e32 v163, v132, v31
	v_mul_f32_e32 v29, v115, v29
	v_fmac_f32_e32 v162, v131, v24
	v_fma_f32 v12, v112, v26, -v27
	v_add_f32_e32 v10, v10, v11
	v_add_f32_e32 v7, v7, v161
	v_mul_f32_e32 v164, v134, v33
	v_mul_f32_e32 v39, v117, v39
	v_fmac_f32_e32 v163, v133, v30
	v_fma_f32 v13, v114, v28, -v29
	v_add_f32_e32 v10, v10, v12
	v_add_f32_e32 v7, v7, v162
	s_waitcnt vmcnt(6) lgkmcnt(2)
	v_mul_f32_e32 v165, v136, v43
	v_mul_f32_e32 v41, v119, v41
	v_fmac_f32_e32 v164, v135, v32
	v_fma_f32 v26, v116, v38, -v39
	v_add_f32_e32 v10, v10, v13
	v_add_f32_e32 v7, v7, v163
	v_fmac_f32_e32 v165, v137, v42
	v_fma_f32 v27, v118, v40, -v41
	v_add_f32_e32 v10, v10, v26
	v_add_f32_e32 v7, v7, v164
	;; [unrolled: 1-line block ×4, first 2 shown]
	v_mul_f32_e32 v7, v123, v9
	v_add_f32_e32 v6, v10, v6
	v_fma_f32 v7, v122, v8, -v7
	v_add_f32_e32 v6, v6, v7
	v_mul_f32_e32 v7, v125, v15
	v_fma_f32 v7, v124, v14, -v7
	v_add_f32_e32 v6, v6, v7
	v_mul_f32_e32 v7, v127, v17
	;; [unrolled: 3-line block ×7, first 2 shown]
	v_fma_f32 v7, v136, v42, -v7
	v_mul_f32_e32 v151, v138, v45
	v_add_f32_e32 v26, v6, v7
	v_mul_f32_e32 v6, v139, v45
	s_waitcnt vmcnt(5)
	v_mov_b32_e32 v22, v49
	s_waitcnt lgkmcnt(1)
	v_mul_f32_e32 v153, v140, v47
	v_fmac_f32_e32 v151, v139, v44
	v_fma_f32 v150, v138, v44, -v6
	v_mul_f32_e32 v6, v141, v47
	v_pk_mul_f32 v[22:23], v[142:143], v[22:23] op_sel:[1,0] op_sel_hi:[0,0]
	v_fmac_f32_e32 v153, v141, v46
	v_fma_f32 v152, v140, v46, -v6
	v_pk_add_f32 v[16:17], v[26:27], v[150:151]
	v_pk_fma_f32 v[24:25], v[142:143], v[48:49], v[22:23] neg_lo:[0,0,1] neg_hi:[0,0,1]
	v_pk_fma_f32 v[22:23], v[142:143], v[48:49], v[22:23] op_sel_hi:[1,0,1]
	v_pk_add_f32 v[16:17], v[16:17], v[152:153]
	v_mov_b32_e32 v25, v23
	s_waitcnt vmcnt(4) lgkmcnt(0)
	v_pk_mul_f32 v[22:23], v[144:145], v[34:35] op_sel:[1,1] op_sel_hi:[0,1]
	v_pk_add_f32 v[16:17], v[16:17], v[24:25]
	v_pk_fma_f32 v[24:25], v[144:145], v[34:35], v[22:23] neg_lo:[0,0,1] neg_hi:[0,0,1]
	v_pk_fma_f32 v[22:23], v[144:145], v[34:35], v[22:23] op_sel_hi:[1,0,1]
	ds_read_b128 v[6:9], v110 offset:400
	ds_read_b128 v[10:13], v110 offset:416
	ds_read_b64 v[14:15], v110 offset:432
	v_mov_b32_e32 v22, v37
	v_mov_b32_e32 v25, v23
	v_pk_mul_f32 v[22:23], v[146:147], v[22:23] op_sel:[1,0] op_sel_hi:[0,0]
	v_pk_add_f32 v[16:17], v[16:17], v[24:25]
	v_pk_fma_f32 v[24:25], v[146:147], v[36:37], v[22:23] neg_lo:[0,0,1] neg_hi:[0,0,1]
	v_pk_fma_f32 v[22:23], v[146:147], v[36:37], v[22:23] op_sel_hi:[1,0,1]
	s_nop 0
	v_mov_b32_e32 v25, v23
	s_waitcnt vmcnt(3) lgkmcnt(2)
	v_pk_mul_f32 v[22:23], v[6:7], v[18:19] op_sel:[1,1] op_sel_hi:[0,1]
	v_pk_add_f32 v[16:17], v[16:17], v[24:25]
	v_pk_fma_f32 v[24:25], v[6:7], v[18:19], v[22:23] neg_lo:[0,0,1] neg_hi:[0,0,1]
	v_pk_fma_f32 v[6:7], v[6:7], v[18:19], v[22:23] op_sel_hi:[1,0,1]
	s_nop 0
	v_mov_b32_e32 v25, v7
	v_pk_add_f32 v[6:7], v[16:17], v[24:25]
	v_mov_b32_e32 v16, v21
	v_pk_mul_f32 v[16:17], v[8:9], v[16:17] op_sel:[1,0] op_sel_hi:[0,0]
	v_pk_fma_f32 v[18:19], v[8:9], v[20:21], v[16:17] neg_lo:[0,0,1] neg_hi:[0,0,1]
	v_pk_fma_f32 v[8:9], v[8:9], v[20:21], v[16:17] op_sel_hi:[1,0,1]
	s_nop 0
	v_mov_b32_e32 v19, v9
	s_waitcnt vmcnt(2) lgkmcnt(1)
	v_pk_mul_f32 v[8:9], v[10:11], v[2:3] op_sel:[1,1] op_sel_hi:[0,1]
	v_pk_fma_f32 v[16:17], v[10:11], v[2:3], v[8:9] neg_lo:[0,0,1] neg_hi:[0,0,1]
	v_pk_fma_f32 v[2:3], v[10:11], v[2:3], v[8:9] op_sel_hi:[1,0,1]
	v_pk_add_f32 v[6:7], v[6:7], v[18:19]
	v_mov_b32_e32 v17, v3
	v_pk_add_f32 v[2:3], v[6:7], v[16:17]
	v_mov_b32_e32 v6, v5
	v_pk_mul_f32 v[6:7], v[12:13], v[6:7] op_sel:[1,0] op_sel_hi:[0,0]
	v_pk_fma_f32 v[8:9], v[12:13], v[4:5], v[6:7] neg_lo:[0,0,1] neg_hi:[0,0,1]
	v_pk_fma_f32 v[4:5], v[12:13], v[4:5], v[6:7] op_sel_hi:[1,0,1]
	s_nop 0
	v_mov_b32_e32 v9, v5
	s_waitcnt vmcnt(1) lgkmcnt(0)
	v_pk_mul_f32 v[4:5], v[14:15], v[50:51] op_sel:[1,1] op_sel_hi:[0,1]
	v_pk_fma_f32 v[6:7], v[14:15], v[50:51], v[4:5] neg_lo:[0,0,1] neg_hi:[0,0,1]
	v_pk_fma_f32 v[4:5], v[14:15], v[50:51], v[4:5] op_sel_hi:[1,0,1]
	v_pk_add_f32 v[2:3], v[2:3], v[8:9]
	v_mov_b32_e32 v7, v5
	v_pk_add_f32 v[2:3], v[2:3], v[6:7]
	s_waitcnt vmcnt(0)
	v_pk_add_f32 v[2:3], v[148:149], v[2:3] neg_lo:[0,1] neg_hi:[0,1]
	scratch_store_dwordx2 off, v[2:3], off offset:8
	s_and_saveexec_b64 s[0:1], vcc
	s_cbranch_execz .LBB90_175
; %bb.174:
	scratch_load_dwordx2 v[2:3], off, off
	v_mov_b32_e32 v111, v110
	scratch_store_dwordx2 off, v[110:111], off
	s_waitcnt vmcnt(1)
	ds_write_b64 v1, v[2:3]
.LBB90_175:
	s_or_b64 exec, exec, s[0:1]
	s_waitcnt lgkmcnt(0)
	; wave barrier
	scratch_load_dwordx4 v[0:3], off, off offset:8
	scratch_load_dwordx4 v[16:19], off, off offset:24
	;; [unrolled: 1-line block ×9, first 2 shown]
	ds_read2_b64 v[112:115], v110 offset0:29 offset1:30
	ds_read2_b64 v[116:119], v110 offset0:31 offset1:32
	ds_read2_b64 v[120:123], v110 offset0:33 offset1:34
	ds_read2_b64 v[124:127], v110 offset0:35 offset1:36
	ds_read2_b64 v[128:131], v110 offset0:37 offset1:38
	ds_read2_b64 v[132:135], v110 offset0:39 offset1:40
	ds_read2_b64 v[136:139], v110 offset0:41 offset1:42
	ds_read2_b64 v[52:55], v110 offset0:43 offset1:44
	scratch_load_dwordx4 v[48:51], off, off offset:152
	scratch_load_dwordx4 v[32:35], off, off offset:168
	scratch_load_dwordx4 v[24:27], off, off offset:184
	scratch_load_dwordx4 v[8:11], off, off offset:200
	ds_read2_b64 v[140:143], v110 offset0:45 offset1:46
	ds_read2_b64 v[144:147], v110 offset0:47 offset1:48
	scratch_load_dwordx2 v[148:149], off, off
	s_and_b64 vcc, exec, s[10:11]
	s_waitcnt vmcnt(13) lgkmcnt(9)
	v_mul_f32_e32 v111, v112, v1
	v_mul_f32_e32 v150, v114, v3
	;; [unrolled: 1-line block ×3, first 2 shown]
	s_waitcnt vmcnt(10) lgkmcnt(6)
	v_mul_f32_e32 v157, v124, v5
	v_mul_f32_e32 v5, v125, v5
	v_fmac_f32_e32 v111, v113, v0
	v_mul_f32_e32 v152, v116, v17
	v_mul_f32_e32 v3, v115, v3
	v_fmac_f32_e32 v150, v115, v2
	v_fmac_f32_e32 v157, v125, v4
	v_fma_f32 v0, v112, v0, -v1
	v_fma_f32 v4, v124, v4, -v5
	v_add_f32_e32 v5, 0, v111
	v_mul_f32_e32 v154, v118, v19
	v_fmac_f32_e32 v152, v117, v16
	v_fma_f32 v1, v114, v2, -v3
	v_add_f32_e32 v0, 0, v0
	v_add_f32_e32 v5, v5, v150
	v_mul_f32_e32 v155, v120, v37
	v_fmac_f32_e32 v154, v119, v18
	v_add_f32_e32 v0, v0, v1
	v_add_f32_e32 v1, v5, v152
	v_mul_f32_e32 v156, v122, v39
	v_fmac_f32_e32 v155, v121, v36
	v_add_f32_e32 v1, v1, v154
	v_fmac_f32_e32 v156, v123, v38
	v_add_f32_e32 v1, v1, v155
	v_mul_f32_e32 v158, v126, v7
	v_add_f32_e32 v1, v1, v156
	s_waitcnt vmcnt(9) lgkmcnt(5)
	v_mul_f32_e32 v159, v128, v13
	v_fmac_f32_e32 v158, v127, v6
	v_add_f32_e32 v1, v1, v157
	v_mul_f32_e32 v160, v130, v15
	v_fmac_f32_e32 v159, v129, v12
	v_add_f32_e32 v1, v1, v158
	s_waitcnt vmcnt(8) lgkmcnt(4)
	v_mul_f32_e32 v161, v132, v21
	v_fmac_f32_e32 v160, v131, v14
	v_add_f32_e32 v1, v1, v159
	v_mul_f32_e32 v162, v134, v23
	v_fmac_f32_e32 v161, v133, v20
	v_add_f32_e32 v1, v1, v160
	s_waitcnt vmcnt(7) lgkmcnt(3)
	v_mul_f32_e32 v163, v136, v29
	v_mul_f32_e32 v17, v117, v17
	v_fmac_f32_e32 v162, v135, v22
	v_add_f32_e32 v1, v1, v161
	v_mul_f32_e32 v164, v138, v31
	v_mul_f32_e32 v19, v119, v19
	v_fmac_f32_e32 v163, v137, v28
	v_fma_f32 v2, v116, v16, -v17
	v_add_f32_e32 v1, v1, v162
	s_waitcnt vmcnt(6) lgkmcnt(2)
	v_mul_f32_e32 v165, v52, v41
	v_mul_f32_e32 v37, v121, v37
	v_fmac_f32_e32 v164, v139, v30
	v_fma_f32 v3, v118, v18, -v19
	v_add_f32_e32 v0, v0, v2
	v_add_f32_e32 v1, v1, v163
	v_mul_f32_e32 v166, v54, v43
	v_mul_f32_e32 v39, v123, v39
	v_fmac_f32_e32 v165, v53, v40
	v_fma_f32 v16, v120, v36, -v37
	v_add_f32_e32 v0, v0, v3
	v_add_f32_e32 v1, v1, v164
	v_fmac_f32_e32 v166, v55, v42
	v_fma_f32 v17, v122, v38, -v39
	v_add_f32_e32 v0, v0, v16
	v_add_f32_e32 v1, v1, v165
	;; [unrolled: 1-line block ×4, first 2 shown]
	v_mul_f32_e32 v1, v127, v7
	v_add_f32_e32 v0, v0, v4
	v_fma_f32 v1, v126, v6, -v1
	v_add_f32_e32 v0, v0, v1
	v_mul_f32_e32 v1, v129, v13
	v_fma_f32 v1, v128, v12, -v1
	v_add_f32_e32 v0, v0, v1
	v_mul_f32_e32 v1, v131, v15
	;; [unrolled: 3-line block ×8, first 2 shown]
	v_fma_f32 v1, v54, v42, -v1
	s_waitcnt vmcnt(5) lgkmcnt(1)
	v_mul_f32_e32 v151, v140, v45
	v_add_f32_e32 v16, v0, v1
	v_mul_f32_e32 v0, v141, v45
	s_waitcnt vmcnt(4) lgkmcnt(0)
	v_pk_mul_f32 v[18:19], v[144:145], v[48:49] op_sel:[1,1] op_sel_hi:[0,1]
	v_mul_f32_e32 v153, v142, v47
	v_fmac_f32_e32 v151, v141, v44
	v_fma_f32 v150, v140, v44, -v0
	v_mul_f32_e32 v0, v143, v47
	v_pk_fma_f32 v[20:21], v[144:145], v[48:49], v[18:19] neg_lo:[0,0,1] neg_hi:[0,0,1]
	v_pk_fma_f32 v[18:19], v[144:145], v[48:49], v[18:19] op_sel_hi:[1,0,1]
	v_fmac_f32_e32 v153, v143, v46
	v_fma_f32 v152, v142, v46, -v0
	ds_read2_b64 v[0:3], v110 offset0:49 offset1:50
	ds_read2_b64 v[4:7], v110 offset0:51 offset1:52
	;; [unrolled: 1-line block ×3, first 2 shown]
	v_pk_add_f32 v[16:17], v[16:17], v[150:151]
	v_mov_b32_e32 v18, v51
	v_pk_add_f32 v[16:17], v[16:17], v[152:153]
	v_mov_b32_e32 v21, v19
	v_pk_mul_f32 v[18:19], v[146:147], v[18:19] op_sel:[1,0] op_sel_hi:[0,0]
	v_pk_add_f32 v[16:17], v[16:17], v[20:21]
	v_pk_fma_f32 v[20:21], v[146:147], v[50:51], v[18:19] neg_lo:[0,0,1] neg_hi:[0,0,1]
	v_pk_fma_f32 v[18:19], v[146:147], v[50:51], v[18:19] op_sel_hi:[1,0,1]
	s_nop 0
	v_mov_b32_e32 v21, v19
	s_waitcnt vmcnt(3) lgkmcnt(2)
	v_pk_mul_f32 v[18:19], v[0:1], v[32:33] op_sel:[1,1] op_sel_hi:[0,1]
	v_pk_add_f32 v[16:17], v[16:17], v[20:21]
	v_pk_fma_f32 v[20:21], v[0:1], v[32:33], v[18:19] neg_lo:[0,0,1] neg_hi:[0,0,1]
	v_pk_fma_f32 v[0:1], v[0:1], v[32:33], v[18:19] op_sel_hi:[1,0,1]
	s_nop 0
	v_mov_b32_e32 v21, v1
	v_pk_add_f32 v[0:1], v[16:17], v[20:21]
	v_mov_b32_e32 v16, v35
	v_pk_mul_f32 v[16:17], v[2:3], v[16:17] op_sel:[1,0] op_sel_hi:[0,0]
	v_pk_fma_f32 v[18:19], v[2:3], v[34:35], v[16:17] neg_lo:[0,0,1] neg_hi:[0,0,1]
	v_pk_fma_f32 v[2:3], v[2:3], v[34:35], v[16:17] op_sel_hi:[1,0,1]
	s_nop 0
	v_mov_b32_e32 v19, v3
	s_waitcnt vmcnt(2) lgkmcnt(1)
	v_pk_mul_f32 v[2:3], v[4:5], v[24:25] op_sel:[1,1] op_sel_hi:[0,1]
	v_pk_fma_f32 v[16:17], v[4:5], v[24:25], v[2:3] neg_lo:[0,0,1] neg_hi:[0,0,1]
	v_pk_fma_f32 v[2:3], v[4:5], v[24:25], v[2:3] op_sel_hi:[1,0,1]
	v_pk_add_f32 v[0:1], v[0:1], v[18:19]
	v_mov_b32_e32 v2, v27
	v_mov_b32_e32 v17, v3
	v_pk_mul_f32 v[2:3], v[6:7], v[2:3] op_sel:[1,0] op_sel_hi:[0,0]
	v_pk_fma_f32 v[4:5], v[6:7], v[26:27], v[2:3] neg_lo:[0,0,1] neg_hi:[0,0,1]
	v_pk_fma_f32 v[2:3], v[6:7], v[26:27], v[2:3] op_sel_hi:[1,0,1]
	v_pk_add_f32 v[0:1], v[0:1], v[16:17]
	v_mov_b32_e32 v5, v3
	s_waitcnt vmcnt(1) lgkmcnt(0)
	v_pk_mul_f32 v[2:3], v[12:13], v[8:9] op_sel:[1,1] op_sel_hi:[0,1]
	v_pk_add_f32 v[0:1], v[0:1], v[4:5]
	v_pk_fma_f32 v[4:5], v[12:13], v[8:9], v[2:3] neg_lo:[0,0,1] neg_hi:[0,0,1]
	v_pk_fma_f32 v[2:3], v[12:13], v[8:9], v[2:3] op_sel_hi:[1,0,1]
	s_nop 0
	v_mov_b32_e32 v2, v11
	v_mov_b32_e32 v5, v3
	v_pk_mul_f32 v[2:3], v[14:15], v[2:3] op_sel:[1,0] op_sel_hi:[0,0]
	v_pk_add_f32 v[0:1], v[0:1], v[4:5]
	v_pk_fma_f32 v[4:5], v[14:15], v[10:11], v[2:3] neg_lo:[0,0,1] neg_hi:[0,0,1]
	v_pk_fma_f32 v[2:3], v[14:15], v[10:11], v[2:3] op_sel_hi:[1,0,1]
	s_nop 0
	v_mov_b32_e32 v5, v3
	v_pk_add_f32 v[0:1], v[0:1], v[4:5]
	s_waitcnt vmcnt(0)
	v_pk_add_f32 v[0:1], v[148:149], v[0:1] neg_lo:[0,1] neg_hi:[0,1]
	scratch_store_dwordx2 off, v[0:1], off
	s_cbranch_vccz .LBB90_228
; %bb.176:
	v_mov_b32_e32 v0, 0
	global_load_dword v1, v0, s[8:9] offset:100
	s_waitcnt vmcnt(0)
	v_readfirstlane_b32 s0, v1
	s_add_i32 s0, s0, -1
	s_cmp_lg_u32 s0, 25
	s_cbranch_scc0 .LBB90_178
; %bb.177:
	s_lshl_b32 s0, s0, 3
	s_nop 0
	scratch_load_dwordx2 v[2:3], off, s0
	scratch_load_dwordx2 v[4:5], off, off offset:200
	s_waitcnt vmcnt(1)
	scratch_store_dwordx2 off, v[2:3], off offset:200
	s_waitcnt vmcnt(1)
	scratch_store_dwordx2 off, v[4:5], s0
.LBB90_178:
	global_load_dword v0, v0, s[8:9] offset:96
	s_waitcnt vmcnt(0)
	v_readfirstlane_b32 s0, v0
	s_add_i32 s0, s0, -1
	s_cmp_eq_u32 s0, 24
	s_cbranch_scc1 .LBB90_180
; %bb.179:
	s_lshl_b32 s0, s0, 3
	s_nop 0
	scratch_load_dwordx2 v[0:1], off, s0
	scratch_load_dwordx2 v[2:3], off, off offset:192
	s_waitcnt vmcnt(1)
	scratch_store_dwordx2 off, v[0:1], off offset:192
	s_waitcnt vmcnt(1)
	scratch_store_dwordx2 off, v[2:3], s0
.LBB90_180:
	v_mov_b32_e32 v0, 0
	global_load_dword v1, v0, s[8:9] offset:92
	s_waitcnt vmcnt(0)
	v_readfirstlane_b32 s0, v1
	s_add_i32 s0, s0, -1
	s_cmp_eq_u32 s0, 23
	s_cbranch_scc1 .LBB90_182
; %bb.181:
	s_lshl_b32 s0, s0, 3
	s_nop 0
	scratch_load_dwordx2 v[2:3], off, s0
	scratch_load_dwordx2 v[4:5], off, off offset:184
	s_waitcnt vmcnt(1)
	scratch_store_dwordx2 off, v[2:3], off offset:184
	s_waitcnt vmcnt(1)
	scratch_store_dwordx2 off, v[4:5], s0
.LBB90_182:
	global_load_dword v0, v0, s[8:9] offset:88
	s_waitcnt vmcnt(0)
	v_readfirstlane_b32 s0, v0
	s_add_i32 s0, s0, -1
	s_cmp_eq_u32 s0, 22
	s_cbranch_scc1 .LBB90_184
; %bb.183:
	s_lshl_b32 s0, s0, 3
	s_nop 0
	scratch_load_dwordx2 v[0:1], off, s0
	scratch_load_dwordx2 v[2:3], off, off offset:176
	s_waitcnt vmcnt(1)
	scratch_store_dwordx2 off, v[0:1], off offset:176
	s_waitcnt vmcnt(1)
	scratch_store_dwordx2 off, v[2:3], s0
.LBB90_184:
	v_mov_b32_e32 v0, 0
	global_load_dword v1, v0, s[8:9] offset:84
	s_waitcnt vmcnt(0)
	v_readfirstlane_b32 s0, v1
	s_add_i32 s0, s0, -1
	s_cmp_eq_u32 s0, 21
	s_cbranch_scc1 .LBB90_186
; %bb.185:
	s_lshl_b32 s0, s0, 3
	s_nop 0
	scratch_load_dwordx2 v[2:3], off, s0
	scratch_load_dwordx2 v[4:5], off, off offset:168
	s_waitcnt vmcnt(1)
	scratch_store_dwordx2 off, v[2:3], off offset:168
	s_waitcnt vmcnt(1)
	scratch_store_dwordx2 off, v[4:5], s0
.LBB90_186:
	;; [unrolled: 33-line block ×12, first 2 shown]
	global_load_dword v2, v0, s[8:9]
	s_nop 0
	scratch_load_dwordx2 v[0:1], off, off
	s_waitcnt vmcnt(1)
	v_readfirstlane_b32 s0, v2
	s_add_i32 s0, s0, -1
	s_cmp_eq_u32 s0, 0
	s_cbranch_scc1 .LBB90_228
; %bb.227:
	s_lshl_b32 s0, s0, 3
	s_nop 0
	scratch_load_dwordx2 v[2:3], off, s0
	s_waitcnt vmcnt(0)
	scratch_store_dwordx2 off, v[2:3], off
	scratch_store_dwordx2 off, v[0:1], s0
	scratch_load_dwordx2 v[0:1], off, off
.LBB90_228:
	s_waitcnt vmcnt(0)
	flat_store_dwordx2 v[56:57], v[0:1]
	scratch_load_dwordx2 v[0:1], off, off offset:8
	s_waitcnt vmcnt(0)
	flat_store_dwordx2 v[58:59], v[0:1]
	scratch_load_dwordx2 v[0:1], off, off offset:16
	s_waitcnt vmcnt(0)
	flat_store_dwordx2 v[60:61], v[0:1]
	scratch_load_dwordx2 v[0:1], off, off offset:24
	s_waitcnt vmcnt(0)
	flat_store_dwordx2 v[62:63], v[0:1]
	scratch_load_dwordx2 v[0:1], off, off offset:32
	s_waitcnt vmcnt(0)
	flat_store_dwordx2 v[64:65], v[0:1]
	scratch_load_dwordx2 v[0:1], off, off offset:40
	s_waitcnt vmcnt(0)
	flat_store_dwordx2 v[66:67], v[0:1]
	scratch_load_dwordx2 v[0:1], off, off offset:48
	s_waitcnt vmcnt(0)
	flat_store_dwordx2 v[68:69], v[0:1]
	scratch_load_dwordx2 v[0:1], off, off offset:56
	s_waitcnt vmcnt(0)
	flat_store_dwordx2 v[70:71], v[0:1]
	scratch_load_dwordx2 v[0:1], off, off offset:64
	s_waitcnt vmcnt(0)
	flat_store_dwordx2 v[72:73], v[0:1]
	scratch_load_dwordx2 v[0:1], off, off offset:72
	s_waitcnt vmcnt(0)
	flat_store_dwordx2 v[74:75], v[0:1]
	scratch_load_dwordx2 v[0:1], off, off offset:80
	s_waitcnt vmcnt(0)
	flat_store_dwordx2 v[76:77], v[0:1]
	scratch_load_dwordx2 v[0:1], off, off offset:88
	s_waitcnt vmcnt(0)
	flat_store_dwordx2 v[78:79], v[0:1]
	scratch_load_dwordx2 v[0:1], off, off offset:96
	s_waitcnt vmcnt(0)
	flat_store_dwordx2 v[80:81], v[0:1]
	scratch_load_dwordx2 v[0:1], off, off offset:104
	s_waitcnt vmcnt(0)
	flat_store_dwordx2 v[82:83], v[0:1]
	scratch_load_dwordx2 v[0:1], off, off offset:112
	s_waitcnt vmcnt(0)
	flat_store_dwordx2 v[84:85], v[0:1]
	scratch_load_dwordx2 v[0:1], off, off offset:120
	s_waitcnt vmcnt(0)
	flat_store_dwordx2 v[86:87], v[0:1]
	scratch_load_dwordx2 v[0:1], off, off offset:128
	s_waitcnt vmcnt(0)
	flat_store_dwordx2 v[88:89], v[0:1]
	scratch_load_dwordx2 v[0:1], off, off offset:136
	s_waitcnt vmcnt(0)
	flat_store_dwordx2 v[90:91], v[0:1]
	scratch_load_dwordx2 v[0:1], off, off offset:144
	s_waitcnt vmcnt(0)
	flat_store_dwordx2 v[92:93], v[0:1]
	scratch_load_dwordx2 v[0:1], off, off offset:152
	s_waitcnt vmcnt(0)
	flat_store_dwordx2 v[94:95], v[0:1]
	scratch_load_dwordx2 v[0:1], off, off offset:160
	s_waitcnt vmcnt(0)
	flat_store_dwordx2 v[96:97], v[0:1]
	scratch_load_dwordx2 v[0:1], off, off offset:168
	s_waitcnt vmcnt(0)
	flat_store_dwordx2 v[98:99], v[0:1]
	scratch_load_dwordx2 v[0:1], off, off offset:176
	s_waitcnt vmcnt(0)
	flat_store_dwordx2 v[100:101], v[0:1]
	scratch_load_dwordx2 v[0:1], off, off offset:184
	s_waitcnt vmcnt(0)
	flat_store_dwordx2 v[102:103], v[0:1]
	scratch_load_dwordx2 v[0:1], off, off offset:192
	s_waitcnt vmcnt(0)
	flat_store_dwordx2 v[104:105], v[0:1]
	scratch_load_dwordx2 v[0:1], off, off offset:200
	s_waitcnt vmcnt(0)
	flat_store_dwordx2 v[106:107], v[0:1]
	scratch_load_dwordx2 v[0:1], off, off offset:208
	s_waitcnt vmcnt(0)
	flat_store_dwordx2 v[108:109], v[0:1]
	s_endpgm
	.section	.rodata,"a",@progbits
	.p2align	6, 0x0
	.amdhsa_kernel _ZN9rocsolver6v33100L18getri_kernel_smallILi27E19rocblas_complex_numIfEPKPS3_EEvT1_iilPiilS8_bb
		.amdhsa_group_segment_fixed_size 440
		.amdhsa_private_segment_fixed_size 224
		.amdhsa_kernarg_size 60
		.amdhsa_user_sgpr_count 2
		.amdhsa_user_sgpr_dispatch_ptr 0
		.amdhsa_user_sgpr_queue_ptr 0
		.amdhsa_user_sgpr_kernarg_segment_ptr 1
		.amdhsa_user_sgpr_dispatch_id 0
		.amdhsa_user_sgpr_kernarg_preload_length 0
		.amdhsa_user_sgpr_kernarg_preload_offset 0
		.amdhsa_user_sgpr_private_segment_size 0
		.amdhsa_uses_dynamic_stack 0
		.amdhsa_enable_private_segment 1
		.amdhsa_system_sgpr_workgroup_id_x 1
		.amdhsa_system_sgpr_workgroup_id_y 0
		.amdhsa_system_sgpr_workgroup_id_z 0
		.amdhsa_system_sgpr_workgroup_info 0
		.amdhsa_system_vgpr_workitem_id 0
		.amdhsa_next_free_vgpr 167
		.amdhsa_next_free_sgpr 17
		.amdhsa_accum_offset 168
		.amdhsa_reserve_vcc 1
		.amdhsa_float_round_mode_32 0
		.amdhsa_float_round_mode_16_64 0
		.amdhsa_float_denorm_mode_32 3
		.amdhsa_float_denorm_mode_16_64 3
		.amdhsa_dx10_clamp 1
		.amdhsa_ieee_mode 1
		.amdhsa_fp16_overflow 0
		.amdhsa_tg_split 0
		.amdhsa_exception_fp_ieee_invalid_op 0
		.amdhsa_exception_fp_denorm_src 0
		.amdhsa_exception_fp_ieee_div_zero 0
		.amdhsa_exception_fp_ieee_overflow 0
		.amdhsa_exception_fp_ieee_underflow 0
		.amdhsa_exception_fp_ieee_inexact 0
		.amdhsa_exception_int_div_zero 0
	.end_amdhsa_kernel
	.section	.text._ZN9rocsolver6v33100L18getri_kernel_smallILi27E19rocblas_complex_numIfEPKPS3_EEvT1_iilPiilS8_bb,"axG",@progbits,_ZN9rocsolver6v33100L18getri_kernel_smallILi27E19rocblas_complex_numIfEPKPS3_EEvT1_iilPiilS8_bb,comdat
.Lfunc_end90:
	.size	_ZN9rocsolver6v33100L18getri_kernel_smallILi27E19rocblas_complex_numIfEPKPS3_EEvT1_iilPiilS8_bb, .Lfunc_end90-_ZN9rocsolver6v33100L18getri_kernel_smallILi27E19rocblas_complex_numIfEPKPS3_EEvT1_iilPiilS8_bb
                                        ; -- End function
	.set _ZN9rocsolver6v33100L18getri_kernel_smallILi27E19rocblas_complex_numIfEPKPS3_EEvT1_iilPiilS8_bb.num_vgpr, 167
	.set _ZN9rocsolver6v33100L18getri_kernel_smallILi27E19rocblas_complex_numIfEPKPS3_EEvT1_iilPiilS8_bb.num_agpr, 0
	.set _ZN9rocsolver6v33100L18getri_kernel_smallILi27E19rocblas_complex_numIfEPKPS3_EEvT1_iilPiilS8_bb.numbered_sgpr, 17
	.set _ZN9rocsolver6v33100L18getri_kernel_smallILi27E19rocblas_complex_numIfEPKPS3_EEvT1_iilPiilS8_bb.num_named_barrier, 0
	.set _ZN9rocsolver6v33100L18getri_kernel_smallILi27E19rocblas_complex_numIfEPKPS3_EEvT1_iilPiilS8_bb.private_seg_size, 224
	.set _ZN9rocsolver6v33100L18getri_kernel_smallILi27E19rocblas_complex_numIfEPKPS3_EEvT1_iilPiilS8_bb.uses_vcc, 1
	.set _ZN9rocsolver6v33100L18getri_kernel_smallILi27E19rocblas_complex_numIfEPKPS3_EEvT1_iilPiilS8_bb.uses_flat_scratch, 0
	.set _ZN9rocsolver6v33100L18getri_kernel_smallILi27E19rocblas_complex_numIfEPKPS3_EEvT1_iilPiilS8_bb.has_dyn_sized_stack, 0
	.set _ZN9rocsolver6v33100L18getri_kernel_smallILi27E19rocblas_complex_numIfEPKPS3_EEvT1_iilPiilS8_bb.has_recursion, 0
	.set _ZN9rocsolver6v33100L18getri_kernel_smallILi27E19rocblas_complex_numIfEPKPS3_EEvT1_iilPiilS8_bb.has_indirect_call, 0
	.section	.AMDGPU.csdata,"",@progbits
; Kernel info:
; codeLenInByte = 27728
; TotalNumSgprs: 23
; NumVgprs: 167
; NumAgprs: 0
; TotalNumVgprs: 167
; ScratchSize: 224
; MemoryBound: 0
; FloatMode: 240
; IeeeMode: 1
; LDSByteSize: 440 bytes/workgroup (compile time only)
; SGPRBlocks: 2
; VGPRBlocks: 20
; NumSGPRsForWavesPerEU: 23
; NumVGPRsForWavesPerEU: 167
; AccumOffset: 168
; Occupancy: 3
; WaveLimiterHint : 1
; COMPUTE_PGM_RSRC2:SCRATCH_EN: 1
; COMPUTE_PGM_RSRC2:USER_SGPR: 2
; COMPUTE_PGM_RSRC2:TRAP_HANDLER: 0
; COMPUTE_PGM_RSRC2:TGID_X_EN: 1
; COMPUTE_PGM_RSRC2:TGID_Y_EN: 0
; COMPUTE_PGM_RSRC2:TGID_Z_EN: 0
; COMPUTE_PGM_RSRC2:TIDIG_COMP_CNT: 0
; COMPUTE_PGM_RSRC3_GFX90A:ACCUM_OFFSET: 41
; COMPUTE_PGM_RSRC3_GFX90A:TG_SPLIT: 0
	.section	.text._ZN9rocsolver6v33100L18getri_kernel_smallILi28E19rocblas_complex_numIfEPKPS3_EEvT1_iilPiilS8_bb,"axG",@progbits,_ZN9rocsolver6v33100L18getri_kernel_smallILi28E19rocblas_complex_numIfEPKPS3_EEvT1_iilPiilS8_bb,comdat
	.globl	_ZN9rocsolver6v33100L18getri_kernel_smallILi28E19rocblas_complex_numIfEPKPS3_EEvT1_iilPiilS8_bb ; -- Begin function _ZN9rocsolver6v33100L18getri_kernel_smallILi28E19rocblas_complex_numIfEPKPS3_EEvT1_iilPiilS8_bb
	.p2align	8
	.type	_ZN9rocsolver6v33100L18getri_kernel_smallILi28E19rocblas_complex_numIfEPKPS3_EEvT1_iilPiilS8_bb,@function
_ZN9rocsolver6v33100L18getri_kernel_smallILi28E19rocblas_complex_numIfEPKPS3_EEvT1_iilPiilS8_bb: ; @_ZN9rocsolver6v33100L18getri_kernel_smallILi28E19rocblas_complex_numIfEPKPS3_EEvT1_iilPiilS8_bb
; %bb.0:
	v_cmp_gt_u32_e32 vcc, 28, v0
	s_and_saveexec_b64 s[4:5], vcc
	s_cbranch_execz .LBB91_126
; %bb.1:
	s_load_dword s14, s[0:1], 0x38
	s_load_dwordx2 s[8:9], s[0:1], 0x0
	s_load_dwordx4 s[4:7], s[0:1], 0x28
	s_waitcnt lgkmcnt(0)
	s_bitcmp1_b32 s14, 8
	s_cselect_b64 s[10:11], -1, 0
	s_ashr_i32 s3, s2, 31
	s_lshl_b64 s[12:13], s[2:3], 3
	s_add_u32 s8, s8, s12
	s_addc_u32 s9, s9, s13
	s_load_dwordx2 s[12:13], s[8:9], 0x0
	s_bfe_u32 s8, s14, 0x10008
	s_cmp_eq_u32 s8, 0
                                        ; implicit-def: $sgpr8_sgpr9
	s_cbranch_scc1 .LBB91_3
; %bb.2:
	s_load_dword s8, s[0:1], 0x20
	s_load_dwordx2 s[14:15], s[0:1], 0x18
	s_mul_i32 s9, s4, s3
	s_mul_hi_u32 s16, s4, s2
	s_add_i32 s16, s16, s9
	s_mul_i32 s5, s5, s2
	s_add_i32 s5, s16, s5
	s_mul_i32 s4, s4, s2
	s_waitcnt lgkmcnt(0)
	s_ashr_i32 s9, s8, 31
	s_lshl_b64 s[4:5], s[4:5], 2
	s_add_u32 s14, s14, s4
	s_addc_u32 s15, s15, s5
	s_lshl_b64 s[4:5], s[8:9], 2
	s_add_u32 s8, s14, s4
	s_addc_u32 s9, s15, s5
.LBB91_3:
	s_load_dwordx2 s[4:5], s[0:1], 0x8
	s_load_dword s14, s[0:1], 0x38
	v_lshlrev_b32_e32 v2, 3, v0
	v_mov_b32_e32 v3, 0
	s_waitcnt lgkmcnt(0)
	s_ashr_i32 s1, s4, 31
	s_mov_b32 s0, s4
	s_lshl_b64 s[0:1], s[0:1], 3
	s_add_u32 s0, s12, s0
	s_addc_u32 s1, s13, s1
	v_lshl_add_u64 v[38:39], s[0:1], 0, v[2:3]
	flat_load_dwordx2 v[4:5], v[38:39]
	s_mov_b32 s12, s5
	s_ashr_i32 s13, s5, 31
	v_lshl_add_u64 v[40:41], s[12:13], 3, v[38:39]
	s_add_i32 s4, s5, s5
	v_add_u32_e32 v6, s4, v0
	v_ashrrev_i32_e32 v7, 31, v6
	v_lshl_add_u64 v[42:43], v[6:7], 3, s[0:1]
	v_add_u32_e32 v6, s5, v6
	v_ashrrev_i32_e32 v7, 31, v6
	v_lshl_add_u64 v[44:45], v[6:7], 3, s[0:1]
	;; [unrolled: 3-line block ×25, first 2 shown]
	s_waitcnt vmcnt(0) lgkmcnt(0)
	scratch_store_dwordx2 off, v[4:5], off
	flat_load_dwordx2 v[4:5], v[40:41]
	v_add_u32_e32 v6, s5, v6
	v_ashrrev_i32_e32 v7, 31, v6
	v_lshl_add_u64 v[92:93], v[6:7], 3, s[0:1]
	s_bitcmp0_b32 s14, 0
	s_mov_b64 s[4:5], -1
	s_waitcnt vmcnt(0) lgkmcnt(0)
	scratch_store_dwordx2 off, v[4:5], off offset:8
	flat_load_dwordx2 v[4:5], v[42:43]
	s_waitcnt vmcnt(0) lgkmcnt(0)
	scratch_store_dwordx2 off, v[4:5], off offset:16
	flat_load_dwordx2 v[4:5], v[44:45]
	;; [unrolled: 3-line block ×26, first 2 shown]
	s_waitcnt vmcnt(0) lgkmcnt(0)
	scratch_store_dwordx2 off, v[4:5], off offset:216
	s_cbranch_scc1 .LBB91_124
; %bb.4:
	v_cmp_eq_u32_e64 s[0:1], 0, v0
	s_and_saveexec_b64 s[4:5], s[0:1]
; %bb.5:
	v_mov_b32_e32 v1, 0
	ds_write_b32 v1, v1 offset:448
; %bb.6:
	s_or_b64 exec, exec, s[4:5]
	s_waitcnt lgkmcnt(0)
	; wave barrier
	scratch_load_dwordx2 v[4:5], v2, off
	s_waitcnt vmcnt(0)
	v_cmp_eq_f32_e32 vcc, 0, v4
	v_cmp_eq_f32_e64 s[4:5], 0, v5
	s_and_b64 s[4:5], vcc, s[4:5]
	s_and_saveexec_b64 s[12:13], s[4:5]
	s_cbranch_execz .LBB91_10
; %bb.7:
	v_mov_b32_e32 v1, 0
	ds_read_b32 v4, v1 offset:448
	v_add_u32_e32 v3, 1, v0
	s_waitcnt lgkmcnt(0)
	v_readfirstlane_b32 s4, v4
	s_cmp_eq_u32 s4, 0
	s_cselect_b64 s[14:15], -1, 0
	v_cmp_gt_i32_e32 vcc, s4, v3
	s_or_b64 s[14:15], s[14:15], vcc
	s_and_b64 exec, exec, s[14:15]
	s_cbranch_execz .LBB91_10
; %bb.8:
	s_mov_b64 s[14:15], 0
	v_mov_b32_e32 v4, s4
.LBB91_9:                               ; =>This Inner Loop Header: Depth=1
	ds_cmpst_rtn_b32 v4, v1, v4, v3 offset:448
	s_waitcnt lgkmcnt(0)
	v_cmp_ne_u32_e32 vcc, 0, v4
	v_cmp_le_i32_e64 s[4:5], v4, v3
	s_and_b64 s[4:5], vcc, s[4:5]
	s_and_b64 s[4:5], exec, s[4:5]
	s_or_b64 s[14:15], s[4:5], s[14:15]
	s_andn2_b64 exec, exec, s[14:15]
	s_cbranch_execnz .LBB91_9
.LBB91_10:
	s_or_b64 exec, exec, s[12:13]
	v_mov_b32_e32 v3, 0
	; wave barrier
	ds_read_b32 v1, v3 offset:448
	s_and_saveexec_b64 s[4:5], s[0:1]
	s_cbranch_execz .LBB91_12
; %bb.11:
	s_lshl_b64 s[12:13], s[2:3], 2
	s_add_u32 s12, s6, s12
	s_addc_u32 s13, s7, s13
	s_waitcnt lgkmcnt(0)
	global_store_dword v3, v1, s[12:13]
.LBB91_12:
	s_or_b64 exec, exec, s[4:5]
	s_waitcnt lgkmcnt(0)
	v_cmp_ne_u32_e32 vcc, 0, v1
	s_mov_b64 s[4:5], 0
	s_cbranch_vccnz .LBB91_124
; %bb.13:
	v_mov_b32_e32 v3, v2
	scratch_load_dwordx2 v[4:5], v3, off
                                        ; implicit-def: $vgpr7
                                        ; implicit-def: $vgpr8
	s_waitcnt vmcnt(0)
	v_cmp_ngt_f32_e64 s[4:5], |v4|, |v5|
	s_and_saveexec_b64 s[12:13], s[4:5]
	s_xor_b64 s[4:5], exec, s[12:13]
	s_cbranch_execz .LBB91_15
; %bb.14:
	v_div_scale_f32 v1, s[12:13], v5, v5, v4
	v_rcp_f32_e32 v6, v1
	v_div_scale_f32 v7, vcc, v4, v5, v4
	v_fma_f32 v8, -v1, v6, 1.0
	v_fmac_f32_e32 v6, v8, v6
	v_mul_f32_e32 v8, v7, v6
	v_fma_f32 v9, -v1, v8, v7
	v_fmac_f32_e32 v8, v9, v6
	v_fma_f32 v1, -v1, v8, v7
	v_div_fmas_f32 v1, v1, v6, v8
	v_div_fixup_f32 v1, v1, v5, v4
	v_fmac_f32_e32 v5, v4, v1
	v_div_scale_f32 v4, s[12:13], v5, v5, -1.0
	v_rcp_f32_e32 v6, v4
	s_nop 0
	v_fma_f32 v7, -v4, v6, 1.0
	v_fmac_f32_e32 v6, v7, v6
	v_div_scale_f32 v7, vcc, -1.0, v5, -1.0
	v_mul_f32_e32 v8, v7, v6
	v_fma_f32 v9, -v4, v8, v7
	v_fmac_f32_e32 v8, v9, v6
	v_fma_f32 v4, -v4, v8, v7
	v_div_fmas_f32 v4, v4, v6, v8
	v_div_fixup_f32 v7, v4, v5, -1.0
	v_mul_f32_e32 v8, v1, v7
	v_xor_b32_e32 v6, 0x80000000, v8
                                        ; implicit-def: $vgpr4_vgpr5
.LBB91_15:
	s_andn2_saveexec_b64 s[4:5], s[4:5]
	s_cbranch_execz .LBB91_17
; %bb.16:
	v_div_scale_f32 v1, s[12:13], v4, v4, v5
	v_rcp_f32_e32 v6, v1
	v_div_scale_f32 v7, vcc, v5, v4, v5
	v_fma_f32 v8, -v1, v6, 1.0
	v_fmac_f32_e32 v6, v8, v6
	v_mul_f32_e32 v8, v7, v6
	v_fma_f32 v9, -v1, v8, v7
	v_fmac_f32_e32 v8, v9, v6
	v_fma_f32 v1, -v1, v8, v7
	v_div_fmas_f32 v1, v1, v6, v8
	v_div_fixup_f32 v1, v1, v4, v5
	v_fmac_f32_e32 v4, v5, v1
	v_div_scale_f32 v5, s[12:13], v4, v4, 1.0
	v_rcp_f32_e32 v6, v5
	s_nop 0
	v_fma_f32 v7, -v5, v6, 1.0
	v_fmac_f32_e32 v6, v7, v6
	v_div_scale_f32 v7, vcc, 1.0, v4, 1.0
	v_mul_f32_e32 v8, v7, v6
	v_fma_f32 v9, -v5, v8, v7
	v_fmac_f32_e32 v8, v9, v6
	v_fma_f32 v5, -v5, v8, v7
	v_div_fmas_f32 v5, v5, v6, v8
	v_div_fixup_f32 v6, v5, v4, 1.0
	v_xor_b32_e32 v8, 0x80000000, v6
	v_mul_f32_e64 v7, v1, -v6
.LBB91_17:
	s_or_b64 exec, exec, s[4:5]
	scratch_store_dwordx2 v3, v[6:7], off
	scratch_load_dwordx2 v[4:5], off, off offset:8
	v_xor_b32_e32 v9, 0x80000000, v7
	v_add_u32_e32 v1, 0xe0, v2
	s_waitcnt vmcnt(0)
	ds_write2_b64 v2, v[8:9], v[4:5] offset1:28
	s_waitcnt lgkmcnt(0)
	; wave barrier
	s_and_saveexec_b64 s[4:5], s[0:1]
	s_cbranch_execz .LBB91_19
; %bb.18:
	scratch_load_dwordx2 v[4:5], v3, off
	ds_read_b64 v[6:7], v1
	v_mov_b32_e32 v8, 0
	ds_read_b64 v[8:9], v8 offset:8
	s_waitcnt vmcnt(0) lgkmcnt(1)
	v_pk_mul_f32 v[10:11], v[6:7], v[4:5] op_sel:[1,1] op_sel_hi:[0,1]
	v_pk_fma_f32 v[12:13], v[6:7], v[4:5], v[10:11] neg_lo:[0,0,1] neg_hi:[0,0,1]
	v_pk_fma_f32 v[4:5], v[6:7], v[4:5], v[10:11] op_sel_hi:[1,0,1]
	s_nop 0
	v_mov_b32_e32 v13, v5
	v_pk_add_f32 v[4:5], v[12:13], 0 op_sel_hi:[1,0]
	s_waitcnt lgkmcnt(0)
	v_pk_mul_f32 v[6:7], v[4:5], v[8:9] op_sel:[1,1] op_sel_hi:[0,1]
	v_pk_fma_f32 v[10:11], v[4:5], v[8:9], v[6:7] neg_lo:[0,0,1] neg_hi:[0,0,1]
	v_pk_fma_f32 v[4:5], v[4:5], v[8:9], v[6:7] op_sel_hi:[1,0,1]
	s_nop 0
	v_mov_b32_e32 v11, v5
	scratch_store_dwordx2 off, v[10:11], off offset:8
.LBB91_19:
	s_or_b64 exec, exec, s[4:5]
	; wave barrier
	scratch_load_dwordx2 v[4:5], off, off offset:16
	v_cmp_gt_u32_e32 vcc, 2, v0
	s_waitcnt vmcnt(0)
	ds_write_b64 v1, v[4:5]
	s_waitcnt lgkmcnt(0)
	; wave barrier
	s_and_saveexec_b64 s[4:5], vcc
	s_cbranch_execz .LBB91_23
; %bb.20:
	scratch_load_dwordx2 v[4:5], v3, off
	ds_read_b64 v[6:7], v1
	s_waitcnt vmcnt(0) lgkmcnt(0)
	v_pk_mul_f32 v[8:9], v[6:7], v[4:5] op_sel:[1,1] op_sel_hi:[0,1]
	v_pk_fma_f32 v[10:11], v[6:7], v[4:5], v[8:9] neg_lo:[0,0,1] neg_hi:[0,0,1]
	v_pk_fma_f32 v[4:5], v[6:7], v[4:5], v[8:9] op_sel_hi:[1,0,1]
	s_nop 0
	v_mov_b32_e32 v11, v5
	v_pk_add_f32 v[4:5], v[10:11], 0 op_sel_hi:[1,0]
	s_and_saveexec_b64 s[12:13], s[0:1]
	s_cbranch_execz .LBB91_22
; %bb.21:
	scratch_load_dwordx2 v[6:7], off, off offset:8
	v_mov_b32_e32 v3, 0
	ds_read_b64 v[8:9], v3 offset:232
	s_waitcnt vmcnt(0) lgkmcnt(0)
	v_pk_mul_f32 v[10:11], v[8:9], v[6:7] op_sel:[1,1] op_sel_hi:[0,1]
	v_pk_fma_f32 v[12:13], v[8:9], v[6:7], v[10:11] neg_lo:[0,0,1] neg_hi:[0,0,1]
	v_pk_fma_f32 v[6:7], v[8:9], v[6:7], v[10:11] op_sel_hi:[1,0,1]
	s_nop 0
	v_mov_b32_e32 v13, v7
	v_pk_add_f32 v[4:5], v[4:5], v[12:13]
.LBB91_22:
	s_or_b64 exec, exec, s[12:13]
	v_mov_b32_e32 v3, 0
	ds_read_b64 v[6:7], v3 offset:16
	s_waitcnt lgkmcnt(0)
	v_pk_mul_f32 v[8:9], v[4:5], v[6:7] op_sel:[1,1] op_sel_hi:[0,1]
	v_pk_fma_f32 v[10:11], v[4:5], v[6:7], v[8:9] neg_lo:[0,0,1] neg_hi:[0,0,1]
	v_pk_fma_f32 v[4:5], v[4:5], v[6:7], v[8:9] op_sel_hi:[1,0,1]
	s_nop 0
	v_mov_b32_e32 v11, v5
	scratch_store_dwordx2 off, v[10:11], off offset:16
.LBB91_23:
	s_or_b64 exec, exec, s[4:5]
	; wave barrier
	scratch_load_dwordx2 v[4:5], off, off offset:24
	v_cmp_gt_u32_e32 vcc, 3, v0
	v_add_u32_e32 v6, -1, v0
	s_waitcnt vmcnt(0)
	ds_write_b64 v1, v[4:5]
	s_waitcnt lgkmcnt(0)
	; wave barrier
	s_and_saveexec_b64 s[0:1], vcc
	s_cbranch_execz .LBB91_27
; %bb.24:
	v_mov_b32_e32 v4, 0
	v_add_u32_e32 v3, -1, v0
	v_add_u32_e32 v7, 0xe0, v2
	v_mov_b32_e32 v8, v2
	s_mov_b64 s[4:5], 0
	v_mov_b32_e32 v5, v4
.LBB91_25:                              ; =>This Inner Loop Header: Depth=1
	scratch_load_dwordx2 v[10:11], v8, off
	ds_read_b64 v[12:13], v7
	v_add_u32_e32 v3, 1, v3
	v_cmp_lt_u32_e32 vcc, 1, v3
	v_add_u32_e32 v7, 8, v7
	v_add_u32_e32 v8, 8, v8
	s_or_b64 s[4:5], vcc, s[4:5]
	s_waitcnt vmcnt(0) lgkmcnt(0)
	v_pk_mul_f32 v[14:15], v[12:13], v[10:11] op_sel:[1,1] op_sel_hi:[0,1]
	v_pk_fma_f32 v[16:17], v[12:13], v[10:11], v[14:15] neg_lo:[0,0,1] neg_hi:[0,0,1]
	v_pk_fma_f32 v[10:11], v[12:13], v[10:11], v[14:15] op_sel_hi:[1,0,1]
	s_nop 0
	v_mov_b32_e32 v17, v11
	v_pk_add_f32 v[4:5], v[4:5], v[16:17]
	s_andn2_b64 exec, exec, s[4:5]
	s_cbranch_execnz .LBB91_25
; %bb.26:
	s_or_b64 exec, exec, s[4:5]
	v_mov_b32_e32 v3, 0
	ds_read_b64 v[8:9], v3 offset:24
	s_waitcnt lgkmcnt(0)
	v_pk_mul_f32 v[10:11], v[4:5], v[8:9] op_sel:[1,1] op_sel_hi:[0,1]
	v_pk_fma_f32 v[12:13], v[4:5], v[8:9], v[10:11] neg_lo:[0,0,1] neg_hi:[0,0,1]
	v_pk_fma_f32 v[4:5], v[4:5], v[8:9], v[10:11] op_sel_hi:[1,0,1]
	s_nop 0
	v_mov_b32_e32 v13, v5
	scratch_store_dwordx2 off, v[12:13], off offset:24
.LBB91_27:
	s_or_b64 exec, exec, s[0:1]
	; wave barrier
	scratch_load_dwordx2 v[4:5], off, off offset:32
	v_cmp_gt_u32_e32 vcc, 4, v0
	s_waitcnt vmcnt(0)
	ds_write_b64 v1, v[4:5]
	s_waitcnt lgkmcnt(0)
	; wave barrier
	s_and_saveexec_b64 s[0:1], vcc
	s_cbranch_execz .LBB91_31
; %bb.28:
	v_mov_b32_e32 v4, 0
	v_add_u32_e32 v3, -1, v0
	v_add_u32_e32 v7, 0xe0, v2
	v_mov_b32_e32 v8, v2
	s_mov_b64 s[4:5], 0
	v_mov_b32_e32 v5, v4
.LBB91_29:                              ; =>This Inner Loop Header: Depth=1
	scratch_load_dwordx2 v[10:11], v8, off
	ds_read_b64 v[12:13], v7
	v_add_u32_e32 v3, 1, v3
	v_cmp_lt_u32_e32 vcc, 2, v3
	v_add_u32_e32 v7, 8, v7
	v_add_u32_e32 v8, 8, v8
	s_or_b64 s[4:5], vcc, s[4:5]
	s_waitcnt vmcnt(0) lgkmcnt(0)
	v_pk_mul_f32 v[14:15], v[12:13], v[10:11] op_sel:[1,1] op_sel_hi:[0,1]
	v_pk_fma_f32 v[16:17], v[12:13], v[10:11], v[14:15] neg_lo:[0,0,1] neg_hi:[0,0,1]
	v_pk_fma_f32 v[10:11], v[12:13], v[10:11], v[14:15] op_sel_hi:[1,0,1]
	s_nop 0
	v_mov_b32_e32 v17, v11
	v_pk_add_f32 v[4:5], v[4:5], v[16:17]
	s_andn2_b64 exec, exec, s[4:5]
	s_cbranch_execnz .LBB91_29
; %bb.30:
	s_or_b64 exec, exec, s[4:5]
	v_mov_b32_e32 v3, 0
	ds_read_b64 v[8:9], v3 offset:32
	s_waitcnt lgkmcnt(0)
	v_pk_mul_f32 v[10:11], v[4:5], v[8:9] op_sel:[1,1] op_sel_hi:[0,1]
	v_pk_fma_f32 v[12:13], v[4:5], v[8:9], v[10:11] neg_lo:[0,0,1] neg_hi:[0,0,1]
	v_pk_fma_f32 v[4:5], v[4:5], v[8:9], v[10:11] op_sel_hi:[1,0,1]
	s_nop 0
	v_mov_b32_e32 v13, v5
	scratch_store_dwordx2 off, v[12:13], off offset:32
.LBB91_31:
	s_or_b64 exec, exec, s[0:1]
	; wave barrier
	scratch_load_dwordx2 v[4:5], off, off offset:40
	v_cmp_gt_u32_e32 vcc, 5, v0
	;; [unrolled: 46-line block ×19, first 2 shown]
	s_waitcnt vmcnt(0)
	ds_write_b64 v1, v[4:5]
	s_waitcnt lgkmcnt(0)
	; wave barrier
	s_and_saveexec_b64 s[0:1], vcc
	s_cbranch_execz .LBB91_103
; %bb.100:
	v_mov_b32_e32 v4, 0
	v_add_u32_e32 v3, -1, v0
	v_add_u32_e32 v7, 0xe0, v2
	v_mov_b32_e32 v8, v2
	s_mov_b64 s[4:5], 0
	v_mov_b32_e32 v5, v4
.LBB91_101:                             ; =>This Inner Loop Header: Depth=1
	scratch_load_dwordx2 v[10:11], v8, off
	ds_read_b64 v[12:13], v7
	v_add_u32_e32 v3, 1, v3
	v_cmp_lt_u32_e32 vcc, 20, v3
	v_add_u32_e32 v7, 8, v7
	v_add_u32_e32 v8, 8, v8
	s_or_b64 s[4:5], vcc, s[4:5]
	s_waitcnt vmcnt(0) lgkmcnt(0)
	v_pk_mul_f32 v[14:15], v[12:13], v[10:11] op_sel:[1,1] op_sel_hi:[0,1]
	v_pk_fma_f32 v[16:17], v[12:13], v[10:11], v[14:15] neg_lo:[0,0,1] neg_hi:[0,0,1]
	v_pk_fma_f32 v[10:11], v[12:13], v[10:11], v[14:15] op_sel_hi:[1,0,1]
	s_nop 0
	v_mov_b32_e32 v17, v11
	v_pk_add_f32 v[4:5], v[4:5], v[16:17]
	s_andn2_b64 exec, exec, s[4:5]
	s_cbranch_execnz .LBB91_101
; %bb.102:
	s_or_b64 exec, exec, s[4:5]
	v_mov_b32_e32 v3, 0
	ds_read_b64 v[8:9], v3 offset:176
	s_waitcnt lgkmcnt(0)
	v_pk_mul_f32 v[10:11], v[4:5], v[8:9] op_sel:[1,1] op_sel_hi:[0,1]
	v_pk_fma_f32 v[12:13], v[4:5], v[8:9], v[10:11] neg_lo:[0,0,1] neg_hi:[0,0,1]
	v_pk_fma_f32 v[4:5], v[4:5], v[8:9], v[10:11] op_sel_hi:[1,0,1]
	s_nop 0
	v_mov_b32_e32 v13, v5
	scratch_store_dwordx2 off, v[12:13], off offset:176
.LBB91_103:
	s_or_b64 exec, exec, s[0:1]
	; wave barrier
	scratch_load_dwordx2 v[4:5], off, off offset:184
	v_cmp_gt_u32_e32 vcc, 23, v0
	s_waitcnt vmcnt(0)
	ds_write_b64 v1, v[4:5]
	s_waitcnt lgkmcnt(0)
	; wave barrier
	s_and_saveexec_b64 s[0:1], vcc
	s_cbranch_execz .LBB91_107
; %bb.104:
	v_mov_b32_e32 v4, 0
	v_add_u32_e32 v3, -1, v0
	v_add_u32_e32 v7, 0xe0, v2
	v_mov_b32_e32 v8, v2
	s_mov_b64 s[4:5], 0
	v_mov_b32_e32 v5, v4
.LBB91_105:                             ; =>This Inner Loop Header: Depth=1
	scratch_load_dwordx2 v[10:11], v8, off
	ds_read_b64 v[12:13], v7
	v_add_u32_e32 v3, 1, v3
	v_cmp_lt_u32_e32 vcc, 21, v3
	v_add_u32_e32 v7, 8, v7
	v_add_u32_e32 v8, 8, v8
	s_or_b64 s[4:5], vcc, s[4:5]
	s_waitcnt vmcnt(0) lgkmcnt(0)
	v_pk_mul_f32 v[14:15], v[12:13], v[10:11] op_sel:[1,1] op_sel_hi:[0,1]
	v_pk_fma_f32 v[16:17], v[12:13], v[10:11], v[14:15] neg_lo:[0,0,1] neg_hi:[0,0,1]
	v_pk_fma_f32 v[10:11], v[12:13], v[10:11], v[14:15] op_sel_hi:[1,0,1]
	s_nop 0
	v_mov_b32_e32 v17, v11
	v_pk_add_f32 v[4:5], v[4:5], v[16:17]
	s_andn2_b64 exec, exec, s[4:5]
	s_cbranch_execnz .LBB91_105
; %bb.106:
	s_or_b64 exec, exec, s[4:5]
	v_mov_b32_e32 v3, 0
	ds_read_b64 v[8:9], v3 offset:184
	s_waitcnt lgkmcnt(0)
	v_pk_mul_f32 v[10:11], v[4:5], v[8:9] op_sel:[1,1] op_sel_hi:[0,1]
	v_pk_fma_f32 v[12:13], v[4:5], v[8:9], v[10:11] neg_lo:[0,0,1] neg_hi:[0,0,1]
	v_pk_fma_f32 v[4:5], v[4:5], v[8:9], v[10:11] op_sel_hi:[1,0,1]
	s_nop 0
	v_mov_b32_e32 v13, v5
	scratch_store_dwordx2 off, v[12:13], off offset:184
.LBB91_107:
	s_or_b64 exec, exec, s[0:1]
	; wave barrier
	scratch_load_dwordx2 v[4:5], off, off offset:192
	v_cmp_gt_u32_e32 vcc, 24, v0
	;; [unrolled: 46-line block ×4, first 2 shown]
	s_waitcnt vmcnt(0)
	ds_write_b64 v1, v[4:5]
	s_waitcnt lgkmcnt(0)
	; wave barrier
	s_and_saveexec_b64 s[0:1], vcc
	s_cbranch_execz .LBB91_119
; %bb.116:
	v_mov_b32_e32 v4, 0
	v_add_u32_e32 v3, -1, v0
	v_add_u32_e32 v7, 0xe0, v2
	v_mov_b32_e32 v8, v2
	s_mov_b64 s[4:5], 0
	v_mov_b32_e32 v5, v4
.LBB91_117:                             ; =>This Inner Loop Header: Depth=1
	scratch_load_dwordx2 v[10:11], v8, off
	ds_read_b64 v[12:13], v7
	v_add_u32_e32 v3, 1, v3
	v_cmp_lt_u32_e32 vcc, 24, v3
	v_add_u32_e32 v7, 8, v7
	v_add_u32_e32 v8, 8, v8
	s_or_b64 s[4:5], vcc, s[4:5]
	s_waitcnt vmcnt(0) lgkmcnt(0)
	v_pk_mul_f32 v[14:15], v[12:13], v[10:11] op_sel:[1,1] op_sel_hi:[0,1]
	v_pk_fma_f32 v[16:17], v[12:13], v[10:11], v[14:15] neg_lo:[0,0,1] neg_hi:[0,0,1]
	v_pk_fma_f32 v[10:11], v[12:13], v[10:11], v[14:15] op_sel_hi:[1,0,1]
	s_nop 0
	v_mov_b32_e32 v17, v11
	v_pk_add_f32 v[4:5], v[4:5], v[16:17]
	s_andn2_b64 exec, exec, s[4:5]
	s_cbranch_execnz .LBB91_117
; %bb.118:
	s_or_b64 exec, exec, s[4:5]
	v_mov_b32_e32 v3, 0
	ds_read_b64 v[8:9], v3 offset:208
	s_waitcnt lgkmcnt(0)
	v_pk_mul_f32 v[10:11], v[4:5], v[8:9] op_sel:[1,1] op_sel_hi:[0,1]
	v_pk_fma_f32 v[12:13], v[4:5], v[8:9], v[10:11] neg_lo:[0,0,1] neg_hi:[0,0,1]
	v_pk_fma_f32 v[4:5], v[4:5], v[8:9], v[10:11] op_sel_hi:[1,0,1]
	s_nop 0
	v_mov_b32_e32 v13, v5
	scratch_store_dwordx2 off, v[12:13], off offset:208
.LBB91_119:
	s_or_b64 exec, exec, s[0:1]
	; wave barrier
	scratch_load_dwordx2 v[4:5], off, off offset:216
	v_cmp_ne_u32_e32 vcc, 27, v0
	s_waitcnt vmcnt(0)
	ds_write_b64 v1, v[4:5]
	s_waitcnt lgkmcnt(0)
	; wave barrier
	s_and_saveexec_b64 s[0:1], vcc
	s_cbranch_execz .LBB91_123
; %bb.120:
	v_add_u32_e32 v1, 0xe0, v2
	v_mov_b32_e32 v4, v2
	v_mov_b32_e32 v2, 0
	s_mov_b64 s[4:5], 0
	v_mov_b32_e32 v3, v2
.LBB91_121:                             ; =>This Inner Loop Header: Depth=1
	scratch_load_dwordx2 v[8:9], v4, off
	ds_read_b64 v[10:11], v1
	v_add_u32_e32 v6, 1, v6
	v_cmp_lt_u32_e32 vcc, 25, v6
	v_add_u32_e32 v1, 8, v1
	v_add_u32_e32 v4, 8, v4
	s_or_b64 s[4:5], vcc, s[4:5]
	s_waitcnt vmcnt(0) lgkmcnt(0)
	v_pk_mul_f32 v[12:13], v[10:11], v[8:9] op_sel:[1,1] op_sel_hi:[0,1]
	v_pk_fma_f32 v[14:15], v[10:11], v[8:9], v[12:13] neg_lo:[0,0,1] neg_hi:[0,0,1]
	v_pk_fma_f32 v[8:9], v[10:11], v[8:9], v[12:13] op_sel_hi:[1,0,1]
	s_nop 0
	v_mov_b32_e32 v15, v9
	v_pk_add_f32 v[2:3], v[2:3], v[14:15]
	s_andn2_b64 exec, exec, s[4:5]
	s_cbranch_execnz .LBB91_121
; %bb.122:
	s_or_b64 exec, exec, s[4:5]
	v_mov_b32_e32 v1, 0
	ds_read_b64 v[4:5], v1 offset:216
	s_waitcnt lgkmcnt(0)
	v_pk_mul_f32 v[6:7], v[2:3], v[4:5] op_sel:[1,1] op_sel_hi:[0,1]
	v_pk_fma_f32 v[8:9], v[2:3], v[4:5], v[6:7] neg_lo:[0,0,1] neg_hi:[0,0,1]
	v_pk_fma_f32 v[2:3], v[2:3], v[4:5], v[6:7] op_sel_hi:[1,0,1]
	s_nop 0
	v_mov_b32_e32 v9, v3
	scratch_store_dwordx2 off, v[8:9], off offset:216
.LBB91_123:
	s_or_b64 exec, exec, s[0:1]
	s_mov_b64 s[4:5], -1
	; wave barrier
.LBB91_124:
	s_and_b64 vcc, exec, s[4:5]
	s_cbranch_vccz .LBB91_126
; %bb.125:
	s_lshl_b64 s[0:1], s[2:3], 2
	s_add_u32 s0, s6, s0
	s_addc_u32 s1, s7, s1
	v_mov_b32_e32 v1, 0
	global_load_dword v1, v1, s[0:1]
	s_waitcnt vmcnt(0)
	v_cmp_ne_u32_e32 vcc, 0, v1
	s_cbranch_vccz .LBB91_127
.LBB91_126:
	s_endpgm
.LBB91_127:
	v_mov_b32_e32 v1, 0xe0
	v_lshl_add_u32 v1, v0, 3, v1
	v_cmp_eq_u32_e32 vcc, 27, v0
	s_and_saveexec_b64 s[0:1], vcc
	s_cbranch_execz .LBB91_129
; %bb.128:
	scratch_load_dwordx2 v[2:3], off, off offset:208
	v_mov_b32_e32 v4, 0
	v_mov_b32_e32 v5, v4
	scratch_store_dwordx2 off, v[4:5], off offset:208
	s_waitcnt vmcnt(1)
	ds_write_b64 v1, v[2:3]
.LBB91_129:
	s_or_b64 exec, exec, s[0:1]
	s_waitcnt lgkmcnt(0)
	; wave barrier
	scratch_load_dwordx2 v[4:5], off, off offset:216
	scratch_load_dwordx2 v[6:7], off, off offset:208
	v_mov_b32_e32 v2, 0
	ds_read_b64 v[8:9], v2 offset:440
	v_cmp_lt_u32_e32 vcc, 25, v0
	s_waitcnt vmcnt(1) lgkmcnt(0)
	v_pk_mul_f32 v[10:11], v[8:9], v[4:5] op_sel:[1,1] op_sel_hi:[0,1]
	v_pk_fma_f32 v[12:13], v[8:9], v[4:5], v[10:11] neg_lo:[0,0,1] neg_hi:[0,0,1]
	v_pk_fma_f32 v[4:5], v[8:9], v[4:5], v[10:11] op_sel_hi:[1,0,1]
	s_nop 0
	v_mov_b32_e32 v13, v5
	v_pk_add_f32 v[4:5], v[12:13], 0 op_sel_hi:[1,0]
	s_waitcnt vmcnt(0)
	v_pk_add_f32 v[4:5], v[6:7], v[4:5] neg_lo:[0,1] neg_hi:[0,1]
	scratch_store_dwordx2 off, v[4:5], off offset:208
	s_and_saveexec_b64 s[0:1], vcc
	s_cbranch_execz .LBB91_131
; %bb.130:
	scratch_load_dwordx2 v[4:5], off, off offset:200
	v_mov_b32_e32 v3, v2
	scratch_store_dwordx2 off, v[2:3], off offset:200
	s_waitcnt vmcnt(1)
	ds_write_b64 v1, v[4:5]
.LBB91_131:
	s_or_b64 exec, exec, s[0:1]
	s_waitcnt lgkmcnt(0)
	; wave barrier
	scratch_load_dwordx4 v[4:7], off, off offset:208
	scratch_load_dwordx2 v[12:13], off, off offset:200
	ds_read_b128 v[8:11], v2 offset:432
	v_cmp_lt_u32_e32 vcc, 24, v0
	s_waitcnt vmcnt(1) lgkmcnt(0)
	v_pk_mul_f32 v[2:3], v[8:9], v[4:5] op_sel:[1,1] op_sel_hi:[0,1]
	v_mov_b32_e32 v14, v7
	v_pk_fma_f32 v[16:17], v[8:9], v[4:5], v[2:3] neg_lo:[0,0,1] neg_hi:[0,0,1]
	v_pk_fma_f32 v[2:3], v[8:9], v[4:5], v[2:3] op_sel_hi:[1,0,1]
	v_pk_mul_f32 v[4:5], v[10:11], v[14:15] op_sel:[1,0] op_sel_hi:[0,0]
	v_mov_b32_e32 v17, v3
	v_pk_fma_f32 v[2:3], v[10:11], v[6:7], v[4:5] neg_lo:[0,0,1] neg_hi:[0,0,1]
	v_pk_fma_f32 v[4:5], v[10:11], v[6:7], v[4:5] op_sel_hi:[1,0,1]
	v_pk_add_f32 v[6:7], v[16:17], 0 op_sel_hi:[1,0]
	v_mov_b32_e32 v3, v5
	v_pk_add_f32 v[2:3], v[6:7], v[2:3]
	s_waitcnt vmcnt(0)
	v_pk_add_f32 v[2:3], v[12:13], v[2:3] neg_lo:[0,1] neg_hi:[0,1]
	scratch_store_dwordx2 off, v[2:3], off offset:200
	s_and_saveexec_b64 s[0:1], vcc
	s_cbranch_execz .LBB91_133
; %bb.132:
	scratch_load_dwordx2 v[2:3], off, off offset:192
	v_mov_b32_e32 v4, 0
	v_mov_b32_e32 v5, v4
	scratch_store_dwordx2 off, v[4:5], off offset:192
	s_waitcnt vmcnt(1)
	ds_write_b64 v1, v[2:3]
.LBB91_133:
	s_or_b64 exec, exec, s[0:1]
	s_waitcnt lgkmcnt(0)
	; wave barrier
	scratch_load_dwordx4 v[4:7], off, off offset:200
	scratch_load_dwordx2 v[12:13], off, off offset:216
	scratch_load_dwordx2 v[14:15], off, off offset:192
	v_mov_b32_e32 v2, 0
	ds_read2_b64 v[8:11], v2 offset0:53 offset1:54
	ds_read_b64 v[16:17], v2 offset:440
	v_cmp_lt_u32_e32 vcc, 23, v0
	s_waitcnt vmcnt(2) lgkmcnt(1)
	v_pk_mul_f32 v[18:19], v[8:9], v[4:5] op_sel:[1,1] op_sel_hi:[0,1]
	v_mov_b32_e32 v20, v7
	v_pk_fma_f32 v[24:25], v[8:9], v[4:5], v[18:19] neg_lo:[0,0,1] neg_hi:[0,0,1]
	v_pk_fma_f32 v[4:5], v[8:9], v[4:5], v[18:19] op_sel_hi:[1,0,1]
	v_pk_mul_f32 v[8:9], v[10:11], v[20:21] op_sel:[1,0] op_sel_hi:[0,0]
	s_waitcnt vmcnt(1) lgkmcnt(0)
	v_pk_mul_f32 v[22:23], v[16:17], v[12:13] op_sel:[1,1] op_sel_hi:[0,1]
	v_mov_b32_e32 v25, v5
	v_pk_fma_f32 v[4:5], v[10:11], v[6:7], v[8:9] neg_lo:[0,0,1] neg_hi:[0,0,1]
	v_pk_fma_f32 v[6:7], v[10:11], v[6:7], v[8:9] op_sel_hi:[1,0,1]
	v_pk_fma_f32 v[18:19], v[16:17], v[12:13], v[22:23] neg_lo:[0,0,1] neg_hi:[0,0,1]
	v_pk_fma_f32 v[12:13], v[16:17], v[12:13], v[22:23] op_sel_hi:[1,0,1]
	v_pk_add_f32 v[8:9], v[24:25], 0 op_sel_hi:[1,0]
	v_mov_b32_e32 v5, v7
	v_mov_b32_e32 v19, v13
	v_pk_add_f32 v[4:5], v[8:9], v[4:5]
	s_nop 0
	v_pk_add_f32 v[4:5], v[4:5], v[18:19]
	s_waitcnt vmcnt(0)
	v_pk_add_f32 v[4:5], v[14:15], v[4:5] neg_lo:[0,1] neg_hi:[0,1]
	scratch_store_dwordx2 off, v[4:5], off offset:192
	s_and_saveexec_b64 s[0:1], vcc
	s_cbranch_execz .LBB91_135
; %bb.134:
	scratch_load_dwordx2 v[4:5], off, off offset:184
	v_mov_b32_e32 v3, v2
	scratch_store_dwordx2 off, v[2:3], off offset:184
	s_waitcnt vmcnt(1)
	ds_write_b64 v1, v[4:5]
.LBB91_135:
	s_or_b64 exec, exec, s[0:1]
	s_waitcnt lgkmcnt(0)
	; wave barrier
	scratch_load_dwordx4 v[4:7], off, off offset:192
	scratch_load_dwordx4 v[8:11], off, off offset:208
	scratch_load_dwordx2 v[20:21], off, off offset:184
	ds_read_b128 v[12:15], v2 offset:416
	ds_read_b128 v[16:19], v2 offset:432
	v_cmp_lt_u32_e32 vcc, 22, v0
	s_waitcnt vmcnt(2) lgkmcnt(1)
	v_pk_mul_f32 v[2:3], v[12:13], v[4:5] op_sel:[1,1] op_sel_hi:[0,1]
	v_mov_b32_e32 v22, v7
	s_waitcnt vmcnt(1) lgkmcnt(0)
	v_pk_mul_f32 v[24:25], v[16:17], v[8:9] op_sel:[1,1] op_sel_hi:[0,1]
	v_mov_b32_e32 v26, v11
	v_pk_fma_f32 v[28:29], v[12:13], v[4:5], v[2:3] neg_lo:[0,0,1] neg_hi:[0,0,1]
	v_pk_fma_f32 v[2:3], v[12:13], v[4:5], v[2:3] op_sel_hi:[1,0,1]
	v_pk_mul_f32 v[4:5], v[14:15], v[22:23] op_sel:[1,0] op_sel_hi:[0,0]
	v_pk_fma_f32 v[12:13], v[16:17], v[8:9], v[24:25] neg_lo:[0,0,1] neg_hi:[0,0,1]
	v_pk_fma_f32 v[8:9], v[16:17], v[8:9], v[24:25] op_sel_hi:[1,0,1]
	v_pk_mul_f32 v[16:17], v[18:19], v[26:27] op_sel:[1,0] op_sel_hi:[0,0]
	v_mov_b32_e32 v29, v3
	v_pk_fma_f32 v[2:3], v[14:15], v[6:7], v[4:5] neg_lo:[0,0,1] neg_hi:[0,0,1]
	v_pk_fma_f32 v[4:5], v[14:15], v[6:7], v[4:5] op_sel_hi:[1,0,1]
	v_mov_b32_e32 v13, v9
	v_pk_fma_f32 v[6:7], v[18:19], v[10:11], v[16:17] neg_lo:[0,0,1] neg_hi:[0,0,1]
	v_pk_fma_f32 v[8:9], v[18:19], v[10:11], v[16:17] op_sel_hi:[1,0,1]
	v_pk_add_f32 v[10:11], v[28:29], 0 op_sel_hi:[1,0]
	v_mov_b32_e32 v3, v5
	v_pk_add_f32 v[2:3], v[10:11], v[2:3]
	v_mov_b32_e32 v7, v9
	v_pk_add_f32 v[2:3], v[2:3], v[12:13]
	s_nop 0
	v_pk_add_f32 v[2:3], v[2:3], v[6:7]
	s_waitcnt vmcnt(0)
	v_pk_add_f32 v[2:3], v[20:21], v[2:3] neg_lo:[0,1] neg_hi:[0,1]
	scratch_store_dwordx2 off, v[2:3], off offset:184
	s_and_saveexec_b64 s[0:1], vcc
	s_cbranch_execz .LBB91_137
; %bb.136:
	scratch_load_dwordx2 v[2:3], off, off offset:176
	v_mov_b32_e32 v4, 0
	v_mov_b32_e32 v5, v4
	scratch_store_dwordx2 off, v[4:5], off offset:176
	s_waitcnt vmcnt(1)
	ds_write_b64 v1, v[2:3]
.LBB91_137:
	s_or_b64 exec, exec, s[0:1]
	s_waitcnt lgkmcnt(0)
	; wave barrier
	scratch_load_dwordx4 v[4:7], off, off offset:184
	scratch_load_dwordx4 v[8:11], off, off offset:200
	scratch_load_dwordx2 v[20:21], off, off offset:216
	scratch_load_dwordx2 v[22:23], off, off offset:176
	v_mov_b32_e32 v2, 0
	ds_read2_b64 v[12:15], v2 offset0:51 offset1:52
	ds_read2_b64 v[16:19], v2 offset0:53 offset1:54
	ds_read_b64 v[24:25], v2 offset:440
	v_cmp_lt_u32_e32 vcc, 21, v0
	s_waitcnt vmcnt(3) lgkmcnt(2)
	v_pk_mul_f32 v[26:27], v[12:13], v[4:5] op_sel:[1,1] op_sel_hi:[0,1]
	v_mov_b32_e32 v28, v7
	v_pk_fma_f32 v[36:37], v[12:13], v[4:5], v[26:27] neg_lo:[0,0,1] neg_hi:[0,0,1]
	v_pk_fma_f32 v[4:5], v[12:13], v[4:5], v[26:27] op_sel_hi:[1,0,1]
	v_pk_mul_f32 v[12:13], v[14:15], v[28:29] op_sel:[1,0] op_sel_hi:[0,0]
	s_waitcnt vmcnt(2) lgkmcnt(1)
	v_pk_mul_f32 v[30:31], v[16:17], v[8:9] op_sel:[1,1] op_sel_hi:[0,1]
	v_mov_b32_e32 v32, v11
	v_mov_b32_e32 v37, v5
	v_pk_fma_f32 v[4:5], v[14:15], v[6:7], v[12:13] neg_lo:[0,0,1] neg_hi:[0,0,1]
	v_pk_fma_f32 v[6:7], v[14:15], v[6:7], v[12:13] op_sel_hi:[1,0,1]
	v_pk_fma_f32 v[26:27], v[16:17], v[8:9], v[30:31] neg_lo:[0,0,1] neg_hi:[0,0,1]
	v_pk_fma_f32 v[8:9], v[16:17], v[8:9], v[30:31] op_sel_hi:[1,0,1]
	v_pk_mul_f32 v[16:17], v[18:19], v[32:33] op_sel:[1,0] op_sel_hi:[0,0]
	v_pk_add_f32 v[12:13], v[36:37], 0 op_sel_hi:[1,0]
	v_mov_b32_e32 v5, v7
	s_waitcnt vmcnt(1) lgkmcnt(0)
	v_pk_mul_f32 v[34:35], v[24:25], v[20:21] op_sel:[1,1] op_sel_hi:[0,1]
	v_mov_b32_e32 v27, v9
	v_pk_fma_f32 v[8:9], v[18:19], v[10:11], v[16:17] neg_lo:[0,0,1] neg_hi:[0,0,1]
	v_pk_fma_f32 v[10:11], v[18:19], v[10:11], v[16:17] op_sel_hi:[1,0,1]
	v_pk_add_f32 v[4:5], v[12:13], v[4:5]
	v_pk_fma_f32 v[28:29], v[24:25], v[20:21], v[34:35] neg_lo:[0,0,1] neg_hi:[0,0,1]
	v_pk_fma_f32 v[20:21], v[24:25], v[20:21], v[34:35] op_sel_hi:[1,0,1]
	v_mov_b32_e32 v9, v11
	v_pk_add_f32 v[4:5], v[4:5], v[26:27]
	v_mov_b32_e32 v29, v21
	v_pk_add_f32 v[4:5], v[4:5], v[8:9]
	s_nop 0
	v_pk_add_f32 v[4:5], v[4:5], v[28:29]
	s_waitcnt vmcnt(0)
	v_pk_add_f32 v[4:5], v[22:23], v[4:5] neg_lo:[0,1] neg_hi:[0,1]
	scratch_store_dwordx2 off, v[4:5], off offset:176
	s_and_saveexec_b64 s[0:1], vcc
	s_cbranch_execz .LBB91_139
; %bb.138:
	scratch_load_dwordx2 v[4:5], off, off offset:168
	v_mov_b32_e32 v3, v2
	scratch_store_dwordx2 off, v[2:3], off offset:168
	s_waitcnt vmcnt(1)
	ds_write_b64 v1, v[4:5]
.LBB91_139:
	s_or_b64 exec, exec, s[0:1]
	s_waitcnt lgkmcnt(0)
	; wave barrier
	scratch_load_dwordx4 v[4:7], off, off offset:176
	scratch_load_dwordx4 v[8:11], off, off offset:192
	;; [unrolled: 1-line block ×3, first 2 shown]
	scratch_load_dwordx2 v[28:29], off, off offset:168
	ds_read_b128 v[16:19], v2 offset:400
	ds_read_b128 v[20:23], v2 offset:416
	;; [unrolled: 1-line block ×3, first 2 shown]
	v_cmp_lt_u32_e32 vcc, 20, v0
	s_waitcnt vmcnt(3) lgkmcnt(2)
	v_pk_mul_f32 v[2:3], v[16:17], v[4:5] op_sel:[1,1] op_sel_hi:[0,1]
	v_mov_b32_e32 v30, v7
	s_waitcnt vmcnt(2) lgkmcnt(1)
	v_pk_mul_f32 v[32:33], v[20:21], v[8:9] op_sel:[1,1] op_sel_hi:[0,1]
	v_mov_b32_e32 v34, v11
	;; [unrolled: 3-line block ×3, first 2 shown]
	v_pk_fma_f32 v[96:97], v[16:17], v[4:5], v[2:3] neg_lo:[0,0,1] neg_hi:[0,0,1]
	v_pk_fma_f32 v[2:3], v[16:17], v[4:5], v[2:3] op_sel_hi:[1,0,1]
	v_pk_mul_f32 v[4:5], v[18:19], v[30:31] op_sel:[1,0] op_sel_hi:[0,0]
	v_pk_fma_f32 v[16:17], v[20:21], v[8:9], v[32:33] neg_lo:[0,0,1] neg_hi:[0,0,1]
	v_pk_fma_f32 v[8:9], v[20:21], v[8:9], v[32:33] op_sel_hi:[1,0,1]
	v_pk_mul_f32 v[20:21], v[22:23], v[34:35] op_sel:[1,0] op_sel_hi:[0,0]
	;; [unrolled: 3-line block ×3, first 2 shown]
	v_mov_b32_e32 v97, v3
	v_pk_fma_f32 v[2:3], v[18:19], v[6:7], v[4:5] neg_lo:[0,0,1] neg_hi:[0,0,1]
	v_pk_fma_f32 v[4:5], v[18:19], v[6:7], v[4:5] op_sel_hi:[1,0,1]
	v_mov_b32_e32 v17, v9
	v_pk_fma_f32 v[6:7], v[22:23], v[10:11], v[20:21] neg_lo:[0,0,1] neg_hi:[0,0,1]
	v_pk_fma_f32 v[8:9], v[22:23], v[10:11], v[20:21] op_sel_hi:[1,0,1]
	;; [unrolled: 3-line block ×3, first 2 shown]
	v_pk_add_f32 v[14:15], v[96:97], 0 op_sel_hi:[1,0]
	v_mov_b32_e32 v3, v5
	v_pk_add_f32 v[2:3], v[14:15], v[2:3]
	v_mov_b32_e32 v7, v9
	v_pk_add_f32 v[2:3], v[2:3], v[16:17]
	;; [unrolled: 2-line block ×3, first 2 shown]
	s_nop 0
	v_pk_add_f32 v[2:3], v[2:3], v[30:31]
	s_nop 0
	v_pk_add_f32 v[2:3], v[2:3], v[10:11]
	s_waitcnt vmcnt(0)
	v_pk_add_f32 v[2:3], v[28:29], v[2:3] neg_lo:[0,1] neg_hi:[0,1]
	scratch_store_dwordx2 off, v[2:3], off offset:168
	s_and_saveexec_b64 s[0:1], vcc
	s_cbranch_execz .LBB91_141
; %bb.140:
	scratch_load_dwordx2 v[2:3], off, off offset:160
	v_mov_b32_e32 v4, 0
	v_mov_b32_e32 v5, v4
	scratch_store_dwordx2 off, v[4:5], off offset:160
	s_waitcnt vmcnt(1)
	ds_write_b64 v1, v[2:3]
.LBB91_141:
	s_or_b64 exec, exec, s[0:1]
	s_waitcnt lgkmcnt(0)
	; wave barrier
	scratch_load_dwordx4 v[4:7], off, off offset:168
	scratch_load_dwordx4 v[8:11], off, off offset:184
	;; [unrolled: 1-line block ×3, first 2 shown]
	scratch_load_dwordx2 v[28:29], off, off offset:216
	scratch_load_dwordx2 v[30:31], off, off offset:160
	v_mov_b32_e32 v2, 0
	ds_read2_b64 v[16:19], v2 offset0:49 offset1:50
	ds_read2_b64 v[20:23], v2 offset0:51 offset1:52
	;; [unrolled: 1-line block ×3, first 2 shown]
	ds_read_b64 v[32:33], v2 offset:440
	v_cmp_lt_u32_e32 vcc, 19, v0
	s_waitcnt vmcnt(4) lgkmcnt(3)
	v_pk_mul_f32 v[34:35], v[16:17], v[4:5] op_sel:[1,1] op_sel_hi:[0,1]
	v_mov_b32_e32 v36, v7
	v_pk_fma_f32 v[104:105], v[16:17], v[4:5], v[34:35] neg_lo:[0,0,1] neg_hi:[0,0,1]
	v_pk_fma_f32 v[4:5], v[16:17], v[4:5], v[34:35] op_sel_hi:[1,0,1]
	v_pk_mul_f32 v[16:17], v[18:19], v[36:37] op_sel:[1,0] op_sel_hi:[0,0]
	s_waitcnt vmcnt(3) lgkmcnt(2)
	v_pk_mul_f32 v[94:95], v[20:21], v[8:9] op_sel:[1,1] op_sel_hi:[0,1]
	v_mov_b32_e32 v96, v11
	v_mov_b32_e32 v105, v5
	v_pk_fma_f32 v[4:5], v[18:19], v[6:7], v[16:17] neg_lo:[0,0,1] neg_hi:[0,0,1]
	v_pk_fma_f32 v[6:7], v[18:19], v[6:7], v[16:17] op_sel_hi:[1,0,1]
	v_pk_fma_f32 v[34:35], v[20:21], v[8:9], v[94:95] neg_lo:[0,0,1] neg_hi:[0,0,1]
	v_pk_fma_f32 v[8:9], v[20:21], v[8:9], v[94:95] op_sel_hi:[1,0,1]
	v_pk_mul_f32 v[20:21], v[22:23], v[96:97] op_sel:[1,0] op_sel_hi:[0,0]
	v_pk_add_f32 v[16:17], v[104:105], 0 op_sel_hi:[1,0]
	v_mov_b32_e32 v5, v7
	s_waitcnt vmcnt(2) lgkmcnt(1)
	v_pk_mul_f32 v[98:99], v[24:25], v[12:13] op_sel:[1,1] op_sel_hi:[0,1]
	v_mov_b32_e32 v100, v15
	v_mov_b32_e32 v35, v9
	v_pk_fma_f32 v[8:9], v[22:23], v[10:11], v[20:21] neg_lo:[0,0,1] neg_hi:[0,0,1]
	v_pk_fma_f32 v[10:11], v[22:23], v[10:11], v[20:21] op_sel_hi:[1,0,1]
	v_pk_add_f32 v[4:5], v[16:17], v[4:5]
	v_pk_fma_f32 v[36:37], v[24:25], v[12:13], v[98:99] neg_lo:[0,0,1] neg_hi:[0,0,1]
	v_pk_fma_f32 v[12:13], v[24:25], v[12:13], v[98:99] op_sel_hi:[1,0,1]
	v_pk_mul_f32 v[24:25], v[26:27], v[100:101] op_sel:[1,0] op_sel_hi:[0,0]
	v_mov_b32_e32 v9, v11
	v_pk_add_f32 v[4:5], v[4:5], v[34:35]
	s_waitcnt vmcnt(1) lgkmcnt(0)
	v_pk_mul_f32 v[102:103], v[32:33], v[28:29] op_sel:[1,1] op_sel_hi:[0,1]
	v_mov_b32_e32 v37, v13
	v_pk_fma_f32 v[12:13], v[26:27], v[14:15], v[24:25] neg_lo:[0,0,1] neg_hi:[0,0,1]
	v_pk_fma_f32 v[14:15], v[26:27], v[14:15], v[24:25] op_sel_hi:[1,0,1]
	v_pk_add_f32 v[4:5], v[4:5], v[8:9]
	v_pk_fma_f32 v[94:95], v[32:33], v[28:29], v[102:103] neg_lo:[0,0,1] neg_hi:[0,0,1]
	v_pk_fma_f32 v[28:29], v[32:33], v[28:29], v[102:103] op_sel_hi:[1,0,1]
	v_mov_b32_e32 v13, v15
	v_pk_add_f32 v[4:5], v[4:5], v[36:37]
	v_mov_b32_e32 v95, v29
	v_pk_add_f32 v[4:5], v[4:5], v[12:13]
	s_nop 0
	v_pk_add_f32 v[4:5], v[4:5], v[94:95]
	s_waitcnt vmcnt(0)
	v_pk_add_f32 v[4:5], v[30:31], v[4:5] neg_lo:[0,1] neg_hi:[0,1]
	scratch_store_dwordx2 off, v[4:5], off offset:160
	s_and_saveexec_b64 s[0:1], vcc
	s_cbranch_execz .LBB91_143
; %bb.142:
	scratch_load_dwordx2 v[4:5], off, off offset:152
	v_mov_b32_e32 v3, v2
	scratch_store_dwordx2 off, v[2:3], off offset:152
	s_waitcnt vmcnt(1)
	ds_write_b64 v1, v[4:5]
.LBB91_143:
	s_or_b64 exec, exec, s[0:1]
	s_waitcnt lgkmcnt(0)
	; wave barrier
	scratch_load_dwordx4 v[4:7], off, off offset:160
	scratch_load_dwordx4 v[8:11], off, off offset:176
	scratch_load_dwordx4 v[12:15], off, off offset:192
	scratch_load_dwordx4 v[16:19], off, off offset:208
	scratch_load_dwordx2 v[36:37], off, off offset:152
	ds_read_b128 v[20:23], v2 offset:384
	ds_read_b128 v[24:27], v2 offset:400
	;; [unrolled: 1-line block ×4, first 2 shown]
	v_cmp_lt_u32_e32 vcc, 18, v0
	s_waitcnt vmcnt(4) lgkmcnt(3)
	v_pk_mul_f32 v[2:3], v[20:21], v[4:5] op_sel:[1,1] op_sel_hi:[0,1]
	v_mov_b32_e32 v94, v7
	s_waitcnt vmcnt(3) lgkmcnt(2)
	v_pk_mul_f32 v[96:97], v[24:25], v[8:9] op_sel:[1,1] op_sel_hi:[0,1]
	v_mov_b32_e32 v98, v11
	;; [unrolled: 3-line block ×4, first 2 shown]
	v_pk_fma_f32 v[108:109], v[20:21], v[4:5], v[2:3] neg_lo:[0,0,1] neg_hi:[0,0,1]
	v_pk_fma_f32 v[2:3], v[20:21], v[4:5], v[2:3] op_sel_hi:[1,0,1]
	v_pk_mul_f32 v[4:5], v[22:23], v[94:95] op_sel:[1,0] op_sel_hi:[0,0]
	v_pk_fma_f32 v[20:21], v[24:25], v[8:9], v[96:97] neg_lo:[0,0,1] neg_hi:[0,0,1]
	v_pk_fma_f32 v[8:9], v[24:25], v[8:9], v[96:97] op_sel_hi:[1,0,1]
	v_pk_mul_f32 v[24:25], v[26:27], v[98:99] op_sel:[1,0] op_sel_hi:[0,0]
	;; [unrolled: 3-line block ×4, first 2 shown]
	v_mov_b32_e32 v109, v3
	v_pk_fma_f32 v[2:3], v[22:23], v[6:7], v[4:5] neg_lo:[0,0,1] neg_hi:[0,0,1]
	v_pk_fma_f32 v[4:5], v[22:23], v[6:7], v[4:5] op_sel_hi:[1,0,1]
	v_mov_b32_e32 v21, v9
	v_pk_fma_f32 v[6:7], v[26:27], v[10:11], v[24:25] neg_lo:[0,0,1] neg_hi:[0,0,1]
	v_pk_fma_f32 v[8:9], v[26:27], v[10:11], v[24:25] op_sel_hi:[1,0,1]
	;; [unrolled: 3-line block ×4, first 2 shown]
	v_pk_add_f32 v[18:19], v[108:109], 0 op_sel_hi:[1,0]
	v_mov_b32_e32 v3, v5
	v_pk_add_f32 v[2:3], v[18:19], v[2:3]
	v_mov_b32_e32 v7, v9
	v_pk_add_f32 v[2:3], v[2:3], v[20:21]
	;; [unrolled: 2-line block ×4, first 2 shown]
	s_nop 0
	v_pk_add_f32 v[2:3], v[2:3], v[10:11]
	s_nop 0
	v_pk_add_f32 v[2:3], v[2:3], v[96:97]
	;; [unrolled: 2-line block ×3, first 2 shown]
	s_waitcnt vmcnt(0)
	v_pk_add_f32 v[2:3], v[36:37], v[2:3] neg_lo:[0,1] neg_hi:[0,1]
	scratch_store_dwordx2 off, v[2:3], off offset:152
	s_and_saveexec_b64 s[0:1], vcc
	s_cbranch_execz .LBB91_145
; %bb.144:
	scratch_load_dwordx2 v[2:3], off, off offset:144
	v_mov_b32_e32 v4, 0
	v_mov_b32_e32 v5, v4
	scratch_store_dwordx2 off, v[4:5], off offset:144
	s_waitcnt vmcnt(1)
	ds_write_b64 v1, v[2:3]
.LBB91_145:
	s_or_b64 exec, exec, s[0:1]
	s_waitcnt lgkmcnt(0)
	; wave barrier
	scratch_load_dwordx4 v[4:7], off, off offset:152
	scratch_load_dwordx4 v[8:11], off, off offset:168
	;; [unrolled: 1-line block ×4, first 2 shown]
	scratch_load_dwordx2 v[36:37], off, off offset:216
	scratch_load_dwordx2 v[94:95], off, off offset:144
	v_mov_b32_e32 v2, 0
	ds_read2_b64 v[20:23], v2 offset0:47 offset1:48
	ds_read2_b64 v[24:27], v2 offset0:49 offset1:50
	;; [unrolled: 1-line block ×4, first 2 shown]
	ds_read_b64 v[96:97], v2 offset:440
	v_cmp_lt_u32_e32 vcc, 17, v0
	s_waitcnt vmcnt(5) lgkmcnt(4)
	v_mul_f32_e32 v99, v20, v5
	v_mul_f32_e32 v3, v21, v5
	v_mov_b32_e32 v100, v7
	s_waitcnt vmcnt(4) lgkmcnt(3)
	v_pk_mul_f32 v[102:103], v[24:25], v[8:9] op_sel:[1,1] op_sel_hi:[0,1]
	v_mov_b32_e32 v104, v11
	s_waitcnt vmcnt(1) lgkmcnt(0)
	v_pk_mul_f32 v[114:115], v[96:97], v[36:37] op_sel:[1,1] op_sel_hi:[0,1]
	v_fmac_f32_e32 v99, v21, v4
	v_fma_f32 v98, v20, v4, -v3
	v_pk_mul_f32 v[4:5], v[22:23], v[100:101] op_sel:[1,0] op_sel_hi:[0,0]
	v_pk_fma_f32 v[20:21], v[24:25], v[8:9], v[102:103] neg_lo:[0,0,1] neg_hi:[0,0,1]
	v_pk_fma_f32 v[8:9], v[24:25], v[8:9], v[102:103] op_sel_hi:[1,0,1]
	v_pk_mul_f32 v[24:25], v[26:27], v[104:105] op_sel:[1,0] op_sel_hi:[0,0]
	v_pk_fma_f32 v[104:105], v[96:97], v[36:37], v[114:115] neg_lo:[0,0,1] neg_hi:[0,0,1]
	v_pk_fma_f32 v[36:37], v[96:97], v[36:37], v[114:115] op_sel_hi:[1,0,1]
	v_pk_add_f32 v[96:97], v[98:99], 0 op_sel_hi:[1,0]
	v_pk_fma_f32 v[98:99], v[22:23], v[6:7], v[4:5] neg_lo:[0,0,1] neg_hi:[0,0,1]
	v_pk_fma_f32 v[4:5], v[22:23], v[6:7], v[4:5] op_sel_hi:[1,0,1]
	v_pk_mul_f32 v[106:107], v[28:29], v[12:13] op_sel:[1,1] op_sel_hi:[0,1]
	v_mov_b32_e32 v99, v5
	v_mov_b32_e32 v108, v15
	;; [unrolled: 1-line block ×3, first 2 shown]
	v_pk_fma_f32 v[6:7], v[26:27], v[10:11], v[24:25] neg_lo:[0,0,1] neg_hi:[0,0,1]
	v_pk_fma_f32 v[8:9], v[26:27], v[10:11], v[24:25] op_sel_hi:[1,0,1]
	v_pk_add_f32 v[4:5], v[96:97], v[98:99]
	v_pk_fma_f32 v[100:101], v[28:29], v[12:13], v[106:107] neg_lo:[0,0,1] neg_hi:[0,0,1]
	v_pk_fma_f32 v[12:13], v[28:29], v[12:13], v[106:107] op_sel_hi:[1,0,1]
	v_pk_mul_f32 v[28:29], v[30:31], v[108:109] op_sel:[1,0] op_sel_hi:[0,0]
	v_mov_b32_e32 v7, v9
	v_pk_add_f32 v[4:5], v[4:5], v[20:21]
	v_pk_mul_f32 v[110:111], v[32:33], v[16:17] op_sel:[1,1] op_sel_hi:[0,1]
	v_mov_b32_e32 v112, v19
	v_mov_b32_e32 v101, v13
	v_pk_fma_f32 v[10:11], v[30:31], v[14:15], v[28:29] neg_lo:[0,0,1] neg_hi:[0,0,1]
	v_pk_fma_f32 v[12:13], v[30:31], v[14:15], v[28:29] op_sel_hi:[1,0,1]
	v_pk_add_f32 v[4:5], v[4:5], v[6:7]
	v_pk_fma_f32 v[102:103], v[32:33], v[16:17], v[110:111] neg_lo:[0,0,1] neg_hi:[0,0,1]
	v_pk_fma_f32 v[16:17], v[32:33], v[16:17], v[110:111] op_sel_hi:[1,0,1]
	v_pk_mul_f32 v[32:33], v[34:35], v[112:113] op_sel:[1,0] op_sel_hi:[0,0]
	v_mov_b32_e32 v11, v13
	v_pk_add_f32 v[4:5], v[4:5], v[100:101]
	v_mov_b32_e32 v103, v17
	v_pk_fma_f32 v[14:15], v[34:35], v[18:19], v[32:33] neg_lo:[0,0,1] neg_hi:[0,0,1]
	v_pk_fma_f32 v[16:17], v[34:35], v[18:19], v[32:33] op_sel_hi:[1,0,1]
	v_pk_add_f32 v[4:5], v[4:5], v[10:11]
	v_mov_b32_e32 v15, v17
	v_pk_add_f32 v[4:5], v[4:5], v[102:103]
	v_mov_b32_e32 v105, v37
	v_pk_add_f32 v[4:5], v[4:5], v[14:15]
	s_nop 0
	v_pk_add_f32 v[4:5], v[4:5], v[104:105]
	s_waitcnt vmcnt(0)
	v_pk_add_f32 v[4:5], v[94:95], v[4:5] neg_lo:[0,1] neg_hi:[0,1]
	scratch_store_dwordx2 off, v[4:5], off offset:144
	s_and_saveexec_b64 s[0:1], vcc
	s_cbranch_execz .LBB91_147
; %bb.146:
	scratch_load_dwordx2 v[4:5], off, off offset:136
	v_mov_b32_e32 v3, v2
	scratch_store_dwordx2 off, v[2:3], off offset:136
	s_waitcnt vmcnt(1)
	ds_write_b64 v1, v[4:5]
.LBB91_147:
	s_or_b64 exec, exec, s[0:1]
	s_waitcnt lgkmcnt(0)
	; wave barrier
	scratch_load_dwordx4 v[4:7], off, off offset:144
	scratch_load_dwordx4 v[8:11], off, off offset:160
	;; [unrolled: 1-line block ×5, first 2 shown]
	scratch_load_dwordx2 v[36:37], off, off offset:136
	ds_read_b128 v[24:27], v2 offset:368
	ds_read_b128 v[28:31], v2 offset:384
	;; [unrolled: 1-line block ×5, first 2 shown]
	v_cmp_lt_u32_e32 vcc, 16, v0
	s_waitcnt vmcnt(5) lgkmcnt(4)
	v_mul_f32_e32 v3, v24, v5
	v_mul_f32_e32 v2, v25, v5
	;; [unrolled: 1-line block ×4, first 2 shown]
	s_waitcnt vmcnt(4) lgkmcnt(3)
	v_pk_mul_f32 v[104:105], v[28:29], v[8:9] op_sel:[1,1] op_sel_hi:[0,1]
	v_mov_b32_e32 v106, v11
	v_fmac_f32_e32 v3, v25, v4
	v_fma_f32 v2, v24, v4, -v2
	v_fmac_f32_e32 v103, v27, v6
	v_fma_f32 v102, v26, v6, -v5
	v_pk_fma_f32 v[4:5], v[28:29], v[8:9], v[104:105] neg_lo:[0,0,1] neg_hi:[0,0,1]
	v_pk_fma_f32 v[6:7], v[28:29], v[8:9], v[104:105] op_sel_hi:[1,0,1]
	v_pk_mul_f32 v[8:9], v[30:31], v[106:107] op_sel:[1,0] op_sel_hi:[0,0]
	v_pk_add_f32 v[2:3], v[2:3], 0 op_sel_hi:[1,0]
	s_waitcnt vmcnt(3) lgkmcnt(2)
	v_pk_mul_f32 v[108:109], v[32:33], v[12:13] op_sel:[1,1] op_sel_hi:[0,1]
	v_mov_b32_e32 v110, v15
	v_mov_b32_e32 v5, v7
	v_pk_fma_f32 v[6:7], v[30:31], v[10:11], v[8:9] neg_lo:[0,0,1] neg_hi:[0,0,1]
	v_pk_fma_f32 v[8:9], v[30:31], v[10:11], v[8:9] op_sel_hi:[1,0,1]
	v_pk_add_f32 v[2:3], v[2:3], v[102:103]
	v_pk_fma_f32 v[24:25], v[32:33], v[12:13], v[108:109] neg_lo:[0,0,1] neg_hi:[0,0,1]
	v_pk_fma_f32 v[12:13], v[32:33], v[12:13], v[108:109] op_sel_hi:[1,0,1]
	v_pk_mul_f32 v[26:27], v[34:35], v[110:111] op_sel:[1,0] op_sel_hi:[0,0]
	v_mov_b32_e32 v7, v9
	v_pk_add_f32 v[2:3], v[2:3], v[4:5]
	s_waitcnt vmcnt(2) lgkmcnt(1)
	v_pk_mul_f32 v[112:113], v[94:95], v[16:17] op_sel:[1,1] op_sel_hi:[0,1]
	v_mov_b32_e32 v114, v19
	v_mov_b32_e32 v25, v13
	v_pk_fma_f32 v[10:11], v[34:35], v[14:15], v[26:27] neg_lo:[0,0,1] neg_hi:[0,0,1]
	v_pk_fma_f32 v[12:13], v[34:35], v[14:15], v[26:27] op_sel_hi:[1,0,1]
	v_pk_add_f32 v[2:3], v[2:3], v[6:7]
	v_pk_fma_f32 v[28:29], v[94:95], v[16:17], v[112:113] neg_lo:[0,0,1] neg_hi:[0,0,1]
	v_pk_fma_f32 v[16:17], v[94:95], v[16:17], v[112:113] op_sel_hi:[1,0,1]
	v_pk_mul_f32 v[32:33], v[96:97], v[114:115] op_sel:[1,0] op_sel_hi:[0,0]
	v_mov_b32_e32 v11, v13
	v_pk_add_f32 v[2:3], v[2:3], v[24:25]
	;; [unrolled: 12-line block ×3, first 2 shown]
	v_mov_b32_e32 v95, v21
	v_pk_fma_f32 v[18:19], v[100:101], v[22:23], v[98:99] neg_lo:[0,0,1] neg_hi:[0,0,1]
	v_pk_fma_f32 v[20:21], v[100:101], v[22:23], v[98:99] op_sel_hi:[1,0,1]
	v_pk_add_f32 v[2:3], v[2:3], v[14:15]
	v_mov_b32_e32 v19, v21
	v_pk_add_f32 v[2:3], v[2:3], v[94:95]
	s_nop 0
	v_pk_add_f32 v[2:3], v[2:3], v[18:19]
	s_waitcnt vmcnt(0)
	v_pk_add_f32 v[2:3], v[36:37], v[2:3] neg_lo:[0,1] neg_hi:[0,1]
	scratch_store_dwordx2 off, v[2:3], off offset:136
	s_and_saveexec_b64 s[0:1], vcc
	s_cbranch_execz .LBB91_149
; %bb.148:
	scratch_load_dwordx2 v[2:3], off, off offset:128
	v_mov_b32_e32 v4, 0
	v_mov_b32_e32 v5, v4
	scratch_store_dwordx2 off, v[4:5], off offset:128
	s_waitcnt vmcnt(1)
	ds_write_b64 v1, v[2:3]
.LBB91_149:
	s_or_b64 exec, exec, s[0:1]
	s_waitcnt lgkmcnt(0)
	; wave barrier
	scratch_load_dwordx4 v[4:7], off, off offset:136
	scratch_load_dwordx4 v[8:11], off, off offset:152
	;; [unrolled: 1-line block ×5, first 2 shown]
	scratch_load_dwordx2 v[36:37], off, off offset:216
	scratch_load_dwordx2 v[102:103], off, off offset:128
	v_mov_b32_e32 v2, 0
	ds_read2_b64 v[24:27], v2 offset0:45 offset1:46
	ds_read2_b64 v[28:31], v2 offset0:47 offset1:48
	;; [unrolled: 1-line block ×5, first 2 shown]
	ds_read_b64 v[104:105], v2 offset:440
	v_cmp_lt_u32_e32 vcc, 15, v0
	s_waitcnt vmcnt(6) lgkmcnt(5)
	v_mul_f32_e32 v3, v24, v5
	v_mul_f32_e32 v5, v25, v5
	;; [unrolled: 1-line block ×3, first 2 shown]
	s_waitcnt vmcnt(5) lgkmcnt(4)
	v_mul_f32_e32 v109, v28, v9
	v_mul_f32_e32 v7, v27, v7
	;; [unrolled: 1-line block ×3, first 2 shown]
	v_mov_b32_e32 v110, v11
	s_waitcnt vmcnt(2) lgkmcnt(1)
	v_pk_mul_f32 v[120:121], v[98:99], v[20:21] op_sel:[1,1] op_sel_hi:[0,1]
	v_fmac_f32_e32 v3, v25, v4
	v_fma_f32 v111, v24, v4, -v5
	v_pk_mul_f32 v[116:117], v[94:95], v[16:17] op_sel:[1,1] op_sel_hi:[0,1]
	s_waitcnt vmcnt(1) lgkmcnt(0)
	v_pk_mul_f32 v[124:125], v[104:105], v[36:37] op_sel:[1,1] op_sel_hi:[0,1]
	v_fmac_f32_e32 v107, v27, v6
	v_fmac_f32_e32 v109, v29, v8
	v_fma_f32 v106, v26, v6, -v7
	v_fma_f32 v108, v28, v8, -v9
	v_pk_mul_f32 v[4:5], v[30:31], v[110:111] op_sel:[1,0] op_sel_hi:[0,0]
	v_pk_fma_f32 v[28:29], v[98:99], v[20:21], v[120:121] neg_lo:[0,0,1] neg_hi:[0,0,1]
	v_pk_fma_f32 v[20:21], v[98:99], v[20:21], v[120:121] op_sel_hi:[1,0,1]
	v_add_f32_e32 v99, 0, v3
	v_add_f32_e32 v98, 0, v111
	v_pk_mul_f32 v[112:113], v[32:33], v[12:13] op_sel:[1,1] op_sel_hi:[0,1]
	v_mov_b32_e32 v114, v15
	v_pk_fma_f32 v[24:25], v[94:95], v[16:17], v[116:117] neg_lo:[0,0,1] neg_hi:[0,0,1]
	v_pk_fma_f32 v[16:17], v[94:95], v[16:17], v[116:117] op_sel_hi:[1,0,1]
	v_pk_fma_f32 v[94:95], v[104:105], v[36:37], v[124:125] neg_lo:[0,0,1] neg_hi:[0,0,1]
	v_pk_fma_f32 v[36:37], v[104:105], v[36:37], v[124:125] op_sel_hi:[1,0,1]
	;; [unrolled: 2-line block ×3, first 2 shown]
	v_mov_b32_e32 v29, v21
	v_pk_add_f32 v[20:21], v[98:99], v[106:107]
	v_pk_fma_f32 v[6:7], v[32:33], v[12:13], v[112:113] neg_lo:[0,0,1] neg_hi:[0,0,1]
	v_pk_fma_f32 v[8:9], v[32:33], v[12:13], v[112:113] op_sel_hi:[1,0,1]
	v_pk_mul_f32 v[12:13], v[34:35], v[114:115] op_sel:[1,0] op_sel_hi:[0,0]
	v_mov_b32_e32 v105, v5
	v_pk_add_f32 v[4:5], v[20:21], v[108:109]
	v_mov_b32_e32 v118, v19
	v_mov_b32_e32 v7, v9
	v_pk_fma_f32 v[8:9], v[34:35], v[14:15], v[12:13] neg_lo:[0,0,1] neg_hi:[0,0,1]
	v_pk_fma_f32 v[10:11], v[34:35], v[14:15], v[12:13] op_sel_hi:[1,0,1]
	v_pk_add_f32 v[4:5], v[4:5], v[104:105]
	v_pk_mul_f32 v[26:27], v[96:97], v[118:119] op_sel:[1,0] op_sel_hi:[0,0]
	v_mov_b32_e32 v9, v11
	v_pk_add_f32 v[4:5], v[4:5], v[6:7]
	v_mov_b32_e32 v122, v23
	v_mov_b32_e32 v25, v17
	v_pk_fma_f32 v[12:13], v[96:97], v[18:19], v[26:27] neg_lo:[0,0,1] neg_hi:[0,0,1]
	v_pk_fma_f32 v[14:15], v[96:97], v[18:19], v[26:27] op_sel_hi:[1,0,1]
	v_pk_add_f32 v[4:5], v[4:5], v[8:9]
	v_pk_mul_f32 v[32:33], v[100:101], v[122:123] op_sel:[1,0] op_sel_hi:[0,0]
	v_mov_b32_e32 v13, v15
	v_pk_add_f32 v[4:5], v[4:5], v[24:25]
	v_pk_fma_f32 v[16:17], v[100:101], v[22:23], v[32:33] neg_lo:[0,0,1] neg_hi:[0,0,1]
	v_pk_fma_f32 v[18:19], v[100:101], v[22:23], v[32:33] op_sel_hi:[1,0,1]
	v_pk_add_f32 v[4:5], v[4:5], v[12:13]
	v_mov_b32_e32 v17, v19
	v_pk_add_f32 v[4:5], v[4:5], v[28:29]
	v_mov_b32_e32 v95, v37
	v_pk_add_f32 v[4:5], v[4:5], v[16:17]
	s_nop 0
	v_pk_add_f32 v[4:5], v[4:5], v[94:95]
	s_waitcnt vmcnt(0)
	v_pk_add_f32 v[4:5], v[102:103], v[4:5] neg_lo:[0,1] neg_hi:[0,1]
	scratch_store_dwordx2 off, v[4:5], off offset:128
	s_and_saveexec_b64 s[0:1], vcc
	s_cbranch_execz .LBB91_151
; %bb.150:
	scratch_load_dwordx2 v[4:5], off, off offset:120
	v_mov_b32_e32 v3, v2
	scratch_store_dwordx2 off, v[2:3], off offset:120
	s_waitcnt vmcnt(1)
	ds_write_b64 v1, v[4:5]
.LBB91_151:
	s_or_b64 exec, exec, s[0:1]
	s_waitcnt lgkmcnt(0)
	; wave barrier
	scratch_load_dwordx4 v[4:7], off, off offset:128
	scratch_load_dwordx4 v[8:11], off, off offset:144
	;; [unrolled: 1-line block ×6, first 2 shown]
	scratch_load_dwordx2 v[36:37], off, off offset:120
	ds_read_b128 v[28:31], v2 offset:352
	ds_read_b128 v[32:35], v2 offset:368
	;; [unrolled: 1-line block ×6, first 2 shown]
	v_cmp_lt_u32_e32 vcc, 14, v0
	s_waitcnt vmcnt(6) lgkmcnt(5)
	v_mul_f32_e32 v115, v28, v5
	v_mul_f32_e32 v119, v30, v7
	s_waitcnt vmcnt(5) lgkmcnt(4)
	v_mul_f32_e32 v3, v32, v9
	v_mul_f32_e32 v2, v29, v5
	;; [unrolled: 1-line block ×4, first 2 shown]
	s_waitcnt vmcnt(1) lgkmcnt(0)
	v_pk_mul_f32 v[124:125], v[106:107], v[24:25] op_sel:[1,1] op_sel_hi:[0,1]
	v_pk_mul_f32 v[112:113], v[94:95], v[12:13] op_sel:[1,1] op_sel_hi:[0,1]
	v_fmac_f32_e32 v115, v29, v4
	v_fmac_f32_e32 v3, v33, v8
	v_fma_f32 v123, v28, v4, -v2
	v_fma_f32 v2, v32, v8, -v7
	v_pk_fma_f32 v[32:33], v[106:107], v[24:25], v[124:125] neg_lo:[0,0,1] neg_hi:[0,0,1]
	v_pk_fma_f32 v[24:25], v[106:107], v[24:25], v[124:125] op_sel_hi:[1,0,1]
	v_fmac_f32_e32 v119, v31, v6
	v_fma_f32 v127, v30, v6, -v5
	v_pk_fma_f32 v[4:5], v[94:95], v[12:13], v[112:113] neg_lo:[0,0,1] neg_hi:[0,0,1]
	v_pk_fma_f32 v[6:7], v[94:95], v[12:13], v[112:113] op_sel_hi:[1,0,1]
	v_add_f32_e32 v24, 0, v115
	v_add_f32_e32 v94, 0, v123
	v_mul_f32_e32 v111, v34, v11
	v_mul_f32_e32 v9, v35, v11
	v_mov_b32_e32 v114, v15
	v_mov_b32_e32 v33, v25
	v_add_f32_e32 v25, v24, v119
	v_add_f32_e32 v24, v94, v127
	v_fmac_f32_e32 v111, v35, v10
	v_fma_f32 v110, v34, v10, -v9
	v_pk_mul_f32 v[8:9], v[96:97], v[114:115] op_sel:[1,0] op_sel_hi:[0,0]
	v_pk_add_f32 v[2:3], v[24:25], v[2:3]
	v_pk_mul_f32 v[116:117], v[98:99], v[16:17] op_sel:[1,1] op_sel_hi:[0,1]
	v_mov_b32_e32 v118, v19
	v_mov_b32_e32 v5, v7
	v_pk_fma_f32 v[6:7], v[96:97], v[14:15], v[8:9] neg_lo:[0,0,1] neg_hi:[0,0,1]
	v_pk_fma_f32 v[8:9], v[96:97], v[14:15], v[8:9] op_sel_hi:[1,0,1]
	v_pk_add_f32 v[2:3], v[2:3], v[110:111]
	v_pk_fma_f32 v[10:11], v[98:99], v[16:17], v[116:117] neg_lo:[0,0,1] neg_hi:[0,0,1]
	v_pk_fma_f32 v[12:13], v[98:99], v[16:17], v[116:117] op_sel_hi:[1,0,1]
	v_pk_mul_f32 v[16:17], v[100:101], v[118:119] op_sel:[1,0] op_sel_hi:[0,0]
	v_mov_b32_e32 v7, v9
	v_pk_add_f32 v[2:3], v[2:3], v[4:5]
	v_pk_mul_f32 v[120:121], v[102:103], v[20:21] op_sel:[1,1] op_sel_hi:[0,1]
	v_mov_b32_e32 v122, v23
	v_mov_b32_e32 v11, v13
	v_pk_fma_f32 v[12:13], v[100:101], v[18:19], v[16:17] neg_lo:[0,0,1] neg_hi:[0,0,1]
	v_pk_fma_f32 v[14:15], v[100:101], v[18:19], v[16:17] op_sel_hi:[1,0,1]
	v_pk_add_f32 v[2:3], v[2:3], v[6:7]
	v_pk_fma_f32 v[28:29], v[102:103], v[20:21], v[120:121] neg_lo:[0,0,1] neg_hi:[0,0,1]
	v_pk_fma_f32 v[20:21], v[102:103], v[20:21], v[120:121] op_sel_hi:[1,0,1]
	v_pk_mul_f32 v[30:31], v[104:105], v[122:123] op_sel:[1,0] op_sel_hi:[0,0]
	v_mov_b32_e32 v13, v15
	v_pk_add_f32 v[2:3], v[2:3], v[10:11]
	v_mov_b32_e32 v126, v27
	v_mov_b32_e32 v29, v21
	v_pk_fma_f32 v[16:17], v[104:105], v[22:23], v[30:31] neg_lo:[0,0,1] neg_hi:[0,0,1]
	v_pk_fma_f32 v[18:19], v[104:105], v[22:23], v[30:31] op_sel_hi:[1,0,1]
	v_pk_add_f32 v[2:3], v[2:3], v[12:13]
	v_pk_mul_f32 v[34:35], v[108:109], v[126:127] op_sel:[1,0] op_sel_hi:[0,0]
	v_mov_b32_e32 v17, v19
	v_pk_add_f32 v[2:3], v[2:3], v[28:29]
	v_pk_fma_f32 v[20:21], v[108:109], v[26:27], v[34:35] neg_lo:[0,0,1] neg_hi:[0,0,1]
	v_pk_fma_f32 v[22:23], v[108:109], v[26:27], v[34:35] op_sel_hi:[1,0,1]
	v_pk_add_f32 v[2:3], v[2:3], v[16:17]
	v_mov_b32_e32 v21, v23
	v_pk_add_f32 v[2:3], v[2:3], v[32:33]
	s_nop 0
	v_pk_add_f32 v[2:3], v[2:3], v[20:21]
	s_waitcnt vmcnt(0)
	v_pk_add_f32 v[2:3], v[36:37], v[2:3] neg_lo:[0,1] neg_hi:[0,1]
	scratch_store_dwordx2 off, v[2:3], off offset:120
	s_and_saveexec_b64 s[0:1], vcc
	s_cbranch_execz .LBB91_153
; %bb.152:
	scratch_load_dwordx2 v[2:3], off, off offset:112
	v_mov_b32_e32 v4, 0
	v_mov_b32_e32 v5, v4
	scratch_store_dwordx2 off, v[4:5], off offset:112
	s_waitcnt vmcnt(1)
	ds_write_b64 v1, v[2:3]
.LBB91_153:
	s_or_b64 exec, exec, s[0:1]
	s_waitcnt lgkmcnt(0)
	; wave barrier
	scratch_load_dwordx4 v[8:11], off, off offset:120
	scratch_load_dwordx4 v[16:19], off, off offset:136
	v_mov_b32_e32 v2, 0
	ds_read2_b64 v[4:7], v2 offset0:43 offset1:44
	scratch_load_dwordx4 v[24:27], off, off offset:152
	v_cmp_lt_u32_e32 vcc, 13, v0
	s_waitcnt vmcnt(2) lgkmcnt(0)
	v_mul_f32_e32 v3, v4, v9
	v_fmac_f32_e32 v3, v5, v8
	v_mul_f32_e32 v12, v6, v11
	v_add_f32_e32 v3, 0, v3
	v_fmac_f32_e32 v12, v7, v10
	v_add_f32_e32 v3, v3, v12
	ds_read2_b64 v[12:15], v2 offset0:45 offset1:46
	s_waitcnt vmcnt(1) lgkmcnt(0)
	v_mul_f32_e32 v20, v12, v17
	v_fmac_f32_e32 v20, v13, v16
	v_add_f32_e32 v37, v3, v20
	ds_read2_b64 v[20:23], v2 offset0:47 offset1:48
	scratch_load_dwordx4 v[28:31], off, off offset:168
	scratch_load_dwordx4 v[32:35], off, off offset:184
	;; [unrolled: 1-line block ×3, first 2 shown]
	scratch_load_dwordx2 v[102:103], off, off offset:216
	v_mul_f32_e32 v3, v5, v9
	v_fma_f32 v3, v4, v8, -v3
	v_mul_f32_e32 v4, v7, v11
	v_add_f32_e32 v3, 0, v3
	v_fma_f32 v4, v6, v10, -v4
	v_add_f32_e32 v3, v3, v4
	v_mul_f32_e32 v4, v13, v17
	v_fma_f32 v4, v12, v16, -v4
	v_add_f32_e32 v36, v3, v4
	v_mul_f32_e32 v3, v15, v19
	v_fma_f32 v98, v14, v18, -v3
	s_waitcnt vmcnt(4) lgkmcnt(0)
	v_mul_f32_e32 v3, v21, v25
	v_mul_f32_e32 v99, v14, v19
	;; [unrolled: 1-line block ×3, first 2 shown]
	v_fma_f32 v100, v20, v24, -v3
	v_mov_b32_e32 v20, v27
	v_fmac_f32_e32 v99, v15, v18
	v_fmac_f32_e32 v101, v21, v24
	ds_read2_b64 v[4:7], v2 offset0:49 offset1:50
	ds_read2_b64 v[8:11], v2 offset0:51 offset1:52
	;; [unrolled: 1-line block ×3, first 2 shown]
	ds_read_b64 v[16:17], v2 offset:440
	v_pk_mul_f32 v[20:21], v[22:23], v[20:21] op_sel:[1,0] op_sel_hi:[0,0]
	v_pk_fma_f32 v[24:25], v[22:23], v[26:27], v[20:21] neg_lo:[0,0,1] neg_hi:[0,0,1]
	v_pk_fma_f32 v[20:21], v[22:23], v[26:27], v[20:21] op_sel_hi:[1,0,1]
	v_pk_add_f32 v[18:19], v[36:37], v[98:99]
	v_mov_b32_e32 v25, v21
	v_pk_add_f32 v[18:19], v[18:19], v[100:101]
	s_waitcnt vmcnt(3) lgkmcnt(3)
	v_pk_mul_f32 v[20:21], v[4:5], v[28:29] op_sel:[1,1] op_sel_hi:[0,1]
	v_pk_fma_f32 v[22:23], v[4:5], v[28:29], v[20:21] neg_lo:[0,0,1] neg_hi:[0,0,1]
	v_pk_fma_f32 v[4:5], v[4:5], v[28:29], v[20:21] op_sel_hi:[1,0,1]
	v_pk_add_f32 v[18:19], v[18:19], v[24:25]
	v_mov_b32_e32 v23, v5
	v_pk_add_f32 v[4:5], v[18:19], v[22:23]
	v_mov_b32_e32 v18, v31
	v_pk_mul_f32 v[18:19], v[6:7], v[18:19] op_sel:[1,0] op_sel_hi:[0,0]
	v_pk_fma_f32 v[20:21], v[6:7], v[30:31], v[18:19] neg_lo:[0,0,1] neg_hi:[0,0,1]
	v_pk_fma_f32 v[6:7], v[6:7], v[30:31], v[18:19] op_sel_hi:[1,0,1]
	s_nop 0
	v_mov_b32_e32 v21, v7
	s_waitcnt vmcnt(2) lgkmcnt(2)
	v_pk_mul_f32 v[6:7], v[8:9], v[32:33] op_sel:[1,1] op_sel_hi:[0,1]
	v_pk_fma_f32 v[18:19], v[8:9], v[32:33], v[6:7] neg_lo:[0,0,1] neg_hi:[0,0,1]
	v_pk_fma_f32 v[6:7], v[8:9], v[32:33], v[6:7] op_sel_hi:[1,0,1]
	v_pk_add_f32 v[4:5], v[4:5], v[20:21]
	v_mov_b32_e32 v6, v35
	v_mov_b32_e32 v19, v7
	v_pk_mul_f32 v[6:7], v[10:11], v[6:7] op_sel:[1,0] op_sel_hi:[0,0]
	v_pk_fma_f32 v[8:9], v[10:11], v[34:35], v[6:7] neg_lo:[0,0,1] neg_hi:[0,0,1]
	v_pk_fma_f32 v[6:7], v[10:11], v[34:35], v[6:7] op_sel_hi:[1,0,1]
	v_pk_add_f32 v[4:5], v[4:5], v[18:19]
	v_mov_b32_e32 v9, v7
	s_waitcnt vmcnt(1) lgkmcnt(1)
	v_pk_mul_f32 v[6:7], v[12:13], v[94:95] op_sel:[1,1] op_sel_hi:[0,1]
	v_pk_add_f32 v[4:5], v[4:5], v[8:9]
	v_pk_fma_f32 v[8:9], v[12:13], v[94:95], v[6:7] neg_lo:[0,0,1] neg_hi:[0,0,1]
	v_pk_fma_f32 v[6:7], v[12:13], v[94:95], v[6:7] op_sel_hi:[1,0,1]
	s_nop 0
	v_mov_b32_e32 v6, v97
	v_mov_b32_e32 v9, v7
	v_pk_mul_f32 v[6:7], v[14:15], v[6:7] op_sel:[1,0] op_sel_hi:[0,0]
	v_pk_add_f32 v[4:5], v[4:5], v[8:9]
	v_pk_fma_f32 v[8:9], v[14:15], v[96:97], v[6:7] neg_lo:[0,0,1] neg_hi:[0,0,1]
	v_pk_fma_f32 v[6:7], v[14:15], v[96:97], v[6:7] op_sel_hi:[1,0,1]
	s_nop 0
	v_mov_b32_e32 v9, v7
	s_waitcnt vmcnt(0) lgkmcnt(0)
	v_pk_mul_f32 v[6:7], v[16:17], v[102:103] op_sel:[1,1] op_sel_hi:[0,1]
	v_pk_add_f32 v[4:5], v[4:5], v[8:9]
	v_pk_fma_f32 v[8:9], v[16:17], v[102:103], v[6:7] neg_lo:[0,0,1] neg_hi:[0,0,1]
	v_pk_fma_f32 v[6:7], v[16:17], v[102:103], v[6:7] op_sel_hi:[1,0,1]
	s_nop 0
	v_mov_b32_e32 v9, v7
	scratch_load_dwordx2 v[6:7], off, off offset:112
	v_pk_add_f32 v[4:5], v[4:5], v[8:9]
	s_waitcnt vmcnt(0)
	v_pk_add_f32 v[4:5], v[6:7], v[4:5] neg_lo:[0,1] neg_hi:[0,1]
	scratch_store_dwordx2 off, v[4:5], off offset:112
	s_and_saveexec_b64 s[0:1], vcc
	s_cbranch_execz .LBB91_155
; %bb.154:
	scratch_load_dwordx2 v[4:5], off, off offset:104
	v_mov_b32_e32 v3, v2
	scratch_store_dwordx2 off, v[2:3], off offset:104
	s_waitcnt vmcnt(1)
	ds_write_b64 v1, v[4:5]
.LBB91_155:
	s_or_b64 exec, exec, s[0:1]
	s_waitcnt lgkmcnt(0)
	; wave barrier
	ds_read_b128 v[4:7], v2 offset:336
	ds_read_b128 v[8:11], v2 offset:352
	;; [unrolled: 1-line block ×4, first 2 shown]
	scratch_load_dwordx4 v[20:23], off, off offset:112
	v_cmp_lt_u32_e32 vcc, 12, v0
	s_waitcnt vmcnt(0) lgkmcnt(3)
	v_mul_f32_e32 v3, v4, v21
	v_fmac_f32_e32 v3, v5, v20
	v_mul_f32_e32 v24, v6, v23
	v_add_f32_e32 v3, 0, v3
	v_fmac_f32_e32 v24, v7, v22
	v_add_f32_e32 v3, v3, v24
	scratch_load_dwordx4 v[24:27], off, off offset:128
	s_waitcnt vmcnt(0) lgkmcnt(2)
	v_mul_f32_e32 v28, v8, v25
	v_fmac_f32_e32 v28, v9, v24
	v_add_f32_e32 v3, v3, v28
	v_mul_f32_e32 v28, v10, v27
	v_fmac_f32_e32 v28, v11, v26
	v_add_f32_e32 v37, v3, v28
	scratch_load_dwordx4 v[28:31], off, off offset:144
	scratch_load_dwordx4 v[32:35], off, off offset:160
	;; [unrolled: 1-line block ×5, first 2 shown]
	v_mul_f32_e32 v3, v5, v21
	v_fma_f32 v3, v4, v20, -v3
	v_mul_f32_e32 v4, v7, v23
	v_add_f32_e32 v3, 0, v3
	v_fma_f32 v4, v6, v22, -v4
	v_add_f32_e32 v3, v3, v4
	v_mul_f32_e32 v4, v9, v25
	v_fma_f32 v4, v8, v24, -v4
	v_add_f32_e32 v3, v3, v4
	v_mul_f32_e32 v4, v11, v27
	v_fma_f32 v4, v10, v26, -v4
	v_add_f32_e32 v36, v3, v4
	s_waitcnt vmcnt(3) lgkmcnt(0)
	v_pk_mul_f32 v[20:21], v[16:17], v[32:33] op_sel:[1,1] op_sel_hi:[0,1]
	v_pk_fma_f32 v[22:23], v[16:17], v[32:33], v[20:21] neg_lo:[0,0,1] neg_hi:[0,0,1]
	v_mul_f32_e32 v3, v13, v29
	v_mul_f32_e32 v107, v12, v29
	;; [unrolled: 1-line block ×3, first 2 shown]
	v_fma_f32 v106, v12, v28, -v3
	v_mul_f32_e32 v3, v15, v31
	v_pk_fma_f32 v[16:17], v[16:17], v[32:33], v[20:21] op_sel_hi:[1,0,1]
	v_fmac_f32_e32 v107, v13, v28
	v_fmac_f32_e32 v109, v15, v30
	v_fma_f32 v108, v14, v30, -v3
	ds_read_b128 v[4:7], v2 offset:400
	ds_read_b128 v[8:11], v2 offset:416
	ds_read_b128 v[12:15], v2 offset:432
	v_mov_b32_e32 v16, v35
	v_mov_b32_e32 v23, v17
	v_pk_mul_f32 v[16:17], v[18:19], v[16:17] op_sel:[1,0] op_sel_hi:[0,0]
	v_pk_fma_f32 v[20:21], v[18:19], v[34:35], v[16:17] neg_lo:[0,0,1] neg_hi:[0,0,1]
	v_pk_fma_f32 v[16:17], v[18:19], v[34:35], v[16:17] op_sel_hi:[1,0,1]
	v_pk_add_f32 v[2:3], v[36:37], v[106:107]
	v_mov_b32_e32 v21, v17
	s_waitcnt vmcnt(2) lgkmcnt(2)
	v_pk_mul_f32 v[16:17], v[4:5], v[94:95] op_sel:[1,1] op_sel_hi:[0,1]
	v_pk_fma_f32 v[18:19], v[4:5], v[94:95], v[16:17] neg_lo:[0,0,1] neg_hi:[0,0,1]
	v_pk_fma_f32 v[4:5], v[4:5], v[94:95], v[16:17] op_sel_hi:[1,0,1]
	v_pk_add_f32 v[2:3], v[2:3], v[108:109]
	v_mov_b32_e32 v4, v97
	v_mov_b32_e32 v19, v5
	v_pk_mul_f32 v[4:5], v[6:7], v[4:5] op_sel:[1,0] op_sel_hi:[0,0]
	v_pk_fma_f32 v[16:17], v[6:7], v[96:97], v[4:5] neg_lo:[0,0,1] neg_hi:[0,0,1]
	v_pk_fma_f32 v[4:5], v[6:7], v[96:97], v[4:5] op_sel_hi:[1,0,1]
	v_pk_add_f32 v[2:3], v[2:3], v[22:23]
	v_mov_b32_e32 v17, v5
	s_waitcnt vmcnt(1) lgkmcnt(1)
	v_pk_mul_f32 v[4:5], v[8:9], v[98:99] op_sel:[1,1] op_sel_hi:[0,1]
	v_pk_add_f32 v[2:3], v[2:3], v[20:21]
	v_pk_fma_f32 v[6:7], v[8:9], v[98:99], v[4:5] neg_lo:[0,0,1] neg_hi:[0,0,1]
	v_pk_fma_f32 v[4:5], v[8:9], v[98:99], v[4:5] op_sel_hi:[1,0,1]
	v_pk_add_f32 v[2:3], v[2:3], v[18:19]
	v_mov_b32_e32 v4, v101
	v_pk_add_f32 v[2:3], v[2:3], v[16:17]
	v_mov_b32_e32 v7, v5
	v_pk_mul_f32 v[4:5], v[10:11], v[4:5] op_sel:[1,0] op_sel_hi:[0,0]
	v_pk_add_f32 v[2:3], v[2:3], v[6:7]
	v_pk_fma_f32 v[6:7], v[10:11], v[100:101], v[4:5] neg_lo:[0,0,1] neg_hi:[0,0,1]
	v_pk_fma_f32 v[4:5], v[10:11], v[100:101], v[4:5] op_sel_hi:[1,0,1]
	s_nop 0
	v_mov_b32_e32 v7, v5
	s_waitcnt vmcnt(0) lgkmcnt(0)
	v_pk_mul_f32 v[4:5], v[12:13], v[102:103] op_sel:[1,1] op_sel_hi:[0,1]
	v_pk_add_f32 v[2:3], v[2:3], v[6:7]
	v_pk_fma_f32 v[6:7], v[12:13], v[102:103], v[4:5] neg_lo:[0,0,1] neg_hi:[0,0,1]
	v_pk_fma_f32 v[4:5], v[12:13], v[102:103], v[4:5] op_sel_hi:[1,0,1]
	s_nop 0
	v_mov_b32_e32 v4, v105
	v_mov_b32_e32 v7, v5
	v_pk_mul_f32 v[4:5], v[14:15], v[4:5] op_sel:[1,0] op_sel_hi:[0,0]
	v_pk_add_f32 v[2:3], v[2:3], v[6:7]
	v_pk_fma_f32 v[6:7], v[14:15], v[104:105], v[4:5] neg_lo:[0,0,1] neg_hi:[0,0,1]
	v_pk_fma_f32 v[4:5], v[14:15], v[104:105], v[4:5] op_sel_hi:[1,0,1]
	s_nop 0
	v_mov_b32_e32 v7, v5
	scratch_load_dwordx2 v[4:5], off, off offset:104
	v_pk_add_f32 v[2:3], v[2:3], v[6:7]
	s_waitcnt vmcnt(0)
	v_pk_add_f32 v[2:3], v[4:5], v[2:3] neg_lo:[0,1] neg_hi:[0,1]
	scratch_store_dwordx2 off, v[2:3], off offset:104
	s_and_saveexec_b64 s[0:1], vcc
	s_cbranch_execz .LBB91_157
; %bb.156:
	scratch_load_dwordx2 v[2:3], off, off offset:96
	v_mov_b32_e32 v4, 0
	v_mov_b32_e32 v5, v4
	scratch_store_dwordx2 off, v[4:5], off offset:96
	s_waitcnt vmcnt(1)
	ds_write_b64 v1, v[2:3]
.LBB91_157:
	s_or_b64 exec, exec, s[0:1]
	s_waitcnt lgkmcnt(0)
	; wave barrier
	scratch_load_dwordx4 v[8:11], off, off offset:104
	scratch_load_dwordx4 v[16:19], off, off offset:120
	;; [unrolled: 1-line block ×4, first 2 shown]
	v_mov_b32_e32 v2, 0
	ds_read2_b64 v[4:7], v2 offset0:41 offset1:42
	v_cmp_lt_u32_e32 vcc, 11, v0
	s_waitcnt vmcnt(3) lgkmcnt(0)
	v_mul_f32_e32 v3, v4, v9
	v_fmac_f32_e32 v3, v5, v8
	v_mul_f32_e32 v12, v6, v11
	v_add_f32_e32 v3, 0, v3
	v_fmac_f32_e32 v12, v7, v10
	v_add_f32_e32 v3, v3, v12
	ds_read2_b64 v[12:15], v2 offset0:43 offset1:44
	s_waitcnt vmcnt(2) lgkmcnt(0)
	v_mul_f32_e32 v20, v12, v17
	v_fmac_f32_e32 v20, v13, v16
	v_add_f32_e32 v3, v3, v20
	v_mul_f32_e32 v20, v14, v19
	v_fmac_f32_e32 v20, v15, v18
	v_add_f32_e32 v3, v3, v20
	ds_read2_b64 v[20:23], v2 offset0:45 offset1:46
	s_waitcnt vmcnt(1) lgkmcnt(0)
	v_mul_f32_e32 v28, v20, v25
	v_fmac_f32_e32 v28, v21, v24
	v_add_f32_e32 v37, v3, v28
	ds_read2_b64 v[28:31], v2 offset0:47 offset1:48
	scratch_load_dwordx4 v[94:97], off, off offset:168
	scratch_load_dwordx4 v[98:101], off, off offset:184
	;; [unrolled: 1-line block ×3, first 2 shown]
	scratch_load_dwordx2 v[110:111], off, off offset:216
	v_mul_f32_e32 v3, v5, v9
	v_fma_f32 v3, v4, v8, -v3
	v_mul_f32_e32 v4, v7, v11
	v_add_f32_e32 v3, 0, v3
	v_fma_f32 v4, v6, v10, -v4
	v_add_f32_e32 v3, v3, v4
	v_mul_f32_e32 v4, v13, v17
	v_fma_f32 v4, v12, v16, -v4
	v_add_f32_e32 v3, v3, v4
	v_mul_f32_e32 v4, v15, v19
	;; [unrolled: 3-line block ×3, first 2 shown]
	v_fma_f32 v4, v20, v24, -v4
	v_mul_f32_e32 v107, v22, v27
	v_add_f32_e32 v36, v3, v4
	v_mul_f32_e32 v3, v23, v27
	s_waitcnt vmcnt(4)
	v_mov_b32_e32 v20, v35
	v_fmac_f32_e32 v107, v23, v26
	s_waitcnt lgkmcnt(0)
	v_mul_f32_e32 v109, v28, v33
	v_fma_f32 v106, v22, v26, -v3
	v_mul_f32_e32 v3, v29, v33
	ds_read2_b64 v[4:7], v2 offset0:49 offset1:50
	ds_read2_b64 v[8:11], v2 offset0:51 offset1:52
	;; [unrolled: 1-line block ×3, first 2 shown]
	ds_read_b64 v[16:17], v2 offset:440
	v_pk_mul_f32 v[20:21], v[30:31], v[20:21] op_sel:[1,0] op_sel_hi:[0,0]
	v_fmac_f32_e32 v109, v29, v32
	v_fma_f32 v108, v28, v32, -v3
	v_pk_add_f32 v[18:19], v[36:37], v[106:107]
	v_pk_fma_f32 v[22:23], v[30:31], v[34:35], v[20:21] neg_lo:[0,0,1] neg_hi:[0,0,1]
	v_pk_fma_f32 v[20:21], v[30:31], v[34:35], v[20:21] op_sel_hi:[1,0,1]
	v_pk_add_f32 v[18:19], v[18:19], v[108:109]
	v_mov_b32_e32 v23, v21
	v_pk_add_f32 v[18:19], v[18:19], v[22:23]
	s_waitcnt vmcnt(3) lgkmcnt(3)
	v_pk_mul_f32 v[20:21], v[4:5], v[94:95] op_sel:[1,1] op_sel_hi:[0,1]
	v_pk_fma_f32 v[22:23], v[4:5], v[94:95], v[20:21] neg_lo:[0,0,1] neg_hi:[0,0,1]
	v_pk_fma_f32 v[4:5], v[4:5], v[94:95], v[20:21] op_sel_hi:[1,0,1]
	s_nop 0
	v_mov_b32_e32 v23, v5
	v_pk_add_f32 v[4:5], v[18:19], v[22:23]
	v_mov_b32_e32 v18, v97
	v_pk_mul_f32 v[18:19], v[6:7], v[18:19] op_sel:[1,0] op_sel_hi:[0,0]
	v_pk_fma_f32 v[20:21], v[6:7], v[96:97], v[18:19] neg_lo:[0,0,1] neg_hi:[0,0,1]
	v_pk_fma_f32 v[6:7], v[6:7], v[96:97], v[18:19] op_sel_hi:[1,0,1]
	s_nop 0
	v_mov_b32_e32 v21, v7
	s_waitcnt vmcnt(2) lgkmcnt(2)
	v_pk_mul_f32 v[6:7], v[8:9], v[98:99] op_sel:[1,1] op_sel_hi:[0,1]
	v_pk_fma_f32 v[18:19], v[8:9], v[98:99], v[6:7] neg_lo:[0,0,1] neg_hi:[0,0,1]
	v_pk_fma_f32 v[6:7], v[8:9], v[98:99], v[6:7] op_sel_hi:[1,0,1]
	v_pk_add_f32 v[4:5], v[4:5], v[20:21]
	v_mov_b32_e32 v6, v101
	v_mov_b32_e32 v19, v7
	v_pk_mul_f32 v[6:7], v[10:11], v[6:7] op_sel:[1,0] op_sel_hi:[0,0]
	v_pk_fma_f32 v[8:9], v[10:11], v[100:101], v[6:7] neg_lo:[0,0,1] neg_hi:[0,0,1]
	v_pk_fma_f32 v[6:7], v[10:11], v[100:101], v[6:7] op_sel_hi:[1,0,1]
	v_pk_add_f32 v[4:5], v[4:5], v[18:19]
	v_mov_b32_e32 v9, v7
	s_waitcnt vmcnt(1) lgkmcnt(1)
	v_pk_mul_f32 v[6:7], v[12:13], v[102:103] op_sel:[1,1] op_sel_hi:[0,1]
	v_pk_add_f32 v[4:5], v[4:5], v[8:9]
	v_pk_fma_f32 v[8:9], v[12:13], v[102:103], v[6:7] neg_lo:[0,0,1] neg_hi:[0,0,1]
	v_pk_fma_f32 v[6:7], v[12:13], v[102:103], v[6:7] op_sel_hi:[1,0,1]
	s_nop 0
	v_mov_b32_e32 v6, v105
	v_mov_b32_e32 v9, v7
	v_pk_mul_f32 v[6:7], v[14:15], v[6:7] op_sel:[1,0] op_sel_hi:[0,0]
	v_pk_add_f32 v[4:5], v[4:5], v[8:9]
	v_pk_fma_f32 v[8:9], v[14:15], v[104:105], v[6:7] neg_lo:[0,0,1] neg_hi:[0,0,1]
	v_pk_fma_f32 v[6:7], v[14:15], v[104:105], v[6:7] op_sel_hi:[1,0,1]
	s_nop 0
	v_mov_b32_e32 v9, v7
	s_waitcnt vmcnt(0) lgkmcnt(0)
	v_pk_mul_f32 v[6:7], v[16:17], v[110:111] op_sel:[1,1] op_sel_hi:[0,1]
	v_pk_add_f32 v[4:5], v[4:5], v[8:9]
	v_pk_fma_f32 v[8:9], v[16:17], v[110:111], v[6:7] neg_lo:[0,0,1] neg_hi:[0,0,1]
	v_pk_fma_f32 v[6:7], v[16:17], v[110:111], v[6:7] op_sel_hi:[1,0,1]
	s_nop 0
	v_mov_b32_e32 v9, v7
	scratch_load_dwordx2 v[6:7], off, off offset:96
	v_pk_add_f32 v[4:5], v[4:5], v[8:9]
	s_waitcnt vmcnt(0)
	v_pk_add_f32 v[4:5], v[6:7], v[4:5] neg_lo:[0,1] neg_hi:[0,1]
	scratch_store_dwordx2 off, v[4:5], off offset:96
	s_and_saveexec_b64 s[0:1], vcc
	s_cbranch_execz .LBB91_159
; %bb.158:
	scratch_load_dwordx2 v[4:5], off, off offset:88
	v_mov_b32_e32 v3, v2
	scratch_store_dwordx2 off, v[2:3], off offset:88
	s_waitcnt vmcnt(1)
	ds_write_b64 v1, v[4:5]
.LBB91_159:
	s_or_b64 exec, exec, s[0:1]
	s_waitcnt lgkmcnt(0)
	; wave barrier
	ds_read_b128 v[4:7], v2 offset:320
	ds_read_b128 v[8:11], v2 offset:336
	;; [unrolled: 1-line block ×4, first 2 shown]
	scratch_load_dwordx4 v[20:23], off, off offset:96
	v_cmp_lt_u32_e32 vcc, 10, v0
	s_waitcnt vmcnt(0) lgkmcnt(3)
	v_mul_f32_e32 v3, v4, v21
	v_fmac_f32_e32 v3, v5, v20
	v_mul_f32_e32 v24, v6, v23
	v_add_f32_e32 v3, 0, v3
	v_fmac_f32_e32 v24, v7, v22
	v_add_f32_e32 v3, v3, v24
	scratch_load_dwordx4 v[24:27], off, off offset:112
	s_waitcnt vmcnt(0) lgkmcnt(2)
	v_mul_f32_e32 v28, v8, v25
	v_fmac_f32_e32 v28, v9, v24
	v_add_f32_e32 v3, v3, v28
	v_mul_f32_e32 v28, v10, v27
	v_fmac_f32_e32 v28, v11, v26
	v_add_f32_e32 v3, v3, v28
	scratch_load_dwordx4 v[28:31], off, off offset:128
	s_waitcnt vmcnt(0) lgkmcnt(1)
	v_mul_f32_e32 v32, v12, v29
	v_fmac_f32_e32 v32, v13, v28
	v_add_f32_e32 v3, v3, v32
	v_mul_f32_e32 v32, v14, v31
	v_fmac_f32_e32 v32, v15, v30
	v_add_f32_e32 v37, v3, v32
	scratch_load_dwordx4 v[32:35], off, off offset:144
	scratch_load_dwordx4 v[94:97], off, off offset:160
	;; [unrolled: 1-line block ×5, first 2 shown]
	v_mul_f32_e32 v3, v5, v21
	v_fma_f32 v3, v4, v20, -v3
	v_mul_f32_e32 v4, v7, v23
	v_add_f32_e32 v3, 0, v3
	v_fma_f32 v4, v6, v22, -v4
	v_add_f32_e32 v3, v3, v4
	v_mul_f32_e32 v4, v9, v25
	v_fma_f32 v4, v8, v24, -v4
	v_add_f32_e32 v3, v3, v4
	v_mul_f32_e32 v4, v11, v27
	;; [unrolled: 3-line block ×4, first 2 shown]
	v_fma_f32 v4, v14, v30, -v4
	v_add_f32_e32 v36, v3, v4
	s_waitcnt vmcnt(4) lgkmcnt(0)
	v_mul_f32_e32 v3, v17, v33
	v_mul_f32_e32 v111, v16, v33
	;; [unrolled: 1-line block ×3, first 2 shown]
	v_fma_f32 v110, v16, v32, -v3
	v_mul_f32_e32 v3, v19, v35
	v_fmac_f32_e32 v111, v17, v32
	v_fmac_f32_e32 v113, v19, v34
	v_fma_f32 v112, v18, v34, -v3
	ds_read_b128 v[4:7], v2 offset:384
	ds_read_b128 v[8:11], v2 offset:400
	;; [unrolled: 1-line block ×4, first 2 shown]
	v_pk_add_f32 v[2:3], v[36:37], v[110:111]
	s_waitcnt vmcnt(3) lgkmcnt(3)
	v_pk_mul_f32 v[20:21], v[4:5], v[94:95] op_sel:[1,1] op_sel_hi:[0,1]
	v_pk_fma_f32 v[22:23], v[4:5], v[94:95], v[20:21] neg_lo:[0,0,1] neg_hi:[0,0,1]
	v_pk_fma_f32 v[4:5], v[4:5], v[94:95], v[20:21] op_sel_hi:[1,0,1]
	v_pk_add_f32 v[2:3], v[2:3], v[112:113]
	v_mov_b32_e32 v4, v97
	v_mov_b32_e32 v23, v5
	v_pk_mul_f32 v[4:5], v[6:7], v[4:5] op_sel:[1,0] op_sel_hi:[0,0]
	v_pk_fma_f32 v[20:21], v[6:7], v[96:97], v[4:5] neg_lo:[0,0,1] neg_hi:[0,0,1]
	v_pk_fma_f32 v[4:5], v[6:7], v[96:97], v[4:5] op_sel_hi:[1,0,1]
	v_pk_add_f32 v[2:3], v[2:3], v[22:23]
	v_mov_b32_e32 v21, v5
	s_waitcnt vmcnt(2) lgkmcnt(2)
	v_pk_mul_f32 v[4:5], v[8:9], v[98:99] op_sel:[1,1] op_sel_hi:[0,1]
	v_pk_fma_f32 v[6:7], v[8:9], v[98:99], v[4:5] neg_lo:[0,0,1] neg_hi:[0,0,1]
	v_pk_fma_f32 v[4:5], v[8:9], v[98:99], v[4:5] op_sel_hi:[1,0,1]
	v_pk_add_f32 v[2:3], v[2:3], v[20:21]
	v_mov_b32_e32 v4, v101
	v_mov_b32_e32 v7, v5
	v_pk_mul_f32 v[4:5], v[10:11], v[4:5] op_sel:[1,0] op_sel_hi:[0,0]
	v_pk_add_f32 v[2:3], v[2:3], v[6:7]
	v_pk_fma_f32 v[6:7], v[10:11], v[100:101], v[4:5] neg_lo:[0,0,1] neg_hi:[0,0,1]
	v_pk_fma_f32 v[4:5], v[10:11], v[100:101], v[4:5] op_sel_hi:[1,0,1]
	s_nop 0
	v_mov_b32_e32 v7, v5
	s_waitcnt vmcnt(1) lgkmcnt(1)
	v_pk_mul_f32 v[4:5], v[12:13], v[102:103] op_sel:[1,1] op_sel_hi:[0,1]
	v_pk_add_f32 v[2:3], v[2:3], v[6:7]
	v_pk_fma_f32 v[6:7], v[12:13], v[102:103], v[4:5] neg_lo:[0,0,1] neg_hi:[0,0,1]
	v_pk_fma_f32 v[4:5], v[12:13], v[102:103], v[4:5] op_sel_hi:[1,0,1]
	s_nop 0
	v_mov_b32_e32 v4, v105
	v_mov_b32_e32 v7, v5
	v_pk_mul_f32 v[4:5], v[14:15], v[4:5] op_sel:[1,0] op_sel_hi:[0,0]
	v_pk_add_f32 v[2:3], v[2:3], v[6:7]
	v_pk_fma_f32 v[6:7], v[14:15], v[104:105], v[4:5] neg_lo:[0,0,1] neg_hi:[0,0,1]
	v_pk_fma_f32 v[4:5], v[14:15], v[104:105], v[4:5] op_sel_hi:[1,0,1]
	s_nop 0
	v_mov_b32_e32 v7, v5
	s_waitcnt vmcnt(0) lgkmcnt(0)
	v_pk_mul_f32 v[4:5], v[16:17], v[106:107] op_sel:[1,1] op_sel_hi:[0,1]
	v_pk_add_f32 v[2:3], v[2:3], v[6:7]
	v_pk_fma_f32 v[6:7], v[16:17], v[106:107], v[4:5] neg_lo:[0,0,1] neg_hi:[0,0,1]
	v_pk_fma_f32 v[4:5], v[16:17], v[106:107], v[4:5] op_sel_hi:[1,0,1]
	s_nop 0
	v_mov_b32_e32 v4, v109
	v_mov_b32_e32 v7, v5
	v_pk_mul_f32 v[4:5], v[18:19], v[4:5] op_sel:[1,0] op_sel_hi:[0,0]
	v_pk_add_f32 v[2:3], v[2:3], v[6:7]
	v_pk_fma_f32 v[6:7], v[18:19], v[108:109], v[4:5] neg_lo:[0,0,1] neg_hi:[0,0,1]
	v_pk_fma_f32 v[4:5], v[18:19], v[108:109], v[4:5] op_sel_hi:[1,0,1]
	s_nop 0
	v_mov_b32_e32 v7, v5
	scratch_load_dwordx2 v[4:5], off, off offset:88
	v_pk_add_f32 v[2:3], v[2:3], v[6:7]
	s_waitcnt vmcnt(0)
	v_pk_add_f32 v[2:3], v[4:5], v[2:3] neg_lo:[0,1] neg_hi:[0,1]
	scratch_store_dwordx2 off, v[2:3], off offset:88
	s_and_saveexec_b64 s[0:1], vcc
	s_cbranch_execz .LBB91_161
; %bb.160:
	scratch_load_dwordx2 v[2:3], off, off offset:80
	v_mov_b32_e32 v4, 0
	v_mov_b32_e32 v5, v4
	scratch_store_dwordx2 off, v[4:5], off offset:80
	s_waitcnt vmcnt(1)
	ds_write_b64 v1, v[2:3]
.LBB91_161:
	s_or_b64 exec, exec, s[0:1]
	s_waitcnt lgkmcnt(0)
	; wave barrier
	scratch_load_dwordx4 v[8:11], off, off offset:88
	scratch_load_dwordx4 v[16:19], off, off offset:104
	;; [unrolled: 1-line block ×4, first 2 shown]
	v_mov_b32_e32 v2, 0
	ds_read2_b64 v[4:7], v2 offset0:39 offset1:40
	ds_read2_b64 v[94:97], v2 offset0:47 offset1:48
	scratch_load_dwordx4 v[98:101], off, off offset:152
	v_cmp_lt_u32_e32 vcc, 9, v0
	s_waitcnt vmcnt(4) lgkmcnt(1)
	v_mul_f32_e32 v3, v4, v9
	v_fmac_f32_e32 v3, v5, v8
	v_mul_f32_e32 v12, v6, v11
	v_add_f32_e32 v3, 0, v3
	v_fmac_f32_e32 v12, v7, v10
	v_add_f32_e32 v3, v3, v12
	ds_read2_b64 v[12:15], v2 offset0:41 offset1:42
	s_waitcnt vmcnt(0) lgkmcnt(1)
	v_mul_f32_e32 v117, v94, v99
	v_fmac_f32_e32 v117, v95, v98
	s_waitcnt lgkmcnt(0)
	v_mul_f32_e32 v20, v12, v17
	v_fmac_f32_e32 v20, v13, v16
	v_add_f32_e32 v3, v3, v20
	v_mul_f32_e32 v20, v14, v19
	v_fmac_f32_e32 v20, v15, v18
	v_add_f32_e32 v3, v3, v20
	ds_read2_b64 v[20:23], v2 offset0:43 offset1:44
	s_waitcnt lgkmcnt(0)
	v_mul_f32_e32 v28, v20, v25
	v_fmac_f32_e32 v28, v21, v24
	v_add_f32_e32 v3, v3, v28
	v_mul_f32_e32 v28, v22, v27
	v_fmac_f32_e32 v28, v23, v26
	v_add_f32_e32 v3, v3, v28
	ds_read2_b64 v[28:31], v2 offset0:45 offset1:46
	scratch_load_dwordx4 v[102:105], off, off offset:168
	scratch_load_dwordx4 v[106:109], off, off offset:184
	;; [unrolled: 1-line block ×3, first 2 shown]
	scratch_load_dwordx2 v[118:119], off, off offset:216
	s_waitcnt lgkmcnt(0)
	v_mul_f32_e32 v36, v28, v33
	v_fmac_f32_e32 v36, v29, v32
	v_add_f32_e32 v37, v3, v36
	v_mul_f32_e32 v3, v5, v9
	v_fma_f32 v3, v4, v8, -v3
	v_mul_f32_e32 v4, v7, v11
	v_add_f32_e32 v3, 0, v3
	v_fma_f32 v4, v6, v10, -v4
	v_add_f32_e32 v3, v3, v4
	v_mul_f32_e32 v4, v13, v17
	v_fma_f32 v4, v12, v16, -v4
	v_add_f32_e32 v3, v3, v4
	v_mul_f32_e32 v4, v15, v19
	;; [unrolled: 3-line block ×5, first 2 shown]
	v_fma_f32 v4, v28, v32, -v4
	v_mul_f32_e32 v115, v30, v35
	v_add_f32_e32 v36, v3, v4
	v_mul_f32_e32 v3, v31, v35
	v_mov_b32_e32 v20, v101
	v_fmac_f32_e32 v115, v31, v34
	v_fma_f32 v114, v30, v34, -v3
	v_mul_f32_e32 v3, v95, v99
	ds_read2_b64 v[4:7], v2 offset0:49 offset1:50
	ds_read2_b64 v[8:11], v2 offset0:51 offset1:52
	;; [unrolled: 1-line block ×3, first 2 shown]
	ds_read_b64 v[16:17], v2 offset:440
	v_pk_mul_f32 v[20:21], v[96:97], v[20:21] op_sel:[1,0] op_sel_hi:[0,0]
	v_fma_f32 v116, v94, v98, -v3
	v_pk_add_f32 v[18:19], v[36:37], v[114:115]
	v_pk_fma_f32 v[22:23], v[96:97], v[100:101], v[20:21] neg_lo:[0,0,1] neg_hi:[0,0,1]
	v_pk_fma_f32 v[20:21], v[96:97], v[100:101], v[20:21] op_sel_hi:[1,0,1]
	v_pk_add_f32 v[18:19], v[18:19], v[116:117]
	v_mov_b32_e32 v23, v21
	v_pk_add_f32 v[18:19], v[18:19], v[22:23]
	s_waitcnt vmcnt(3) lgkmcnt(3)
	v_pk_mul_f32 v[20:21], v[4:5], v[102:103] op_sel:[1,1] op_sel_hi:[0,1]
	v_pk_fma_f32 v[22:23], v[4:5], v[102:103], v[20:21] neg_lo:[0,0,1] neg_hi:[0,0,1]
	v_pk_fma_f32 v[4:5], v[4:5], v[102:103], v[20:21] op_sel_hi:[1,0,1]
	s_nop 0
	v_mov_b32_e32 v23, v5
	v_pk_add_f32 v[4:5], v[18:19], v[22:23]
	v_mov_b32_e32 v18, v105
	v_pk_mul_f32 v[18:19], v[6:7], v[18:19] op_sel:[1,0] op_sel_hi:[0,0]
	v_pk_fma_f32 v[20:21], v[6:7], v[104:105], v[18:19] neg_lo:[0,0,1] neg_hi:[0,0,1]
	v_pk_fma_f32 v[6:7], v[6:7], v[104:105], v[18:19] op_sel_hi:[1,0,1]
	s_nop 0
	v_mov_b32_e32 v21, v7
	s_waitcnt vmcnt(2) lgkmcnt(2)
	v_pk_mul_f32 v[6:7], v[8:9], v[106:107] op_sel:[1,1] op_sel_hi:[0,1]
	v_pk_fma_f32 v[18:19], v[8:9], v[106:107], v[6:7] neg_lo:[0,0,1] neg_hi:[0,0,1]
	v_pk_fma_f32 v[6:7], v[8:9], v[106:107], v[6:7] op_sel_hi:[1,0,1]
	v_pk_add_f32 v[4:5], v[4:5], v[20:21]
	v_mov_b32_e32 v6, v109
	v_mov_b32_e32 v19, v7
	v_pk_mul_f32 v[6:7], v[10:11], v[6:7] op_sel:[1,0] op_sel_hi:[0,0]
	v_pk_fma_f32 v[8:9], v[10:11], v[108:109], v[6:7] neg_lo:[0,0,1] neg_hi:[0,0,1]
	v_pk_fma_f32 v[6:7], v[10:11], v[108:109], v[6:7] op_sel_hi:[1,0,1]
	v_pk_add_f32 v[4:5], v[4:5], v[18:19]
	v_mov_b32_e32 v9, v7
	s_waitcnt vmcnt(1) lgkmcnt(1)
	v_pk_mul_f32 v[6:7], v[12:13], v[110:111] op_sel:[1,1] op_sel_hi:[0,1]
	v_pk_add_f32 v[4:5], v[4:5], v[8:9]
	v_pk_fma_f32 v[8:9], v[12:13], v[110:111], v[6:7] neg_lo:[0,0,1] neg_hi:[0,0,1]
	v_pk_fma_f32 v[6:7], v[12:13], v[110:111], v[6:7] op_sel_hi:[1,0,1]
	s_nop 0
	v_mov_b32_e32 v6, v113
	v_mov_b32_e32 v9, v7
	v_pk_mul_f32 v[6:7], v[14:15], v[6:7] op_sel:[1,0] op_sel_hi:[0,0]
	v_pk_add_f32 v[4:5], v[4:5], v[8:9]
	v_pk_fma_f32 v[8:9], v[14:15], v[112:113], v[6:7] neg_lo:[0,0,1] neg_hi:[0,0,1]
	v_pk_fma_f32 v[6:7], v[14:15], v[112:113], v[6:7] op_sel_hi:[1,0,1]
	s_nop 0
	v_mov_b32_e32 v9, v7
	s_waitcnt vmcnt(0) lgkmcnt(0)
	v_pk_mul_f32 v[6:7], v[16:17], v[118:119] op_sel:[1,1] op_sel_hi:[0,1]
	v_pk_add_f32 v[4:5], v[4:5], v[8:9]
	v_pk_fma_f32 v[8:9], v[16:17], v[118:119], v[6:7] neg_lo:[0,0,1] neg_hi:[0,0,1]
	v_pk_fma_f32 v[6:7], v[16:17], v[118:119], v[6:7] op_sel_hi:[1,0,1]
	s_nop 0
	v_mov_b32_e32 v9, v7
	scratch_load_dwordx2 v[6:7], off, off offset:80
	v_pk_add_f32 v[4:5], v[4:5], v[8:9]
	s_waitcnt vmcnt(0)
	v_pk_add_f32 v[4:5], v[6:7], v[4:5] neg_lo:[0,1] neg_hi:[0,1]
	scratch_store_dwordx2 off, v[4:5], off offset:80
	s_and_saveexec_b64 s[0:1], vcc
	s_cbranch_execz .LBB91_163
; %bb.162:
	scratch_load_dwordx2 v[4:5], off, off offset:72
	v_mov_b32_e32 v3, v2
	scratch_store_dwordx2 off, v[2:3], off offset:72
	s_waitcnt vmcnt(1)
	ds_write_b64 v1, v[4:5]
.LBB91_163:
	s_or_b64 exec, exec, s[0:1]
	s_waitcnt lgkmcnt(0)
	; wave barrier
	ds_read_b128 v[4:7], v2 offset:304
	ds_read_b128 v[8:11], v2 offset:320
	;; [unrolled: 1-line block ×4, first 2 shown]
	scratch_load_dwordx4 v[20:23], off, off offset:80
	scratch_load_dwordx4 v[98:101], off, off offset:144
	ds_read_b128 v[94:97], v2 offset:368
	v_cmp_lt_u32_e32 vcc, 8, v0
	s_waitcnt vmcnt(1) lgkmcnt(4)
	v_mul_f32_e32 v3, v4, v21
	v_fmac_f32_e32 v3, v5, v20
	v_mul_f32_e32 v24, v6, v23
	v_add_f32_e32 v3, 0, v3
	v_fmac_f32_e32 v24, v7, v22
	v_add_f32_e32 v3, v3, v24
	scratch_load_dwordx4 v[24:27], off, off offset:96
	s_waitcnt vmcnt(1) lgkmcnt(0)
	v_mul_f32_e32 v119, v94, v99
	v_fmac_f32_e32 v119, v95, v98
	v_mul_f32_e32 v121, v96, v101
	v_fmac_f32_e32 v121, v97, v100
	s_waitcnt vmcnt(0)
	v_mul_f32_e32 v28, v8, v25
	v_fmac_f32_e32 v28, v9, v24
	v_add_f32_e32 v3, v3, v28
	v_mul_f32_e32 v28, v10, v27
	v_fmac_f32_e32 v28, v11, v26
	v_add_f32_e32 v3, v3, v28
	scratch_load_dwordx4 v[28:31], off, off offset:112
	s_waitcnt vmcnt(0)
	v_mul_f32_e32 v32, v12, v29
	v_fmac_f32_e32 v32, v13, v28
	v_add_f32_e32 v3, v3, v32
	v_mul_f32_e32 v32, v14, v31
	v_fmac_f32_e32 v32, v15, v30
	v_add_f32_e32 v3, v3, v32
	scratch_load_dwordx4 v[32:35], off, off offset:128
	scratch_load_dwordx4 v[102:105], off, off offset:160
	;; [unrolled: 1-line block ×5, first 2 shown]
	s_waitcnt vmcnt(4)
	v_mul_f32_e32 v36, v16, v33
	v_fmac_f32_e32 v36, v17, v32
	v_add_f32_e32 v3, v3, v36
	v_mul_f32_e32 v36, v18, v35
	v_fmac_f32_e32 v36, v19, v34
	v_add_f32_e32 v37, v3, v36
	v_mul_f32_e32 v3, v5, v21
	v_fma_f32 v3, v4, v20, -v3
	v_mul_f32_e32 v4, v7, v23
	v_add_f32_e32 v3, 0, v3
	v_fma_f32 v4, v6, v22, -v4
	v_add_f32_e32 v3, v3, v4
	v_mul_f32_e32 v4, v9, v25
	v_fma_f32 v4, v8, v24, -v4
	v_add_f32_e32 v3, v3, v4
	v_mul_f32_e32 v4, v11, v27
	;; [unrolled: 3-line block ×6, first 2 shown]
	v_fma_f32 v4, v18, v34, -v4
	v_add_f32_e32 v36, v3, v4
	ds_read_b128 v[4:7], v2 offset:384
	ds_read_b128 v[8:11], v2 offset:400
	ds_read_b128 v[12:15], v2 offset:416
	ds_read_b128 v[16:19], v2 offset:432
	v_mul_f32_e32 v3, v95, v99
	s_waitcnt vmcnt(3) lgkmcnt(3)
	v_pk_mul_f32 v[20:21], v[4:5], v[102:103] op_sel:[1,1] op_sel_hi:[0,1]
	v_pk_fma_f32 v[22:23], v[4:5], v[102:103], v[20:21] neg_lo:[0,0,1] neg_hi:[0,0,1]
	v_pk_fma_f32 v[4:5], v[4:5], v[102:103], v[20:21] op_sel_hi:[1,0,1]
	v_fma_f32 v118, v94, v98, -v3
	v_mov_b32_e32 v4, v105
	v_mov_b32_e32 v23, v5
	v_pk_mul_f32 v[4:5], v[6:7], v[4:5] op_sel:[1,0] op_sel_hi:[0,0]
	v_mul_f32_e32 v3, v97, v101
	v_pk_fma_f32 v[20:21], v[6:7], v[104:105], v[4:5] neg_lo:[0,0,1] neg_hi:[0,0,1]
	v_pk_fma_f32 v[4:5], v[6:7], v[104:105], v[4:5] op_sel_hi:[1,0,1]
	v_fma_f32 v120, v96, v100, -v3
	v_pk_add_f32 v[2:3], v[36:37], v[118:119]
	v_mov_b32_e32 v21, v5
	s_waitcnt vmcnt(2) lgkmcnt(2)
	v_pk_mul_f32 v[4:5], v[8:9], v[106:107] op_sel:[1,1] op_sel_hi:[0,1]
	v_pk_add_f32 v[2:3], v[2:3], v[120:121]
	v_pk_fma_f32 v[6:7], v[8:9], v[106:107], v[4:5] neg_lo:[0,0,1] neg_hi:[0,0,1]
	v_pk_fma_f32 v[4:5], v[8:9], v[106:107], v[4:5] op_sel_hi:[1,0,1]
	v_pk_add_f32 v[2:3], v[2:3], v[22:23]
	v_mov_b32_e32 v4, v109
	v_pk_add_f32 v[2:3], v[2:3], v[20:21]
	v_mov_b32_e32 v7, v5
	v_pk_mul_f32 v[4:5], v[10:11], v[4:5] op_sel:[1,0] op_sel_hi:[0,0]
	v_pk_add_f32 v[2:3], v[2:3], v[6:7]
	v_pk_fma_f32 v[6:7], v[10:11], v[108:109], v[4:5] neg_lo:[0,0,1] neg_hi:[0,0,1]
	v_pk_fma_f32 v[4:5], v[10:11], v[108:109], v[4:5] op_sel_hi:[1,0,1]
	s_nop 0
	v_mov_b32_e32 v7, v5
	s_waitcnt vmcnt(1) lgkmcnt(1)
	v_pk_mul_f32 v[4:5], v[12:13], v[110:111] op_sel:[1,1] op_sel_hi:[0,1]
	v_pk_add_f32 v[2:3], v[2:3], v[6:7]
	v_pk_fma_f32 v[6:7], v[12:13], v[110:111], v[4:5] neg_lo:[0,0,1] neg_hi:[0,0,1]
	v_pk_fma_f32 v[4:5], v[12:13], v[110:111], v[4:5] op_sel_hi:[1,0,1]
	s_nop 0
	v_mov_b32_e32 v4, v113
	v_mov_b32_e32 v7, v5
	v_pk_mul_f32 v[4:5], v[14:15], v[4:5] op_sel:[1,0] op_sel_hi:[0,0]
	v_pk_add_f32 v[2:3], v[2:3], v[6:7]
	v_pk_fma_f32 v[6:7], v[14:15], v[112:113], v[4:5] neg_lo:[0,0,1] neg_hi:[0,0,1]
	v_pk_fma_f32 v[4:5], v[14:15], v[112:113], v[4:5] op_sel_hi:[1,0,1]
	s_nop 0
	v_mov_b32_e32 v7, v5
	s_waitcnt vmcnt(0) lgkmcnt(0)
	v_pk_mul_f32 v[4:5], v[16:17], v[114:115] op_sel:[1,1] op_sel_hi:[0,1]
	v_pk_add_f32 v[2:3], v[2:3], v[6:7]
	v_pk_fma_f32 v[6:7], v[16:17], v[114:115], v[4:5] neg_lo:[0,0,1] neg_hi:[0,0,1]
	v_pk_fma_f32 v[4:5], v[16:17], v[114:115], v[4:5] op_sel_hi:[1,0,1]
	s_nop 0
	v_mov_b32_e32 v4, v117
	v_mov_b32_e32 v7, v5
	v_pk_mul_f32 v[4:5], v[18:19], v[4:5] op_sel:[1,0] op_sel_hi:[0,0]
	v_pk_add_f32 v[2:3], v[2:3], v[6:7]
	v_pk_fma_f32 v[6:7], v[18:19], v[116:117], v[4:5] neg_lo:[0,0,1] neg_hi:[0,0,1]
	v_pk_fma_f32 v[4:5], v[18:19], v[116:117], v[4:5] op_sel_hi:[1,0,1]
	s_nop 0
	v_mov_b32_e32 v7, v5
	scratch_load_dwordx2 v[4:5], off, off offset:72
	v_pk_add_f32 v[2:3], v[2:3], v[6:7]
	s_waitcnt vmcnt(0)
	v_pk_add_f32 v[2:3], v[4:5], v[2:3] neg_lo:[0,1] neg_hi:[0,1]
	scratch_store_dwordx2 off, v[2:3], off offset:72
	s_and_saveexec_b64 s[0:1], vcc
	s_cbranch_execz .LBB91_165
; %bb.164:
	scratch_load_dwordx2 v[2:3], off, off offset:64
	v_mov_b32_e32 v4, 0
	v_mov_b32_e32 v5, v4
	scratch_store_dwordx2 off, v[4:5], off offset:64
	s_waitcnt vmcnt(1)
	ds_write_b64 v1, v[2:3]
.LBB91_165:
	s_or_b64 exec, exec, s[0:1]
	s_waitcnt lgkmcnt(0)
	; wave barrier
	scratch_load_dwordx4 v[8:11], off, off offset:72
	scratch_load_dwordx4 v[16:19], off, off offset:88
	;; [unrolled: 1-line block ×4, first 2 shown]
	v_mov_b32_e32 v2, 0
	ds_read2_b64 v[4:7], v2 offset0:37 offset1:38
	ds_read2_b64 v[94:97], v2 offset0:45 offset1:46
	scratch_load_dwordx4 v[98:101], off, off offset:136
	scratch_load_dwordx4 v[106:109], off, off offset:152
	v_cmp_lt_u32_e32 vcc, 7, v0
	ds_read2_b64 v[102:105], v2 offset0:47 offset1:48
	s_waitcnt vmcnt(5) lgkmcnt(2)
	v_mul_f32_e32 v3, v4, v9
	v_fmac_f32_e32 v3, v5, v8
	v_mul_f32_e32 v12, v6, v11
	v_add_f32_e32 v3, 0, v3
	v_fmac_f32_e32 v12, v7, v10
	v_add_f32_e32 v3, v3, v12
	ds_read2_b64 v[12:15], v2 offset0:39 offset1:40
	s_waitcnt vmcnt(1) lgkmcnt(2)
	v_mul_f32_e32 v123, v96, v101
	v_fmac_f32_e32 v123, v97, v100
	s_waitcnt vmcnt(0) lgkmcnt(1)
	v_mul_f32_e32 v125, v102, v107
	v_fmac_f32_e32 v125, v103, v106
	s_waitcnt lgkmcnt(0)
	v_mul_f32_e32 v20, v12, v17
	v_fmac_f32_e32 v20, v13, v16
	v_add_f32_e32 v3, v3, v20
	v_mul_f32_e32 v20, v14, v19
	v_fmac_f32_e32 v20, v15, v18
	v_add_f32_e32 v3, v3, v20
	ds_read2_b64 v[20:23], v2 offset0:41 offset1:42
	s_waitcnt lgkmcnt(0)
	v_mul_f32_e32 v28, v20, v25
	v_fmac_f32_e32 v28, v21, v24
	v_add_f32_e32 v3, v3, v28
	v_mul_f32_e32 v28, v22, v27
	v_fmac_f32_e32 v28, v23, v26
	v_add_f32_e32 v3, v3, v28
	ds_read2_b64 v[28:31], v2 offset0:43 offset1:44
	scratch_load_dwordx4 v[110:113], off, off offset:168
	scratch_load_dwordx4 v[114:117], off, off offset:184
	;; [unrolled: 1-line block ×3, first 2 shown]
	scratch_load_dwordx2 v[126:127], off, off offset:216
	s_waitcnt lgkmcnt(0)
	v_mul_f32_e32 v36, v28, v33
	v_fmac_f32_e32 v36, v29, v32
	v_add_f32_e32 v3, v3, v36
	v_mul_f32_e32 v36, v30, v35
	v_fmac_f32_e32 v36, v31, v34
	v_add_f32_e32 v3, v3, v36
	;; [unrolled: 3-line block ×3, first 2 shown]
	v_mul_f32_e32 v3, v5, v9
	v_fma_f32 v3, v4, v8, -v3
	v_mul_f32_e32 v4, v7, v11
	v_add_f32_e32 v3, 0, v3
	v_fma_f32 v4, v6, v10, -v4
	v_add_f32_e32 v3, v3, v4
	v_mul_f32_e32 v4, v13, v17
	v_fma_f32 v4, v12, v16, -v4
	v_add_f32_e32 v3, v3, v4
	v_mul_f32_e32 v4, v15, v19
	;; [unrolled: 3-line block ×8, first 2 shown]
	v_mov_b32_e32 v20, v109
	v_fma_f32 v122, v96, v100, -v3
	v_mul_f32_e32 v3, v103, v107
	ds_read2_b64 v[4:7], v2 offset0:49 offset1:50
	ds_read2_b64 v[8:11], v2 offset0:51 offset1:52
	;; [unrolled: 1-line block ×3, first 2 shown]
	ds_read_b64 v[16:17], v2 offset:440
	v_pk_mul_f32 v[20:21], v[104:105], v[20:21] op_sel:[1,0] op_sel_hi:[0,0]
	v_fma_f32 v124, v102, v106, -v3
	v_pk_add_f32 v[18:19], v[36:37], v[122:123]
	v_pk_fma_f32 v[22:23], v[104:105], v[108:109], v[20:21] neg_lo:[0,0,1] neg_hi:[0,0,1]
	v_pk_fma_f32 v[20:21], v[104:105], v[108:109], v[20:21] op_sel_hi:[1,0,1]
	v_pk_add_f32 v[18:19], v[18:19], v[124:125]
	v_mov_b32_e32 v23, v21
	v_pk_add_f32 v[18:19], v[18:19], v[22:23]
	s_waitcnt vmcnt(3) lgkmcnt(3)
	v_pk_mul_f32 v[20:21], v[4:5], v[110:111] op_sel:[1,1] op_sel_hi:[0,1]
	v_pk_fma_f32 v[22:23], v[4:5], v[110:111], v[20:21] neg_lo:[0,0,1] neg_hi:[0,0,1]
	v_pk_fma_f32 v[4:5], v[4:5], v[110:111], v[20:21] op_sel_hi:[1,0,1]
	s_nop 0
	v_mov_b32_e32 v23, v5
	v_pk_add_f32 v[4:5], v[18:19], v[22:23]
	v_mov_b32_e32 v18, v113
	v_pk_mul_f32 v[18:19], v[6:7], v[18:19] op_sel:[1,0] op_sel_hi:[0,0]
	v_pk_fma_f32 v[20:21], v[6:7], v[112:113], v[18:19] neg_lo:[0,0,1] neg_hi:[0,0,1]
	v_pk_fma_f32 v[6:7], v[6:7], v[112:113], v[18:19] op_sel_hi:[1,0,1]
	s_nop 0
	v_mov_b32_e32 v21, v7
	s_waitcnt vmcnt(2) lgkmcnt(2)
	v_pk_mul_f32 v[6:7], v[8:9], v[114:115] op_sel:[1,1] op_sel_hi:[0,1]
	v_pk_fma_f32 v[18:19], v[8:9], v[114:115], v[6:7] neg_lo:[0,0,1] neg_hi:[0,0,1]
	v_pk_fma_f32 v[6:7], v[8:9], v[114:115], v[6:7] op_sel_hi:[1,0,1]
	v_pk_add_f32 v[4:5], v[4:5], v[20:21]
	v_mov_b32_e32 v6, v117
	v_mov_b32_e32 v19, v7
	v_pk_mul_f32 v[6:7], v[10:11], v[6:7] op_sel:[1,0] op_sel_hi:[0,0]
	v_pk_fma_f32 v[8:9], v[10:11], v[116:117], v[6:7] neg_lo:[0,0,1] neg_hi:[0,0,1]
	v_pk_fma_f32 v[6:7], v[10:11], v[116:117], v[6:7] op_sel_hi:[1,0,1]
	v_pk_add_f32 v[4:5], v[4:5], v[18:19]
	v_mov_b32_e32 v9, v7
	s_waitcnt vmcnt(1) lgkmcnt(1)
	v_pk_mul_f32 v[6:7], v[12:13], v[118:119] op_sel:[1,1] op_sel_hi:[0,1]
	v_pk_add_f32 v[4:5], v[4:5], v[8:9]
	v_pk_fma_f32 v[8:9], v[12:13], v[118:119], v[6:7] neg_lo:[0,0,1] neg_hi:[0,0,1]
	v_pk_fma_f32 v[6:7], v[12:13], v[118:119], v[6:7] op_sel_hi:[1,0,1]
	s_nop 0
	v_mov_b32_e32 v6, v121
	v_mov_b32_e32 v9, v7
	v_pk_mul_f32 v[6:7], v[14:15], v[6:7] op_sel:[1,0] op_sel_hi:[0,0]
	v_pk_add_f32 v[4:5], v[4:5], v[8:9]
	v_pk_fma_f32 v[8:9], v[14:15], v[120:121], v[6:7] neg_lo:[0,0,1] neg_hi:[0,0,1]
	v_pk_fma_f32 v[6:7], v[14:15], v[120:121], v[6:7] op_sel_hi:[1,0,1]
	s_nop 0
	v_mov_b32_e32 v9, v7
	s_waitcnt vmcnt(0) lgkmcnt(0)
	v_pk_mul_f32 v[6:7], v[16:17], v[126:127] op_sel:[1,1] op_sel_hi:[0,1]
	v_pk_add_f32 v[4:5], v[4:5], v[8:9]
	v_pk_fma_f32 v[8:9], v[16:17], v[126:127], v[6:7] neg_lo:[0,0,1] neg_hi:[0,0,1]
	v_pk_fma_f32 v[6:7], v[16:17], v[126:127], v[6:7] op_sel_hi:[1,0,1]
	s_nop 0
	v_mov_b32_e32 v9, v7
	scratch_load_dwordx2 v[6:7], off, off offset:64
	v_pk_add_f32 v[4:5], v[4:5], v[8:9]
	s_waitcnt vmcnt(0)
	v_pk_add_f32 v[4:5], v[6:7], v[4:5] neg_lo:[0,1] neg_hi:[0,1]
	scratch_store_dwordx2 off, v[4:5], off offset:64
	s_and_saveexec_b64 s[0:1], vcc
	s_cbranch_execz .LBB91_167
; %bb.166:
	scratch_load_dwordx2 v[4:5], off, off offset:56
	v_mov_b32_e32 v3, v2
	scratch_store_dwordx2 off, v[2:3], off offset:56
	s_waitcnt vmcnt(1)
	ds_write_b64 v1, v[4:5]
.LBB91_167:
	s_or_b64 exec, exec, s[0:1]
	s_waitcnt lgkmcnt(0)
	; wave barrier
	ds_read_b128 v[4:7], v2 offset:288
	ds_read_b128 v[8:11], v2 offset:304
	;; [unrolled: 1-line block ×4, first 2 shown]
	scratch_load_dwordx4 v[20:23], off, off offset:64
	scratch_load_dwordx4 v[98:101], off, off offset:128
	ds_read_b128 v[94:97], v2 offset:352
	ds_read_b128 v[102:105], v2 offset:368
	v_cmp_lt_u32_e32 vcc, 6, v0
	scratch_load_dwordx4 v[106:109], off, off offset:144
	s_waitcnt vmcnt(2) lgkmcnt(5)
	v_mul_f32_e32 v3, v4, v21
	v_fmac_f32_e32 v3, v5, v20
	v_mul_f32_e32 v24, v6, v23
	v_add_f32_e32 v3, 0, v3
	v_fmac_f32_e32 v24, v7, v22
	v_add_f32_e32 v3, v3, v24
	scratch_load_dwordx4 v[24:27], off, off offset:80
	s_waitcnt vmcnt(1) lgkmcnt(0)
	v_mul_f32_e32 v127, v102, v107
	v_mul_f32_e32 v129, v104, v109
	v_fmac_f32_e32 v127, v103, v106
	v_fmac_f32_e32 v129, v105, v108
	s_waitcnt vmcnt(0)
	v_mul_f32_e32 v28, v8, v25
	v_fmac_f32_e32 v28, v9, v24
	v_add_f32_e32 v3, v3, v28
	v_mul_f32_e32 v28, v10, v27
	v_fmac_f32_e32 v28, v11, v26
	v_add_f32_e32 v3, v3, v28
	scratch_load_dwordx4 v[28:31], off, off offset:96
	s_waitcnt vmcnt(0)
	v_mul_f32_e32 v32, v12, v29
	v_fmac_f32_e32 v32, v13, v28
	v_add_f32_e32 v3, v3, v32
	v_mul_f32_e32 v32, v14, v31
	v_fmac_f32_e32 v32, v15, v30
	v_add_f32_e32 v3, v3, v32
	scratch_load_dwordx4 v[32:35], off, off offset:112
	scratch_load_dwordx4 v[110:113], off, off offset:160
	;; [unrolled: 1-line block ×5, first 2 shown]
	s_waitcnt vmcnt(4)
	v_mul_f32_e32 v36, v16, v33
	v_fmac_f32_e32 v36, v17, v32
	v_add_f32_e32 v3, v3, v36
	v_mul_f32_e32 v36, v18, v35
	v_fmac_f32_e32 v36, v19, v34
	v_add_f32_e32 v3, v3, v36
	v_mul_f32_e32 v36, v94, v99
	v_fmac_f32_e32 v36, v95, v98
	v_add_f32_e32 v3, v3, v36
	v_mul_f32_e32 v36, v96, v101
	v_fmac_f32_e32 v36, v97, v100
	v_add_f32_e32 v37, v3, v36
	v_mul_f32_e32 v3, v5, v21
	v_fma_f32 v3, v4, v20, -v3
	v_mul_f32_e32 v4, v7, v23
	v_add_f32_e32 v3, 0, v3
	v_fma_f32 v4, v6, v22, -v4
	v_add_f32_e32 v3, v3, v4
	v_mul_f32_e32 v4, v9, v25
	v_fma_f32 v4, v8, v24, -v4
	v_add_f32_e32 v3, v3, v4
	v_mul_f32_e32 v4, v11, v27
	;; [unrolled: 3-line block ×8, first 2 shown]
	v_fma_f32 v4, v96, v100, -v4
	v_add_f32_e32 v36, v3, v4
	ds_read_b128 v[4:7], v2 offset:384
	ds_read_b128 v[8:11], v2 offset:400
	;; [unrolled: 1-line block ×4, first 2 shown]
	v_mul_f32_e32 v3, v103, v107
	s_waitcnt vmcnt(3) lgkmcnt(3)
	v_pk_mul_f32 v[20:21], v[4:5], v[110:111] op_sel:[1,1] op_sel_hi:[0,1]
	v_pk_fma_f32 v[22:23], v[4:5], v[110:111], v[20:21] neg_lo:[0,0,1] neg_hi:[0,0,1]
	v_pk_fma_f32 v[4:5], v[4:5], v[110:111], v[20:21] op_sel_hi:[1,0,1]
	v_fma_f32 v126, v102, v106, -v3
	v_mov_b32_e32 v4, v113
	v_mov_b32_e32 v23, v5
	v_pk_mul_f32 v[4:5], v[6:7], v[4:5] op_sel:[1,0] op_sel_hi:[0,0]
	v_mul_f32_e32 v3, v105, v109
	v_pk_fma_f32 v[20:21], v[6:7], v[112:113], v[4:5] neg_lo:[0,0,1] neg_hi:[0,0,1]
	v_pk_fma_f32 v[4:5], v[6:7], v[112:113], v[4:5] op_sel_hi:[1,0,1]
	v_fma_f32 v128, v104, v108, -v3
	v_pk_add_f32 v[2:3], v[36:37], v[126:127]
	v_mov_b32_e32 v21, v5
	s_waitcnt vmcnt(2) lgkmcnt(2)
	v_pk_mul_f32 v[4:5], v[8:9], v[114:115] op_sel:[1,1] op_sel_hi:[0,1]
	v_pk_add_f32 v[2:3], v[2:3], v[128:129]
	v_pk_fma_f32 v[6:7], v[8:9], v[114:115], v[4:5] neg_lo:[0,0,1] neg_hi:[0,0,1]
	v_pk_fma_f32 v[4:5], v[8:9], v[114:115], v[4:5] op_sel_hi:[1,0,1]
	v_pk_add_f32 v[2:3], v[2:3], v[22:23]
	v_mov_b32_e32 v4, v117
	v_pk_add_f32 v[2:3], v[2:3], v[20:21]
	v_mov_b32_e32 v7, v5
	v_pk_mul_f32 v[4:5], v[10:11], v[4:5] op_sel:[1,0] op_sel_hi:[0,0]
	v_pk_add_f32 v[2:3], v[2:3], v[6:7]
	v_pk_fma_f32 v[6:7], v[10:11], v[116:117], v[4:5] neg_lo:[0,0,1] neg_hi:[0,0,1]
	v_pk_fma_f32 v[4:5], v[10:11], v[116:117], v[4:5] op_sel_hi:[1,0,1]
	s_nop 0
	v_mov_b32_e32 v7, v5
	s_waitcnt vmcnt(1) lgkmcnt(1)
	v_pk_mul_f32 v[4:5], v[12:13], v[118:119] op_sel:[1,1] op_sel_hi:[0,1]
	v_pk_add_f32 v[2:3], v[2:3], v[6:7]
	v_pk_fma_f32 v[6:7], v[12:13], v[118:119], v[4:5] neg_lo:[0,0,1] neg_hi:[0,0,1]
	v_pk_fma_f32 v[4:5], v[12:13], v[118:119], v[4:5] op_sel_hi:[1,0,1]
	s_nop 0
	v_mov_b32_e32 v4, v121
	v_mov_b32_e32 v7, v5
	v_pk_mul_f32 v[4:5], v[14:15], v[4:5] op_sel:[1,0] op_sel_hi:[0,0]
	v_pk_add_f32 v[2:3], v[2:3], v[6:7]
	v_pk_fma_f32 v[6:7], v[14:15], v[120:121], v[4:5] neg_lo:[0,0,1] neg_hi:[0,0,1]
	v_pk_fma_f32 v[4:5], v[14:15], v[120:121], v[4:5] op_sel_hi:[1,0,1]
	s_nop 0
	v_mov_b32_e32 v7, v5
	s_waitcnt vmcnt(0) lgkmcnt(0)
	v_pk_mul_f32 v[4:5], v[16:17], v[122:123] op_sel:[1,1] op_sel_hi:[0,1]
	v_pk_add_f32 v[2:3], v[2:3], v[6:7]
	v_pk_fma_f32 v[6:7], v[16:17], v[122:123], v[4:5] neg_lo:[0,0,1] neg_hi:[0,0,1]
	v_pk_fma_f32 v[4:5], v[16:17], v[122:123], v[4:5] op_sel_hi:[1,0,1]
	s_nop 0
	v_mov_b32_e32 v4, v125
	v_mov_b32_e32 v7, v5
	v_pk_mul_f32 v[4:5], v[18:19], v[4:5] op_sel:[1,0] op_sel_hi:[0,0]
	v_pk_add_f32 v[2:3], v[2:3], v[6:7]
	v_pk_fma_f32 v[6:7], v[18:19], v[124:125], v[4:5] neg_lo:[0,0,1] neg_hi:[0,0,1]
	v_pk_fma_f32 v[4:5], v[18:19], v[124:125], v[4:5] op_sel_hi:[1,0,1]
	s_nop 0
	v_mov_b32_e32 v7, v5
	scratch_load_dwordx2 v[4:5], off, off offset:56
	v_pk_add_f32 v[2:3], v[2:3], v[6:7]
	s_waitcnt vmcnt(0)
	v_pk_add_f32 v[2:3], v[4:5], v[2:3] neg_lo:[0,1] neg_hi:[0,1]
	scratch_store_dwordx2 off, v[2:3], off offset:56
	s_and_saveexec_b64 s[0:1], vcc
	s_cbranch_execz .LBB91_169
; %bb.168:
	scratch_load_dwordx2 v[2:3], off, off offset:48
	v_mov_b32_e32 v4, 0
	v_mov_b32_e32 v5, v4
	scratch_store_dwordx2 off, v[4:5], off offset:48
	s_waitcnt vmcnt(1)
	ds_write_b64 v1, v[2:3]
.LBB91_169:
	s_or_b64 exec, exec, s[0:1]
	s_waitcnt lgkmcnt(0)
	; wave barrier
	scratch_load_dwordx4 v[2:5], off, off offset:56
	scratch_load_dwordx4 v[8:11], off, off offset:72
	;; [unrolled: 1-line block ×10, first 2 shown]
	scratch_load_dwordx2 v[36:37], off, off offset:216
	scratch_load_dwordx2 v[134:135], off, off offset:48
	v_mov_b32_e32 v6, 0
	ds_read2_b64 v[102:105], v6 offset0:35 offset1:36
	ds_read2_b64 v[106:109], v6 offset0:37 offset1:38
	;; [unrolled: 1-line block ×8, first 2 shown]
	v_cmp_lt_u32_e32 vcc, 5, v0
	s_waitcnt vmcnt(11) lgkmcnt(7)
	v_mul_f32_e32 v7, v102, v3
	v_mul_f32_e32 v3, v103, v3
	v_mul_f32_e32 v136, v104, v5
	v_mul_f32_e32 v5, v105, v5
	v_fmac_f32_e32 v7, v103, v2
	v_fma_f32 v2, v102, v2, -v3
	s_waitcnt vmcnt(10) lgkmcnt(6)
	v_mul_f32_e32 v138, v106, v9
	v_mul_f32_e32 v9, v107, v9
	v_fma_f32 v3, v104, v4, -v5
	v_add_f32_e32 v2, 0, v2
	v_mul_f32_e32 v140, v108, v11
	v_mul_f32_e32 v11, v109, v11
	v_fmac_f32_e32 v136, v105, v4
	v_fma_f32 v4, v106, v8, -v9
	v_add_f32_e32 v7, 0, v7
	v_add_f32_e32 v2, v2, v3
	s_waitcnt vmcnt(9) lgkmcnt(5)
	v_mul_f32_e32 v141, v110, v13
	v_mul_f32_e32 v13, v111, v13
	v_fmac_f32_e32 v138, v107, v8
	v_fma_f32 v5, v108, v10, -v11
	v_add_f32_e32 v7, v7, v136
	v_add_f32_e32 v2, v2, v4
	v_mul_f32_e32 v142, v112, v15
	v_mul_f32_e32 v15, v113, v15
	v_fmac_f32_e32 v140, v109, v10
	v_fma_f32 v8, v110, v12, -v13
	v_add_f32_e32 v3, v7, v138
	v_add_f32_e32 v2, v2, v5
	s_waitcnt vmcnt(8) lgkmcnt(4)
	v_mul_f32_e32 v143, v114, v17
	v_mul_f32_e32 v17, v115, v17
	v_fmac_f32_e32 v141, v111, v12
	v_fma_f32 v9, v112, v14, -v15
	v_add_f32_e32 v3, v3, v140
	;; [unrolled: 13-line block ×4, first 2 shown]
	v_add_f32_e32 v2, v2, v12
	v_fmac_f32_e32 v146, v121, v22
	v_fma_f32 v14, v122, v24, -v25
	v_add_f32_e32 v3, v3, v145
	v_add_f32_e32 v2, v2, v13
	v_mul_f32_e32 v137, v124, v27
	v_fmac_f32_e32 v147, v123, v24
	v_add_f32_e32 v3, v3, v146
	v_add_f32_e32 v12, v2, v14
	v_mul_f32_e32 v2, v125, v27
	s_waitcnt vmcnt(5)
	v_mov_b32_e32 v16, v31
	s_waitcnt lgkmcnt(1)
	v_mul_f32_e32 v139, v126, v29
	v_fmac_f32_e32 v137, v125, v26
	v_add_f32_e32 v13, v3, v147
	v_fma_f32 v136, v124, v26, -v2
	v_mul_f32_e32 v2, v127, v29
	v_pk_mul_f32 v[16:17], v[128:129], v[16:17] op_sel:[1,0] op_sel_hi:[0,0]
	v_fmac_f32_e32 v139, v127, v28
	v_fma_f32 v138, v126, v28, -v2
	v_pk_add_f32 v[12:13], v[12:13], v[136:137]
	v_pk_fma_f32 v[18:19], v[128:129], v[30:31], v[16:17] neg_lo:[0,0,1] neg_hi:[0,0,1]
	v_pk_fma_f32 v[16:17], v[128:129], v[30:31], v[16:17] op_sel_hi:[1,0,1]
	v_pk_add_f32 v[12:13], v[12:13], v[138:139]
	v_mov_b32_e32 v19, v17
	s_waitcnt vmcnt(4) lgkmcnt(0)
	v_pk_mul_f32 v[16:17], v[130:131], v[32:33] op_sel:[1,1] op_sel_hi:[0,1]
	v_pk_add_f32 v[12:13], v[12:13], v[18:19]
	v_pk_fma_f32 v[18:19], v[130:131], v[32:33], v[16:17] neg_lo:[0,0,1] neg_hi:[0,0,1]
	v_pk_fma_f32 v[16:17], v[130:131], v[32:33], v[16:17] op_sel_hi:[1,0,1]
	ds_read2_b64 v[2:5], v6 offset0:51 offset1:52
	ds_read2_b64 v[8:11], v6 offset0:53 offset1:54
	ds_read_b64 v[14:15], v6 offset:440
	v_mov_b32_e32 v16, v35
	v_mov_b32_e32 v19, v17
	v_pk_mul_f32 v[16:17], v[132:133], v[16:17] op_sel:[1,0] op_sel_hi:[0,0]
	v_pk_add_f32 v[12:13], v[12:13], v[18:19]
	v_pk_fma_f32 v[18:19], v[132:133], v[34:35], v[16:17] neg_lo:[0,0,1] neg_hi:[0,0,1]
	v_pk_fma_f32 v[16:17], v[132:133], v[34:35], v[16:17] op_sel_hi:[1,0,1]
	s_nop 0
	v_mov_b32_e32 v19, v17
	s_waitcnt vmcnt(3) lgkmcnt(2)
	v_pk_mul_f32 v[16:17], v[2:3], v[94:95] op_sel:[1,1] op_sel_hi:[0,1]
	v_pk_add_f32 v[12:13], v[12:13], v[18:19]
	v_pk_fma_f32 v[18:19], v[2:3], v[94:95], v[16:17] neg_lo:[0,0,1] neg_hi:[0,0,1]
	v_pk_fma_f32 v[2:3], v[2:3], v[94:95], v[16:17] op_sel_hi:[1,0,1]
	s_nop 0
	v_mov_b32_e32 v19, v3
	v_pk_add_f32 v[2:3], v[12:13], v[18:19]
	v_mov_b32_e32 v12, v97
	v_pk_mul_f32 v[12:13], v[4:5], v[12:13] op_sel:[1,0] op_sel_hi:[0,0]
	v_pk_fma_f32 v[16:17], v[4:5], v[96:97], v[12:13] neg_lo:[0,0,1] neg_hi:[0,0,1]
	v_pk_fma_f32 v[4:5], v[4:5], v[96:97], v[12:13] op_sel_hi:[1,0,1]
	s_nop 0
	v_mov_b32_e32 v17, v5
	s_waitcnt vmcnt(2) lgkmcnt(1)
	v_pk_mul_f32 v[4:5], v[8:9], v[98:99] op_sel:[1,1] op_sel_hi:[0,1]
	v_pk_fma_f32 v[12:13], v[8:9], v[98:99], v[4:5] neg_lo:[0,0,1] neg_hi:[0,0,1]
	v_pk_fma_f32 v[4:5], v[8:9], v[98:99], v[4:5] op_sel_hi:[1,0,1]
	v_pk_add_f32 v[2:3], v[2:3], v[16:17]
	v_mov_b32_e32 v4, v101
	v_mov_b32_e32 v13, v5
	v_pk_mul_f32 v[4:5], v[10:11], v[4:5] op_sel:[1,0] op_sel_hi:[0,0]
	v_pk_fma_f32 v[8:9], v[10:11], v[100:101], v[4:5] neg_lo:[0,0,1] neg_hi:[0,0,1]
	v_pk_fma_f32 v[4:5], v[10:11], v[100:101], v[4:5] op_sel_hi:[1,0,1]
	v_pk_add_f32 v[2:3], v[2:3], v[12:13]
	v_mov_b32_e32 v9, v5
	s_waitcnt vmcnt(1) lgkmcnt(0)
	v_pk_mul_f32 v[4:5], v[14:15], v[36:37] op_sel:[1,1] op_sel_hi:[0,1]
	v_pk_add_f32 v[2:3], v[2:3], v[8:9]
	v_pk_fma_f32 v[8:9], v[14:15], v[36:37], v[4:5] neg_lo:[0,0,1] neg_hi:[0,0,1]
	v_pk_fma_f32 v[4:5], v[14:15], v[36:37], v[4:5] op_sel_hi:[1,0,1]
	s_nop 0
	v_mov_b32_e32 v9, v5
	v_pk_add_f32 v[2:3], v[2:3], v[8:9]
	s_waitcnt vmcnt(0)
	v_pk_add_f32 v[2:3], v[134:135], v[2:3] neg_lo:[0,1] neg_hi:[0,1]
	scratch_store_dwordx2 off, v[2:3], off offset:48
	s_and_saveexec_b64 s[0:1], vcc
	s_cbranch_execz .LBB91_171
; %bb.170:
	scratch_load_dwordx2 v[2:3], off, off offset:40
	v_mov_b32_e32 v7, v6
	scratch_store_dwordx2 off, v[6:7], off offset:40
	s_waitcnt vmcnt(1)
	ds_write_b64 v1, v[2:3]
.LBB91_171:
	s_or_b64 exec, exec, s[0:1]
	s_waitcnt lgkmcnt(0)
	; wave barrier
	scratch_load_dwordx4 v[8:11], off, off offset:48
	scratch_load_dwordx4 v[12:15], off, off offset:64
	;; [unrolled: 1-line block ×7, first 2 shown]
	ds_read_b128 v[94:97], v6 offset:272
	ds_read_b128 v[98:101], v6 offset:288
	;; [unrolled: 1-line block ×6, first 2 shown]
	scratch_load_dwordx4 v[118:121], off, off offset:160
	scratch_load_dwordx4 v[122:125], off, off offset:176
	;; [unrolled: 1-line block ×4, first 2 shown]
	ds_read_b128 v[130:133], v6 offset:368
	ds_read_b128 v[134:137], v6 offset:384
	scratch_load_dwordx2 v[36:37], off, off offset:40
	v_cmp_lt_u32_e32 vcc, 4, v0
	s_waitcnt vmcnt(11) lgkmcnt(7)
	v_mul_f32_e32 v7, v94, v9
	v_mul_f32_e32 v138, v96, v11
	;; [unrolled: 1-line block ×3, first 2 shown]
	v_fmac_f32_e32 v7, v95, v8
	s_waitcnt vmcnt(10) lgkmcnt(6)
	v_mul_f32_e32 v140, v98, v13
	v_mul_f32_e32 v11, v97, v11
	v_fmac_f32_e32 v138, v97, v10
	v_fma_f32 v8, v94, v8, -v9
	v_add_f32_e32 v7, 0, v7
	v_mul_f32_e32 v142, v100, v15
	v_mul_f32_e32 v13, v99, v13
	v_fmac_f32_e32 v140, v99, v12
	v_fma_f32 v9, v96, v10, -v11
	v_add_f32_e32 v8, 0, v8
	v_add_f32_e32 v7, v7, v138
	s_waitcnt vmcnt(9) lgkmcnt(5)
	v_mul_f32_e32 v143, v102, v17
	v_mul_f32_e32 v15, v101, v15
	v_fmac_f32_e32 v142, v101, v14
	v_fma_f32 v10, v98, v12, -v13
	v_add_f32_e32 v8, v8, v9
	v_add_f32_e32 v7, v7, v140
	v_mul_f32_e32 v144, v104, v19
	v_mul_f32_e32 v17, v103, v17
	v_fmac_f32_e32 v143, v103, v16
	v_fma_f32 v11, v100, v14, -v15
	v_add_f32_e32 v8, v8, v10
	v_add_f32_e32 v7, v7, v142
	s_waitcnt vmcnt(8) lgkmcnt(4)
	v_mul_f32_e32 v145, v106, v21
	v_mul_f32_e32 v19, v105, v19
	v_fmac_f32_e32 v144, v105, v18
	v_fma_f32 v12, v102, v16, -v17
	v_add_f32_e32 v8, v8, v11
	;; [unrolled: 13-line block ×4, first 2 shown]
	v_add_f32_e32 v7, v7, v147
	v_mul_f32_e32 v150, v116, v31
	v_mul_f32_e32 v29, v115, v29
	v_fmac_f32_e32 v149, v115, v28
	v_fma_f32 v17, v112, v26, -v27
	v_add_f32_e32 v8, v8, v16
	v_add_f32_e32 v7, v7, v148
	v_fmac_f32_e32 v150, v117, v30
	v_fma_f32 v18, v114, v28, -v29
	v_add_f32_e32 v8, v8, v17
	v_add_f32_e32 v7, v7, v149
	;; [unrolled: 1-line block ×4, first 2 shown]
	v_mul_f32_e32 v8, v117, v31
	v_fma_f32 v8, v116, v30, -v8
	s_waitcnt vmcnt(5) lgkmcnt(1)
	v_mul_f32_e32 v139, v130, v33
	v_add_f32_e32 v20, v7, v8
	v_mul_f32_e32 v7, v131, v33
	v_fmac_f32_e32 v139, v131, v32
	v_fma_f32 v138, v130, v32, -v7
	v_mul_f32_e32 v7, v133, v35
	v_fma_f32 v140, v132, v34, -v7
	ds_read_b128 v[8:11], v6 offset:400
	ds_read_b128 v[12:15], v6 offset:416
	;; [unrolled: 1-line block ×3, first 2 shown]
	v_pk_add_f32 v[6:7], v[20:21], v[138:139]
	s_waitcnt vmcnt(4) lgkmcnt(3)
	v_pk_mul_f32 v[20:21], v[134:135], v[118:119] op_sel:[1,1] op_sel_hi:[0,1]
	v_mul_f32_e32 v141, v132, v35
	v_pk_fma_f32 v[22:23], v[134:135], v[118:119], v[20:21] neg_lo:[0,0,1] neg_hi:[0,0,1]
	v_pk_fma_f32 v[20:21], v[134:135], v[118:119], v[20:21] op_sel_hi:[1,0,1]
	v_fmac_f32_e32 v141, v133, v34
	v_mov_b32_e32 v20, v121
	v_pk_add_f32 v[6:7], v[6:7], v[140:141]
	v_mov_b32_e32 v23, v21
	v_pk_mul_f32 v[20:21], v[136:137], v[20:21] op_sel:[1,0] op_sel_hi:[0,0]
	v_pk_add_f32 v[6:7], v[6:7], v[22:23]
	v_pk_fma_f32 v[22:23], v[136:137], v[120:121], v[20:21] neg_lo:[0,0,1] neg_hi:[0,0,1]
	v_pk_fma_f32 v[20:21], v[136:137], v[120:121], v[20:21] op_sel_hi:[1,0,1]
	s_nop 0
	v_mov_b32_e32 v23, v21
	s_waitcnt vmcnt(3) lgkmcnt(2)
	v_pk_mul_f32 v[20:21], v[8:9], v[122:123] op_sel:[1,1] op_sel_hi:[0,1]
	v_pk_add_f32 v[6:7], v[6:7], v[22:23]
	v_pk_fma_f32 v[22:23], v[8:9], v[122:123], v[20:21] neg_lo:[0,0,1] neg_hi:[0,0,1]
	v_pk_fma_f32 v[8:9], v[8:9], v[122:123], v[20:21] op_sel_hi:[1,0,1]
	s_nop 0
	v_mov_b32_e32 v8, v125
	v_mov_b32_e32 v23, v9
	v_pk_mul_f32 v[8:9], v[10:11], v[8:9] op_sel:[1,0] op_sel_hi:[0,0]
	v_pk_fma_f32 v[20:21], v[10:11], v[124:125], v[8:9] neg_lo:[0,0,1] neg_hi:[0,0,1]
	v_pk_fma_f32 v[8:9], v[10:11], v[124:125], v[8:9] op_sel_hi:[1,0,1]
	v_pk_add_f32 v[6:7], v[6:7], v[22:23]
	v_mov_b32_e32 v21, v9
	s_waitcnt vmcnt(2) lgkmcnt(1)
	v_pk_mul_f32 v[8:9], v[12:13], v[126:127] op_sel:[1,1] op_sel_hi:[0,1]
	v_pk_fma_f32 v[10:11], v[12:13], v[126:127], v[8:9] neg_lo:[0,0,1] neg_hi:[0,0,1]
	v_pk_fma_f32 v[8:9], v[12:13], v[126:127], v[8:9] op_sel_hi:[1,0,1]
	v_pk_add_f32 v[6:7], v[6:7], v[20:21]
	v_mov_b32_e32 v8, v129
	v_mov_b32_e32 v11, v9
	v_pk_mul_f32 v[8:9], v[14:15], v[8:9] op_sel:[1,0] op_sel_hi:[0,0]
	v_pk_add_f32 v[6:7], v[6:7], v[10:11]
	v_pk_fma_f32 v[10:11], v[14:15], v[128:129], v[8:9] neg_lo:[0,0,1] neg_hi:[0,0,1]
	v_pk_fma_f32 v[8:9], v[14:15], v[128:129], v[8:9] op_sel_hi:[1,0,1]
	s_nop 0
	v_mov_b32_e32 v11, v9
	s_waitcnt vmcnt(1) lgkmcnt(0)
	v_pk_mul_f32 v[8:9], v[16:17], v[2:3] op_sel:[1,1] op_sel_hi:[0,1]
	v_pk_add_f32 v[6:7], v[6:7], v[10:11]
	v_pk_fma_f32 v[10:11], v[16:17], v[2:3], v[8:9] neg_lo:[0,0,1] neg_hi:[0,0,1]
	v_pk_fma_f32 v[2:3], v[16:17], v[2:3], v[8:9] op_sel_hi:[1,0,1]
	s_nop 0
	v_mov_b32_e32 v11, v3
	v_pk_add_f32 v[2:3], v[6:7], v[10:11]
	v_mov_b32_e32 v6, v5
	v_pk_mul_f32 v[6:7], v[18:19], v[6:7] op_sel:[1,0] op_sel_hi:[0,0]
	v_pk_fma_f32 v[8:9], v[18:19], v[4:5], v[6:7] neg_lo:[0,0,1] neg_hi:[0,0,1]
	v_pk_fma_f32 v[4:5], v[18:19], v[4:5], v[6:7] op_sel_hi:[1,0,1]
	s_nop 0
	v_mov_b32_e32 v9, v5
	v_pk_add_f32 v[2:3], v[2:3], v[8:9]
	s_waitcnt vmcnt(0)
	v_pk_add_f32 v[2:3], v[36:37], v[2:3] neg_lo:[0,1] neg_hi:[0,1]
	scratch_store_dwordx2 off, v[2:3], off offset:40
	s_and_saveexec_b64 s[0:1], vcc
	s_cbranch_execz .LBB91_173
; %bb.172:
	scratch_load_dwordx2 v[2:3], off, off offset:32
	v_mov_b32_e32 v4, 0
	v_mov_b32_e32 v5, v4
	scratch_store_dwordx2 off, v[4:5], off offset:32
	s_waitcnt vmcnt(1)
	ds_write_b64 v1, v[2:3]
.LBB91_173:
	s_or_b64 exec, exec, s[0:1]
	s_waitcnt lgkmcnt(0)
	; wave barrier
	scratch_load_dwordx4 v[2:5], off, off offset:40
	scratch_load_dwordx4 v[14:17], off, off offset:56
	;; [unrolled: 1-line block ×11, first 2 shown]
	scratch_load_dwordx2 v[22:23], off, off offset:216
	scratch_load_dwordx2 v[36:37], off, off offset:32
	v_mov_b32_e32 v94, 0
	ds_read2_b64 v[108:111], v94 offset0:33 offset1:34
	ds_read2_b64 v[112:115], v94 offset0:35 offset1:36
	;; [unrolled: 1-line block ×8, first 2 shown]
	v_cmp_lt_u32_e32 vcc, 3, v0
	s_waitcnt vmcnt(12) lgkmcnt(7)
	v_mul_f32_e32 v95, v108, v3
	v_mul_f32_e32 v140, v110, v5
	;; [unrolled: 1-line block ×3, first 2 shown]
	v_fmac_f32_e32 v95, v109, v2
	s_waitcnt vmcnt(8) lgkmcnt(3)
	v_mul_f32_e32 v149, v124, v19
	v_mul_f32_e32 v19, v125, v19
	v_mul_f32_e32 v142, v112, v15
	v_mul_f32_e32 v5, v111, v5
	v_fmac_f32_e32 v140, v111, v4
	v_fmac_f32_e32 v149, v125, v18
	v_fma_f32 v2, v108, v2, -v3
	v_fma_f32 v18, v124, v18, -v19
	v_add_f32_e32 v19, 0, v95
	v_mul_f32_e32 v144, v114, v17
	v_fmac_f32_e32 v142, v113, v14
	v_fma_f32 v3, v110, v4, -v5
	v_add_f32_e32 v2, 0, v2
	v_add_f32_e32 v19, v19, v140
	v_mul_f32_e32 v145, v116, v25
	v_fmac_f32_e32 v144, v115, v16
	v_add_f32_e32 v2, v2, v3
	v_add_f32_e32 v3, v19, v142
	v_mul_f32_e32 v146, v118, v27
	v_fmac_f32_e32 v145, v117, v24
	v_add_f32_e32 v3, v3, v144
	v_mul_f32_e32 v147, v120, v29
	v_mul_f32_e32 v15, v113, v15
	v_fmac_f32_e32 v146, v119, v26
	v_add_f32_e32 v3, v3, v145
	v_mul_f32_e32 v148, v122, v31
	v_mul_f32_e32 v17, v115, v17
	v_fmac_f32_e32 v147, v121, v28
	v_fma_f32 v4, v112, v14, -v15
	v_add_f32_e32 v3, v3, v146
	v_mul_f32_e32 v25, v117, v25
	v_fmac_f32_e32 v148, v123, v30
	v_fma_f32 v5, v114, v16, -v17
	v_add_f32_e32 v2, v2, v4
	v_add_f32_e32 v3, v3, v147
	v_mul_f32_e32 v150, v126, v21
	v_mul_f32_e32 v27, v119, v27
	v_fma_f32 v14, v116, v24, -v25
	v_add_f32_e32 v2, v2, v5
	v_add_f32_e32 v3, v3, v148
	s_waitcnt vmcnt(7) lgkmcnt(2)
	v_mul_f32_e32 v151, v128, v33
	v_mul_f32_e32 v29, v121, v29
	v_fmac_f32_e32 v150, v127, v20
	v_fma_f32 v15, v118, v26, -v27
	v_add_f32_e32 v2, v2, v14
	v_add_f32_e32 v3, v3, v149
	v_mul_f32_e32 v152, v130, v35
	v_mul_f32_e32 v31, v123, v31
	v_fmac_f32_e32 v151, v129, v32
	v_fma_f32 v16, v120, v28, -v29
	v_add_f32_e32 v2, v2, v15
	v_add_f32_e32 v3, v3, v150
	s_waitcnt vmcnt(6) lgkmcnt(1)
	v_mul_f32_e32 v153, v132, v97
	v_fmac_f32_e32 v152, v131, v34
	v_fma_f32 v17, v122, v30, -v31
	v_add_f32_e32 v2, v2, v16
	v_add_f32_e32 v3, v3, v151
	v_mul_f32_e32 v21, v127, v21
	v_fmac_f32_e32 v153, v133, v96
	v_add_f32_e32 v2, v2, v17
	v_add_f32_e32 v3, v3, v152
	;; [unrolled: 1-line block ×4, first 2 shown]
	v_fma_f32 v3, v126, v20, -v21
	v_add_f32_e32 v2, v2, v3
	v_mul_f32_e32 v3, v129, v33
	v_fma_f32 v3, v128, v32, -v3
	v_add_f32_e32 v2, v2, v3
	v_mul_f32_e32 v3, v131, v35
	v_fma_f32 v3, v130, v34, -v3
	v_add_f32_e32 v2, v2, v3
	v_mul_f32_e32 v3, v133, v97
	v_fma_f32 v3, v132, v96, -v3
	v_add_f32_e32 v24, v2, v3
	v_mul_f32_e32 v2, v135, v99
	v_mul_f32_e32 v141, v134, v99
	v_fma_f32 v140, v134, v98, -v2
	s_waitcnt vmcnt(5) lgkmcnt(0)
	v_mul_f32_e32 v2, v137, v101
	v_mov_b32_e32 v28, v103
	v_mul_f32_e32 v143, v136, v101
	v_fmac_f32_e32 v141, v135, v98
	v_fma_f32 v142, v136, v100, -v2
	ds_read2_b64 v[2:5], v94 offset0:49 offset1:50
	ds_read2_b64 v[14:17], v94 offset0:51 offset1:52
	;; [unrolled: 1-line block ×3, first 2 shown]
	ds_read_b64 v[26:27], v94 offset:440
	v_pk_mul_f32 v[28:29], v[138:139], v[28:29] op_sel:[1,0] op_sel_hi:[0,0]
	v_fmac_f32_e32 v143, v137, v100
	v_pk_add_f32 v[24:25], v[24:25], v[140:141]
	v_pk_fma_f32 v[30:31], v[138:139], v[102:103], v[28:29] neg_lo:[0,0,1] neg_hi:[0,0,1]
	v_pk_fma_f32 v[28:29], v[138:139], v[102:103], v[28:29] op_sel_hi:[1,0,1]
	v_pk_add_f32 v[24:25], v[24:25], v[142:143]
	v_mov_b32_e32 v31, v29
	s_waitcnt vmcnt(4) lgkmcnt(3)
	v_pk_mul_f32 v[28:29], v[2:3], v[104:105] op_sel:[1,1] op_sel_hi:[0,1]
	v_pk_add_f32 v[24:25], v[24:25], v[30:31]
	v_pk_fma_f32 v[30:31], v[2:3], v[104:105], v[28:29] neg_lo:[0,0,1] neg_hi:[0,0,1]
	v_pk_fma_f32 v[2:3], v[2:3], v[104:105], v[28:29] op_sel_hi:[1,0,1]
	s_nop 0
	v_mov_b32_e32 v31, v3
	v_pk_add_f32 v[2:3], v[24:25], v[30:31]
	v_mov_b32_e32 v24, v107
	v_pk_mul_f32 v[24:25], v[4:5], v[24:25] op_sel:[1,0] op_sel_hi:[0,0]
	v_pk_fma_f32 v[28:29], v[4:5], v[106:107], v[24:25] neg_lo:[0,0,1] neg_hi:[0,0,1]
	v_pk_fma_f32 v[4:5], v[4:5], v[106:107], v[24:25] op_sel_hi:[1,0,1]
	s_nop 0
	v_mov_b32_e32 v29, v5
	s_waitcnt vmcnt(3) lgkmcnt(2)
	v_pk_mul_f32 v[4:5], v[14:15], v[10:11] op_sel:[1,1] op_sel_hi:[0,1]
	v_pk_fma_f32 v[24:25], v[14:15], v[10:11], v[4:5] neg_lo:[0,0,1] neg_hi:[0,0,1]
	v_pk_fma_f32 v[4:5], v[14:15], v[10:11], v[4:5] op_sel_hi:[1,0,1]
	v_pk_add_f32 v[2:3], v[2:3], v[28:29]
	v_mov_b32_e32 v4, v13
	v_mov_b32_e32 v25, v5
	v_pk_mul_f32 v[4:5], v[16:17], v[4:5] op_sel:[1,0] op_sel_hi:[0,0]
	v_pk_fma_f32 v[10:11], v[16:17], v[12:13], v[4:5] neg_lo:[0,0,1] neg_hi:[0,0,1]
	v_pk_fma_f32 v[4:5], v[16:17], v[12:13], v[4:5] op_sel_hi:[1,0,1]
	v_pk_add_f32 v[2:3], v[2:3], v[24:25]
	v_mov_b32_e32 v11, v5
	s_waitcnt vmcnt(2) lgkmcnt(1)
	v_pk_mul_f32 v[4:5], v[18:19], v[6:7] op_sel:[1,1] op_sel_hi:[0,1]
	v_pk_add_f32 v[2:3], v[2:3], v[10:11]
	v_pk_fma_f32 v[10:11], v[18:19], v[6:7], v[4:5] neg_lo:[0,0,1] neg_hi:[0,0,1]
	v_pk_fma_f32 v[4:5], v[18:19], v[6:7], v[4:5] op_sel_hi:[1,0,1]
	s_nop 0
	v_mov_b32_e32 v4, v9
	v_mov_b32_e32 v11, v5
	v_pk_mul_f32 v[4:5], v[20:21], v[4:5] op_sel:[1,0] op_sel_hi:[0,0]
	v_pk_fma_f32 v[6:7], v[20:21], v[8:9], v[4:5] neg_lo:[0,0,1] neg_hi:[0,0,1]
	v_pk_fma_f32 v[4:5], v[20:21], v[8:9], v[4:5] op_sel_hi:[1,0,1]
	v_pk_add_f32 v[2:3], v[2:3], v[10:11]
	v_mov_b32_e32 v7, v5
	s_waitcnt vmcnt(1) lgkmcnt(0)
	v_pk_mul_f32 v[4:5], v[26:27], v[22:23] op_sel:[1,1] op_sel_hi:[0,1]
	v_pk_add_f32 v[2:3], v[2:3], v[6:7]
	v_pk_fma_f32 v[6:7], v[26:27], v[22:23], v[4:5] neg_lo:[0,0,1] neg_hi:[0,0,1]
	v_pk_fma_f32 v[4:5], v[26:27], v[22:23], v[4:5] op_sel_hi:[1,0,1]
	s_nop 0
	v_mov_b32_e32 v7, v5
	v_pk_add_f32 v[2:3], v[2:3], v[6:7]
	s_waitcnt vmcnt(0)
	v_pk_add_f32 v[2:3], v[36:37], v[2:3] neg_lo:[0,1] neg_hi:[0,1]
	scratch_store_dwordx2 off, v[2:3], off offset:32
	s_and_saveexec_b64 s[0:1], vcc
	s_cbranch_execz .LBB91_175
; %bb.174:
	scratch_load_dwordx2 v[2:3], off, off offset:24
	v_mov_b32_e32 v95, v94
	scratch_store_dwordx2 off, v[94:95], off offset:24
	s_waitcnt vmcnt(1)
	ds_write_b64 v1, v[2:3]
.LBB91_175:
	s_or_b64 exec, exec, s[0:1]
	s_waitcnt lgkmcnt(0)
	; wave barrier
	scratch_load_dwordx4 v[6:9], off, off offset:32
	scratch_load_dwordx4 v[18:21], off, off offset:48
	;; [unrolled: 1-line block ×8, first 2 shown]
	ds_read_b128 v[104:107], v94 offset:256
	ds_read_b128 v[108:111], v94 offset:272
	;; [unrolled: 1-line block ×8, first 2 shown]
	scratch_load_dwordx4 v[136:139], off, off offset:160
	scratch_load_dwordx4 v[26:29], off, off offset:176
	;; [unrolled: 1-line block ×4, first 2 shown]
	scratch_load_dwordx2 v[140:141], off, off offset:24
	v_cmp_lt_u32_e32 vcc, 2, v0
	s_waitcnt vmcnt(12) lgkmcnt(7)
	v_mul_f32_e32 v95, v104, v7
	v_mul_f32_e32 v142, v106, v9
	;; [unrolled: 1-line block ×3, first 2 shown]
	v_fmac_f32_e32 v95, v105, v6
	s_waitcnt vmcnt(8) lgkmcnt(3)
	v_mul_f32_e32 v151, v120, v15
	v_mul_f32_e32 v15, v121, v15
	;; [unrolled: 1-line block ×4, first 2 shown]
	v_fmac_f32_e32 v142, v107, v8
	v_fmac_f32_e32 v151, v121, v14
	v_fma_f32 v6, v104, v6, -v7
	v_fma_f32 v14, v120, v14, -v15
	v_add_f32_e32 v15, 0, v95
	v_mul_f32_e32 v146, v110, v21
	v_fmac_f32_e32 v144, v109, v18
	v_fma_f32 v7, v106, v8, -v9
	v_add_f32_e32 v6, 0, v6
	v_add_f32_e32 v15, v15, v142
	v_mul_f32_e32 v147, v112, v35
	v_fmac_f32_e32 v146, v111, v20
	v_add_f32_e32 v6, v6, v7
	v_add_f32_e32 v7, v15, v144
	v_mul_f32_e32 v148, v114, v37
	v_fmac_f32_e32 v147, v113, v34
	v_add_f32_e32 v7, v7, v146
	v_mul_f32_e32 v149, v116, v97
	v_fmac_f32_e32 v148, v115, v36
	;; [unrolled: 3-line block ×4, first 2 shown]
	v_add_f32_e32 v7, v7, v149
	v_mul_f32_e32 v152, v122, v17
	v_mul_f32_e32 v21, v111, v21
	v_fma_f32 v8, v108, v18, -v19
	v_add_f32_e32 v7, v7, v150
	s_waitcnt vmcnt(7) lgkmcnt(2)
	v_mul_f32_e32 v153, v124, v23
	v_mul_f32_e32 v35, v113, v35
	v_fmac_f32_e32 v152, v123, v16
	v_fma_f32 v9, v110, v20, -v21
	v_add_f32_e32 v6, v6, v8
	v_add_f32_e32 v7, v7, v151
	v_mul_f32_e32 v154, v126, v25
	v_mul_f32_e32 v37, v115, v37
	v_fmac_f32_e32 v153, v125, v22
	v_fma_f32 v18, v112, v34, -v35
	v_add_f32_e32 v6, v6, v9
	v_add_f32_e32 v7, v7, v152
	s_waitcnt vmcnt(6) lgkmcnt(1)
	v_mul_f32_e32 v155, v128, v31
	v_mul_f32_e32 v97, v117, v97
	v_fmac_f32_e32 v154, v127, v24
	v_fma_f32 v19, v114, v36, -v37
	v_add_f32_e32 v6, v6, v18
	v_add_f32_e32 v7, v7, v153
	v_mul_f32_e32 v156, v130, v33
	v_mul_f32_e32 v99, v119, v99
	v_fmac_f32_e32 v155, v129, v30
	v_fma_f32 v20, v116, v96, -v97
	v_add_f32_e32 v6, v6, v19
	v_add_f32_e32 v7, v7, v154
	v_fmac_f32_e32 v156, v131, v32
	v_fma_f32 v21, v118, v98, -v99
	v_add_f32_e32 v6, v6, v20
	v_add_f32_e32 v7, v7, v155
	;; [unrolled: 1-line block ×4, first 2 shown]
	v_mul_f32_e32 v7, v123, v17
	v_add_f32_e32 v6, v6, v14
	v_fma_f32 v7, v122, v16, -v7
	v_add_f32_e32 v6, v6, v7
	v_mul_f32_e32 v7, v125, v23
	v_fma_f32 v7, v124, v22, -v7
	v_add_f32_e32 v6, v6, v7
	v_mul_f32_e32 v7, v127, v25
	;; [unrolled: 3-line block ×4, first 2 shown]
	v_fma_f32 v7, v130, v32, -v7
	v_add_f32_e32 v34, v6, v7
	s_waitcnt vmcnt(5) lgkmcnt(0)
	v_mul_f32_e32 v6, v133, v101
	v_fma_f32 v142, v132, v100, -v6
	v_mul_f32_e32 v6, v135, v103
	v_fma_f32 v144, v134, v102, -v6
	ds_read_b128 v[6:9], v94 offset:384
	ds_read_b128 v[14:17], v94 offset:400
	;; [unrolled: 1-line block ×4, first 2 shown]
	v_mul_f32_e32 v143, v132, v101
	v_mul_f32_e32 v145, v134, v103
	v_fmac_f32_e32 v143, v133, v100
	s_waitcnt vmcnt(4) lgkmcnt(3)
	v_pk_mul_f32 v[32:33], v[6:7], v[136:137] op_sel:[1,1] op_sel_hi:[0,1]
	v_fmac_f32_e32 v145, v135, v102
	v_pk_add_f32 v[30:31], v[34:35], v[142:143]
	v_pk_fma_f32 v[34:35], v[6:7], v[136:137], v[32:33] neg_lo:[0,0,1] neg_hi:[0,0,1]
	v_pk_fma_f32 v[6:7], v[6:7], v[136:137], v[32:33] op_sel_hi:[1,0,1]
	v_pk_add_f32 v[30:31], v[30:31], v[144:145]
	v_mov_b32_e32 v35, v7
	v_pk_add_f32 v[6:7], v[30:31], v[34:35]
	v_mov_b32_e32 v30, v139
	v_pk_mul_f32 v[30:31], v[8:9], v[30:31] op_sel:[1,0] op_sel_hi:[0,0]
	v_pk_fma_f32 v[32:33], v[8:9], v[138:139], v[30:31] neg_lo:[0,0,1] neg_hi:[0,0,1]
	v_pk_fma_f32 v[8:9], v[8:9], v[138:139], v[30:31] op_sel_hi:[1,0,1]
	s_nop 0
	v_mov_b32_e32 v33, v9
	s_waitcnt vmcnt(3) lgkmcnt(2)
	v_pk_mul_f32 v[8:9], v[14:15], v[26:27] op_sel:[1,1] op_sel_hi:[0,1]
	v_pk_fma_f32 v[30:31], v[14:15], v[26:27], v[8:9] neg_lo:[0,0,1] neg_hi:[0,0,1]
	v_pk_fma_f32 v[8:9], v[14:15], v[26:27], v[8:9] op_sel_hi:[1,0,1]
	v_pk_add_f32 v[6:7], v[6:7], v[32:33]
	v_mov_b32_e32 v8, v29
	v_mov_b32_e32 v31, v9
	v_pk_mul_f32 v[8:9], v[16:17], v[8:9] op_sel:[1,0] op_sel_hi:[0,0]
	v_pk_fma_f32 v[14:15], v[16:17], v[28:29], v[8:9] neg_lo:[0,0,1] neg_hi:[0,0,1]
	v_pk_fma_f32 v[8:9], v[16:17], v[28:29], v[8:9] op_sel_hi:[1,0,1]
	v_pk_add_f32 v[6:7], v[6:7], v[30:31]
	v_mov_b32_e32 v15, v9
	s_waitcnt vmcnt(2) lgkmcnt(1)
	v_pk_mul_f32 v[8:9], v[18:19], v[10:11] op_sel:[1,1] op_sel_hi:[0,1]
	v_pk_add_f32 v[6:7], v[6:7], v[14:15]
	v_pk_fma_f32 v[14:15], v[18:19], v[10:11], v[8:9] neg_lo:[0,0,1] neg_hi:[0,0,1]
	v_pk_fma_f32 v[8:9], v[18:19], v[10:11], v[8:9] op_sel_hi:[1,0,1]
	s_nop 0
	v_mov_b32_e32 v8, v13
	v_mov_b32_e32 v15, v9
	v_pk_mul_f32 v[8:9], v[20:21], v[8:9] op_sel:[1,0] op_sel_hi:[0,0]
	v_pk_fma_f32 v[10:11], v[20:21], v[12:13], v[8:9] neg_lo:[0,0,1] neg_hi:[0,0,1]
	v_pk_fma_f32 v[8:9], v[20:21], v[12:13], v[8:9] op_sel_hi:[1,0,1]
	v_pk_add_f32 v[6:7], v[6:7], v[14:15]
	v_mov_b32_e32 v11, v9
	s_waitcnt vmcnt(1) lgkmcnt(0)
	v_pk_mul_f32 v[8:9], v[22:23], v[2:3] op_sel:[1,1] op_sel_hi:[0,1]
	v_pk_add_f32 v[6:7], v[6:7], v[10:11]
	v_pk_fma_f32 v[10:11], v[22:23], v[2:3], v[8:9] neg_lo:[0,0,1] neg_hi:[0,0,1]
	v_pk_fma_f32 v[2:3], v[22:23], v[2:3], v[8:9] op_sel_hi:[1,0,1]
	s_nop 0
	v_mov_b32_e32 v11, v3
	v_pk_add_f32 v[2:3], v[6:7], v[10:11]
	v_mov_b32_e32 v6, v5
	v_pk_mul_f32 v[6:7], v[24:25], v[6:7] op_sel:[1,0] op_sel_hi:[0,0]
	v_pk_fma_f32 v[8:9], v[24:25], v[4:5], v[6:7] neg_lo:[0,0,1] neg_hi:[0,0,1]
	v_pk_fma_f32 v[4:5], v[24:25], v[4:5], v[6:7] op_sel_hi:[1,0,1]
	s_nop 0
	v_mov_b32_e32 v9, v5
	v_pk_add_f32 v[2:3], v[2:3], v[8:9]
	s_waitcnt vmcnt(0)
	v_pk_add_f32 v[2:3], v[140:141], v[2:3] neg_lo:[0,1] neg_hi:[0,1]
	scratch_store_dwordx2 off, v[2:3], off offset:24
	s_and_saveexec_b64 s[0:1], vcc
	s_cbranch_execz .LBB91_177
; %bb.176:
	scratch_load_dwordx2 v[2:3], off, off offset:16
	v_mov_b32_e32 v4, 0
	v_mov_b32_e32 v5, v4
	scratch_store_dwordx2 off, v[4:5], off offset:16
	s_waitcnt vmcnt(1)
	ds_write_b64 v1, v[2:3]
.LBB91_177:
	s_or_b64 exec, exec, s[0:1]
	s_waitcnt lgkmcnt(0)
	; wave barrier
	scratch_load_dwordx4 v[8:11], off, off offset:24
	scratch_load_dwordx4 v[16:19], off, off offset:40
	;; [unrolled: 1-line block ×8, first 2 shown]
	v_mov_b32_e32 v2, 0
	ds_read2_b64 v[4:7], v2 offset0:31 offset1:32
	ds_read2_b64 v[94:97], v2 offset0:39 offset1:40
	scratch_load_dwordx4 v[130:133], off, off offset:152
	ds_read2_b64 v[126:129], v2 offset0:47 offset1:48
	v_cmp_lt_u32_e32 vcc, 1, v0
	ds_read2_b64 v[102:105], v2 offset0:41 offset1:42
	ds_read2_b64 v[110:113], v2 offset0:43 offset1:44
	;; [unrolled: 1-line block ×3, first 2 shown]
	s_waitcnt vmcnt(8) lgkmcnt(5)
	v_mul_f32_e32 v3, v4, v9
	v_fmac_f32_e32 v3, v5, v8
	v_mul_f32_e32 v12, v6, v11
	v_add_f32_e32 v3, 0, v3
	v_fmac_f32_e32 v12, v7, v10
	v_add_f32_e32 v3, v3, v12
	ds_read2_b64 v[12:15], v2 offset0:33 offset1:34
	s_waitcnt vmcnt(1) lgkmcnt(1)
	v_mul_f32_e32 v147, v120, v125
	v_fmac_f32_e32 v147, v121, v124
	s_waitcnt lgkmcnt(0)
	v_mul_f32_e32 v20, v12, v17
	v_fmac_f32_e32 v20, v13, v16
	v_add_f32_e32 v3, v3, v20
	v_mul_f32_e32 v20, v14, v19
	v_fmac_f32_e32 v20, v15, v18
	v_add_f32_e32 v3, v3, v20
	ds_read2_b64 v[20:23], v2 offset0:35 offset1:36
	s_waitcnt vmcnt(0)
	v_mul_f32_e32 v149, v126, v131
	v_fmac_f32_e32 v149, v127, v130
	s_waitcnt lgkmcnt(0)
	v_mul_f32_e32 v28, v20, v25
	v_fmac_f32_e32 v28, v21, v24
	v_add_f32_e32 v3, v3, v28
	v_mul_f32_e32 v28, v22, v27
	v_fmac_f32_e32 v28, v23, v26
	v_add_f32_e32 v3, v3, v28
	ds_read2_b64 v[28:31], v2 offset0:37 offset1:38
	scratch_load_dwordx4 v[134:137], off, off offset:168
	scratch_load_dwordx4 v[138:141], off, off offset:184
	;; [unrolled: 1-line block ×3, first 2 shown]
	scratch_load_dwordx2 v[150:151], off, off offset:216
	s_waitcnt lgkmcnt(0)
	v_mul_f32_e32 v36, v28, v33
	v_fmac_f32_e32 v36, v29, v32
	v_add_f32_e32 v3, v3, v36
	v_mul_f32_e32 v36, v30, v35
	v_fmac_f32_e32 v36, v31, v34
	v_add_f32_e32 v3, v3, v36
	v_mul_f32_e32 v36, v94, v99
	v_fmac_f32_e32 v36, v95, v98
	v_add_f32_e32 v3, v3, v36
	v_mul_f32_e32 v36, v96, v101
	v_fmac_f32_e32 v36, v97, v100
	v_add_f32_e32 v3, v3, v36
	v_mul_f32_e32 v36, v102, v107
	v_fmac_f32_e32 v36, v103, v106
	v_add_f32_e32 v3, v3, v36
	v_mul_f32_e32 v36, v104, v109
	v_fmac_f32_e32 v36, v105, v108
	v_add_f32_e32 v3, v3, v36
	v_mul_f32_e32 v36, v110, v115
	v_fmac_f32_e32 v36, v111, v114
	v_add_f32_e32 v3, v3, v36
	v_mul_f32_e32 v36, v112, v117
	v_fmac_f32_e32 v36, v113, v116
	v_add_f32_e32 v3, v3, v36
	v_mul_f32_e32 v36, v118, v123
	v_fmac_f32_e32 v36, v119, v122
	v_add_f32_e32 v37, v3, v36
	v_mul_f32_e32 v3, v5, v9
	v_fma_f32 v3, v4, v8, -v3
	v_mul_f32_e32 v4, v7, v11
	v_add_f32_e32 v3, 0, v3
	v_fma_f32 v4, v6, v10, -v4
	v_add_f32_e32 v3, v3, v4
	v_mul_f32_e32 v4, v13, v17
	v_fma_f32 v4, v12, v16, -v4
	v_add_f32_e32 v3, v3, v4
	v_mul_f32_e32 v4, v15, v19
	;; [unrolled: 3-line block ×14, first 2 shown]
	v_mov_b32_e32 v20, v133
	v_fma_f32 v146, v120, v124, -v3
	v_mul_f32_e32 v3, v127, v131
	ds_read2_b64 v[4:7], v2 offset0:49 offset1:50
	ds_read2_b64 v[8:11], v2 offset0:51 offset1:52
	;; [unrolled: 1-line block ×3, first 2 shown]
	ds_read_b64 v[16:17], v2 offset:440
	v_pk_mul_f32 v[20:21], v[128:129], v[20:21] op_sel:[1,0] op_sel_hi:[0,0]
	v_fma_f32 v148, v126, v130, -v3
	v_pk_add_f32 v[18:19], v[36:37], v[146:147]
	v_pk_fma_f32 v[22:23], v[128:129], v[132:133], v[20:21] neg_lo:[0,0,1] neg_hi:[0,0,1]
	v_pk_fma_f32 v[20:21], v[128:129], v[132:133], v[20:21] op_sel_hi:[1,0,1]
	v_pk_add_f32 v[18:19], v[18:19], v[148:149]
	v_mov_b32_e32 v23, v21
	s_waitcnt vmcnt(3) lgkmcnt(3)
	v_pk_mul_f32 v[20:21], v[4:5], v[134:135] op_sel:[1,1] op_sel_hi:[0,1]
	v_pk_add_f32 v[18:19], v[18:19], v[22:23]
	v_pk_fma_f32 v[22:23], v[4:5], v[134:135], v[20:21] neg_lo:[0,0,1] neg_hi:[0,0,1]
	v_pk_fma_f32 v[4:5], v[4:5], v[134:135], v[20:21] op_sel_hi:[1,0,1]
	s_nop 0
	v_mov_b32_e32 v23, v5
	v_pk_add_f32 v[4:5], v[18:19], v[22:23]
	v_mov_b32_e32 v18, v137
	v_pk_mul_f32 v[18:19], v[6:7], v[18:19] op_sel:[1,0] op_sel_hi:[0,0]
	v_pk_fma_f32 v[20:21], v[6:7], v[136:137], v[18:19] neg_lo:[0,0,1] neg_hi:[0,0,1]
	v_pk_fma_f32 v[6:7], v[6:7], v[136:137], v[18:19] op_sel_hi:[1,0,1]
	s_nop 0
	v_mov_b32_e32 v21, v7
	s_waitcnt vmcnt(2) lgkmcnt(2)
	v_pk_mul_f32 v[6:7], v[8:9], v[138:139] op_sel:[1,1] op_sel_hi:[0,1]
	v_pk_fma_f32 v[18:19], v[8:9], v[138:139], v[6:7] neg_lo:[0,0,1] neg_hi:[0,0,1]
	v_pk_fma_f32 v[6:7], v[8:9], v[138:139], v[6:7] op_sel_hi:[1,0,1]
	v_pk_add_f32 v[4:5], v[4:5], v[20:21]
	v_mov_b32_e32 v6, v141
	v_mov_b32_e32 v19, v7
	v_pk_mul_f32 v[6:7], v[10:11], v[6:7] op_sel:[1,0] op_sel_hi:[0,0]
	v_pk_fma_f32 v[8:9], v[10:11], v[140:141], v[6:7] neg_lo:[0,0,1] neg_hi:[0,0,1]
	v_pk_fma_f32 v[6:7], v[10:11], v[140:141], v[6:7] op_sel_hi:[1,0,1]
	v_pk_add_f32 v[4:5], v[4:5], v[18:19]
	v_mov_b32_e32 v9, v7
	s_waitcnt vmcnt(1) lgkmcnt(1)
	v_pk_mul_f32 v[6:7], v[12:13], v[142:143] op_sel:[1,1] op_sel_hi:[0,1]
	v_pk_add_f32 v[4:5], v[4:5], v[8:9]
	v_pk_fma_f32 v[8:9], v[12:13], v[142:143], v[6:7] neg_lo:[0,0,1] neg_hi:[0,0,1]
	v_pk_fma_f32 v[6:7], v[12:13], v[142:143], v[6:7] op_sel_hi:[1,0,1]
	s_nop 0
	v_mov_b32_e32 v6, v145
	v_mov_b32_e32 v9, v7
	v_pk_mul_f32 v[6:7], v[14:15], v[6:7] op_sel:[1,0] op_sel_hi:[0,0]
	v_pk_add_f32 v[4:5], v[4:5], v[8:9]
	v_pk_fma_f32 v[8:9], v[14:15], v[144:145], v[6:7] neg_lo:[0,0,1] neg_hi:[0,0,1]
	v_pk_fma_f32 v[6:7], v[14:15], v[144:145], v[6:7] op_sel_hi:[1,0,1]
	s_nop 0
	v_mov_b32_e32 v9, v7
	s_waitcnt vmcnt(0) lgkmcnt(0)
	v_pk_mul_f32 v[6:7], v[16:17], v[150:151] op_sel:[1,1] op_sel_hi:[0,1]
	v_pk_add_f32 v[4:5], v[4:5], v[8:9]
	v_pk_fma_f32 v[8:9], v[16:17], v[150:151], v[6:7] neg_lo:[0,0,1] neg_hi:[0,0,1]
	v_pk_fma_f32 v[6:7], v[16:17], v[150:151], v[6:7] op_sel_hi:[1,0,1]
	s_nop 0
	v_mov_b32_e32 v9, v7
	scratch_load_dwordx2 v[6:7], off, off offset:16
	v_pk_add_f32 v[4:5], v[4:5], v[8:9]
	s_waitcnt vmcnt(0)
	v_pk_add_f32 v[4:5], v[6:7], v[4:5] neg_lo:[0,1] neg_hi:[0,1]
	scratch_store_dwordx2 off, v[4:5], off offset:16
	s_and_saveexec_b64 s[0:1], vcc
	s_cbranch_execz .LBB91_179
; %bb.178:
	scratch_load_dwordx2 v[4:5], off, off offset:8
	v_mov_b32_e32 v3, v2
	scratch_store_dwordx2 off, v[2:3], off offset:8
	s_waitcnt vmcnt(1)
	ds_write_b64 v1, v[4:5]
.LBB91_179:
	s_or_b64 exec, exec, s[0:1]
	s_waitcnt lgkmcnt(0)
	; wave barrier
	ds_read_b128 v[4:7], v2 offset:240
	ds_read_b128 v[8:11], v2 offset:256
	;; [unrolled: 1-line block ×4, first 2 shown]
	scratch_load_dwordx4 v[20:23], off, off offset:16
	scratch_load_dwordx4 v[98:101], off, off offset:80
	ds_read_b128 v[94:97], v2 offset:304
	ds_read_b128 v[102:105], v2 offset:320
	;; [unrolled: 1-line block ×5, first 2 shown]
	scratch_load_dwordx4 v[130:133], off, off offset:144
	v_cmp_ne_u32_e32 vcc, 0, v0
	scratch_load_dwordx4 v[106:109], off, off offset:96
	scratch_load_dwordx4 v[114:117], off, off offset:112
	;; [unrolled: 1-line block ×3, first 2 shown]
	s_waitcnt vmcnt(5) lgkmcnt(8)
	v_mul_f32_e32 v3, v4, v21
	v_fmac_f32_e32 v3, v5, v20
	v_mul_f32_e32 v24, v6, v23
	v_add_f32_e32 v3, 0, v3
	v_fmac_f32_e32 v24, v7, v22
	v_add_f32_e32 v3, v3, v24
	scratch_load_dwordx4 v[24:27], off, off offset:32
	s_waitcnt vmcnt(4) lgkmcnt(0)
	v_mul_f32_e32 v151, v126, v131
	v_fmac_f32_e32 v151, v127, v130
	v_mul_f32_e32 v153, v128, v133
	v_fmac_f32_e32 v153, v129, v132
	s_waitcnt vmcnt(0)
	v_mul_f32_e32 v28, v8, v25
	v_fmac_f32_e32 v28, v9, v24
	v_add_f32_e32 v3, v3, v28
	v_mul_f32_e32 v28, v10, v27
	v_fmac_f32_e32 v28, v11, v26
	v_add_f32_e32 v3, v3, v28
	scratch_load_dwordx4 v[28:31], off, off offset:48
	s_waitcnt vmcnt(0)
	v_mul_f32_e32 v32, v12, v29
	v_fmac_f32_e32 v32, v13, v28
	v_add_f32_e32 v3, v3, v32
	v_mul_f32_e32 v32, v14, v31
	v_fmac_f32_e32 v32, v15, v30
	v_add_f32_e32 v3, v3, v32
	scratch_load_dwordx4 v[32:35], off, off offset:64
	scratch_load_dwordx4 v[134:137], off, off offset:160
	;; [unrolled: 1-line block ×5, first 2 shown]
	s_waitcnt vmcnt(4)
	v_mul_f32_e32 v36, v16, v33
	v_fmac_f32_e32 v36, v17, v32
	v_add_f32_e32 v3, v3, v36
	v_mul_f32_e32 v36, v18, v35
	v_fmac_f32_e32 v36, v19, v34
	v_add_f32_e32 v3, v3, v36
	;; [unrolled: 3-line block ×10, first 2 shown]
	v_mul_f32_e32 v3, v5, v21
	v_fma_f32 v3, v4, v20, -v3
	v_mul_f32_e32 v4, v7, v23
	v_add_f32_e32 v3, 0, v3
	v_fma_f32 v4, v6, v22, -v4
	v_add_f32_e32 v3, v3, v4
	v_mul_f32_e32 v4, v9, v25
	v_fma_f32 v4, v8, v24, -v4
	v_add_f32_e32 v3, v3, v4
	v_mul_f32_e32 v4, v11, v27
	;; [unrolled: 3-line block ×14, first 2 shown]
	v_fma_f32 v4, v120, v124, -v4
	v_add_f32_e32 v36, v3, v4
	ds_read_b128 v[4:7], v2 offset:384
	ds_read_b128 v[8:11], v2 offset:400
	;; [unrolled: 1-line block ×4, first 2 shown]
	v_mul_f32_e32 v3, v127, v131
	s_waitcnt vmcnt(3) lgkmcnt(3)
	v_pk_mul_f32 v[20:21], v[4:5], v[134:135] op_sel:[1,1] op_sel_hi:[0,1]
	v_pk_fma_f32 v[22:23], v[4:5], v[134:135], v[20:21] neg_lo:[0,0,1] neg_hi:[0,0,1]
	v_pk_fma_f32 v[4:5], v[4:5], v[134:135], v[20:21] op_sel_hi:[1,0,1]
	v_fma_f32 v150, v126, v130, -v3
	v_mov_b32_e32 v4, v137
	v_mov_b32_e32 v23, v5
	v_pk_mul_f32 v[4:5], v[6:7], v[4:5] op_sel:[1,0] op_sel_hi:[0,0]
	v_mul_f32_e32 v3, v129, v133
	v_pk_fma_f32 v[20:21], v[6:7], v[136:137], v[4:5] neg_lo:[0,0,1] neg_hi:[0,0,1]
	v_pk_fma_f32 v[4:5], v[6:7], v[136:137], v[4:5] op_sel_hi:[1,0,1]
	v_fma_f32 v152, v128, v132, -v3
	v_pk_add_f32 v[2:3], v[36:37], v[150:151]
	v_mov_b32_e32 v21, v5
	s_waitcnt vmcnt(2) lgkmcnt(2)
	v_pk_mul_f32 v[4:5], v[8:9], v[138:139] op_sel:[1,1] op_sel_hi:[0,1]
	v_pk_add_f32 v[2:3], v[2:3], v[152:153]
	v_pk_fma_f32 v[6:7], v[8:9], v[138:139], v[4:5] neg_lo:[0,0,1] neg_hi:[0,0,1]
	v_pk_fma_f32 v[4:5], v[8:9], v[138:139], v[4:5] op_sel_hi:[1,0,1]
	v_pk_add_f32 v[2:3], v[2:3], v[22:23]
	v_mov_b32_e32 v4, v141
	v_pk_add_f32 v[2:3], v[2:3], v[20:21]
	v_mov_b32_e32 v7, v5
	v_pk_mul_f32 v[4:5], v[10:11], v[4:5] op_sel:[1,0] op_sel_hi:[0,0]
	v_pk_add_f32 v[2:3], v[2:3], v[6:7]
	v_pk_fma_f32 v[6:7], v[10:11], v[140:141], v[4:5] neg_lo:[0,0,1] neg_hi:[0,0,1]
	v_pk_fma_f32 v[4:5], v[10:11], v[140:141], v[4:5] op_sel_hi:[1,0,1]
	s_nop 0
	v_mov_b32_e32 v7, v5
	s_waitcnt vmcnt(1) lgkmcnt(1)
	v_pk_mul_f32 v[4:5], v[12:13], v[142:143] op_sel:[1,1] op_sel_hi:[0,1]
	v_pk_add_f32 v[2:3], v[2:3], v[6:7]
	v_pk_fma_f32 v[6:7], v[12:13], v[142:143], v[4:5] neg_lo:[0,0,1] neg_hi:[0,0,1]
	v_pk_fma_f32 v[4:5], v[12:13], v[142:143], v[4:5] op_sel_hi:[1,0,1]
	s_nop 0
	v_mov_b32_e32 v4, v145
	v_mov_b32_e32 v7, v5
	v_pk_mul_f32 v[4:5], v[14:15], v[4:5] op_sel:[1,0] op_sel_hi:[0,0]
	v_pk_add_f32 v[2:3], v[2:3], v[6:7]
	v_pk_fma_f32 v[6:7], v[14:15], v[144:145], v[4:5] neg_lo:[0,0,1] neg_hi:[0,0,1]
	v_pk_fma_f32 v[4:5], v[14:15], v[144:145], v[4:5] op_sel_hi:[1,0,1]
	s_nop 0
	v_mov_b32_e32 v7, v5
	s_waitcnt vmcnt(0) lgkmcnt(0)
	v_pk_mul_f32 v[4:5], v[16:17], v[146:147] op_sel:[1,1] op_sel_hi:[0,1]
	v_pk_add_f32 v[2:3], v[2:3], v[6:7]
	v_pk_fma_f32 v[6:7], v[16:17], v[146:147], v[4:5] neg_lo:[0,0,1] neg_hi:[0,0,1]
	v_pk_fma_f32 v[4:5], v[16:17], v[146:147], v[4:5] op_sel_hi:[1,0,1]
	s_nop 0
	v_mov_b32_e32 v4, v149
	v_mov_b32_e32 v7, v5
	v_pk_mul_f32 v[4:5], v[18:19], v[4:5] op_sel:[1,0] op_sel_hi:[0,0]
	v_pk_add_f32 v[2:3], v[2:3], v[6:7]
	v_pk_fma_f32 v[6:7], v[18:19], v[148:149], v[4:5] neg_lo:[0,0,1] neg_hi:[0,0,1]
	v_pk_fma_f32 v[4:5], v[18:19], v[148:149], v[4:5] op_sel_hi:[1,0,1]
	s_nop 0
	v_mov_b32_e32 v7, v5
	scratch_load_dwordx2 v[4:5], off, off offset:8
	v_pk_add_f32 v[2:3], v[2:3], v[6:7]
	s_waitcnt vmcnt(0)
	v_pk_add_f32 v[2:3], v[4:5], v[2:3] neg_lo:[0,1] neg_hi:[0,1]
	scratch_store_dwordx2 off, v[2:3], off offset:8
	s_and_saveexec_b64 s[0:1], vcc
	s_cbranch_execz .LBB91_181
; %bb.180:
	scratch_load_dwordx2 v[2:3], off, off
	v_mov_b32_e32 v4, 0
	v_mov_b32_e32 v5, v4
	scratch_store_dwordx2 off, v[4:5], off
	s_waitcnt vmcnt(1)
	ds_write_b64 v1, v[2:3]
.LBB91_181:
	s_or_b64 exec, exec, s[0:1]
	s_waitcnt lgkmcnt(0)
	; wave barrier
	scratch_load_dwordx4 v[8:11], off, off offset:8
	scratch_load_dwordx4 v[16:19], off, off offset:24
	;; [unrolled: 1-line block ×10, first 2 shown]
	v_mov_b32_e32 v2, 0
	ds_read2_b64 v[4:7], v2 offset0:29 offset1:30
	ds_read2_b64 v[12:15], v2 offset0:31 offset1:32
	;; [unrolled: 1-line block ×10, first 2 shown]
	scratch_load_dwordx4 v[142:145], off, off offset:168
	scratch_load_dwordx4 v[146:149], off, off offset:184
	;; [unrolled: 1-line block ×3, first 2 shown]
	scratch_load_dwordx2 v[156:157], off, off offset:216
	s_and_b64 vcc, exec, s[10:11]
	s_waitcnt vmcnt(13) lgkmcnt(9)
	v_mul_f32_e32 v0, v4, v9
	v_fmac_f32_e32 v0, v5, v8
	v_mul_f32_e32 v1, v6, v11
	v_add_f32_e32 v0, 0, v0
	v_fmac_f32_e32 v1, v7, v10
	v_add_f32_e32 v0, v0, v1
	s_waitcnt vmcnt(12) lgkmcnt(8)
	v_mul_f32_e32 v1, v12, v17
	v_fmac_f32_e32 v1, v13, v16
	v_add_f32_e32 v0, v0, v1
	v_mul_f32_e32 v1, v14, v19
	v_fmac_f32_e32 v1, v15, v18
	v_add_f32_e32 v0, v0, v1
	s_waitcnt vmcnt(11) lgkmcnt(7)
	v_mul_f32_e32 v1, v20, v25
	v_fmac_f32_e32 v1, v21, v24
	v_add_f32_e32 v0, v0, v1
	v_mul_f32_e32 v1, v22, v27
	;; [unrolled: 7-line block ×8, first 2 shown]
	v_fma_f32 v0, v4, v8, -v0
	v_mul_f32_e32 v3, v7, v11
	v_add_f32_e32 v0, 0, v0
	v_fma_f32 v3, v6, v10, -v3
	v_add_f32_e32 v0, v0, v3
	v_mul_f32_e32 v3, v13, v17
	v_fma_f32 v3, v12, v16, -v3
	v_add_f32_e32 v0, v0, v3
	v_mul_f32_e32 v3, v15, v19
	;; [unrolled: 3-line block ×15, first 2 shown]
	v_fma_f32 v3, v126, v130, -v3
	v_mul_f32_e32 v37, v128, v133
	v_add_f32_e32 v0, v0, v3
	v_mul_f32_e32 v3, v129, v133
	s_waitcnt vmcnt(4)
	v_mov_b32_e32 v18, v141
	v_fmac_f32_e32 v37, v129, v132
	s_waitcnt lgkmcnt(0)
	v_mul_f32_e32 v155, v134, v139
	v_fma_f32 v36, v128, v132, -v3
	v_mul_f32_e32 v3, v135, v139
	ds_read2_b64 v[4:7], v2 offset0:49 offset1:50
	ds_read2_b64 v[8:11], v2 offset0:51 offset1:52
	;; [unrolled: 1-line block ×3, first 2 shown]
	ds_read_b64 v[16:17], v2 offset:440
	v_pk_mul_f32 v[18:19], v[136:137], v[18:19] op_sel:[1,0] op_sel_hi:[0,0]
	v_fmac_f32_e32 v155, v135, v138
	v_fma_f32 v154, v134, v138, -v3
	v_pk_add_f32 v[0:1], v[0:1], v[36:37]
	v_pk_fma_f32 v[20:21], v[136:137], v[140:141], v[18:19] neg_lo:[0,0,1] neg_hi:[0,0,1]
	v_pk_fma_f32 v[18:19], v[136:137], v[140:141], v[18:19] op_sel_hi:[1,0,1]
	v_pk_add_f32 v[0:1], v[0:1], v[154:155]
	v_mov_b32_e32 v21, v19
	s_waitcnt vmcnt(3) lgkmcnt(3)
	v_pk_mul_f32 v[18:19], v[4:5], v[142:143] op_sel:[1,1] op_sel_hi:[0,1]
	v_pk_add_f32 v[0:1], v[0:1], v[20:21]
	v_pk_fma_f32 v[20:21], v[4:5], v[142:143], v[18:19] neg_lo:[0,0,1] neg_hi:[0,0,1]
	v_pk_fma_f32 v[4:5], v[4:5], v[142:143], v[18:19] op_sel_hi:[1,0,1]
	s_nop 0
	v_mov_b32_e32 v4, v145
	v_mov_b32_e32 v21, v5
	v_pk_mul_f32 v[4:5], v[6:7], v[4:5] op_sel:[1,0] op_sel_hi:[0,0]
	v_pk_fma_f32 v[18:19], v[6:7], v[144:145], v[4:5] neg_lo:[0,0,1] neg_hi:[0,0,1]
	v_pk_fma_f32 v[4:5], v[6:7], v[144:145], v[4:5] op_sel_hi:[1,0,1]
	v_pk_add_f32 v[0:1], v[0:1], v[20:21]
	v_mov_b32_e32 v19, v5
	s_waitcnt vmcnt(2) lgkmcnt(2)
	v_pk_mul_f32 v[4:5], v[8:9], v[146:147] op_sel:[1,1] op_sel_hi:[0,1]
	v_pk_fma_f32 v[6:7], v[8:9], v[146:147], v[4:5] neg_lo:[0,0,1] neg_hi:[0,0,1]
	v_pk_fma_f32 v[4:5], v[8:9], v[146:147], v[4:5] op_sel_hi:[1,0,1]
	v_pk_add_f32 v[0:1], v[0:1], v[18:19]
	v_mov_b32_e32 v4, v149
	v_mov_b32_e32 v7, v5
	v_pk_mul_f32 v[4:5], v[10:11], v[4:5] op_sel:[1,0] op_sel_hi:[0,0]
	v_pk_add_f32 v[0:1], v[0:1], v[6:7]
	v_pk_fma_f32 v[6:7], v[10:11], v[148:149], v[4:5] neg_lo:[0,0,1] neg_hi:[0,0,1]
	v_pk_fma_f32 v[4:5], v[10:11], v[148:149], v[4:5] op_sel_hi:[1,0,1]
	s_nop 0
	v_mov_b32_e32 v7, v5
	s_waitcnt vmcnt(1) lgkmcnt(1)
	v_pk_mul_f32 v[4:5], v[12:13], v[150:151] op_sel:[1,1] op_sel_hi:[0,1]
	v_pk_add_f32 v[0:1], v[0:1], v[6:7]
	v_pk_fma_f32 v[6:7], v[12:13], v[150:151], v[4:5] neg_lo:[0,0,1] neg_hi:[0,0,1]
	v_pk_fma_f32 v[4:5], v[12:13], v[150:151], v[4:5] op_sel_hi:[1,0,1]
	s_nop 0
	v_mov_b32_e32 v4, v153
	v_mov_b32_e32 v7, v5
	v_pk_mul_f32 v[4:5], v[14:15], v[4:5] op_sel:[1,0] op_sel_hi:[0,0]
	v_pk_add_f32 v[0:1], v[0:1], v[6:7]
	v_pk_fma_f32 v[6:7], v[14:15], v[152:153], v[4:5] neg_lo:[0,0,1] neg_hi:[0,0,1]
	v_pk_fma_f32 v[4:5], v[14:15], v[152:153], v[4:5] op_sel_hi:[1,0,1]
	s_nop 0
	v_mov_b32_e32 v7, v5
	s_waitcnt vmcnt(0) lgkmcnt(0)
	v_pk_mul_f32 v[4:5], v[16:17], v[156:157] op_sel:[1,1] op_sel_hi:[0,1]
	v_pk_add_f32 v[0:1], v[0:1], v[6:7]
	v_pk_fma_f32 v[6:7], v[16:17], v[156:157], v[4:5] neg_lo:[0,0,1] neg_hi:[0,0,1]
	v_pk_fma_f32 v[4:5], v[16:17], v[156:157], v[4:5] op_sel_hi:[1,0,1]
	s_nop 0
	v_mov_b32_e32 v7, v5
	scratch_load_dwordx2 v[4:5], off, off
	v_pk_add_f32 v[0:1], v[0:1], v[6:7]
	s_waitcnt vmcnt(0)
	v_pk_add_f32 v[0:1], v[4:5], v[0:1] neg_lo:[0,1] neg_hi:[0,1]
	scratch_store_dwordx2 off, v[0:1], off
	s_cbranch_vccz .LBB91_236
; %bb.182:
	global_load_dword v0, v2, s[8:9] offset:104
	s_waitcnt vmcnt(0)
	v_readfirstlane_b32 s0, v0
	s_add_i32 s0, s0, -1
	s_cmp_lg_u32 s0, 26
	s_cbranch_scc0 .LBB91_184
; %bb.183:
	s_lshl_b32 s0, s0, 3
	s_nop 0
	scratch_load_dwordx2 v[0:1], off, s0
	scratch_load_dwordx2 v[2:3], off, off offset:208
	s_waitcnt vmcnt(1)
	scratch_store_dwordx2 off, v[0:1], off offset:208
	s_waitcnt vmcnt(1)
	scratch_store_dwordx2 off, v[2:3], s0
.LBB91_184:
	v_mov_b32_e32 v0, 0
	global_load_dword v1, v0, s[8:9] offset:100
	s_waitcnt vmcnt(0)
	v_readfirstlane_b32 s0, v1
	s_add_i32 s0, s0, -1
	s_cmp_eq_u32 s0, 25
	s_cbranch_scc1 .LBB91_186
; %bb.185:
	s_lshl_b32 s0, s0, 3
	s_nop 0
	scratch_load_dwordx2 v[2:3], off, s0
	scratch_load_dwordx2 v[4:5], off, off offset:200
	s_waitcnt vmcnt(1)
	scratch_store_dwordx2 off, v[2:3], off offset:200
	s_waitcnt vmcnt(1)
	scratch_store_dwordx2 off, v[4:5], s0
.LBB91_186:
	global_load_dword v0, v0, s[8:9] offset:96
	s_waitcnt vmcnt(0)
	v_readfirstlane_b32 s0, v0
	s_add_i32 s0, s0, -1
	s_cmp_eq_u32 s0, 24
	s_cbranch_scc1 .LBB91_188
; %bb.187:
	s_lshl_b32 s0, s0, 3
	s_nop 0
	scratch_load_dwordx2 v[0:1], off, s0
	scratch_load_dwordx2 v[2:3], off, off offset:192
	s_waitcnt vmcnt(1)
	scratch_store_dwordx2 off, v[0:1], off offset:192
	s_waitcnt vmcnt(1)
	scratch_store_dwordx2 off, v[2:3], s0
.LBB91_188:
	v_mov_b32_e32 v0, 0
	global_load_dword v1, v0, s[8:9] offset:92
	s_waitcnt vmcnt(0)
	v_readfirstlane_b32 s0, v1
	s_add_i32 s0, s0, -1
	s_cmp_eq_u32 s0, 23
	s_cbranch_scc1 .LBB91_190
; %bb.189:
	s_lshl_b32 s0, s0, 3
	s_nop 0
	scratch_load_dwordx2 v[2:3], off, s0
	scratch_load_dwordx2 v[4:5], off, off offset:184
	s_waitcnt vmcnt(1)
	scratch_store_dwordx2 off, v[2:3], off offset:184
	s_waitcnt vmcnt(1)
	scratch_store_dwordx2 off, v[4:5], s0
.LBB91_190:
	global_load_dword v0, v0, s[8:9] offset:88
	s_waitcnt vmcnt(0)
	v_readfirstlane_b32 s0, v0
	s_add_i32 s0, s0, -1
	s_cmp_eq_u32 s0, 22
	s_cbranch_scc1 .LBB91_192
; %bb.191:
	s_lshl_b32 s0, s0, 3
	s_nop 0
	scratch_load_dwordx2 v[0:1], off, s0
	scratch_load_dwordx2 v[2:3], off, off offset:176
	s_waitcnt vmcnt(1)
	scratch_store_dwordx2 off, v[0:1], off offset:176
	s_waitcnt vmcnt(1)
	scratch_store_dwordx2 off, v[2:3], s0
.LBB91_192:
	;; [unrolled: 33-line block ×12, first 2 shown]
	v_mov_b32_e32 v0, 0
	global_load_dword v1, v0, s[8:9] offset:4
	s_waitcnt vmcnt(0)
	v_readfirstlane_b32 s0, v1
	s_add_i32 s0, s0, -1
	s_cmp_eq_u32 s0, 1
	s_cbranch_scc1 .LBB91_234
; %bb.233:
	s_lshl_b32 s0, s0, 3
	s_nop 0
	scratch_load_dwordx2 v[2:3], off, s0
	scratch_load_dwordx2 v[4:5], off, off offset:8
	s_waitcnt vmcnt(1)
	scratch_store_dwordx2 off, v[2:3], off offset:8
	s_waitcnt vmcnt(1)
	scratch_store_dwordx2 off, v[4:5], s0
.LBB91_234:
	global_load_dword v2, v0, s[8:9]
	s_nop 0
	scratch_load_dwordx2 v[0:1], off, off
	s_waitcnt vmcnt(1)
	v_readfirstlane_b32 s0, v2
	s_add_i32 s0, s0, -1
	s_cmp_eq_u32 s0, 0
	s_cbranch_scc1 .LBB91_236
; %bb.235:
	s_lshl_b32 s0, s0, 3
	s_nop 0
	scratch_load_dwordx2 v[2:3], off, s0
	s_waitcnt vmcnt(0)
	scratch_store_dwordx2 off, v[2:3], off
	scratch_store_dwordx2 off, v[0:1], s0
	scratch_load_dwordx2 v[0:1], off, off
.LBB91_236:
	s_waitcnt vmcnt(0)
	flat_store_dwordx2 v[38:39], v[0:1]
	scratch_load_dwordx2 v[0:1], off, off offset:8
	s_waitcnt vmcnt(0)
	flat_store_dwordx2 v[40:41], v[0:1]
	scratch_load_dwordx2 v[0:1], off, off offset:16
	;; [unrolled: 3-line block ×27, first 2 shown]
	s_waitcnt vmcnt(0)
	flat_store_dwordx2 v[92:93], v[0:1]
	s_endpgm
	.section	.rodata,"a",@progbits
	.p2align	6, 0x0
	.amdhsa_kernel _ZN9rocsolver6v33100L18getri_kernel_smallILi28E19rocblas_complex_numIfEPKPS3_EEvT1_iilPiilS8_bb
		.amdhsa_group_segment_fixed_size 452
		.amdhsa_private_segment_fixed_size 240
		.amdhsa_kernarg_size 60
		.amdhsa_user_sgpr_count 2
		.amdhsa_user_sgpr_dispatch_ptr 0
		.amdhsa_user_sgpr_queue_ptr 0
		.amdhsa_user_sgpr_kernarg_segment_ptr 1
		.amdhsa_user_sgpr_dispatch_id 0
		.amdhsa_user_sgpr_kernarg_preload_length 0
		.amdhsa_user_sgpr_kernarg_preload_offset 0
		.amdhsa_user_sgpr_private_segment_size 0
		.amdhsa_uses_dynamic_stack 0
		.amdhsa_enable_private_segment 1
		.amdhsa_system_sgpr_workgroup_id_x 1
		.amdhsa_system_sgpr_workgroup_id_y 0
		.amdhsa_system_sgpr_workgroup_id_z 0
		.amdhsa_system_sgpr_workgroup_info 0
		.amdhsa_system_vgpr_workitem_id 0
		.amdhsa_next_free_vgpr 158
		.amdhsa_next_free_sgpr 17
		.amdhsa_accum_offset 160
		.amdhsa_reserve_vcc 1
		.amdhsa_float_round_mode_32 0
		.amdhsa_float_round_mode_16_64 0
		.amdhsa_float_denorm_mode_32 3
		.amdhsa_float_denorm_mode_16_64 3
		.amdhsa_dx10_clamp 1
		.amdhsa_ieee_mode 1
		.amdhsa_fp16_overflow 0
		.amdhsa_tg_split 0
		.amdhsa_exception_fp_ieee_invalid_op 0
		.amdhsa_exception_fp_denorm_src 0
		.amdhsa_exception_fp_ieee_div_zero 0
		.amdhsa_exception_fp_ieee_overflow 0
		.amdhsa_exception_fp_ieee_underflow 0
		.amdhsa_exception_fp_ieee_inexact 0
		.amdhsa_exception_int_div_zero 0
	.end_amdhsa_kernel
	.section	.text._ZN9rocsolver6v33100L18getri_kernel_smallILi28E19rocblas_complex_numIfEPKPS3_EEvT1_iilPiilS8_bb,"axG",@progbits,_ZN9rocsolver6v33100L18getri_kernel_smallILi28E19rocblas_complex_numIfEPKPS3_EEvT1_iilPiilS8_bb,comdat
.Lfunc_end91:
	.size	_ZN9rocsolver6v33100L18getri_kernel_smallILi28E19rocblas_complex_numIfEPKPS3_EEvT1_iilPiilS8_bb, .Lfunc_end91-_ZN9rocsolver6v33100L18getri_kernel_smallILi28E19rocblas_complex_numIfEPKPS3_EEvT1_iilPiilS8_bb
                                        ; -- End function
	.set _ZN9rocsolver6v33100L18getri_kernel_smallILi28E19rocblas_complex_numIfEPKPS3_EEvT1_iilPiilS8_bb.num_vgpr, 158
	.set _ZN9rocsolver6v33100L18getri_kernel_smallILi28E19rocblas_complex_numIfEPKPS3_EEvT1_iilPiilS8_bb.num_agpr, 0
	.set _ZN9rocsolver6v33100L18getri_kernel_smallILi28E19rocblas_complex_numIfEPKPS3_EEvT1_iilPiilS8_bb.numbered_sgpr, 17
	.set _ZN9rocsolver6v33100L18getri_kernel_smallILi28E19rocblas_complex_numIfEPKPS3_EEvT1_iilPiilS8_bb.num_named_barrier, 0
	.set _ZN9rocsolver6v33100L18getri_kernel_smallILi28E19rocblas_complex_numIfEPKPS3_EEvT1_iilPiilS8_bb.private_seg_size, 240
	.set _ZN9rocsolver6v33100L18getri_kernel_smallILi28E19rocblas_complex_numIfEPKPS3_EEvT1_iilPiilS8_bb.uses_vcc, 1
	.set _ZN9rocsolver6v33100L18getri_kernel_smallILi28E19rocblas_complex_numIfEPKPS3_EEvT1_iilPiilS8_bb.uses_flat_scratch, 0
	.set _ZN9rocsolver6v33100L18getri_kernel_smallILi28E19rocblas_complex_numIfEPKPS3_EEvT1_iilPiilS8_bb.has_dyn_sized_stack, 0
	.set _ZN9rocsolver6v33100L18getri_kernel_smallILi28E19rocblas_complex_numIfEPKPS3_EEvT1_iilPiilS8_bb.has_recursion, 0
	.set _ZN9rocsolver6v33100L18getri_kernel_smallILi28E19rocblas_complex_numIfEPKPS3_EEvT1_iilPiilS8_bb.has_indirect_call, 0
	.section	.AMDGPU.csdata,"",@progbits
; Kernel info:
; codeLenInByte = 29296
; TotalNumSgprs: 23
; NumVgprs: 158
; NumAgprs: 0
; TotalNumVgprs: 158
; ScratchSize: 240
; MemoryBound: 0
; FloatMode: 240
; IeeeMode: 1
; LDSByteSize: 452 bytes/workgroup (compile time only)
; SGPRBlocks: 2
; VGPRBlocks: 19
; NumSGPRsForWavesPerEU: 23
; NumVGPRsForWavesPerEU: 158
; AccumOffset: 160
; Occupancy: 3
; WaveLimiterHint : 1
; COMPUTE_PGM_RSRC2:SCRATCH_EN: 1
; COMPUTE_PGM_RSRC2:USER_SGPR: 2
; COMPUTE_PGM_RSRC2:TRAP_HANDLER: 0
; COMPUTE_PGM_RSRC2:TGID_X_EN: 1
; COMPUTE_PGM_RSRC2:TGID_Y_EN: 0
; COMPUTE_PGM_RSRC2:TGID_Z_EN: 0
; COMPUTE_PGM_RSRC2:TIDIG_COMP_CNT: 0
; COMPUTE_PGM_RSRC3_GFX90A:ACCUM_OFFSET: 39
; COMPUTE_PGM_RSRC3_GFX90A:TG_SPLIT: 0
	.section	.text._ZN9rocsolver6v33100L18getri_kernel_smallILi29E19rocblas_complex_numIfEPKPS3_EEvT1_iilPiilS8_bb,"axG",@progbits,_ZN9rocsolver6v33100L18getri_kernel_smallILi29E19rocblas_complex_numIfEPKPS3_EEvT1_iilPiilS8_bb,comdat
	.globl	_ZN9rocsolver6v33100L18getri_kernel_smallILi29E19rocblas_complex_numIfEPKPS3_EEvT1_iilPiilS8_bb ; -- Begin function _ZN9rocsolver6v33100L18getri_kernel_smallILi29E19rocblas_complex_numIfEPKPS3_EEvT1_iilPiilS8_bb
	.p2align	8
	.type	_ZN9rocsolver6v33100L18getri_kernel_smallILi29E19rocblas_complex_numIfEPKPS3_EEvT1_iilPiilS8_bb,@function
_ZN9rocsolver6v33100L18getri_kernel_smallILi29E19rocblas_complex_numIfEPKPS3_EEvT1_iilPiilS8_bb: ; @_ZN9rocsolver6v33100L18getri_kernel_smallILi29E19rocblas_complex_numIfEPKPS3_EEvT1_iilPiilS8_bb
; %bb.0:
	v_cmp_gt_u32_e32 vcc, 29, v0
	s_and_saveexec_b64 s[4:5], vcc
	s_cbranch_execz .LBB92_130
; %bb.1:
	s_load_dword s14, s[0:1], 0x38
	s_load_dwordx2 s[8:9], s[0:1], 0x0
	s_load_dwordx4 s[4:7], s[0:1], 0x28
	s_waitcnt lgkmcnt(0)
	s_bitcmp1_b32 s14, 8
	s_cselect_b64 s[10:11], -1, 0
	s_ashr_i32 s3, s2, 31
	s_lshl_b64 s[12:13], s[2:3], 3
	s_add_u32 s8, s8, s12
	s_addc_u32 s9, s9, s13
	s_load_dwordx2 s[12:13], s[8:9], 0x0
	s_bfe_u32 s8, s14, 0x10008
	s_cmp_eq_u32 s8, 0
                                        ; implicit-def: $sgpr8_sgpr9
	s_cbranch_scc1 .LBB92_3
; %bb.2:
	s_load_dword s8, s[0:1], 0x20
	s_load_dwordx2 s[14:15], s[0:1], 0x18
	s_mul_i32 s9, s4, s3
	s_mul_hi_u32 s16, s4, s2
	s_add_i32 s16, s16, s9
	s_mul_i32 s5, s5, s2
	s_add_i32 s5, s16, s5
	s_mul_i32 s4, s4, s2
	s_waitcnt lgkmcnt(0)
	s_ashr_i32 s9, s8, 31
	s_lshl_b64 s[4:5], s[4:5], 2
	s_add_u32 s14, s14, s4
	s_addc_u32 s15, s15, s5
	s_lshl_b64 s[4:5], s[8:9], 2
	s_add_u32 s8, s14, s4
	s_addc_u32 s9, s15, s5
.LBB92_3:
	s_load_dwordx2 s[4:5], s[0:1], 0x8
	s_load_dword s14, s[0:1], 0x38
	v_lshlrev_b32_e32 v2, 3, v0
	v_mov_b32_e32 v3, 0
	s_waitcnt lgkmcnt(0)
	s_ashr_i32 s1, s4, 31
	s_mov_b32 s0, s4
	s_lshl_b64 s[0:1], s[0:1], 3
	s_add_u32 s0, s12, s0
	s_addc_u32 s1, s13, s1
	v_lshl_add_u64 v[38:39], s[0:1], 0, v[2:3]
	flat_load_dwordx2 v[4:5], v[38:39]
	s_mov_b32 s12, s5
	s_ashr_i32 s13, s5, 31
	v_lshl_add_u64 v[40:41], s[12:13], 3, v[38:39]
	s_add_i32 s4, s5, s5
	v_add_u32_e32 v6, s4, v0
	v_ashrrev_i32_e32 v7, 31, v6
	v_lshl_add_u64 v[42:43], v[6:7], 3, s[0:1]
	v_add_u32_e32 v6, s5, v6
	v_ashrrev_i32_e32 v7, 31, v6
	v_lshl_add_u64 v[44:45], v[6:7], 3, s[0:1]
	;; [unrolled: 3-line block ×25, first 2 shown]
	s_waitcnt vmcnt(0) lgkmcnt(0)
	scratch_store_dwordx2 off, v[4:5], off
	flat_load_dwordx2 v[4:5], v[40:41]
	v_add_u32_e32 v6, s5, v6
	v_ashrrev_i32_e32 v7, 31, v6
	v_lshl_add_u64 v[92:93], v[6:7], 3, s[0:1]
	v_add_u32_e32 v6, s5, v6
	v_ashrrev_i32_e32 v7, 31, v6
	v_lshl_add_u64 v[94:95], v[6:7], 3, s[0:1]
	s_bitcmp0_b32 s14, 0
	s_mov_b64 s[4:5], -1
	s_waitcnt vmcnt(0) lgkmcnt(0)
	scratch_store_dwordx2 off, v[4:5], off offset:8
	flat_load_dwordx2 v[4:5], v[42:43]
	s_waitcnt vmcnt(0) lgkmcnt(0)
	scratch_store_dwordx2 off, v[4:5], off offset:16
	flat_load_dwordx2 v[4:5], v[44:45]
	;; [unrolled: 3-line block ×27, first 2 shown]
	s_waitcnt vmcnt(0) lgkmcnt(0)
	scratch_store_dwordx2 off, v[4:5], off offset:224
	s_cbranch_scc1 .LBB92_128
; %bb.4:
	v_cmp_eq_u32_e64 s[0:1], 0, v0
	s_and_saveexec_b64 s[4:5], s[0:1]
; %bb.5:
	v_mov_b32_e32 v1, 0
	ds_write_b32 v1, v1 offset:232
; %bb.6:
	s_or_b64 exec, exec, s[4:5]
	s_waitcnt lgkmcnt(0)
	; wave barrier
	scratch_load_dwordx2 v[4:5], v2, off
	s_waitcnt vmcnt(0)
	v_cmp_eq_f32_e32 vcc, 0, v4
	v_cmp_eq_f32_e64 s[4:5], 0, v5
	s_and_b64 s[4:5], vcc, s[4:5]
	s_and_saveexec_b64 s[12:13], s[4:5]
	s_cbranch_execz .LBB92_10
; %bb.7:
	v_mov_b32_e32 v1, 0
	ds_read_b32 v4, v1 offset:232
	v_add_u32_e32 v3, 1, v0
	s_waitcnt lgkmcnt(0)
	v_readfirstlane_b32 s4, v4
	s_cmp_eq_u32 s4, 0
	s_cselect_b64 s[14:15], -1, 0
	v_cmp_gt_i32_e32 vcc, s4, v3
	s_or_b64 s[14:15], s[14:15], vcc
	s_and_b64 exec, exec, s[14:15]
	s_cbranch_execz .LBB92_10
; %bb.8:
	s_mov_b64 s[14:15], 0
	v_mov_b32_e32 v4, s4
.LBB92_9:                               ; =>This Inner Loop Header: Depth=1
	ds_cmpst_rtn_b32 v4, v1, v4, v3 offset:232
	s_waitcnt lgkmcnt(0)
	v_cmp_ne_u32_e32 vcc, 0, v4
	v_cmp_le_i32_e64 s[4:5], v4, v3
	s_and_b64 s[4:5], vcc, s[4:5]
	s_and_b64 s[4:5], exec, s[4:5]
	s_or_b64 s[14:15], s[4:5], s[14:15]
	s_andn2_b64 exec, exec, s[14:15]
	s_cbranch_execnz .LBB92_9
.LBB92_10:
	s_or_b64 exec, exec, s[12:13]
	v_mov_b32_e32 v3, 0
	; wave barrier
	ds_read_b32 v1, v3 offset:232
	s_and_saveexec_b64 s[4:5], s[0:1]
	s_cbranch_execz .LBB92_12
; %bb.11:
	s_lshl_b64 s[12:13], s[2:3], 2
	s_add_u32 s12, s6, s12
	s_addc_u32 s13, s7, s13
	s_waitcnt lgkmcnt(0)
	global_store_dword v3, v1, s[12:13]
.LBB92_12:
	s_or_b64 exec, exec, s[4:5]
	s_waitcnt lgkmcnt(0)
	v_cmp_ne_u32_e32 vcc, 0, v1
	s_mov_b64 s[4:5], 0
	s_cbranch_vccnz .LBB92_128
; %bb.13:
	v_mov_b32_e32 v3, v2
	scratch_load_dwordx2 v[4:5], v3, off
                                        ; implicit-def: $vgpr7
                                        ; implicit-def: $vgpr8
	s_waitcnt vmcnt(0)
	v_cmp_ngt_f32_e64 s[4:5], |v4|, |v5|
	s_and_saveexec_b64 s[12:13], s[4:5]
	s_xor_b64 s[4:5], exec, s[12:13]
	s_cbranch_execz .LBB92_15
; %bb.14:
	v_div_scale_f32 v1, s[12:13], v5, v5, v4
	v_rcp_f32_e32 v6, v1
	v_div_scale_f32 v7, vcc, v4, v5, v4
	v_fma_f32 v8, -v1, v6, 1.0
	v_fmac_f32_e32 v6, v8, v6
	v_mul_f32_e32 v8, v7, v6
	v_fma_f32 v9, -v1, v8, v7
	v_fmac_f32_e32 v8, v9, v6
	v_fma_f32 v1, -v1, v8, v7
	v_div_fmas_f32 v1, v1, v6, v8
	v_div_fixup_f32 v1, v1, v5, v4
	v_fmac_f32_e32 v5, v4, v1
	v_div_scale_f32 v4, s[12:13], v5, v5, -1.0
	v_rcp_f32_e32 v6, v4
	s_nop 0
	v_fma_f32 v7, -v4, v6, 1.0
	v_fmac_f32_e32 v6, v7, v6
	v_div_scale_f32 v7, vcc, -1.0, v5, -1.0
	v_mul_f32_e32 v8, v7, v6
	v_fma_f32 v9, -v4, v8, v7
	v_fmac_f32_e32 v8, v9, v6
	v_fma_f32 v4, -v4, v8, v7
	v_div_fmas_f32 v4, v4, v6, v8
	v_div_fixup_f32 v7, v4, v5, -1.0
	v_mul_f32_e32 v8, v1, v7
	v_xor_b32_e32 v6, 0x80000000, v8
                                        ; implicit-def: $vgpr4_vgpr5
.LBB92_15:
	s_andn2_saveexec_b64 s[4:5], s[4:5]
	s_cbranch_execz .LBB92_17
; %bb.16:
	v_div_scale_f32 v1, s[12:13], v4, v4, v5
	v_rcp_f32_e32 v6, v1
	v_div_scale_f32 v7, vcc, v5, v4, v5
	v_fma_f32 v8, -v1, v6, 1.0
	v_fmac_f32_e32 v6, v8, v6
	v_mul_f32_e32 v8, v7, v6
	v_fma_f32 v9, -v1, v8, v7
	v_fmac_f32_e32 v8, v9, v6
	v_fma_f32 v1, -v1, v8, v7
	v_div_fmas_f32 v1, v1, v6, v8
	v_div_fixup_f32 v1, v1, v4, v5
	v_fmac_f32_e32 v4, v5, v1
	v_div_scale_f32 v5, s[12:13], v4, v4, 1.0
	v_rcp_f32_e32 v6, v5
	s_nop 0
	v_fma_f32 v7, -v5, v6, 1.0
	v_fmac_f32_e32 v6, v7, v6
	v_div_scale_f32 v7, vcc, 1.0, v4, 1.0
	v_mul_f32_e32 v8, v7, v6
	v_fma_f32 v9, -v5, v8, v7
	v_fmac_f32_e32 v8, v9, v6
	v_fma_f32 v5, -v5, v8, v7
	v_div_fmas_f32 v5, v5, v6, v8
	v_div_fixup_f32 v6, v5, v4, 1.0
	v_xor_b32_e32 v8, 0x80000000, v6
	v_mul_f32_e64 v7, v1, -v6
.LBB92_17:
	s_or_b64 exec, exec, s[4:5]
	scratch_store_dwordx2 v3, v[6:7], off
	scratch_load_dwordx2 v[4:5], off, off offset:8
	v_xor_b32_e32 v9, 0x80000000, v7
	v_add_u32_e32 v1, 0xf0, v2
	s_waitcnt vmcnt(0)
	ds_write2_b64 v2, v[8:9], v[4:5] offset1:30
	s_waitcnt lgkmcnt(0)
	; wave barrier
	s_and_saveexec_b64 s[4:5], s[0:1]
	s_cbranch_execz .LBB92_19
; %bb.18:
	scratch_load_dwordx2 v[4:5], v3, off
	ds_read_b64 v[6:7], v1
	v_mov_b32_e32 v8, 0
	ds_read_b64 v[8:9], v8 offset:8
	s_waitcnt vmcnt(0) lgkmcnt(1)
	v_pk_mul_f32 v[10:11], v[6:7], v[4:5] op_sel:[1,1] op_sel_hi:[0,1]
	v_pk_fma_f32 v[12:13], v[6:7], v[4:5], v[10:11] neg_lo:[0,0,1] neg_hi:[0,0,1]
	v_pk_fma_f32 v[4:5], v[6:7], v[4:5], v[10:11] op_sel_hi:[1,0,1]
	s_nop 0
	v_mov_b32_e32 v13, v5
	v_pk_add_f32 v[4:5], v[12:13], 0 op_sel_hi:[1,0]
	s_waitcnt lgkmcnt(0)
	v_pk_mul_f32 v[6:7], v[4:5], v[8:9] op_sel:[1,1] op_sel_hi:[0,1]
	v_pk_fma_f32 v[10:11], v[4:5], v[8:9], v[6:7] neg_lo:[0,0,1] neg_hi:[0,0,1]
	v_pk_fma_f32 v[4:5], v[4:5], v[8:9], v[6:7] op_sel_hi:[1,0,1]
	s_nop 0
	v_mov_b32_e32 v11, v5
	scratch_store_dwordx2 off, v[10:11], off offset:8
.LBB92_19:
	s_or_b64 exec, exec, s[4:5]
	; wave barrier
	scratch_load_dwordx2 v[4:5], off, off offset:16
	v_cmp_gt_u32_e32 vcc, 2, v0
	s_waitcnt vmcnt(0)
	ds_write_b64 v1, v[4:5]
	s_waitcnt lgkmcnt(0)
	; wave barrier
	s_and_saveexec_b64 s[4:5], vcc
	s_cbranch_execz .LBB92_23
; %bb.20:
	scratch_load_dwordx2 v[4:5], v3, off
	ds_read_b64 v[6:7], v1
	s_waitcnt vmcnt(0) lgkmcnt(0)
	v_pk_mul_f32 v[8:9], v[6:7], v[4:5] op_sel:[1,1] op_sel_hi:[0,1]
	v_pk_fma_f32 v[10:11], v[6:7], v[4:5], v[8:9] neg_lo:[0,0,1] neg_hi:[0,0,1]
	v_pk_fma_f32 v[4:5], v[6:7], v[4:5], v[8:9] op_sel_hi:[1,0,1]
	s_nop 0
	v_mov_b32_e32 v11, v5
	v_pk_add_f32 v[4:5], v[10:11], 0 op_sel_hi:[1,0]
	s_and_saveexec_b64 s[12:13], s[0:1]
	s_cbranch_execz .LBB92_22
; %bb.21:
	scratch_load_dwordx2 v[6:7], off, off offset:8
	v_mov_b32_e32 v3, 0
	ds_read_b64 v[8:9], v3 offset:248
	s_waitcnt vmcnt(0) lgkmcnt(0)
	v_pk_mul_f32 v[10:11], v[8:9], v[6:7] op_sel:[1,1] op_sel_hi:[0,1]
	v_pk_fma_f32 v[12:13], v[8:9], v[6:7], v[10:11] neg_lo:[0,0,1] neg_hi:[0,0,1]
	v_pk_fma_f32 v[6:7], v[8:9], v[6:7], v[10:11] op_sel_hi:[1,0,1]
	s_nop 0
	v_mov_b32_e32 v13, v7
	v_pk_add_f32 v[4:5], v[4:5], v[12:13]
.LBB92_22:
	s_or_b64 exec, exec, s[12:13]
	v_mov_b32_e32 v3, 0
	ds_read_b64 v[6:7], v3 offset:16
	s_waitcnt lgkmcnt(0)
	v_pk_mul_f32 v[8:9], v[4:5], v[6:7] op_sel:[1,1] op_sel_hi:[0,1]
	v_pk_fma_f32 v[10:11], v[4:5], v[6:7], v[8:9] neg_lo:[0,0,1] neg_hi:[0,0,1]
	v_pk_fma_f32 v[4:5], v[4:5], v[6:7], v[8:9] op_sel_hi:[1,0,1]
	s_nop 0
	v_mov_b32_e32 v11, v5
	scratch_store_dwordx2 off, v[10:11], off offset:16
.LBB92_23:
	s_or_b64 exec, exec, s[4:5]
	; wave barrier
	scratch_load_dwordx2 v[4:5], off, off offset:24
	v_cmp_gt_u32_e32 vcc, 3, v0
	v_add_u32_e32 v6, -1, v0
	s_waitcnt vmcnt(0)
	ds_write_b64 v1, v[4:5]
	s_waitcnt lgkmcnt(0)
	; wave barrier
	s_and_saveexec_b64 s[0:1], vcc
	s_cbranch_execz .LBB92_27
; %bb.24:
	v_mov_b32_e32 v4, 0
	v_add_u32_e32 v3, -1, v0
	v_add_u32_e32 v7, 0xf0, v2
	v_mov_b32_e32 v8, v2
	s_mov_b64 s[4:5], 0
	v_mov_b32_e32 v5, v4
.LBB92_25:                              ; =>This Inner Loop Header: Depth=1
	scratch_load_dwordx2 v[10:11], v8, off
	ds_read_b64 v[12:13], v7
	v_add_u32_e32 v3, 1, v3
	v_cmp_lt_u32_e32 vcc, 1, v3
	v_add_u32_e32 v7, 8, v7
	v_add_u32_e32 v8, 8, v8
	s_or_b64 s[4:5], vcc, s[4:5]
	s_waitcnt vmcnt(0) lgkmcnt(0)
	v_pk_mul_f32 v[14:15], v[12:13], v[10:11] op_sel:[1,1] op_sel_hi:[0,1]
	v_pk_fma_f32 v[16:17], v[12:13], v[10:11], v[14:15] neg_lo:[0,0,1] neg_hi:[0,0,1]
	v_pk_fma_f32 v[10:11], v[12:13], v[10:11], v[14:15] op_sel_hi:[1,0,1]
	s_nop 0
	v_mov_b32_e32 v17, v11
	v_pk_add_f32 v[4:5], v[4:5], v[16:17]
	s_andn2_b64 exec, exec, s[4:5]
	s_cbranch_execnz .LBB92_25
; %bb.26:
	s_or_b64 exec, exec, s[4:5]
	v_mov_b32_e32 v3, 0
	ds_read_b64 v[8:9], v3 offset:24
	s_waitcnt lgkmcnt(0)
	v_pk_mul_f32 v[10:11], v[4:5], v[8:9] op_sel:[1,1] op_sel_hi:[0,1]
	v_pk_fma_f32 v[12:13], v[4:5], v[8:9], v[10:11] neg_lo:[0,0,1] neg_hi:[0,0,1]
	v_pk_fma_f32 v[4:5], v[4:5], v[8:9], v[10:11] op_sel_hi:[1,0,1]
	s_nop 0
	v_mov_b32_e32 v13, v5
	scratch_store_dwordx2 off, v[12:13], off offset:24
.LBB92_27:
	s_or_b64 exec, exec, s[0:1]
	; wave barrier
	scratch_load_dwordx2 v[4:5], off, off offset:32
	v_cmp_gt_u32_e32 vcc, 4, v0
	s_waitcnt vmcnt(0)
	ds_write_b64 v1, v[4:5]
	s_waitcnt lgkmcnt(0)
	; wave barrier
	s_and_saveexec_b64 s[0:1], vcc
	s_cbranch_execz .LBB92_31
; %bb.28:
	v_mov_b32_e32 v4, 0
	v_add_u32_e32 v3, -1, v0
	v_add_u32_e32 v7, 0xf0, v2
	v_mov_b32_e32 v8, v2
	s_mov_b64 s[4:5], 0
	v_mov_b32_e32 v5, v4
.LBB92_29:                              ; =>This Inner Loop Header: Depth=1
	scratch_load_dwordx2 v[10:11], v8, off
	ds_read_b64 v[12:13], v7
	v_add_u32_e32 v3, 1, v3
	v_cmp_lt_u32_e32 vcc, 2, v3
	v_add_u32_e32 v7, 8, v7
	v_add_u32_e32 v8, 8, v8
	s_or_b64 s[4:5], vcc, s[4:5]
	s_waitcnt vmcnt(0) lgkmcnt(0)
	v_pk_mul_f32 v[14:15], v[12:13], v[10:11] op_sel:[1,1] op_sel_hi:[0,1]
	v_pk_fma_f32 v[16:17], v[12:13], v[10:11], v[14:15] neg_lo:[0,0,1] neg_hi:[0,0,1]
	v_pk_fma_f32 v[10:11], v[12:13], v[10:11], v[14:15] op_sel_hi:[1,0,1]
	s_nop 0
	v_mov_b32_e32 v17, v11
	v_pk_add_f32 v[4:5], v[4:5], v[16:17]
	s_andn2_b64 exec, exec, s[4:5]
	s_cbranch_execnz .LBB92_29
; %bb.30:
	s_or_b64 exec, exec, s[4:5]
	v_mov_b32_e32 v3, 0
	ds_read_b64 v[8:9], v3 offset:32
	s_waitcnt lgkmcnt(0)
	v_pk_mul_f32 v[10:11], v[4:5], v[8:9] op_sel:[1,1] op_sel_hi:[0,1]
	v_pk_fma_f32 v[12:13], v[4:5], v[8:9], v[10:11] neg_lo:[0,0,1] neg_hi:[0,0,1]
	v_pk_fma_f32 v[4:5], v[4:5], v[8:9], v[10:11] op_sel_hi:[1,0,1]
	s_nop 0
	v_mov_b32_e32 v13, v5
	scratch_store_dwordx2 off, v[12:13], off offset:32
.LBB92_31:
	s_or_b64 exec, exec, s[0:1]
	; wave barrier
	scratch_load_dwordx2 v[4:5], off, off offset:40
	v_cmp_gt_u32_e32 vcc, 5, v0
	s_waitcnt vmcnt(0)
	ds_write_b64 v1, v[4:5]
	s_waitcnt lgkmcnt(0)
	; wave barrier
	s_and_saveexec_b64 s[0:1], vcc
	s_cbranch_execz .LBB92_35
; %bb.32:
	v_mov_b32_e32 v4, 0
	v_add_u32_e32 v3, -1, v0
	v_add_u32_e32 v7, 0xf0, v2
	v_mov_b32_e32 v8, v2
	s_mov_b64 s[4:5], 0
	v_mov_b32_e32 v5, v4
.LBB92_33:                              ; =>This Inner Loop Header: Depth=1
	scratch_load_dwordx2 v[10:11], v8, off
	ds_read_b64 v[12:13], v7
	v_add_u32_e32 v3, 1, v3
	v_cmp_lt_u32_e32 vcc, 3, v3
	v_add_u32_e32 v7, 8, v7
	v_add_u32_e32 v8, 8, v8
	s_or_b64 s[4:5], vcc, s[4:5]
	s_waitcnt vmcnt(0) lgkmcnt(0)
	v_pk_mul_f32 v[14:15], v[12:13], v[10:11] op_sel:[1,1] op_sel_hi:[0,1]
	v_pk_fma_f32 v[16:17], v[12:13], v[10:11], v[14:15] neg_lo:[0,0,1] neg_hi:[0,0,1]
	v_pk_fma_f32 v[10:11], v[12:13], v[10:11], v[14:15] op_sel_hi:[1,0,1]
	s_nop 0
	v_mov_b32_e32 v17, v11
	v_pk_add_f32 v[4:5], v[4:5], v[16:17]
	s_andn2_b64 exec, exec, s[4:5]
	s_cbranch_execnz .LBB92_33
; %bb.34:
	s_or_b64 exec, exec, s[4:5]
	v_mov_b32_e32 v3, 0
	ds_read_b64 v[8:9], v3 offset:40
	s_waitcnt lgkmcnt(0)
	v_pk_mul_f32 v[10:11], v[4:5], v[8:9] op_sel:[1,1] op_sel_hi:[0,1]
	v_pk_fma_f32 v[12:13], v[4:5], v[8:9], v[10:11] neg_lo:[0,0,1] neg_hi:[0,0,1]
	v_pk_fma_f32 v[4:5], v[4:5], v[8:9], v[10:11] op_sel_hi:[1,0,1]
	s_nop 0
	v_mov_b32_e32 v13, v5
	scratch_store_dwordx2 off, v[12:13], off offset:40
.LBB92_35:
	s_or_b64 exec, exec, s[0:1]
	; wave barrier
	scratch_load_dwordx2 v[4:5], off, off offset:48
	v_cmp_gt_u32_e32 vcc, 6, v0
	s_waitcnt vmcnt(0)
	ds_write_b64 v1, v[4:5]
	s_waitcnt lgkmcnt(0)
	; wave barrier
	s_and_saveexec_b64 s[0:1], vcc
	s_cbranch_execz .LBB92_39
; %bb.36:
	v_mov_b32_e32 v4, 0
	v_add_u32_e32 v3, -1, v0
	v_add_u32_e32 v7, 0xf0, v2
	v_mov_b32_e32 v8, v2
	s_mov_b64 s[4:5], 0
	v_mov_b32_e32 v5, v4
.LBB92_37:                              ; =>This Inner Loop Header: Depth=1
	scratch_load_dwordx2 v[10:11], v8, off
	ds_read_b64 v[12:13], v7
	v_add_u32_e32 v3, 1, v3
	v_cmp_lt_u32_e32 vcc, 4, v3
	v_add_u32_e32 v7, 8, v7
	v_add_u32_e32 v8, 8, v8
	s_or_b64 s[4:5], vcc, s[4:5]
	s_waitcnt vmcnt(0) lgkmcnt(0)
	v_pk_mul_f32 v[14:15], v[12:13], v[10:11] op_sel:[1,1] op_sel_hi:[0,1]
	v_pk_fma_f32 v[16:17], v[12:13], v[10:11], v[14:15] neg_lo:[0,0,1] neg_hi:[0,0,1]
	v_pk_fma_f32 v[10:11], v[12:13], v[10:11], v[14:15] op_sel_hi:[1,0,1]
	s_nop 0
	v_mov_b32_e32 v17, v11
	v_pk_add_f32 v[4:5], v[4:5], v[16:17]
	s_andn2_b64 exec, exec, s[4:5]
	s_cbranch_execnz .LBB92_37
; %bb.38:
	s_or_b64 exec, exec, s[4:5]
	v_mov_b32_e32 v3, 0
	ds_read_b64 v[8:9], v3 offset:48
	s_waitcnt lgkmcnt(0)
	v_pk_mul_f32 v[10:11], v[4:5], v[8:9] op_sel:[1,1] op_sel_hi:[0,1]
	v_pk_fma_f32 v[12:13], v[4:5], v[8:9], v[10:11] neg_lo:[0,0,1] neg_hi:[0,0,1]
	v_pk_fma_f32 v[4:5], v[4:5], v[8:9], v[10:11] op_sel_hi:[1,0,1]
	s_nop 0
	v_mov_b32_e32 v13, v5
	scratch_store_dwordx2 off, v[12:13], off offset:48
.LBB92_39:
	s_or_b64 exec, exec, s[0:1]
	; wave barrier
	scratch_load_dwordx2 v[4:5], off, off offset:56
	v_cmp_gt_u32_e32 vcc, 7, v0
	s_waitcnt vmcnt(0)
	ds_write_b64 v1, v[4:5]
	s_waitcnt lgkmcnt(0)
	; wave barrier
	s_and_saveexec_b64 s[0:1], vcc
	s_cbranch_execz .LBB92_43
; %bb.40:
	v_mov_b32_e32 v4, 0
	v_add_u32_e32 v3, -1, v0
	v_add_u32_e32 v7, 0xf0, v2
	v_mov_b32_e32 v8, v2
	s_mov_b64 s[4:5], 0
	v_mov_b32_e32 v5, v4
.LBB92_41:                              ; =>This Inner Loop Header: Depth=1
	scratch_load_dwordx2 v[10:11], v8, off
	ds_read_b64 v[12:13], v7
	v_add_u32_e32 v3, 1, v3
	v_cmp_lt_u32_e32 vcc, 5, v3
	v_add_u32_e32 v7, 8, v7
	v_add_u32_e32 v8, 8, v8
	s_or_b64 s[4:5], vcc, s[4:5]
	s_waitcnt vmcnt(0) lgkmcnt(0)
	v_pk_mul_f32 v[14:15], v[12:13], v[10:11] op_sel:[1,1] op_sel_hi:[0,1]
	v_pk_fma_f32 v[16:17], v[12:13], v[10:11], v[14:15] neg_lo:[0,0,1] neg_hi:[0,0,1]
	v_pk_fma_f32 v[10:11], v[12:13], v[10:11], v[14:15] op_sel_hi:[1,0,1]
	s_nop 0
	v_mov_b32_e32 v17, v11
	v_pk_add_f32 v[4:5], v[4:5], v[16:17]
	s_andn2_b64 exec, exec, s[4:5]
	s_cbranch_execnz .LBB92_41
; %bb.42:
	s_or_b64 exec, exec, s[4:5]
	v_mov_b32_e32 v3, 0
	ds_read_b64 v[8:9], v3 offset:56
	s_waitcnt lgkmcnt(0)
	v_pk_mul_f32 v[10:11], v[4:5], v[8:9] op_sel:[1,1] op_sel_hi:[0,1]
	v_pk_fma_f32 v[12:13], v[4:5], v[8:9], v[10:11] neg_lo:[0,0,1] neg_hi:[0,0,1]
	v_pk_fma_f32 v[4:5], v[4:5], v[8:9], v[10:11] op_sel_hi:[1,0,1]
	s_nop 0
	v_mov_b32_e32 v13, v5
	scratch_store_dwordx2 off, v[12:13], off offset:56
.LBB92_43:
	s_or_b64 exec, exec, s[0:1]
	; wave barrier
	scratch_load_dwordx2 v[4:5], off, off offset:64
	v_cmp_gt_u32_e32 vcc, 8, v0
	s_waitcnt vmcnt(0)
	ds_write_b64 v1, v[4:5]
	s_waitcnt lgkmcnt(0)
	; wave barrier
	s_and_saveexec_b64 s[0:1], vcc
	s_cbranch_execz .LBB92_47
; %bb.44:
	v_mov_b32_e32 v4, 0
	v_add_u32_e32 v3, -1, v0
	v_add_u32_e32 v7, 0xf0, v2
	v_mov_b32_e32 v8, v2
	s_mov_b64 s[4:5], 0
	v_mov_b32_e32 v5, v4
.LBB92_45:                              ; =>This Inner Loop Header: Depth=1
	scratch_load_dwordx2 v[10:11], v8, off
	ds_read_b64 v[12:13], v7
	v_add_u32_e32 v3, 1, v3
	v_cmp_lt_u32_e32 vcc, 6, v3
	v_add_u32_e32 v7, 8, v7
	v_add_u32_e32 v8, 8, v8
	s_or_b64 s[4:5], vcc, s[4:5]
	s_waitcnt vmcnt(0) lgkmcnt(0)
	v_pk_mul_f32 v[14:15], v[12:13], v[10:11] op_sel:[1,1] op_sel_hi:[0,1]
	v_pk_fma_f32 v[16:17], v[12:13], v[10:11], v[14:15] neg_lo:[0,0,1] neg_hi:[0,0,1]
	v_pk_fma_f32 v[10:11], v[12:13], v[10:11], v[14:15] op_sel_hi:[1,0,1]
	s_nop 0
	v_mov_b32_e32 v17, v11
	v_pk_add_f32 v[4:5], v[4:5], v[16:17]
	s_andn2_b64 exec, exec, s[4:5]
	s_cbranch_execnz .LBB92_45
; %bb.46:
	s_or_b64 exec, exec, s[4:5]
	v_mov_b32_e32 v3, 0
	ds_read_b64 v[8:9], v3 offset:64
	s_waitcnt lgkmcnt(0)
	v_pk_mul_f32 v[10:11], v[4:5], v[8:9] op_sel:[1,1] op_sel_hi:[0,1]
	v_pk_fma_f32 v[12:13], v[4:5], v[8:9], v[10:11] neg_lo:[0,0,1] neg_hi:[0,0,1]
	v_pk_fma_f32 v[4:5], v[4:5], v[8:9], v[10:11] op_sel_hi:[1,0,1]
	s_nop 0
	v_mov_b32_e32 v13, v5
	scratch_store_dwordx2 off, v[12:13], off offset:64
.LBB92_47:
	s_or_b64 exec, exec, s[0:1]
	; wave barrier
	scratch_load_dwordx2 v[4:5], off, off offset:72
	v_cmp_gt_u32_e32 vcc, 9, v0
	s_waitcnt vmcnt(0)
	ds_write_b64 v1, v[4:5]
	s_waitcnt lgkmcnt(0)
	; wave barrier
	s_and_saveexec_b64 s[0:1], vcc
	s_cbranch_execz .LBB92_51
; %bb.48:
	v_mov_b32_e32 v4, 0
	v_add_u32_e32 v3, -1, v0
	v_add_u32_e32 v7, 0xf0, v2
	v_mov_b32_e32 v8, v2
	s_mov_b64 s[4:5], 0
	v_mov_b32_e32 v5, v4
.LBB92_49:                              ; =>This Inner Loop Header: Depth=1
	scratch_load_dwordx2 v[10:11], v8, off
	ds_read_b64 v[12:13], v7
	v_add_u32_e32 v3, 1, v3
	v_cmp_lt_u32_e32 vcc, 7, v3
	v_add_u32_e32 v7, 8, v7
	v_add_u32_e32 v8, 8, v8
	s_or_b64 s[4:5], vcc, s[4:5]
	s_waitcnt vmcnt(0) lgkmcnt(0)
	v_pk_mul_f32 v[14:15], v[12:13], v[10:11] op_sel:[1,1] op_sel_hi:[0,1]
	v_pk_fma_f32 v[16:17], v[12:13], v[10:11], v[14:15] neg_lo:[0,0,1] neg_hi:[0,0,1]
	v_pk_fma_f32 v[10:11], v[12:13], v[10:11], v[14:15] op_sel_hi:[1,0,1]
	s_nop 0
	v_mov_b32_e32 v17, v11
	v_pk_add_f32 v[4:5], v[4:5], v[16:17]
	s_andn2_b64 exec, exec, s[4:5]
	s_cbranch_execnz .LBB92_49
; %bb.50:
	s_or_b64 exec, exec, s[4:5]
	v_mov_b32_e32 v3, 0
	ds_read_b64 v[8:9], v3 offset:72
	s_waitcnt lgkmcnt(0)
	v_pk_mul_f32 v[10:11], v[4:5], v[8:9] op_sel:[1,1] op_sel_hi:[0,1]
	v_pk_fma_f32 v[12:13], v[4:5], v[8:9], v[10:11] neg_lo:[0,0,1] neg_hi:[0,0,1]
	v_pk_fma_f32 v[4:5], v[4:5], v[8:9], v[10:11] op_sel_hi:[1,0,1]
	s_nop 0
	v_mov_b32_e32 v13, v5
	scratch_store_dwordx2 off, v[12:13], off offset:72
.LBB92_51:
	s_or_b64 exec, exec, s[0:1]
	; wave barrier
	scratch_load_dwordx2 v[4:5], off, off offset:80
	v_cmp_gt_u32_e32 vcc, 10, v0
	s_waitcnt vmcnt(0)
	ds_write_b64 v1, v[4:5]
	s_waitcnt lgkmcnt(0)
	; wave barrier
	s_and_saveexec_b64 s[0:1], vcc
	s_cbranch_execz .LBB92_55
; %bb.52:
	v_mov_b32_e32 v4, 0
	v_add_u32_e32 v3, -1, v0
	v_add_u32_e32 v7, 0xf0, v2
	v_mov_b32_e32 v8, v2
	s_mov_b64 s[4:5], 0
	v_mov_b32_e32 v5, v4
.LBB92_53:                              ; =>This Inner Loop Header: Depth=1
	scratch_load_dwordx2 v[10:11], v8, off
	ds_read_b64 v[12:13], v7
	v_add_u32_e32 v3, 1, v3
	v_cmp_lt_u32_e32 vcc, 8, v3
	v_add_u32_e32 v7, 8, v7
	v_add_u32_e32 v8, 8, v8
	s_or_b64 s[4:5], vcc, s[4:5]
	s_waitcnt vmcnt(0) lgkmcnt(0)
	v_pk_mul_f32 v[14:15], v[12:13], v[10:11] op_sel:[1,1] op_sel_hi:[0,1]
	v_pk_fma_f32 v[16:17], v[12:13], v[10:11], v[14:15] neg_lo:[0,0,1] neg_hi:[0,0,1]
	v_pk_fma_f32 v[10:11], v[12:13], v[10:11], v[14:15] op_sel_hi:[1,0,1]
	s_nop 0
	v_mov_b32_e32 v17, v11
	v_pk_add_f32 v[4:5], v[4:5], v[16:17]
	s_andn2_b64 exec, exec, s[4:5]
	s_cbranch_execnz .LBB92_53
; %bb.54:
	s_or_b64 exec, exec, s[4:5]
	v_mov_b32_e32 v3, 0
	ds_read_b64 v[8:9], v3 offset:80
	s_waitcnt lgkmcnt(0)
	v_pk_mul_f32 v[10:11], v[4:5], v[8:9] op_sel:[1,1] op_sel_hi:[0,1]
	v_pk_fma_f32 v[12:13], v[4:5], v[8:9], v[10:11] neg_lo:[0,0,1] neg_hi:[0,0,1]
	v_pk_fma_f32 v[4:5], v[4:5], v[8:9], v[10:11] op_sel_hi:[1,0,1]
	s_nop 0
	v_mov_b32_e32 v13, v5
	scratch_store_dwordx2 off, v[12:13], off offset:80
.LBB92_55:
	s_or_b64 exec, exec, s[0:1]
	; wave barrier
	scratch_load_dwordx2 v[4:5], off, off offset:88
	v_cmp_gt_u32_e32 vcc, 11, v0
	s_waitcnt vmcnt(0)
	ds_write_b64 v1, v[4:5]
	s_waitcnt lgkmcnt(0)
	; wave barrier
	s_and_saveexec_b64 s[0:1], vcc
	s_cbranch_execz .LBB92_59
; %bb.56:
	v_mov_b32_e32 v4, 0
	v_add_u32_e32 v3, -1, v0
	v_add_u32_e32 v7, 0xf0, v2
	v_mov_b32_e32 v8, v2
	s_mov_b64 s[4:5], 0
	v_mov_b32_e32 v5, v4
.LBB92_57:                              ; =>This Inner Loop Header: Depth=1
	scratch_load_dwordx2 v[10:11], v8, off
	ds_read_b64 v[12:13], v7
	v_add_u32_e32 v3, 1, v3
	v_cmp_lt_u32_e32 vcc, 9, v3
	v_add_u32_e32 v7, 8, v7
	v_add_u32_e32 v8, 8, v8
	s_or_b64 s[4:5], vcc, s[4:5]
	s_waitcnt vmcnt(0) lgkmcnt(0)
	v_pk_mul_f32 v[14:15], v[12:13], v[10:11] op_sel:[1,1] op_sel_hi:[0,1]
	v_pk_fma_f32 v[16:17], v[12:13], v[10:11], v[14:15] neg_lo:[0,0,1] neg_hi:[0,0,1]
	v_pk_fma_f32 v[10:11], v[12:13], v[10:11], v[14:15] op_sel_hi:[1,0,1]
	s_nop 0
	v_mov_b32_e32 v17, v11
	v_pk_add_f32 v[4:5], v[4:5], v[16:17]
	s_andn2_b64 exec, exec, s[4:5]
	s_cbranch_execnz .LBB92_57
; %bb.58:
	s_or_b64 exec, exec, s[4:5]
	v_mov_b32_e32 v3, 0
	ds_read_b64 v[8:9], v3 offset:88
	s_waitcnt lgkmcnt(0)
	v_pk_mul_f32 v[10:11], v[4:5], v[8:9] op_sel:[1,1] op_sel_hi:[0,1]
	v_pk_fma_f32 v[12:13], v[4:5], v[8:9], v[10:11] neg_lo:[0,0,1] neg_hi:[0,0,1]
	v_pk_fma_f32 v[4:5], v[4:5], v[8:9], v[10:11] op_sel_hi:[1,0,1]
	s_nop 0
	v_mov_b32_e32 v13, v5
	scratch_store_dwordx2 off, v[12:13], off offset:88
.LBB92_59:
	s_or_b64 exec, exec, s[0:1]
	; wave barrier
	scratch_load_dwordx2 v[4:5], off, off offset:96
	v_cmp_gt_u32_e32 vcc, 12, v0
	s_waitcnt vmcnt(0)
	ds_write_b64 v1, v[4:5]
	s_waitcnt lgkmcnt(0)
	; wave barrier
	s_and_saveexec_b64 s[0:1], vcc
	s_cbranch_execz .LBB92_63
; %bb.60:
	v_mov_b32_e32 v4, 0
	v_add_u32_e32 v3, -1, v0
	v_add_u32_e32 v7, 0xf0, v2
	v_mov_b32_e32 v8, v2
	s_mov_b64 s[4:5], 0
	v_mov_b32_e32 v5, v4
.LBB92_61:                              ; =>This Inner Loop Header: Depth=1
	scratch_load_dwordx2 v[10:11], v8, off
	ds_read_b64 v[12:13], v7
	v_add_u32_e32 v3, 1, v3
	v_cmp_lt_u32_e32 vcc, 10, v3
	v_add_u32_e32 v7, 8, v7
	v_add_u32_e32 v8, 8, v8
	s_or_b64 s[4:5], vcc, s[4:5]
	s_waitcnt vmcnt(0) lgkmcnt(0)
	v_pk_mul_f32 v[14:15], v[12:13], v[10:11] op_sel:[1,1] op_sel_hi:[0,1]
	v_pk_fma_f32 v[16:17], v[12:13], v[10:11], v[14:15] neg_lo:[0,0,1] neg_hi:[0,0,1]
	v_pk_fma_f32 v[10:11], v[12:13], v[10:11], v[14:15] op_sel_hi:[1,0,1]
	s_nop 0
	v_mov_b32_e32 v17, v11
	v_pk_add_f32 v[4:5], v[4:5], v[16:17]
	s_andn2_b64 exec, exec, s[4:5]
	s_cbranch_execnz .LBB92_61
; %bb.62:
	s_or_b64 exec, exec, s[4:5]
	v_mov_b32_e32 v3, 0
	ds_read_b64 v[8:9], v3 offset:96
	s_waitcnt lgkmcnt(0)
	v_pk_mul_f32 v[10:11], v[4:5], v[8:9] op_sel:[1,1] op_sel_hi:[0,1]
	v_pk_fma_f32 v[12:13], v[4:5], v[8:9], v[10:11] neg_lo:[0,0,1] neg_hi:[0,0,1]
	v_pk_fma_f32 v[4:5], v[4:5], v[8:9], v[10:11] op_sel_hi:[1,0,1]
	s_nop 0
	v_mov_b32_e32 v13, v5
	scratch_store_dwordx2 off, v[12:13], off offset:96
.LBB92_63:
	s_or_b64 exec, exec, s[0:1]
	; wave barrier
	scratch_load_dwordx2 v[4:5], off, off offset:104
	v_cmp_gt_u32_e32 vcc, 13, v0
	s_waitcnt vmcnt(0)
	ds_write_b64 v1, v[4:5]
	s_waitcnt lgkmcnt(0)
	; wave barrier
	s_and_saveexec_b64 s[0:1], vcc
	s_cbranch_execz .LBB92_67
; %bb.64:
	v_mov_b32_e32 v4, 0
	v_add_u32_e32 v3, -1, v0
	v_add_u32_e32 v7, 0xf0, v2
	v_mov_b32_e32 v8, v2
	s_mov_b64 s[4:5], 0
	v_mov_b32_e32 v5, v4
.LBB92_65:                              ; =>This Inner Loop Header: Depth=1
	scratch_load_dwordx2 v[10:11], v8, off
	ds_read_b64 v[12:13], v7
	v_add_u32_e32 v3, 1, v3
	v_cmp_lt_u32_e32 vcc, 11, v3
	v_add_u32_e32 v7, 8, v7
	v_add_u32_e32 v8, 8, v8
	s_or_b64 s[4:5], vcc, s[4:5]
	s_waitcnt vmcnt(0) lgkmcnt(0)
	v_pk_mul_f32 v[14:15], v[12:13], v[10:11] op_sel:[1,1] op_sel_hi:[0,1]
	v_pk_fma_f32 v[16:17], v[12:13], v[10:11], v[14:15] neg_lo:[0,0,1] neg_hi:[0,0,1]
	v_pk_fma_f32 v[10:11], v[12:13], v[10:11], v[14:15] op_sel_hi:[1,0,1]
	s_nop 0
	v_mov_b32_e32 v17, v11
	v_pk_add_f32 v[4:5], v[4:5], v[16:17]
	s_andn2_b64 exec, exec, s[4:5]
	s_cbranch_execnz .LBB92_65
; %bb.66:
	s_or_b64 exec, exec, s[4:5]
	v_mov_b32_e32 v3, 0
	ds_read_b64 v[8:9], v3 offset:104
	s_waitcnt lgkmcnt(0)
	v_pk_mul_f32 v[10:11], v[4:5], v[8:9] op_sel:[1,1] op_sel_hi:[0,1]
	v_pk_fma_f32 v[12:13], v[4:5], v[8:9], v[10:11] neg_lo:[0,0,1] neg_hi:[0,0,1]
	v_pk_fma_f32 v[4:5], v[4:5], v[8:9], v[10:11] op_sel_hi:[1,0,1]
	s_nop 0
	v_mov_b32_e32 v13, v5
	scratch_store_dwordx2 off, v[12:13], off offset:104
.LBB92_67:
	s_or_b64 exec, exec, s[0:1]
	; wave barrier
	scratch_load_dwordx2 v[4:5], off, off offset:112
	v_cmp_gt_u32_e32 vcc, 14, v0
	s_waitcnt vmcnt(0)
	ds_write_b64 v1, v[4:5]
	s_waitcnt lgkmcnt(0)
	; wave barrier
	s_and_saveexec_b64 s[0:1], vcc
	s_cbranch_execz .LBB92_71
; %bb.68:
	v_mov_b32_e32 v4, 0
	v_add_u32_e32 v3, -1, v0
	v_add_u32_e32 v7, 0xf0, v2
	v_mov_b32_e32 v8, v2
	s_mov_b64 s[4:5], 0
	v_mov_b32_e32 v5, v4
.LBB92_69:                              ; =>This Inner Loop Header: Depth=1
	scratch_load_dwordx2 v[10:11], v8, off
	ds_read_b64 v[12:13], v7
	v_add_u32_e32 v3, 1, v3
	v_cmp_lt_u32_e32 vcc, 12, v3
	v_add_u32_e32 v7, 8, v7
	v_add_u32_e32 v8, 8, v8
	s_or_b64 s[4:5], vcc, s[4:5]
	s_waitcnt vmcnt(0) lgkmcnt(0)
	v_pk_mul_f32 v[14:15], v[12:13], v[10:11] op_sel:[1,1] op_sel_hi:[0,1]
	v_pk_fma_f32 v[16:17], v[12:13], v[10:11], v[14:15] neg_lo:[0,0,1] neg_hi:[0,0,1]
	v_pk_fma_f32 v[10:11], v[12:13], v[10:11], v[14:15] op_sel_hi:[1,0,1]
	s_nop 0
	v_mov_b32_e32 v17, v11
	v_pk_add_f32 v[4:5], v[4:5], v[16:17]
	s_andn2_b64 exec, exec, s[4:5]
	s_cbranch_execnz .LBB92_69
; %bb.70:
	s_or_b64 exec, exec, s[4:5]
	v_mov_b32_e32 v3, 0
	ds_read_b64 v[8:9], v3 offset:112
	s_waitcnt lgkmcnt(0)
	v_pk_mul_f32 v[10:11], v[4:5], v[8:9] op_sel:[1,1] op_sel_hi:[0,1]
	v_pk_fma_f32 v[12:13], v[4:5], v[8:9], v[10:11] neg_lo:[0,0,1] neg_hi:[0,0,1]
	v_pk_fma_f32 v[4:5], v[4:5], v[8:9], v[10:11] op_sel_hi:[1,0,1]
	s_nop 0
	v_mov_b32_e32 v13, v5
	scratch_store_dwordx2 off, v[12:13], off offset:112
.LBB92_71:
	s_or_b64 exec, exec, s[0:1]
	; wave barrier
	scratch_load_dwordx2 v[4:5], off, off offset:120
	v_cmp_gt_u32_e32 vcc, 15, v0
	s_waitcnt vmcnt(0)
	ds_write_b64 v1, v[4:5]
	s_waitcnt lgkmcnt(0)
	; wave barrier
	s_and_saveexec_b64 s[0:1], vcc
	s_cbranch_execz .LBB92_75
; %bb.72:
	v_mov_b32_e32 v4, 0
	v_add_u32_e32 v3, -1, v0
	v_add_u32_e32 v7, 0xf0, v2
	v_mov_b32_e32 v8, v2
	s_mov_b64 s[4:5], 0
	v_mov_b32_e32 v5, v4
.LBB92_73:                              ; =>This Inner Loop Header: Depth=1
	scratch_load_dwordx2 v[10:11], v8, off
	ds_read_b64 v[12:13], v7
	v_add_u32_e32 v3, 1, v3
	v_cmp_lt_u32_e32 vcc, 13, v3
	v_add_u32_e32 v7, 8, v7
	v_add_u32_e32 v8, 8, v8
	s_or_b64 s[4:5], vcc, s[4:5]
	s_waitcnt vmcnt(0) lgkmcnt(0)
	v_pk_mul_f32 v[14:15], v[12:13], v[10:11] op_sel:[1,1] op_sel_hi:[0,1]
	v_pk_fma_f32 v[16:17], v[12:13], v[10:11], v[14:15] neg_lo:[0,0,1] neg_hi:[0,0,1]
	v_pk_fma_f32 v[10:11], v[12:13], v[10:11], v[14:15] op_sel_hi:[1,0,1]
	s_nop 0
	v_mov_b32_e32 v17, v11
	v_pk_add_f32 v[4:5], v[4:5], v[16:17]
	s_andn2_b64 exec, exec, s[4:5]
	s_cbranch_execnz .LBB92_73
; %bb.74:
	s_or_b64 exec, exec, s[4:5]
	v_mov_b32_e32 v3, 0
	ds_read_b64 v[8:9], v3 offset:120
	s_waitcnt lgkmcnt(0)
	v_pk_mul_f32 v[10:11], v[4:5], v[8:9] op_sel:[1,1] op_sel_hi:[0,1]
	v_pk_fma_f32 v[12:13], v[4:5], v[8:9], v[10:11] neg_lo:[0,0,1] neg_hi:[0,0,1]
	v_pk_fma_f32 v[4:5], v[4:5], v[8:9], v[10:11] op_sel_hi:[1,0,1]
	s_nop 0
	v_mov_b32_e32 v13, v5
	scratch_store_dwordx2 off, v[12:13], off offset:120
.LBB92_75:
	s_or_b64 exec, exec, s[0:1]
	; wave barrier
	scratch_load_dwordx2 v[4:5], off, off offset:128
	v_cmp_gt_u32_e32 vcc, 16, v0
	s_waitcnt vmcnt(0)
	ds_write_b64 v1, v[4:5]
	s_waitcnt lgkmcnt(0)
	; wave barrier
	s_and_saveexec_b64 s[0:1], vcc
	s_cbranch_execz .LBB92_79
; %bb.76:
	v_mov_b32_e32 v4, 0
	v_add_u32_e32 v3, -1, v0
	v_add_u32_e32 v7, 0xf0, v2
	v_mov_b32_e32 v8, v2
	s_mov_b64 s[4:5], 0
	v_mov_b32_e32 v5, v4
.LBB92_77:                              ; =>This Inner Loop Header: Depth=1
	scratch_load_dwordx2 v[10:11], v8, off
	ds_read_b64 v[12:13], v7
	v_add_u32_e32 v3, 1, v3
	v_cmp_lt_u32_e32 vcc, 14, v3
	v_add_u32_e32 v7, 8, v7
	v_add_u32_e32 v8, 8, v8
	s_or_b64 s[4:5], vcc, s[4:5]
	s_waitcnt vmcnt(0) lgkmcnt(0)
	v_pk_mul_f32 v[14:15], v[12:13], v[10:11] op_sel:[1,1] op_sel_hi:[0,1]
	v_pk_fma_f32 v[16:17], v[12:13], v[10:11], v[14:15] neg_lo:[0,0,1] neg_hi:[0,0,1]
	v_pk_fma_f32 v[10:11], v[12:13], v[10:11], v[14:15] op_sel_hi:[1,0,1]
	s_nop 0
	v_mov_b32_e32 v17, v11
	v_pk_add_f32 v[4:5], v[4:5], v[16:17]
	s_andn2_b64 exec, exec, s[4:5]
	s_cbranch_execnz .LBB92_77
; %bb.78:
	s_or_b64 exec, exec, s[4:5]
	v_mov_b32_e32 v3, 0
	ds_read_b64 v[8:9], v3 offset:128
	s_waitcnt lgkmcnt(0)
	v_pk_mul_f32 v[10:11], v[4:5], v[8:9] op_sel:[1,1] op_sel_hi:[0,1]
	v_pk_fma_f32 v[12:13], v[4:5], v[8:9], v[10:11] neg_lo:[0,0,1] neg_hi:[0,0,1]
	v_pk_fma_f32 v[4:5], v[4:5], v[8:9], v[10:11] op_sel_hi:[1,0,1]
	s_nop 0
	v_mov_b32_e32 v13, v5
	scratch_store_dwordx2 off, v[12:13], off offset:128
.LBB92_79:
	s_or_b64 exec, exec, s[0:1]
	; wave barrier
	scratch_load_dwordx2 v[4:5], off, off offset:136
	v_cmp_gt_u32_e32 vcc, 17, v0
	s_waitcnt vmcnt(0)
	ds_write_b64 v1, v[4:5]
	s_waitcnt lgkmcnt(0)
	; wave barrier
	s_and_saveexec_b64 s[0:1], vcc
	s_cbranch_execz .LBB92_83
; %bb.80:
	v_mov_b32_e32 v4, 0
	v_add_u32_e32 v3, -1, v0
	v_add_u32_e32 v7, 0xf0, v2
	v_mov_b32_e32 v8, v2
	s_mov_b64 s[4:5], 0
	v_mov_b32_e32 v5, v4
.LBB92_81:                              ; =>This Inner Loop Header: Depth=1
	scratch_load_dwordx2 v[10:11], v8, off
	ds_read_b64 v[12:13], v7
	v_add_u32_e32 v3, 1, v3
	v_cmp_lt_u32_e32 vcc, 15, v3
	v_add_u32_e32 v7, 8, v7
	v_add_u32_e32 v8, 8, v8
	s_or_b64 s[4:5], vcc, s[4:5]
	s_waitcnt vmcnt(0) lgkmcnt(0)
	v_pk_mul_f32 v[14:15], v[12:13], v[10:11] op_sel:[1,1] op_sel_hi:[0,1]
	v_pk_fma_f32 v[16:17], v[12:13], v[10:11], v[14:15] neg_lo:[0,0,1] neg_hi:[0,0,1]
	v_pk_fma_f32 v[10:11], v[12:13], v[10:11], v[14:15] op_sel_hi:[1,0,1]
	s_nop 0
	v_mov_b32_e32 v17, v11
	v_pk_add_f32 v[4:5], v[4:5], v[16:17]
	s_andn2_b64 exec, exec, s[4:5]
	s_cbranch_execnz .LBB92_81
; %bb.82:
	s_or_b64 exec, exec, s[4:5]
	v_mov_b32_e32 v3, 0
	ds_read_b64 v[8:9], v3 offset:136
	s_waitcnt lgkmcnt(0)
	v_pk_mul_f32 v[10:11], v[4:5], v[8:9] op_sel:[1,1] op_sel_hi:[0,1]
	v_pk_fma_f32 v[12:13], v[4:5], v[8:9], v[10:11] neg_lo:[0,0,1] neg_hi:[0,0,1]
	v_pk_fma_f32 v[4:5], v[4:5], v[8:9], v[10:11] op_sel_hi:[1,0,1]
	s_nop 0
	v_mov_b32_e32 v13, v5
	scratch_store_dwordx2 off, v[12:13], off offset:136
.LBB92_83:
	s_or_b64 exec, exec, s[0:1]
	; wave barrier
	scratch_load_dwordx2 v[4:5], off, off offset:144
	v_cmp_gt_u32_e32 vcc, 18, v0
	s_waitcnt vmcnt(0)
	ds_write_b64 v1, v[4:5]
	s_waitcnt lgkmcnt(0)
	; wave barrier
	s_and_saveexec_b64 s[0:1], vcc
	s_cbranch_execz .LBB92_87
; %bb.84:
	v_mov_b32_e32 v4, 0
	v_add_u32_e32 v3, -1, v0
	v_add_u32_e32 v7, 0xf0, v2
	v_mov_b32_e32 v8, v2
	s_mov_b64 s[4:5], 0
	v_mov_b32_e32 v5, v4
.LBB92_85:                              ; =>This Inner Loop Header: Depth=1
	scratch_load_dwordx2 v[10:11], v8, off
	ds_read_b64 v[12:13], v7
	v_add_u32_e32 v3, 1, v3
	v_cmp_lt_u32_e32 vcc, 16, v3
	v_add_u32_e32 v7, 8, v7
	v_add_u32_e32 v8, 8, v8
	s_or_b64 s[4:5], vcc, s[4:5]
	s_waitcnt vmcnt(0) lgkmcnt(0)
	v_pk_mul_f32 v[14:15], v[12:13], v[10:11] op_sel:[1,1] op_sel_hi:[0,1]
	v_pk_fma_f32 v[16:17], v[12:13], v[10:11], v[14:15] neg_lo:[0,0,1] neg_hi:[0,0,1]
	v_pk_fma_f32 v[10:11], v[12:13], v[10:11], v[14:15] op_sel_hi:[1,0,1]
	s_nop 0
	v_mov_b32_e32 v17, v11
	v_pk_add_f32 v[4:5], v[4:5], v[16:17]
	s_andn2_b64 exec, exec, s[4:5]
	s_cbranch_execnz .LBB92_85
; %bb.86:
	s_or_b64 exec, exec, s[4:5]
	v_mov_b32_e32 v3, 0
	ds_read_b64 v[8:9], v3 offset:144
	s_waitcnt lgkmcnt(0)
	v_pk_mul_f32 v[10:11], v[4:5], v[8:9] op_sel:[1,1] op_sel_hi:[0,1]
	v_pk_fma_f32 v[12:13], v[4:5], v[8:9], v[10:11] neg_lo:[0,0,1] neg_hi:[0,0,1]
	v_pk_fma_f32 v[4:5], v[4:5], v[8:9], v[10:11] op_sel_hi:[1,0,1]
	s_nop 0
	v_mov_b32_e32 v13, v5
	scratch_store_dwordx2 off, v[12:13], off offset:144
.LBB92_87:
	s_or_b64 exec, exec, s[0:1]
	; wave barrier
	scratch_load_dwordx2 v[4:5], off, off offset:152
	v_cmp_gt_u32_e32 vcc, 19, v0
	s_waitcnt vmcnt(0)
	ds_write_b64 v1, v[4:5]
	s_waitcnt lgkmcnt(0)
	; wave barrier
	s_and_saveexec_b64 s[0:1], vcc
	s_cbranch_execz .LBB92_91
; %bb.88:
	v_mov_b32_e32 v4, 0
	v_add_u32_e32 v3, -1, v0
	v_add_u32_e32 v7, 0xf0, v2
	v_mov_b32_e32 v8, v2
	s_mov_b64 s[4:5], 0
	v_mov_b32_e32 v5, v4
.LBB92_89:                              ; =>This Inner Loop Header: Depth=1
	scratch_load_dwordx2 v[10:11], v8, off
	ds_read_b64 v[12:13], v7
	v_add_u32_e32 v3, 1, v3
	v_cmp_lt_u32_e32 vcc, 17, v3
	v_add_u32_e32 v7, 8, v7
	v_add_u32_e32 v8, 8, v8
	s_or_b64 s[4:5], vcc, s[4:5]
	s_waitcnt vmcnt(0) lgkmcnt(0)
	v_pk_mul_f32 v[14:15], v[12:13], v[10:11] op_sel:[1,1] op_sel_hi:[0,1]
	v_pk_fma_f32 v[16:17], v[12:13], v[10:11], v[14:15] neg_lo:[0,0,1] neg_hi:[0,0,1]
	v_pk_fma_f32 v[10:11], v[12:13], v[10:11], v[14:15] op_sel_hi:[1,0,1]
	s_nop 0
	v_mov_b32_e32 v17, v11
	v_pk_add_f32 v[4:5], v[4:5], v[16:17]
	s_andn2_b64 exec, exec, s[4:5]
	s_cbranch_execnz .LBB92_89
; %bb.90:
	s_or_b64 exec, exec, s[4:5]
	v_mov_b32_e32 v3, 0
	ds_read_b64 v[8:9], v3 offset:152
	s_waitcnt lgkmcnt(0)
	v_pk_mul_f32 v[10:11], v[4:5], v[8:9] op_sel:[1,1] op_sel_hi:[0,1]
	v_pk_fma_f32 v[12:13], v[4:5], v[8:9], v[10:11] neg_lo:[0,0,1] neg_hi:[0,0,1]
	v_pk_fma_f32 v[4:5], v[4:5], v[8:9], v[10:11] op_sel_hi:[1,0,1]
	s_nop 0
	v_mov_b32_e32 v13, v5
	scratch_store_dwordx2 off, v[12:13], off offset:152
.LBB92_91:
	s_or_b64 exec, exec, s[0:1]
	; wave barrier
	scratch_load_dwordx2 v[4:5], off, off offset:160
	v_cmp_gt_u32_e32 vcc, 20, v0
	s_waitcnt vmcnt(0)
	ds_write_b64 v1, v[4:5]
	s_waitcnt lgkmcnt(0)
	; wave barrier
	s_and_saveexec_b64 s[0:1], vcc
	s_cbranch_execz .LBB92_95
; %bb.92:
	v_mov_b32_e32 v4, 0
	v_add_u32_e32 v3, -1, v0
	v_add_u32_e32 v7, 0xf0, v2
	v_mov_b32_e32 v8, v2
	s_mov_b64 s[4:5], 0
	v_mov_b32_e32 v5, v4
.LBB92_93:                              ; =>This Inner Loop Header: Depth=1
	scratch_load_dwordx2 v[10:11], v8, off
	ds_read_b64 v[12:13], v7
	v_add_u32_e32 v3, 1, v3
	v_cmp_lt_u32_e32 vcc, 18, v3
	v_add_u32_e32 v7, 8, v7
	v_add_u32_e32 v8, 8, v8
	s_or_b64 s[4:5], vcc, s[4:5]
	s_waitcnt vmcnt(0) lgkmcnt(0)
	v_pk_mul_f32 v[14:15], v[12:13], v[10:11] op_sel:[1,1] op_sel_hi:[0,1]
	v_pk_fma_f32 v[16:17], v[12:13], v[10:11], v[14:15] neg_lo:[0,0,1] neg_hi:[0,0,1]
	v_pk_fma_f32 v[10:11], v[12:13], v[10:11], v[14:15] op_sel_hi:[1,0,1]
	s_nop 0
	v_mov_b32_e32 v17, v11
	v_pk_add_f32 v[4:5], v[4:5], v[16:17]
	s_andn2_b64 exec, exec, s[4:5]
	s_cbranch_execnz .LBB92_93
; %bb.94:
	s_or_b64 exec, exec, s[4:5]
	v_mov_b32_e32 v3, 0
	ds_read_b64 v[8:9], v3 offset:160
	s_waitcnt lgkmcnt(0)
	v_pk_mul_f32 v[10:11], v[4:5], v[8:9] op_sel:[1,1] op_sel_hi:[0,1]
	v_pk_fma_f32 v[12:13], v[4:5], v[8:9], v[10:11] neg_lo:[0,0,1] neg_hi:[0,0,1]
	v_pk_fma_f32 v[4:5], v[4:5], v[8:9], v[10:11] op_sel_hi:[1,0,1]
	s_nop 0
	v_mov_b32_e32 v13, v5
	scratch_store_dwordx2 off, v[12:13], off offset:160
.LBB92_95:
	s_or_b64 exec, exec, s[0:1]
	; wave barrier
	scratch_load_dwordx2 v[4:5], off, off offset:168
	v_cmp_gt_u32_e32 vcc, 21, v0
	s_waitcnt vmcnt(0)
	ds_write_b64 v1, v[4:5]
	s_waitcnt lgkmcnt(0)
	; wave barrier
	s_and_saveexec_b64 s[0:1], vcc
	s_cbranch_execz .LBB92_99
; %bb.96:
	v_mov_b32_e32 v4, 0
	v_add_u32_e32 v3, -1, v0
	v_add_u32_e32 v7, 0xf0, v2
	v_mov_b32_e32 v8, v2
	s_mov_b64 s[4:5], 0
	v_mov_b32_e32 v5, v4
.LBB92_97:                              ; =>This Inner Loop Header: Depth=1
	scratch_load_dwordx2 v[10:11], v8, off
	ds_read_b64 v[12:13], v7
	v_add_u32_e32 v3, 1, v3
	v_cmp_lt_u32_e32 vcc, 19, v3
	v_add_u32_e32 v7, 8, v7
	v_add_u32_e32 v8, 8, v8
	s_or_b64 s[4:5], vcc, s[4:5]
	s_waitcnt vmcnt(0) lgkmcnt(0)
	v_pk_mul_f32 v[14:15], v[12:13], v[10:11] op_sel:[1,1] op_sel_hi:[0,1]
	v_pk_fma_f32 v[16:17], v[12:13], v[10:11], v[14:15] neg_lo:[0,0,1] neg_hi:[0,0,1]
	v_pk_fma_f32 v[10:11], v[12:13], v[10:11], v[14:15] op_sel_hi:[1,0,1]
	s_nop 0
	v_mov_b32_e32 v17, v11
	v_pk_add_f32 v[4:5], v[4:5], v[16:17]
	s_andn2_b64 exec, exec, s[4:5]
	s_cbranch_execnz .LBB92_97
; %bb.98:
	s_or_b64 exec, exec, s[4:5]
	v_mov_b32_e32 v3, 0
	ds_read_b64 v[8:9], v3 offset:168
	s_waitcnt lgkmcnt(0)
	v_pk_mul_f32 v[10:11], v[4:5], v[8:9] op_sel:[1,1] op_sel_hi:[0,1]
	v_pk_fma_f32 v[12:13], v[4:5], v[8:9], v[10:11] neg_lo:[0,0,1] neg_hi:[0,0,1]
	v_pk_fma_f32 v[4:5], v[4:5], v[8:9], v[10:11] op_sel_hi:[1,0,1]
	s_nop 0
	v_mov_b32_e32 v13, v5
	scratch_store_dwordx2 off, v[12:13], off offset:168
.LBB92_99:
	s_or_b64 exec, exec, s[0:1]
	; wave barrier
	scratch_load_dwordx2 v[4:5], off, off offset:176
	v_cmp_gt_u32_e32 vcc, 22, v0
	s_waitcnt vmcnt(0)
	ds_write_b64 v1, v[4:5]
	s_waitcnt lgkmcnt(0)
	; wave barrier
	s_and_saveexec_b64 s[0:1], vcc
	s_cbranch_execz .LBB92_103
; %bb.100:
	v_mov_b32_e32 v4, 0
	v_add_u32_e32 v3, -1, v0
	v_add_u32_e32 v7, 0xf0, v2
	v_mov_b32_e32 v8, v2
	s_mov_b64 s[4:5], 0
	v_mov_b32_e32 v5, v4
.LBB92_101:                             ; =>This Inner Loop Header: Depth=1
	scratch_load_dwordx2 v[10:11], v8, off
	ds_read_b64 v[12:13], v7
	v_add_u32_e32 v3, 1, v3
	v_cmp_lt_u32_e32 vcc, 20, v3
	v_add_u32_e32 v7, 8, v7
	v_add_u32_e32 v8, 8, v8
	s_or_b64 s[4:5], vcc, s[4:5]
	s_waitcnt vmcnt(0) lgkmcnt(0)
	v_pk_mul_f32 v[14:15], v[12:13], v[10:11] op_sel:[1,1] op_sel_hi:[0,1]
	v_pk_fma_f32 v[16:17], v[12:13], v[10:11], v[14:15] neg_lo:[0,0,1] neg_hi:[0,0,1]
	v_pk_fma_f32 v[10:11], v[12:13], v[10:11], v[14:15] op_sel_hi:[1,0,1]
	s_nop 0
	v_mov_b32_e32 v17, v11
	v_pk_add_f32 v[4:5], v[4:5], v[16:17]
	s_andn2_b64 exec, exec, s[4:5]
	s_cbranch_execnz .LBB92_101
; %bb.102:
	s_or_b64 exec, exec, s[4:5]
	v_mov_b32_e32 v3, 0
	ds_read_b64 v[8:9], v3 offset:176
	s_waitcnt lgkmcnt(0)
	v_pk_mul_f32 v[10:11], v[4:5], v[8:9] op_sel:[1,1] op_sel_hi:[0,1]
	v_pk_fma_f32 v[12:13], v[4:5], v[8:9], v[10:11] neg_lo:[0,0,1] neg_hi:[0,0,1]
	v_pk_fma_f32 v[4:5], v[4:5], v[8:9], v[10:11] op_sel_hi:[1,0,1]
	s_nop 0
	v_mov_b32_e32 v13, v5
	scratch_store_dwordx2 off, v[12:13], off offset:176
.LBB92_103:
	s_or_b64 exec, exec, s[0:1]
	; wave barrier
	scratch_load_dwordx2 v[4:5], off, off offset:184
	v_cmp_gt_u32_e32 vcc, 23, v0
	s_waitcnt vmcnt(0)
	ds_write_b64 v1, v[4:5]
	s_waitcnt lgkmcnt(0)
	; wave barrier
	s_and_saveexec_b64 s[0:1], vcc
	s_cbranch_execz .LBB92_107
; %bb.104:
	v_mov_b32_e32 v4, 0
	v_add_u32_e32 v3, -1, v0
	v_add_u32_e32 v7, 0xf0, v2
	v_mov_b32_e32 v8, v2
	s_mov_b64 s[4:5], 0
	v_mov_b32_e32 v5, v4
.LBB92_105:                             ; =>This Inner Loop Header: Depth=1
	scratch_load_dwordx2 v[10:11], v8, off
	ds_read_b64 v[12:13], v7
	v_add_u32_e32 v3, 1, v3
	v_cmp_lt_u32_e32 vcc, 21, v3
	v_add_u32_e32 v7, 8, v7
	v_add_u32_e32 v8, 8, v8
	s_or_b64 s[4:5], vcc, s[4:5]
	s_waitcnt vmcnt(0) lgkmcnt(0)
	v_pk_mul_f32 v[14:15], v[12:13], v[10:11] op_sel:[1,1] op_sel_hi:[0,1]
	v_pk_fma_f32 v[16:17], v[12:13], v[10:11], v[14:15] neg_lo:[0,0,1] neg_hi:[0,0,1]
	v_pk_fma_f32 v[10:11], v[12:13], v[10:11], v[14:15] op_sel_hi:[1,0,1]
	s_nop 0
	v_mov_b32_e32 v17, v11
	v_pk_add_f32 v[4:5], v[4:5], v[16:17]
	s_andn2_b64 exec, exec, s[4:5]
	s_cbranch_execnz .LBB92_105
; %bb.106:
	s_or_b64 exec, exec, s[4:5]
	v_mov_b32_e32 v3, 0
	ds_read_b64 v[8:9], v3 offset:184
	s_waitcnt lgkmcnt(0)
	v_pk_mul_f32 v[10:11], v[4:5], v[8:9] op_sel:[1,1] op_sel_hi:[0,1]
	v_pk_fma_f32 v[12:13], v[4:5], v[8:9], v[10:11] neg_lo:[0,0,1] neg_hi:[0,0,1]
	v_pk_fma_f32 v[4:5], v[4:5], v[8:9], v[10:11] op_sel_hi:[1,0,1]
	s_nop 0
	v_mov_b32_e32 v13, v5
	scratch_store_dwordx2 off, v[12:13], off offset:184
.LBB92_107:
	s_or_b64 exec, exec, s[0:1]
	; wave barrier
	scratch_load_dwordx2 v[4:5], off, off offset:192
	v_cmp_gt_u32_e32 vcc, 24, v0
	;; [unrolled: 46-line block ×5, first 2 shown]
	s_waitcnt vmcnt(0)
	ds_write_b64 v1, v[4:5]
	s_waitcnt lgkmcnt(0)
	; wave barrier
	s_and_saveexec_b64 s[0:1], vcc
	s_cbranch_execz .LBB92_123
; %bb.120:
	v_mov_b32_e32 v4, 0
	v_add_u32_e32 v3, -1, v0
	v_add_u32_e32 v7, 0xf0, v2
	v_mov_b32_e32 v8, v2
	s_mov_b64 s[4:5], 0
	v_mov_b32_e32 v5, v4
.LBB92_121:                             ; =>This Inner Loop Header: Depth=1
	scratch_load_dwordx2 v[10:11], v8, off
	ds_read_b64 v[12:13], v7
	v_add_u32_e32 v3, 1, v3
	v_cmp_lt_u32_e32 vcc, 25, v3
	v_add_u32_e32 v7, 8, v7
	v_add_u32_e32 v8, 8, v8
	s_or_b64 s[4:5], vcc, s[4:5]
	s_waitcnt vmcnt(0) lgkmcnt(0)
	v_pk_mul_f32 v[14:15], v[12:13], v[10:11] op_sel:[1,1] op_sel_hi:[0,1]
	v_pk_fma_f32 v[16:17], v[12:13], v[10:11], v[14:15] neg_lo:[0,0,1] neg_hi:[0,0,1]
	v_pk_fma_f32 v[10:11], v[12:13], v[10:11], v[14:15] op_sel_hi:[1,0,1]
	s_nop 0
	v_mov_b32_e32 v17, v11
	v_pk_add_f32 v[4:5], v[4:5], v[16:17]
	s_andn2_b64 exec, exec, s[4:5]
	s_cbranch_execnz .LBB92_121
; %bb.122:
	s_or_b64 exec, exec, s[4:5]
	v_mov_b32_e32 v3, 0
	ds_read_b64 v[8:9], v3 offset:216
	s_waitcnt lgkmcnt(0)
	v_pk_mul_f32 v[10:11], v[4:5], v[8:9] op_sel:[1,1] op_sel_hi:[0,1]
	v_pk_fma_f32 v[12:13], v[4:5], v[8:9], v[10:11] neg_lo:[0,0,1] neg_hi:[0,0,1]
	v_pk_fma_f32 v[4:5], v[4:5], v[8:9], v[10:11] op_sel_hi:[1,0,1]
	s_nop 0
	v_mov_b32_e32 v13, v5
	scratch_store_dwordx2 off, v[12:13], off offset:216
.LBB92_123:
	s_or_b64 exec, exec, s[0:1]
	; wave barrier
	scratch_load_dwordx2 v[4:5], off, off offset:224
	v_cmp_ne_u32_e32 vcc, 28, v0
	s_waitcnt vmcnt(0)
	ds_write_b64 v1, v[4:5]
	s_waitcnt lgkmcnt(0)
	; wave barrier
	s_and_saveexec_b64 s[0:1], vcc
	s_cbranch_execz .LBB92_127
; %bb.124:
	v_add_u32_e32 v1, 0xf0, v2
	v_mov_b32_e32 v4, v2
	v_mov_b32_e32 v2, 0
	s_mov_b64 s[4:5], 0
	v_mov_b32_e32 v3, v2
.LBB92_125:                             ; =>This Inner Loop Header: Depth=1
	scratch_load_dwordx2 v[8:9], v4, off
	ds_read_b64 v[10:11], v1
	v_add_u32_e32 v6, 1, v6
	v_cmp_lt_u32_e32 vcc, 26, v6
	v_add_u32_e32 v1, 8, v1
	v_add_u32_e32 v4, 8, v4
	s_or_b64 s[4:5], vcc, s[4:5]
	s_waitcnt vmcnt(0) lgkmcnt(0)
	v_pk_mul_f32 v[12:13], v[10:11], v[8:9] op_sel:[1,1] op_sel_hi:[0,1]
	v_pk_fma_f32 v[14:15], v[10:11], v[8:9], v[12:13] neg_lo:[0,0,1] neg_hi:[0,0,1]
	v_pk_fma_f32 v[8:9], v[10:11], v[8:9], v[12:13] op_sel_hi:[1,0,1]
	s_nop 0
	v_mov_b32_e32 v15, v9
	v_pk_add_f32 v[2:3], v[2:3], v[14:15]
	s_andn2_b64 exec, exec, s[4:5]
	s_cbranch_execnz .LBB92_125
; %bb.126:
	s_or_b64 exec, exec, s[4:5]
	v_mov_b32_e32 v1, 0
	ds_read_b64 v[4:5], v1 offset:224
	s_waitcnt lgkmcnt(0)
	v_pk_mul_f32 v[6:7], v[2:3], v[4:5] op_sel:[1,1] op_sel_hi:[0,1]
	v_pk_fma_f32 v[8:9], v[2:3], v[4:5], v[6:7] neg_lo:[0,0,1] neg_hi:[0,0,1]
	v_pk_fma_f32 v[2:3], v[2:3], v[4:5], v[6:7] op_sel_hi:[1,0,1]
	s_nop 0
	v_mov_b32_e32 v9, v3
	scratch_store_dwordx2 off, v[8:9], off offset:224
.LBB92_127:
	s_or_b64 exec, exec, s[0:1]
	s_mov_b64 s[4:5], -1
	; wave barrier
.LBB92_128:
	s_and_b64 vcc, exec, s[4:5]
	s_cbranch_vccz .LBB92_130
; %bb.129:
	s_lshl_b64 s[0:1], s[2:3], 2
	s_add_u32 s0, s6, s0
	s_addc_u32 s1, s7, s1
	v_mov_b32_e32 v1, 0
	global_load_dword v1, v1, s[0:1]
	s_waitcnt vmcnt(0)
	v_cmp_ne_u32_e32 vcc, 0, v1
	s_cbranch_vccz .LBB92_131
.LBB92_130:
	s_endpgm
.LBB92_131:
	v_mov_b32_e32 v1, 0xf0
	v_lshl_add_u32 v1, v0, 3, v1
	v_cmp_eq_u32_e32 vcc, 28, v0
	s_and_saveexec_b64 s[0:1], vcc
	s_cbranch_execz .LBB92_133
; %bb.132:
	scratch_load_dwordx2 v[2:3], off, off offset:216
	v_mov_b32_e32 v4, 0
	v_mov_b32_e32 v5, v4
	scratch_store_dwordx2 off, v[4:5], off offset:216
	s_waitcnt vmcnt(1)
	ds_write_b64 v1, v[2:3]
.LBB92_133:
	s_or_b64 exec, exec, s[0:1]
	s_waitcnt lgkmcnt(0)
	; wave barrier
	scratch_load_dwordx2 v[4:5], off, off offset:224
	scratch_load_dwordx2 v[6:7], off, off offset:216
	v_mov_b32_e32 v2, 0
	ds_read_b64 v[8:9], v2 offset:464
	v_cmp_lt_u32_e32 vcc, 26, v0
	s_waitcnt vmcnt(1) lgkmcnt(0)
	v_pk_mul_f32 v[10:11], v[8:9], v[4:5] op_sel:[1,1] op_sel_hi:[0,1]
	v_pk_fma_f32 v[12:13], v[8:9], v[4:5], v[10:11] neg_lo:[0,0,1] neg_hi:[0,0,1]
	v_pk_fma_f32 v[4:5], v[8:9], v[4:5], v[10:11] op_sel_hi:[1,0,1]
	s_nop 0
	v_mov_b32_e32 v13, v5
	v_pk_add_f32 v[4:5], v[12:13], 0 op_sel_hi:[1,0]
	s_waitcnt vmcnt(0)
	v_pk_add_f32 v[4:5], v[6:7], v[4:5] neg_lo:[0,1] neg_hi:[0,1]
	scratch_store_dwordx2 off, v[4:5], off offset:216
	s_and_saveexec_b64 s[0:1], vcc
	s_cbranch_execz .LBB92_135
; %bb.134:
	scratch_load_dwordx2 v[4:5], off, off offset:208
	v_mov_b32_e32 v3, v2
	scratch_store_dwordx2 off, v[2:3], off offset:208
	s_waitcnt vmcnt(1)
	ds_write_b64 v1, v[4:5]
.LBB92_135:
	s_or_b64 exec, exec, s[0:1]
	s_waitcnt lgkmcnt(0)
	; wave barrier
	scratch_load_dwordx4 v[4:7], off, off offset:216
	scratch_load_dwordx2 v[12:13], off, off offset:208
	ds_read2_b64 v[8:11], v2 offset0:57 offset1:58
	v_cmp_lt_u32_e32 vcc, 25, v0
	s_waitcnt vmcnt(1) lgkmcnt(0)
	v_pk_mul_f32 v[2:3], v[8:9], v[4:5] op_sel:[1,1] op_sel_hi:[0,1]
	v_mov_b32_e32 v14, v7
	v_pk_fma_f32 v[16:17], v[8:9], v[4:5], v[2:3] neg_lo:[0,0,1] neg_hi:[0,0,1]
	v_pk_fma_f32 v[2:3], v[8:9], v[4:5], v[2:3] op_sel_hi:[1,0,1]
	v_pk_mul_f32 v[4:5], v[10:11], v[14:15] op_sel:[1,0] op_sel_hi:[0,0]
	v_mov_b32_e32 v17, v3
	v_pk_fma_f32 v[2:3], v[10:11], v[6:7], v[4:5] neg_lo:[0,0,1] neg_hi:[0,0,1]
	v_pk_fma_f32 v[4:5], v[10:11], v[6:7], v[4:5] op_sel_hi:[1,0,1]
	v_pk_add_f32 v[6:7], v[16:17], 0 op_sel_hi:[1,0]
	v_mov_b32_e32 v3, v5
	v_pk_add_f32 v[2:3], v[6:7], v[2:3]
	s_waitcnt vmcnt(0)
	v_pk_add_f32 v[2:3], v[12:13], v[2:3] neg_lo:[0,1] neg_hi:[0,1]
	scratch_store_dwordx2 off, v[2:3], off offset:208
	s_and_saveexec_b64 s[0:1], vcc
	s_cbranch_execz .LBB92_137
; %bb.136:
	scratch_load_dwordx2 v[2:3], off, off offset:200
	v_mov_b32_e32 v4, 0
	v_mov_b32_e32 v5, v4
	scratch_store_dwordx2 off, v[4:5], off offset:200
	s_waitcnt vmcnt(1)
	ds_write_b64 v1, v[2:3]
.LBB92_137:
	s_or_b64 exec, exec, s[0:1]
	s_waitcnt lgkmcnt(0)
	; wave barrier
	scratch_load_dwordx4 v[4:7], off, off offset:208
	scratch_load_dwordx2 v[12:13], off, off offset:224
	scratch_load_dwordx2 v[14:15], off, off offset:200
	v_mov_b32_e32 v2, 0
	ds_read_b128 v[8:11], v2 offset:448
	ds_read_b64 v[16:17], v2 offset:464
	v_cmp_lt_u32_e32 vcc, 24, v0
	s_waitcnt vmcnt(2) lgkmcnt(1)
	v_pk_mul_f32 v[18:19], v[8:9], v[4:5] op_sel:[1,1] op_sel_hi:[0,1]
	v_mov_b32_e32 v20, v7
	v_pk_fma_f32 v[24:25], v[8:9], v[4:5], v[18:19] neg_lo:[0,0,1] neg_hi:[0,0,1]
	v_pk_fma_f32 v[4:5], v[8:9], v[4:5], v[18:19] op_sel_hi:[1,0,1]
	v_pk_mul_f32 v[8:9], v[10:11], v[20:21] op_sel:[1,0] op_sel_hi:[0,0]
	s_waitcnt vmcnt(1) lgkmcnt(0)
	v_pk_mul_f32 v[22:23], v[16:17], v[12:13] op_sel:[1,1] op_sel_hi:[0,1]
	v_mov_b32_e32 v25, v5
	v_pk_fma_f32 v[4:5], v[10:11], v[6:7], v[8:9] neg_lo:[0,0,1] neg_hi:[0,0,1]
	v_pk_fma_f32 v[6:7], v[10:11], v[6:7], v[8:9] op_sel_hi:[1,0,1]
	v_pk_fma_f32 v[18:19], v[16:17], v[12:13], v[22:23] neg_lo:[0,0,1] neg_hi:[0,0,1]
	v_pk_fma_f32 v[12:13], v[16:17], v[12:13], v[22:23] op_sel_hi:[1,0,1]
	v_pk_add_f32 v[8:9], v[24:25], 0 op_sel_hi:[1,0]
	v_mov_b32_e32 v5, v7
	v_mov_b32_e32 v19, v13
	v_pk_add_f32 v[4:5], v[8:9], v[4:5]
	s_nop 0
	v_pk_add_f32 v[4:5], v[4:5], v[18:19]
	s_waitcnt vmcnt(0)
	v_pk_add_f32 v[4:5], v[14:15], v[4:5] neg_lo:[0,1] neg_hi:[0,1]
	scratch_store_dwordx2 off, v[4:5], off offset:200
	s_and_saveexec_b64 s[0:1], vcc
	s_cbranch_execz .LBB92_139
; %bb.138:
	scratch_load_dwordx2 v[4:5], off, off offset:192
	v_mov_b32_e32 v3, v2
	scratch_store_dwordx2 off, v[2:3], off offset:192
	s_waitcnt vmcnt(1)
	ds_write_b64 v1, v[4:5]
.LBB92_139:
	s_or_b64 exec, exec, s[0:1]
	s_waitcnt lgkmcnt(0)
	; wave barrier
	scratch_load_dwordx4 v[4:7], off, off offset:200
	scratch_load_dwordx4 v[8:11], off, off offset:216
	scratch_load_dwordx2 v[20:21], off, off offset:192
	ds_read2_b64 v[12:15], v2 offset0:55 offset1:56
	ds_read2_b64 v[16:19], v2 offset0:57 offset1:58
	v_cmp_lt_u32_e32 vcc, 23, v0
	s_waitcnt vmcnt(2) lgkmcnt(1)
	v_pk_mul_f32 v[2:3], v[12:13], v[4:5] op_sel:[1,1] op_sel_hi:[0,1]
	v_mov_b32_e32 v22, v7
	s_waitcnt vmcnt(1) lgkmcnt(0)
	v_pk_mul_f32 v[24:25], v[16:17], v[8:9] op_sel:[1,1] op_sel_hi:[0,1]
	v_mov_b32_e32 v26, v11
	v_pk_fma_f32 v[28:29], v[12:13], v[4:5], v[2:3] neg_lo:[0,0,1] neg_hi:[0,0,1]
	v_pk_fma_f32 v[2:3], v[12:13], v[4:5], v[2:3] op_sel_hi:[1,0,1]
	v_pk_mul_f32 v[4:5], v[14:15], v[22:23] op_sel:[1,0] op_sel_hi:[0,0]
	v_pk_fma_f32 v[12:13], v[16:17], v[8:9], v[24:25] neg_lo:[0,0,1] neg_hi:[0,0,1]
	v_pk_fma_f32 v[8:9], v[16:17], v[8:9], v[24:25] op_sel_hi:[1,0,1]
	v_pk_mul_f32 v[16:17], v[18:19], v[26:27] op_sel:[1,0] op_sel_hi:[0,0]
	v_mov_b32_e32 v29, v3
	v_pk_fma_f32 v[2:3], v[14:15], v[6:7], v[4:5] neg_lo:[0,0,1] neg_hi:[0,0,1]
	v_pk_fma_f32 v[4:5], v[14:15], v[6:7], v[4:5] op_sel_hi:[1,0,1]
	v_mov_b32_e32 v13, v9
	v_pk_fma_f32 v[6:7], v[18:19], v[10:11], v[16:17] neg_lo:[0,0,1] neg_hi:[0,0,1]
	v_pk_fma_f32 v[8:9], v[18:19], v[10:11], v[16:17] op_sel_hi:[1,0,1]
	v_pk_add_f32 v[10:11], v[28:29], 0 op_sel_hi:[1,0]
	v_mov_b32_e32 v3, v5
	v_pk_add_f32 v[2:3], v[10:11], v[2:3]
	v_mov_b32_e32 v7, v9
	v_pk_add_f32 v[2:3], v[2:3], v[12:13]
	s_nop 0
	v_pk_add_f32 v[2:3], v[2:3], v[6:7]
	s_waitcnt vmcnt(0)
	v_pk_add_f32 v[2:3], v[20:21], v[2:3] neg_lo:[0,1] neg_hi:[0,1]
	scratch_store_dwordx2 off, v[2:3], off offset:192
	s_and_saveexec_b64 s[0:1], vcc
	s_cbranch_execz .LBB92_141
; %bb.140:
	scratch_load_dwordx2 v[2:3], off, off offset:184
	v_mov_b32_e32 v4, 0
	v_mov_b32_e32 v5, v4
	scratch_store_dwordx2 off, v[4:5], off offset:184
	s_waitcnt vmcnt(1)
	ds_write_b64 v1, v[2:3]
.LBB92_141:
	s_or_b64 exec, exec, s[0:1]
	s_waitcnt lgkmcnt(0)
	; wave barrier
	scratch_load_dwordx4 v[4:7], off, off offset:192
	scratch_load_dwordx4 v[8:11], off, off offset:208
	scratch_load_dwordx2 v[20:21], off, off offset:224
	scratch_load_dwordx2 v[22:23], off, off offset:184
	v_mov_b32_e32 v2, 0
	ds_read_b128 v[12:15], v2 offset:432
	ds_read_b128 v[16:19], v2 offset:448
	ds_read_b64 v[24:25], v2 offset:464
	v_cmp_lt_u32_e32 vcc, 22, v0
	s_waitcnt vmcnt(3) lgkmcnt(2)
	v_pk_mul_f32 v[26:27], v[12:13], v[4:5] op_sel:[1,1] op_sel_hi:[0,1]
	v_mov_b32_e32 v28, v7
	v_pk_fma_f32 v[36:37], v[12:13], v[4:5], v[26:27] neg_lo:[0,0,1] neg_hi:[0,0,1]
	v_pk_fma_f32 v[4:5], v[12:13], v[4:5], v[26:27] op_sel_hi:[1,0,1]
	v_pk_mul_f32 v[12:13], v[14:15], v[28:29] op_sel:[1,0] op_sel_hi:[0,0]
	s_waitcnt vmcnt(2) lgkmcnt(1)
	v_pk_mul_f32 v[30:31], v[16:17], v[8:9] op_sel:[1,1] op_sel_hi:[0,1]
	v_mov_b32_e32 v32, v11
	v_mov_b32_e32 v37, v5
	v_pk_fma_f32 v[4:5], v[14:15], v[6:7], v[12:13] neg_lo:[0,0,1] neg_hi:[0,0,1]
	v_pk_fma_f32 v[6:7], v[14:15], v[6:7], v[12:13] op_sel_hi:[1,0,1]
	v_pk_fma_f32 v[26:27], v[16:17], v[8:9], v[30:31] neg_lo:[0,0,1] neg_hi:[0,0,1]
	v_pk_fma_f32 v[8:9], v[16:17], v[8:9], v[30:31] op_sel_hi:[1,0,1]
	v_pk_mul_f32 v[16:17], v[18:19], v[32:33] op_sel:[1,0] op_sel_hi:[0,0]
	v_pk_add_f32 v[12:13], v[36:37], 0 op_sel_hi:[1,0]
	v_mov_b32_e32 v5, v7
	s_waitcnt vmcnt(1) lgkmcnt(0)
	v_pk_mul_f32 v[34:35], v[24:25], v[20:21] op_sel:[1,1] op_sel_hi:[0,1]
	v_mov_b32_e32 v27, v9
	v_pk_fma_f32 v[8:9], v[18:19], v[10:11], v[16:17] neg_lo:[0,0,1] neg_hi:[0,0,1]
	v_pk_fma_f32 v[10:11], v[18:19], v[10:11], v[16:17] op_sel_hi:[1,0,1]
	v_pk_add_f32 v[4:5], v[12:13], v[4:5]
	v_pk_fma_f32 v[28:29], v[24:25], v[20:21], v[34:35] neg_lo:[0,0,1] neg_hi:[0,0,1]
	v_pk_fma_f32 v[20:21], v[24:25], v[20:21], v[34:35] op_sel_hi:[1,0,1]
	v_mov_b32_e32 v9, v11
	v_pk_add_f32 v[4:5], v[4:5], v[26:27]
	v_mov_b32_e32 v29, v21
	v_pk_add_f32 v[4:5], v[4:5], v[8:9]
	s_nop 0
	v_pk_add_f32 v[4:5], v[4:5], v[28:29]
	s_waitcnt vmcnt(0)
	v_pk_add_f32 v[4:5], v[22:23], v[4:5] neg_lo:[0,1] neg_hi:[0,1]
	scratch_store_dwordx2 off, v[4:5], off offset:184
	s_and_saveexec_b64 s[0:1], vcc
	s_cbranch_execz .LBB92_143
; %bb.142:
	scratch_load_dwordx2 v[4:5], off, off offset:176
	v_mov_b32_e32 v3, v2
	scratch_store_dwordx2 off, v[2:3], off offset:176
	s_waitcnt vmcnt(1)
	ds_write_b64 v1, v[4:5]
.LBB92_143:
	s_or_b64 exec, exec, s[0:1]
	s_waitcnt lgkmcnt(0)
	; wave barrier
	scratch_load_dwordx4 v[4:7], off, off offset:184
	scratch_load_dwordx4 v[8:11], off, off offset:200
	;; [unrolled: 1-line block ×3, first 2 shown]
	scratch_load_dwordx2 v[28:29], off, off offset:176
	ds_read2_b64 v[16:19], v2 offset0:53 offset1:54
	ds_read2_b64 v[20:23], v2 offset0:55 offset1:56
	ds_read2_b64 v[24:27], v2 offset0:57 offset1:58
	v_cmp_lt_u32_e32 vcc, 21, v0
	s_waitcnt vmcnt(3) lgkmcnt(2)
	v_pk_mul_f32 v[2:3], v[16:17], v[4:5] op_sel:[1,1] op_sel_hi:[0,1]
	v_mov_b32_e32 v30, v7
	s_waitcnt vmcnt(2) lgkmcnt(1)
	v_pk_mul_f32 v[32:33], v[20:21], v[8:9] op_sel:[1,1] op_sel_hi:[0,1]
	v_mov_b32_e32 v34, v11
	;; [unrolled: 3-line block ×3, first 2 shown]
	v_pk_fma_f32 v[98:99], v[16:17], v[4:5], v[2:3] neg_lo:[0,0,1] neg_hi:[0,0,1]
	v_pk_fma_f32 v[2:3], v[16:17], v[4:5], v[2:3] op_sel_hi:[1,0,1]
	v_pk_mul_f32 v[4:5], v[18:19], v[30:31] op_sel:[1,0] op_sel_hi:[0,0]
	v_pk_fma_f32 v[16:17], v[20:21], v[8:9], v[32:33] neg_lo:[0,0,1] neg_hi:[0,0,1]
	v_pk_fma_f32 v[8:9], v[20:21], v[8:9], v[32:33] op_sel_hi:[1,0,1]
	v_pk_mul_f32 v[20:21], v[22:23], v[34:35] op_sel:[1,0] op_sel_hi:[0,0]
	;; [unrolled: 3-line block ×3, first 2 shown]
	v_mov_b32_e32 v99, v3
	v_pk_fma_f32 v[2:3], v[18:19], v[6:7], v[4:5] neg_lo:[0,0,1] neg_hi:[0,0,1]
	v_pk_fma_f32 v[4:5], v[18:19], v[6:7], v[4:5] op_sel_hi:[1,0,1]
	v_mov_b32_e32 v17, v9
	v_pk_fma_f32 v[6:7], v[22:23], v[10:11], v[20:21] neg_lo:[0,0,1] neg_hi:[0,0,1]
	v_pk_fma_f32 v[8:9], v[22:23], v[10:11], v[20:21] op_sel_hi:[1,0,1]
	;; [unrolled: 3-line block ×3, first 2 shown]
	v_pk_add_f32 v[14:15], v[98:99], 0 op_sel_hi:[1,0]
	v_mov_b32_e32 v3, v5
	v_pk_add_f32 v[2:3], v[14:15], v[2:3]
	v_mov_b32_e32 v7, v9
	v_pk_add_f32 v[2:3], v[2:3], v[16:17]
	;; [unrolled: 2-line block ×3, first 2 shown]
	s_nop 0
	v_pk_add_f32 v[2:3], v[2:3], v[30:31]
	s_nop 0
	v_pk_add_f32 v[2:3], v[2:3], v[10:11]
	s_waitcnt vmcnt(0)
	v_pk_add_f32 v[2:3], v[28:29], v[2:3] neg_lo:[0,1] neg_hi:[0,1]
	scratch_store_dwordx2 off, v[2:3], off offset:176
	s_and_saveexec_b64 s[0:1], vcc
	s_cbranch_execz .LBB92_145
; %bb.144:
	scratch_load_dwordx2 v[2:3], off, off offset:168
	v_mov_b32_e32 v4, 0
	v_mov_b32_e32 v5, v4
	scratch_store_dwordx2 off, v[4:5], off offset:168
	s_waitcnt vmcnt(1)
	ds_write_b64 v1, v[2:3]
.LBB92_145:
	s_or_b64 exec, exec, s[0:1]
	s_waitcnt lgkmcnt(0)
	; wave barrier
	scratch_load_dwordx4 v[4:7], off, off offset:176
	scratch_load_dwordx4 v[8:11], off, off offset:192
	;; [unrolled: 1-line block ×3, first 2 shown]
	scratch_load_dwordx2 v[28:29], off, off offset:224
	scratch_load_dwordx2 v[30:31], off, off offset:168
	v_mov_b32_e32 v2, 0
	ds_read_b128 v[16:19], v2 offset:416
	ds_read_b128 v[20:23], v2 offset:432
	ds_read_b128 v[24:27], v2 offset:448
	ds_read_b64 v[32:33], v2 offset:464
	v_cmp_lt_u32_e32 vcc, 20, v0
	s_waitcnt vmcnt(4) lgkmcnt(3)
	v_pk_mul_f32 v[34:35], v[16:17], v[4:5] op_sel:[1,1] op_sel_hi:[0,1]
	v_mov_b32_e32 v36, v7
	v_pk_fma_f32 v[106:107], v[16:17], v[4:5], v[34:35] neg_lo:[0,0,1] neg_hi:[0,0,1]
	v_pk_fma_f32 v[4:5], v[16:17], v[4:5], v[34:35] op_sel_hi:[1,0,1]
	v_pk_mul_f32 v[16:17], v[18:19], v[36:37] op_sel:[1,0] op_sel_hi:[0,0]
	s_waitcnt vmcnt(3) lgkmcnt(2)
	v_pk_mul_f32 v[96:97], v[20:21], v[8:9] op_sel:[1,1] op_sel_hi:[0,1]
	v_mov_b32_e32 v98, v11
	v_mov_b32_e32 v107, v5
	v_pk_fma_f32 v[4:5], v[18:19], v[6:7], v[16:17] neg_lo:[0,0,1] neg_hi:[0,0,1]
	v_pk_fma_f32 v[6:7], v[18:19], v[6:7], v[16:17] op_sel_hi:[1,0,1]
	v_pk_fma_f32 v[34:35], v[20:21], v[8:9], v[96:97] neg_lo:[0,0,1] neg_hi:[0,0,1]
	v_pk_fma_f32 v[8:9], v[20:21], v[8:9], v[96:97] op_sel_hi:[1,0,1]
	v_pk_mul_f32 v[20:21], v[22:23], v[98:99] op_sel:[1,0] op_sel_hi:[0,0]
	v_pk_add_f32 v[16:17], v[106:107], 0 op_sel_hi:[1,0]
	v_mov_b32_e32 v5, v7
	s_waitcnt vmcnt(2) lgkmcnt(1)
	v_pk_mul_f32 v[100:101], v[24:25], v[12:13] op_sel:[1,1] op_sel_hi:[0,1]
	v_mov_b32_e32 v102, v15
	v_mov_b32_e32 v35, v9
	v_pk_fma_f32 v[8:9], v[22:23], v[10:11], v[20:21] neg_lo:[0,0,1] neg_hi:[0,0,1]
	v_pk_fma_f32 v[10:11], v[22:23], v[10:11], v[20:21] op_sel_hi:[1,0,1]
	v_pk_add_f32 v[4:5], v[16:17], v[4:5]
	v_pk_fma_f32 v[36:37], v[24:25], v[12:13], v[100:101] neg_lo:[0,0,1] neg_hi:[0,0,1]
	v_pk_fma_f32 v[12:13], v[24:25], v[12:13], v[100:101] op_sel_hi:[1,0,1]
	v_pk_mul_f32 v[24:25], v[26:27], v[102:103] op_sel:[1,0] op_sel_hi:[0,0]
	v_mov_b32_e32 v9, v11
	v_pk_add_f32 v[4:5], v[4:5], v[34:35]
	s_waitcnt vmcnt(1) lgkmcnt(0)
	v_pk_mul_f32 v[104:105], v[32:33], v[28:29] op_sel:[1,1] op_sel_hi:[0,1]
	v_mov_b32_e32 v37, v13
	v_pk_fma_f32 v[12:13], v[26:27], v[14:15], v[24:25] neg_lo:[0,0,1] neg_hi:[0,0,1]
	v_pk_fma_f32 v[14:15], v[26:27], v[14:15], v[24:25] op_sel_hi:[1,0,1]
	v_pk_add_f32 v[4:5], v[4:5], v[8:9]
	v_pk_fma_f32 v[96:97], v[32:33], v[28:29], v[104:105] neg_lo:[0,0,1] neg_hi:[0,0,1]
	v_pk_fma_f32 v[28:29], v[32:33], v[28:29], v[104:105] op_sel_hi:[1,0,1]
	v_mov_b32_e32 v13, v15
	v_pk_add_f32 v[4:5], v[4:5], v[36:37]
	v_mov_b32_e32 v97, v29
	v_pk_add_f32 v[4:5], v[4:5], v[12:13]
	s_nop 0
	v_pk_add_f32 v[4:5], v[4:5], v[96:97]
	s_waitcnt vmcnt(0)
	v_pk_add_f32 v[4:5], v[30:31], v[4:5] neg_lo:[0,1] neg_hi:[0,1]
	scratch_store_dwordx2 off, v[4:5], off offset:168
	s_and_saveexec_b64 s[0:1], vcc
	s_cbranch_execz .LBB92_147
; %bb.146:
	scratch_load_dwordx2 v[4:5], off, off offset:160
	v_mov_b32_e32 v3, v2
	scratch_store_dwordx2 off, v[2:3], off offset:160
	s_waitcnt vmcnt(1)
	ds_write_b64 v1, v[4:5]
.LBB92_147:
	s_or_b64 exec, exec, s[0:1]
	s_waitcnt lgkmcnt(0)
	; wave barrier
	scratch_load_dwordx4 v[4:7], off, off offset:168
	scratch_load_dwordx4 v[8:11], off, off offset:184
	;; [unrolled: 1-line block ×4, first 2 shown]
	scratch_load_dwordx2 v[36:37], off, off offset:160
	ds_read2_b64 v[20:23], v2 offset0:51 offset1:52
	ds_read2_b64 v[24:27], v2 offset0:53 offset1:54
	;; [unrolled: 1-line block ×4, first 2 shown]
	v_cmp_lt_u32_e32 vcc, 19, v0
	s_waitcnt vmcnt(4) lgkmcnt(3)
	v_pk_mul_f32 v[2:3], v[20:21], v[4:5] op_sel:[1,1] op_sel_hi:[0,1]
	v_mov_b32_e32 v96, v7
	s_waitcnt vmcnt(3) lgkmcnt(2)
	v_pk_mul_f32 v[98:99], v[24:25], v[8:9] op_sel:[1,1] op_sel_hi:[0,1]
	v_mov_b32_e32 v100, v11
	;; [unrolled: 3-line block ×4, first 2 shown]
	v_pk_fma_f32 v[110:111], v[20:21], v[4:5], v[2:3] neg_lo:[0,0,1] neg_hi:[0,0,1]
	v_pk_fma_f32 v[2:3], v[20:21], v[4:5], v[2:3] op_sel_hi:[1,0,1]
	v_pk_mul_f32 v[4:5], v[22:23], v[96:97] op_sel:[1,0] op_sel_hi:[0,0]
	v_pk_fma_f32 v[20:21], v[24:25], v[8:9], v[98:99] neg_lo:[0,0,1] neg_hi:[0,0,1]
	v_pk_fma_f32 v[8:9], v[24:25], v[8:9], v[98:99] op_sel_hi:[1,0,1]
	v_pk_mul_f32 v[24:25], v[26:27], v[100:101] op_sel:[1,0] op_sel_hi:[0,0]
	;; [unrolled: 3-line block ×4, first 2 shown]
	v_mov_b32_e32 v111, v3
	v_pk_fma_f32 v[2:3], v[22:23], v[6:7], v[4:5] neg_lo:[0,0,1] neg_hi:[0,0,1]
	v_pk_fma_f32 v[4:5], v[22:23], v[6:7], v[4:5] op_sel_hi:[1,0,1]
	v_mov_b32_e32 v21, v9
	v_pk_fma_f32 v[6:7], v[26:27], v[10:11], v[24:25] neg_lo:[0,0,1] neg_hi:[0,0,1]
	v_pk_fma_f32 v[8:9], v[26:27], v[10:11], v[24:25] op_sel_hi:[1,0,1]
	;; [unrolled: 3-line block ×4, first 2 shown]
	v_pk_add_f32 v[18:19], v[110:111], 0 op_sel_hi:[1,0]
	v_mov_b32_e32 v3, v5
	v_pk_add_f32 v[2:3], v[18:19], v[2:3]
	v_mov_b32_e32 v7, v9
	v_pk_add_f32 v[2:3], v[2:3], v[20:21]
	;; [unrolled: 2-line block ×4, first 2 shown]
	s_nop 0
	v_pk_add_f32 v[2:3], v[2:3], v[10:11]
	s_nop 0
	v_pk_add_f32 v[2:3], v[2:3], v[98:99]
	;; [unrolled: 2-line block ×3, first 2 shown]
	s_waitcnt vmcnt(0)
	v_pk_add_f32 v[2:3], v[36:37], v[2:3] neg_lo:[0,1] neg_hi:[0,1]
	scratch_store_dwordx2 off, v[2:3], off offset:160
	s_and_saveexec_b64 s[0:1], vcc
	s_cbranch_execz .LBB92_149
; %bb.148:
	scratch_load_dwordx2 v[2:3], off, off offset:152
	v_mov_b32_e32 v4, 0
	v_mov_b32_e32 v5, v4
	scratch_store_dwordx2 off, v[4:5], off offset:152
	s_waitcnt vmcnt(1)
	ds_write_b64 v1, v[2:3]
.LBB92_149:
	s_or_b64 exec, exec, s[0:1]
	s_waitcnt lgkmcnt(0)
	; wave barrier
	scratch_load_dwordx4 v[4:7], off, off offset:160
	scratch_load_dwordx4 v[8:11], off, off offset:176
	;; [unrolled: 1-line block ×4, first 2 shown]
	scratch_load_dwordx2 v[36:37], off, off offset:224
	scratch_load_dwordx2 v[96:97], off, off offset:152
	v_mov_b32_e32 v2, 0
	ds_read_b128 v[20:23], v2 offset:400
	ds_read_b128 v[24:27], v2 offset:416
	ds_read_b128 v[28:31], v2 offset:432
	ds_read_b128 v[32:35], v2 offset:448
	ds_read_b64 v[98:99], v2 offset:464
	v_cmp_lt_u32_e32 vcc, 18, v0
	s_waitcnt vmcnt(5) lgkmcnt(4)
	v_mul_f32_e32 v101, v20, v5
	v_mul_f32_e32 v3, v21, v5
	v_mov_b32_e32 v102, v7
	s_waitcnt vmcnt(4) lgkmcnt(3)
	v_pk_mul_f32 v[104:105], v[24:25], v[8:9] op_sel:[1,1] op_sel_hi:[0,1]
	v_mov_b32_e32 v106, v11
	s_waitcnt vmcnt(1) lgkmcnt(0)
	v_pk_mul_f32 v[116:117], v[98:99], v[36:37] op_sel:[1,1] op_sel_hi:[0,1]
	v_fmac_f32_e32 v101, v21, v4
	v_fma_f32 v100, v20, v4, -v3
	v_pk_mul_f32 v[4:5], v[22:23], v[102:103] op_sel:[1,0] op_sel_hi:[0,0]
	v_pk_fma_f32 v[20:21], v[24:25], v[8:9], v[104:105] neg_lo:[0,0,1] neg_hi:[0,0,1]
	v_pk_fma_f32 v[8:9], v[24:25], v[8:9], v[104:105] op_sel_hi:[1,0,1]
	v_pk_mul_f32 v[24:25], v[26:27], v[106:107] op_sel:[1,0] op_sel_hi:[0,0]
	v_pk_fma_f32 v[106:107], v[98:99], v[36:37], v[116:117] neg_lo:[0,0,1] neg_hi:[0,0,1]
	v_pk_fma_f32 v[36:37], v[98:99], v[36:37], v[116:117] op_sel_hi:[1,0,1]
	v_pk_add_f32 v[98:99], v[100:101], 0 op_sel_hi:[1,0]
	v_pk_fma_f32 v[100:101], v[22:23], v[6:7], v[4:5] neg_lo:[0,0,1] neg_hi:[0,0,1]
	v_pk_fma_f32 v[4:5], v[22:23], v[6:7], v[4:5] op_sel_hi:[1,0,1]
	v_pk_mul_f32 v[108:109], v[28:29], v[12:13] op_sel:[1,1] op_sel_hi:[0,1]
	v_mov_b32_e32 v101, v5
	v_mov_b32_e32 v110, v15
	;; [unrolled: 1-line block ×3, first 2 shown]
	v_pk_fma_f32 v[6:7], v[26:27], v[10:11], v[24:25] neg_lo:[0,0,1] neg_hi:[0,0,1]
	v_pk_fma_f32 v[8:9], v[26:27], v[10:11], v[24:25] op_sel_hi:[1,0,1]
	v_pk_add_f32 v[4:5], v[98:99], v[100:101]
	v_pk_fma_f32 v[102:103], v[28:29], v[12:13], v[108:109] neg_lo:[0,0,1] neg_hi:[0,0,1]
	v_pk_fma_f32 v[12:13], v[28:29], v[12:13], v[108:109] op_sel_hi:[1,0,1]
	v_pk_mul_f32 v[28:29], v[30:31], v[110:111] op_sel:[1,0] op_sel_hi:[0,0]
	v_mov_b32_e32 v7, v9
	v_pk_add_f32 v[4:5], v[4:5], v[20:21]
	v_pk_mul_f32 v[112:113], v[32:33], v[16:17] op_sel:[1,1] op_sel_hi:[0,1]
	v_mov_b32_e32 v114, v19
	v_mov_b32_e32 v103, v13
	v_pk_fma_f32 v[10:11], v[30:31], v[14:15], v[28:29] neg_lo:[0,0,1] neg_hi:[0,0,1]
	v_pk_fma_f32 v[12:13], v[30:31], v[14:15], v[28:29] op_sel_hi:[1,0,1]
	v_pk_add_f32 v[4:5], v[4:5], v[6:7]
	v_pk_fma_f32 v[104:105], v[32:33], v[16:17], v[112:113] neg_lo:[0,0,1] neg_hi:[0,0,1]
	v_pk_fma_f32 v[16:17], v[32:33], v[16:17], v[112:113] op_sel_hi:[1,0,1]
	v_pk_mul_f32 v[32:33], v[34:35], v[114:115] op_sel:[1,0] op_sel_hi:[0,0]
	v_mov_b32_e32 v11, v13
	v_pk_add_f32 v[4:5], v[4:5], v[102:103]
	v_mov_b32_e32 v105, v17
	v_pk_fma_f32 v[14:15], v[34:35], v[18:19], v[32:33] neg_lo:[0,0,1] neg_hi:[0,0,1]
	v_pk_fma_f32 v[16:17], v[34:35], v[18:19], v[32:33] op_sel_hi:[1,0,1]
	v_pk_add_f32 v[4:5], v[4:5], v[10:11]
	v_mov_b32_e32 v15, v17
	v_pk_add_f32 v[4:5], v[4:5], v[104:105]
	v_mov_b32_e32 v107, v37
	v_pk_add_f32 v[4:5], v[4:5], v[14:15]
	s_nop 0
	v_pk_add_f32 v[4:5], v[4:5], v[106:107]
	s_waitcnt vmcnt(0)
	v_pk_add_f32 v[4:5], v[96:97], v[4:5] neg_lo:[0,1] neg_hi:[0,1]
	scratch_store_dwordx2 off, v[4:5], off offset:152
	s_and_saveexec_b64 s[0:1], vcc
	s_cbranch_execz .LBB92_151
; %bb.150:
	scratch_load_dwordx2 v[4:5], off, off offset:144
	v_mov_b32_e32 v3, v2
	scratch_store_dwordx2 off, v[2:3], off offset:144
	s_waitcnt vmcnt(1)
	ds_write_b64 v1, v[4:5]
.LBB92_151:
	s_or_b64 exec, exec, s[0:1]
	s_waitcnt lgkmcnt(0)
	; wave barrier
	scratch_load_dwordx4 v[4:7], off, off offset:152
	scratch_load_dwordx4 v[8:11], off, off offset:168
	;; [unrolled: 1-line block ×5, first 2 shown]
	scratch_load_dwordx2 v[36:37], off, off offset:144
	ds_read2_b64 v[24:27], v2 offset0:49 offset1:50
	ds_read2_b64 v[28:31], v2 offset0:51 offset1:52
	ds_read2_b64 v[32:35], v2 offset0:53 offset1:54
	ds_read2_b64 v[96:99], v2 offset0:55 offset1:56
	ds_read2_b64 v[100:103], v2 offset0:57 offset1:58
	v_cmp_lt_u32_e32 vcc, 17, v0
	s_waitcnt vmcnt(5) lgkmcnt(4)
	v_mul_f32_e32 v3, v24, v5
	v_mul_f32_e32 v2, v25, v5
	;; [unrolled: 1-line block ×4, first 2 shown]
	s_waitcnt vmcnt(4) lgkmcnt(3)
	v_pk_mul_f32 v[106:107], v[28:29], v[8:9] op_sel:[1,1] op_sel_hi:[0,1]
	v_mov_b32_e32 v108, v11
	v_fmac_f32_e32 v3, v25, v4
	v_fma_f32 v2, v24, v4, -v2
	v_fmac_f32_e32 v105, v27, v6
	v_fma_f32 v104, v26, v6, -v5
	v_pk_fma_f32 v[4:5], v[28:29], v[8:9], v[106:107] neg_lo:[0,0,1] neg_hi:[0,0,1]
	v_pk_fma_f32 v[6:7], v[28:29], v[8:9], v[106:107] op_sel_hi:[1,0,1]
	v_pk_mul_f32 v[8:9], v[30:31], v[108:109] op_sel:[1,0] op_sel_hi:[0,0]
	v_pk_add_f32 v[2:3], v[2:3], 0 op_sel_hi:[1,0]
	s_waitcnt vmcnt(3) lgkmcnt(2)
	v_pk_mul_f32 v[110:111], v[32:33], v[12:13] op_sel:[1,1] op_sel_hi:[0,1]
	v_mov_b32_e32 v112, v15
	v_mov_b32_e32 v5, v7
	v_pk_fma_f32 v[6:7], v[30:31], v[10:11], v[8:9] neg_lo:[0,0,1] neg_hi:[0,0,1]
	v_pk_fma_f32 v[8:9], v[30:31], v[10:11], v[8:9] op_sel_hi:[1,0,1]
	v_pk_add_f32 v[2:3], v[2:3], v[104:105]
	v_pk_fma_f32 v[24:25], v[32:33], v[12:13], v[110:111] neg_lo:[0,0,1] neg_hi:[0,0,1]
	v_pk_fma_f32 v[12:13], v[32:33], v[12:13], v[110:111] op_sel_hi:[1,0,1]
	v_pk_mul_f32 v[26:27], v[34:35], v[112:113] op_sel:[1,0] op_sel_hi:[0,0]
	v_mov_b32_e32 v7, v9
	v_pk_add_f32 v[2:3], v[2:3], v[4:5]
	s_waitcnt vmcnt(2) lgkmcnt(1)
	v_pk_mul_f32 v[114:115], v[96:97], v[16:17] op_sel:[1,1] op_sel_hi:[0,1]
	v_mov_b32_e32 v116, v19
	v_mov_b32_e32 v25, v13
	v_pk_fma_f32 v[10:11], v[34:35], v[14:15], v[26:27] neg_lo:[0,0,1] neg_hi:[0,0,1]
	v_pk_fma_f32 v[12:13], v[34:35], v[14:15], v[26:27] op_sel_hi:[1,0,1]
	v_pk_add_f32 v[2:3], v[2:3], v[6:7]
	v_pk_fma_f32 v[28:29], v[96:97], v[16:17], v[114:115] neg_lo:[0,0,1] neg_hi:[0,0,1]
	v_pk_fma_f32 v[16:17], v[96:97], v[16:17], v[114:115] op_sel_hi:[1,0,1]
	v_pk_mul_f32 v[32:33], v[98:99], v[116:117] op_sel:[1,0] op_sel_hi:[0,0]
	v_mov_b32_e32 v11, v13
	v_pk_add_f32 v[2:3], v[2:3], v[24:25]
	;; [unrolled: 12-line block ×3, first 2 shown]
	v_mov_b32_e32 v97, v21
	v_pk_fma_f32 v[18:19], v[102:103], v[22:23], v[100:101] neg_lo:[0,0,1] neg_hi:[0,0,1]
	v_pk_fma_f32 v[20:21], v[102:103], v[22:23], v[100:101] op_sel_hi:[1,0,1]
	v_pk_add_f32 v[2:3], v[2:3], v[14:15]
	v_mov_b32_e32 v19, v21
	v_pk_add_f32 v[2:3], v[2:3], v[96:97]
	s_nop 0
	v_pk_add_f32 v[2:3], v[2:3], v[18:19]
	s_waitcnt vmcnt(0)
	v_pk_add_f32 v[2:3], v[36:37], v[2:3] neg_lo:[0,1] neg_hi:[0,1]
	scratch_store_dwordx2 off, v[2:3], off offset:144
	s_and_saveexec_b64 s[0:1], vcc
	s_cbranch_execz .LBB92_153
; %bb.152:
	scratch_load_dwordx2 v[2:3], off, off offset:136
	v_mov_b32_e32 v4, 0
	v_mov_b32_e32 v5, v4
	scratch_store_dwordx2 off, v[4:5], off offset:136
	s_waitcnt vmcnt(1)
	ds_write_b64 v1, v[2:3]
.LBB92_153:
	s_or_b64 exec, exec, s[0:1]
	s_waitcnt lgkmcnt(0)
	; wave barrier
	scratch_load_dwordx4 v[4:7], off, off offset:144
	scratch_load_dwordx4 v[8:11], off, off offset:160
	;; [unrolled: 1-line block ×5, first 2 shown]
	scratch_load_dwordx2 v[36:37], off, off offset:224
	scratch_load_dwordx2 v[104:105], off, off offset:136
	v_mov_b32_e32 v2, 0
	ds_read_b128 v[24:27], v2 offset:384
	ds_read_b128 v[28:31], v2 offset:400
	;; [unrolled: 1-line block ×5, first 2 shown]
	ds_read_b64 v[106:107], v2 offset:464
	v_cmp_lt_u32_e32 vcc, 16, v0
	s_waitcnt vmcnt(6) lgkmcnt(5)
	v_mul_f32_e32 v3, v24, v5
	v_mul_f32_e32 v5, v25, v5
	;; [unrolled: 1-line block ×3, first 2 shown]
	s_waitcnt vmcnt(5) lgkmcnt(4)
	v_mul_f32_e32 v111, v28, v9
	v_mul_f32_e32 v7, v27, v7
	;; [unrolled: 1-line block ×3, first 2 shown]
	v_mov_b32_e32 v112, v11
	s_waitcnt vmcnt(2) lgkmcnt(1)
	v_pk_mul_f32 v[122:123], v[100:101], v[20:21] op_sel:[1,1] op_sel_hi:[0,1]
	v_fmac_f32_e32 v3, v25, v4
	v_fma_f32 v113, v24, v4, -v5
	v_pk_mul_f32 v[118:119], v[96:97], v[16:17] op_sel:[1,1] op_sel_hi:[0,1]
	s_waitcnt vmcnt(1) lgkmcnt(0)
	v_pk_mul_f32 v[126:127], v[106:107], v[36:37] op_sel:[1,1] op_sel_hi:[0,1]
	v_fmac_f32_e32 v109, v27, v6
	v_fmac_f32_e32 v111, v29, v8
	v_fma_f32 v108, v26, v6, -v7
	v_fma_f32 v110, v28, v8, -v9
	v_pk_mul_f32 v[4:5], v[30:31], v[112:113] op_sel:[1,0] op_sel_hi:[0,0]
	v_pk_fma_f32 v[28:29], v[100:101], v[20:21], v[122:123] neg_lo:[0,0,1] neg_hi:[0,0,1]
	v_pk_fma_f32 v[20:21], v[100:101], v[20:21], v[122:123] op_sel_hi:[1,0,1]
	v_add_f32_e32 v101, 0, v3
	v_add_f32_e32 v100, 0, v113
	v_pk_mul_f32 v[114:115], v[32:33], v[12:13] op_sel:[1,1] op_sel_hi:[0,1]
	v_mov_b32_e32 v116, v15
	v_pk_fma_f32 v[24:25], v[96:97], v[16:17], v[118:119] neg_lo:[0,0,1] neg_hi:[0,0,1]
	v_pk_fma_f32 v[16:17], v[96:97], v[16:17], v[118:119] op_sel_hi:[1,0,1]
	v_pk_fma_f32 v[96:97], v[106:107], v[36:37], v[126:127] neg_lo:[0,0,1] neg_hi:[0,0,1]
	v_pk_fma_f32 v[36:37], v[106:107], v[36:37], v[126:127] op_sel_hi:[1,0,1]
	v_pk_fma_f32 v[106:107], v[30:31], v[10:11], v[4:5] neg_lo:[0,0,1] neg_hi:[0,0,1]
	v_pk_fma_f32 v[4:5], v[30:31], v[10:11], v[4:5] op_sel_hi:[1,0,1]
	v_mov_b32_e32 v29, v21
	v_pk_add_f32 v[20:21], v[100:101], v[108:109]
	v_pk_fma_f32 v[6:7], v[32:33], v[12:13], v[114:115] neg_lo:[0,0,1] neg_hi:[0,0,1]
	v_pk_fma_f32 v[8:9], v[32:33], v[12:13], v[114:115] op_sel_hi:[1,0,1]
	v_pk_mul_f32 v[12:13], v[34:35], v[116:117] op_sel:[1,0] op_sel_hi:[0,0]
	v_mov_b32_e32 v107, v5
	v_pk_add_f32 v[4:5], v[20:21], v[110:111]
	v_mov_b32_e32 v120, v19
	v_mov_b32_e32 v7, v9
	v_pk_fma_f32 v[8:9], v[34:35], v[14:15], v[12:13] neg_lo:[0,0,1] neg_hi:[0,0,1]
	v_pk_fma_f32 v[10:11], v[34:35], v[14:15], v[12:13] op_sel_hi:[1,0,1]
	v_pk_add_f32 v[4:5], v[4:5], v[106:107]
	v_pk_mul_f32 v[26:27], v[98:99], v[120:121] op_sel:[1,0] op_sel_hi:[0,0]
	v_mov_b32_e32 v9, v11
	v_pk_add_f32 v[4:5], v[4:5], v[6:7]
	v_mov_b32_e32 v124, v23
	v_mov_b32_e32 v25, v17
	v_pk_fma_f32 v[12:13], v[98:99], v[18:19], v[26:27] neg_lo:[0,0,1] neg_hi:[0,0,1]
	v_pk_fma_f32 v[14:15], v[98:99], v[18:19], v[26:27] op_sel_hi:[1,0,1]
	v_pk_add_f32 v[4:5], v[4:5], v[8:9]
	v_pk_mul_f32 v[32:33], v[102:103], v[124:125] op_sel:[1,0] op_sel_hi:[0,0]
	v_mov_b32_e32 v13, v15
	v_pk_add_f32 v[4:5], v[4:5], v[24:25]
	v_pk_fma_f32 v[16:17], v[102:103], v[22:23], v[32:33] neg_lo:[0,0,1] neg_hi:[0,0,1]
	v_pk_fma_f32 v[18:19], v[102:103], v[22:23], v[32:33] op_sel_hi:[1,0,1]
	v_pk_add_f32 v[4:5], v[4:5], v[12:13]
	v_mov_b32_e32 v17, v19
	v_pk_add_f32 v[4:5], v[4:5], v[28:29]
	v_mov_b32_e32 v97, v37
	v_pk_add_f32 v[4:5], v[4:5], v[16:17]
	s_nop 0
	v_pk_add_f32 v[4:5], v[4:5], v[96:97]
	s_waitcnt vmcnt(0)
	v_pk_add_f32 v[4:5], v[104:105], v[4:5] neg_lo:[0,1] neg_hi:[0,1]
	scratch_store_dwordx2 off, v[4:5], off offset:136
	s_and_saveexec_b64 s[0:1], vcc
	s_cbranch_execz .LBB92_155
; %bb.154:
	scratch_load_dwordx2 v[4:5], off, off offset:128
	v_mov_b32_e32 v3, v2
	scratch_store_dwordx2 off, v[2:3], off offset:128
	s_waitcnt vmcnt(1)
	ds_write_b64 v1, v[4:5]
.LBB92_155:
	s_or_b64 exec, exec, s[0:1]
	s_waitcnt lgkmcnt(0)
	; wave barrier
	scratch_load_dwordx4 v[4:7], off, off offset:136
	scratch_load_dwordx4 v[8:11], off, off offset:152
	;; [unrolled: 1-line block ×6, first 2 shown]
	scratch_load_dwordx2 v[36:37], off, off offset:128
	ds_read2_b64 v[28:31], v2 offset0:47 offset1:48
	ds_read2_b64 v[32:35], v2 offset0:49 offset1:50
	;; [unrolled: 1-line block ×6, first 2 shown]
	v_cmp_lt_u32_e32 vcc, 15, v0
	s_waitcnt vmcnt(6) lgkmcnt(5)
	v_mul_f32_e32 v117, v28, v5
	v_mul_f32_e32 v121, v30, v7
	s_waitcnt vmcnt(5) lgkmcnt(4)
	v_mul_f32_e32 v3, v32, v9
	v_mul_f32_e32 v2, v29, v5
	;; [unrolled: 1-line block ×4, first 2 shown]
	s_waitcnt vmcnt(1) lgkmcnt(0)
	v_pk_mul_f32 v[126:127], v[108:109], v[24:25] op_sel:[1,1] op_sel_hi:[0,1]
	v_pk_mul_f32 v[114:115], v[96:97], v[12:13] op_sel:[1,1] op_sel_hi:[0,1]
	v_fmac_f32_e32 v117, v29, v4
	v_fmac_f32_e32 v3, v33, v8
	v_fma_f32 v125, v28, v4, -v2
	v_fma_f32 v2, v32, v8, -v7
	v_pk_fma_f32 v[32:33], v[108:109], v[24:25], v[126:127] neg_lo:[0,0,1] neg_hi:[0,0,1]
	v_pk_fma_f32 v[24:25], v[108:109], v[24:25], v[126:127] op_sel_hi:[1,0,1]
	v_fmac_f32_e32 v121, v31, v6
	v_fma_f32 v129, v30, v6, -v5
	v_pk_fma_f32 v[4:5], v[96:97], v[12:13], v[114:115] neg_lo:[0,0,1] neg_hi:[0,0,1]
	v_pk_fma_f32 v[6:7], v[96:97], v[12:13], v[114:115] op_sel_hi:[1,0,1]
	v_add_f32_e32 v24, 0, v117
	v_add_f32_e32 v96, 0, v125
	v_mul_f32_e32 v113, v34, v11
	v_mul_f32_e32 v9, v35, v11
	v_mov_b32_e32 v116, v15
	v_mov_b32_e32 v33, v25
	v_add_f32_e32 v25, v24, v121
	v_add_f32_e32 v24, v96, v129
	v_fmac_f32_e32 v113, v35, v10
	v_fma_f32 v112, v34, v10, -v9
	v_pk_mul_f32 v[8:9], v[98:99], v[116:117] op_sel:[1,0] op_sel_hi:[0,0]
	v_pk_add_f32 v[2:3], v[24:25], v[2:3]
	v_pk_mul_f32 v[118:119], v[100:101], v[16:17] op_sel:[1,1] op_sel_hi:[0,1]
	v_mov_b32_e32 v120, v19
	v_mov_b32_e32 v5, v7
	v_pk_fma_f32 v[6:7], v[98:99], v[14:15], v[8:9] neg_lo:[0,0,1] neg_hi:[0,0,1]
	v_pk_fma_f32 v[8:9], v[98:99], v[14:15], v[8:9] op_sel_hi:[1,0,1]
	v_pk_add_f32 v[2:3], v[2:3], v[112:113]
	v_pk_fma_f32 v[10:11], v[100:101], v[16:17], v[118:119] neg_lo:[0,0,1] neg_hi:[0,0,1]
	v_pk_fma_f32 v[12:13], v[100:101], v[16:17], v[118:119] op_sel_hi:[1,0,1]
	v_pk_mul_f32 v[16:17], v[102:103], v[120:121] op_sel:[1,0] op_sel_hi:[0,0]
	v_mov_b32_e32 v7, v9
	v_pk_add_f32 v[2:3], v[2:3], v[4:5]
	v_pk_mul_f32 v[122:123], v[104:105], v[20:21] op_sel:[1,1] op_sel_hi:[0,1]
	v_mov_b32_e32 v124, v23
	v_mov_b32_e32 v11, v13
	v_pk_fma_f32 v[12:13], v[102:103], v[18:19], v[16:17] neg_lo:[0,0,1] neg_hi:[0,0,1]
	v_pk_fma_f32 v[14:15], v[102:103], v[18:19], v[16:17] op_sel_hi:[1,0,1]
	v_pk_add_f32 v[2:3], v[2:3], v[6:7]
	v_pk_fma_f32 v[28:29], v[104:105], v[20:21], v[122:123] neg_lo:[0,0,1] neg_hi:[0,0,1]
	v_pk_fma_f32 v[20:21], v[104:105], v[20:21], v[122:123] op_sel_hi:[1,0,1]
	v_pk_mul_f32 v[30:31], v[106:107], v[124:125] op_sel:[1,0] op_sel_hi:[0,0]
	v_mov_b32_e32 v13, v15
	v_pk_add_f32 v[2:3], v[2:3], v[10:11]
	v_mov_b32_e32 v128, v27
	v_mov_b32_e32 v29, v21
	v_pk_fma_f32 v[16:17], v[106:107], v[22:23], v[30:31] neg_lo:[0,0,1] neg_hi:[0,0,1]
	v_pk_fma_f32 v[18:19], v[106:107], v[22:23], v[30:31] op_sel_hi:[1,0,1]
	v_pk_add_f32 v[2:3], v[2:3], v[12:13]
	v_pk_mul_f32 v[34:35], v[110:111], v[128:129] op_sel:[1,0] op_sel_hi:[0,0]
	v_mov_b32_e32 v17, v19
	v_pk_add_f32 v[2:3], v[2:3], v[28:29]
	v_pk_fma_f32 v[20:21], v[110:111], v[26:27], v[34:35] neg_lo:[0,0,1] neg_hi:[0,0,1]
	v_pk_fma_f32 v[22:23], v[110:111], v[26:27], v[34:35] op_sel_hi:[1,0,1]
	v_pk_add_f32 v[2:3], v[2:3], v[16:17]
	v_mov_b32_e32 v21, v23
	v_pk_add_f32 v[2:3], v[2:3], v[32:33]
	s_nop 0
	v_pk_add_f32 v[2:3], v[2:3], v[20:21]
	s_waitcnt vmcnt(0)
	v_pk_add_f32 v[2:3], v[36:37], v[2:3] neg_lo:[0,1] neg_hi:[0,1]
	scratch_store_dwordx2 off, v[2:3], off offset:128
	s_and_saveexec_b64 s[0:1], vcc
	s_cbranch_execz .LBB92_157
; %bb.156:
	scratch_load_dwordx2 v[2:3], off, off offset:120
	v_mov_b32_e32 v4, 0
	v_mov_b32_e32 v5, v4
	scratch_store_dwordx2 off, v[4:5], off offset:120
	s_waitcnt vmcnt(1)
	ds_write_b64 v1, v[2:3]
.LBB92_157:
	s_or_b64 exec, exec, s[0:1]
	v_mov_b32_e32 v2, 0
	s_waitcnt lgkmcnt(0)
	; wave barrier
	ds_read_b128 v[4:7], v2 offset:368
	ds_read_b128 v[8:11], v2 offset:384
	;; [unrolled: 1-line block ×4, first 2 shown]
	scratch_load_dwordx4 v[20:23], off, off offset:128
	v_cmp_lt_u32_e32 vcc, 14, v0
	s_waitcnt vmcnt(0) lgkmcnt(3)
	v_mul_f32_e32 v3, v4, v21
	v_fmac_f32_e32 v3, v5, v20
	v_mul_f32_e32 v24, v6, v23
	v_add_f32_e32 v3, 0, v3
	v_fmac_f32_e32 v24, v7, v22
	v_add_f32_e32 v3, v3, v24
	scratch_load_dwordx4 v[24:27], off, off offset:144
	s_waitcnt vmcnt(0) lgkmcnt(2)
	v_mul_f32_e32 v28, v8, v25
	v_fmac_f32_e32 v28, v9, v24
	v_add_f32_e32 v37, v3, v28
	scratch_load_dwordx4 v[28:31], off, off offset:160
	scratch_load_dwordx4 v[32:35], off, off offset:176
	;; [unrolled: 1-line block ×4, first 2 shown]
	scratch_load_dwordx2 v[108:109], off, off offset:224
	v_mul_f32_e32 v3, v5, v21
	v_fma_f32 v3, v4, v20, -v3
	v_mul_f32_e32 v4, v7, v23
	v_add_f32_e32 v3, 0, v3
	v_fma_f32 v4, v6, v22, -v4
	v_add_f32_e32 v3, v3, v4
	v_mul_f32_e32 v4, v9, v25
	v_fma_f32 v4, v8, v24, -v4
	v_mul_f32_e32 v105, v10, v27
	v_add_f32_e32 v36, v3, v4
	v_mul_f32_e32 v3, v11, v27
	v_fmac_f32_e32 v105, v11, v26
	v_fma_f32 v104, v10, v26, -v3
	v_pk_add_f32 v[20:21], v[36:37], v[104:105]
	s_waitcnt vmcnt(4)
	v_mov_b32_e32 v22, v31
	s_waitcnt lgkmcnt(1)
	v_mul_f32_e32 v107, v12, v29
	v_mul_f32_e32 v3, v13, v29
	v_pk_mul_f32 v[22:23], v[14:15], v[22:23] op_sel:[1,0] op_sel_hi:[0,0]
	v_fmac_f32_e32 v107, v13, v28
	v_fma_f32 v106, v12, v28, -v3
	v_pk_fma_f32 v[24:25], v[14:15], v[30:31], v[22:23] neg_lo:[0,0,1] neg_hi:[0,0,1]
	v_pk_fma_f32 v[14:15], v[14:15], v[30:31], v[22:23] op_sel_hi:[1,0,1]
	v_pk_add_f32 v[20:21], v[20:21], v[106:107]
	v_mov_b32_e32 v25, v15
	v_pk_add_f32 v[14:15], v[20:21], v[24:25]
	s_waitcnt vmcnt(3) lgkmcnt(0)
	v_pk_mul_f32 v[20:21], v[16:17], v[32:33] op_sel:[1,1] op_sel_hi:[0,1]
	v_pk_fma_f32 v[22:23], v[16:17], v[32:33], v[20:21] neg_lo:[0,0,1] neg_hi:[0,0,1]
	v_pk_fma_f32 v[16:17], v[16:17], v[32:33], v[20:21] op_sel_hi:[1,0,1]
	ds_read_b128 v[4:7], v2 offset:432
	ds_read_b128 v[8:11], v2 offset:448
	ds_read_b64 v[12:13], v2 offset:464
	v_mov_b32_e32 v16, v35
	v_mov_b32_e32 v23, v17
	v_pk_mul_f32 v[16:17], v[18:19], v[16:17] op_sel:[1,0] op_sel_hi:[0,0]
	v_pk_fma_f32 v[20:21], v[18:19], v[34:35], v[16:17] neg_lo:[0,0,1] neg_hi:[0,0,1]
	v_pk_fma_f32 v[16:17], v[18:19], v[34:35], v[16:17] op_sel_hi:[1,0,1]
	v_pk_add_f32 v[14:15], v[14:15], v[22:23]
	v_mov_b32_e32 v21, v17
	s_waitcnt vmcnt(2) lgkmcnt(2)
	v_pk_mul_f32 v[16:17], v[4:5], v[96:97] op_sel:[1,1] op_sel_hi:[0,1]
	v_pk_fma_f32 v[18:19], v[4:5], v[96:97], v[16:17] neg_lo:[0,0,1] neg_hi:[0,0,1]
	v_pk_fma_f32 v[4:5], v[4:5], v[96:97], v[16:17] op_sel_hi:[1,0,1]
	v_pk_add_f32 v[14:15], v[14:15], v[20:21]
	v_mov_b32_e32 v19, v5
	v_pk_add_f32 v[4:5], v[14:15], v[18:19]
	v_mov_b32_e32 v14, v99
	v_pk_mul_f32 v[14:15], v[6:7], v[14:15] op_sel:[1,0] op_sel_hi:[0,0]
	v_pk_fma_f32 v[16:17], v[6:7], v[98:99], v[14:15] neg_lo:[0,0,1] neg_hi:[0,0,1]
	v_pk_fma_f32 v[6:7], v[6:7], v[98:99], v[14:15] op_sel_hi:[1,0,1]
	s_nop 0
	v_mov_b32_e32 v17, v7
	s_waitcnt vmcnt(1) lgkmcnt(1)
	v_pk_mul_f32 v[6:7], v[8:9], v[100:101] op_sel:[1,1] op_sel_hi:[0,1]
	v_pk_fma_f32 v[14:15], v[8:9], v[100:101], v[6:7] neg_lo:[0,0,1] neg_hi:[0,0,1]
	v_pk_fma_f32 v[6:7], v[8:9], v[100:101], v[6:7] op_sel_hi:[1,0,1]
	v_pk_add_f32 v[4:5], v[4:5], v[16:17]
	v_mov_b32_e32 v6, v103
	v_mov_b32_e32 v15, v7
	v_pk_mul_f32 v[6:7], v[10:11], v[6:7] op_sel:[1,0] op_sel_hi:[0,0]
	v_pk_fma_f32 v[8:9], v[10:11], v[102:103], v[6:7] neg_lo:[0,0,1] neg_hi:[0,0,1]
	v_pk_fma_f32 v[6:7], v[10:11], v[102:103], v[6:7] op_sel_hi:[1,0,1]
	v_pk_add_f32 v[4:5], v[4:5], v[14:15]
	v_mov_b32_e32 v9, v7
	s_waitcnt vmcnt(0) lgkmcnt(0)
	v_pk_mul_f32 v[6:7], v[12:13], v[108:109] op_sel:[1,1] op_sel_hi:[0,1]
	v_pk_add_f32 v[4:5], v[4:5], v[8:9]
	v_pk_fma_f32 v[8:9], v[12:13], v[108:109], v[6:7] neg_lo:[0,0,1] neg_hi:[0,0,1]
	v_pk_fma_f32 v[6:7], v[12:13], v[108:109], v[6:7] op_sel_hi:[1,0,1]
	s_nop 0
	v_mov_b32_e32 v9, v7
	scratch_load_dwordx2 v[6:7], off, off offset:120
	v_pk_add_f32 v[4:5], v[4:5], v[8:9]
	s_waitcnt vmcnt(0)
	v_pk_add_f32 v[4:5], v[6:7], v[4:5] neg_lo:[0,1] neg_hi:[0,1]
	scratch_store_dwordx2 off, v[4:5], off offset:120
	s_and_saveexec_b64 s[0:1], vcc
	s_cbranch_execz .LBB92_159
; %bb.158:
	scratch_load_dwordx2 v[4:5], off, off offset:112
	v_mov_b32_e32 v3, v2
	scratch_store_dwordx2 off, v[2:3], off offset:112
	s_waitcnt vmcnt(1)
	ds_write_b64 v1, v[4:5]
.LBB92_159:
	s_or_b64 exec, exec, s[0:1]
	s_waitcnt lgkmcnt(0)
	; wave barrier
	scratch_load_dwordx4 v[8:11], off, off offset:120
	scratch_load_dwordx4 v[16:19], off, off offset:136
	ds_read2_b64 v[4:7], v2 offset0:45 offset1:46
	scratch_load_dwordx4 v[24:27], off, off offset:152
	v_cmp_lt_u32_e32 vcc, 13, v0
	s_waitcnt vmcnt(2) lgkmcnt(0)
	v_mul_f32_e32 v3, v4, v9
	v_fmac_f32_e32 v3, v5, v8
	v_mul_f32_e32 v12, v6, v11
	v_add_f32_e32 v3, 0, v3
	v_fmac_f32_e32 v12, v7, v10
	v_add_f32_e32 v3, v3, v12
	ds_read2_b64 v[12:15], v2 offset0:47 offset1:48
	s_waitcnt vmcnt(1) lgkmcnt(0)
	v_mul_f32_e32 v20, v12, v17
	v_fmac_f32_e32 v20, v13, v16
	v_add_f32_e32 v3, v3, v20
	v_mul_f32_e32 v20, v14, v19
	v_fmac_f32_e32 v20, v15, v18
	v_add_f32_e32 v37, v3, v20
	ds_read2_b64 v[20:23], v2 offset0:49 offset1:50
	scratch_load_dwordx4 v[28:31], off, off offset:168
	scratch_load_dwordx4 v[32:35], off, off offset:184
	;; [unrolled: 1-line block ×4, first 2 shown]
	v_mul_f32_e32 v3, v5, v9
	v_fma_f32 v3, v4, v8, -v3
	v_mul_f32_e32 v4, v7, v11
	v_add_f32_e32 v3, 0, v3
	v_fma_f32 v4, v6, v10, -v4
	v_add_f32_e32 v3, v3, v4
	v_mul_f32_e32 v4, v13, v17
	v_fma_f32 v4, v12, v16, -v4
	v_add_f32_e32 v3, v3, v4
	v_mul_f32_e32 v4, v15, v19
	v_fma_f32 v4, v14, v18, -v4
	v_add_f32_e32 v36, v3, v4
	ds_read2_b64 v[4:7], v2 offset0:51 offset1:52
	ds_read2_b64 v[8:11], v2 offset0:53 offset1:54
	;; [unrolled: 1-line block ×4, first 2 shown]
	s_waitcnt vmcnt(4) lgkmcnt(4)
	v_mul_f32_e32 v105, v20, v25
	v_mul_f32_e32 v3, v21, v25
	v_fmac_f32_e32 v105, v21, v24
	v_mul_f32_e32 v107, v22, v27
	v_fma_f32 v104, v20, v24, -v3
	v_mul_f32_e32 v3, v23, v27
	v_fmac_f32_e32 v107, v23, v26
	v_fma_f32 v106, v22, v26, -v3
	v_pk_add_f32 v[2:3], v[36:37], v[104:105]
	s_waitcnt vmcnt(3) lgkmcnt(3)
	v_pk_mul_f32 v[20:21], v[4:5], v[28:29] op_sel:[1,1] op_sel_hi:[0,1]
	v_pk_fma_f32 v[22:23], v[4:5], v[28:29], v[20:21] neg_lo:[0,0,1] neg_hi:[0,0,1]
	v_pk_fma_f32 v[4:5], v[4:5], v[28:29], v[20:21] op_sel_hi:[1,0,1]
	v_pk_add_f32 v[2:3], v[2:3], v[106:107]
	v_mov_b32_e32 v4, v31
	v_mov_b32_e32 v23, v5
	v_pk_mul_f32 v[4:5], v[6:7], v[4:5] op_sel:[1,0] op_sel_hi:[0,0]
	v_pk_fma_f32 v[20:21], v[6:7], v[30:31], v[4:5] neg_lo:[0,0,1] neg_hi:[0,0,1]
	v_pk_fma_f32 v[4:5], v[6:7], v[30:31], v[4:5] op_sel_hi:[1,0,1]
	v_pk_add_f32 v[2:3], v[2:3], v[22:23]
	v_mov_b32_e32 v21, v5
	s_waitcnt vmcnt(2) lgkmcnt(2)
	v_pk_mul_f32 v[4:5], v[8:9], v[32:33] op_sel:[1,1] op_sel_hi:[0,1]
	v_pk_fma_f32 v[6:7], v[8:9], v[32:33], v[4:5] neg_lo:[0,0,1] neg_hi:[0,0,1]
	v_pk_fma_f32 v[4:5], v[8:9], v[32:33], v[4:5] op_sel_hi:[1,0,1]
	v_pk_add_f32 v[2:3], v[2:3], v[20:21]
	v_mov_b32_e32 v4, v35
	v_mov_b32_e32 v7, v5
	v_pk_mul_f32 v[4:5], v[10:11], v[4:5] op_sel:[1,0] op_sel_hi:[0,0]
	v_pk_add_f32 v[2:3], v[2:3], v[6:7]
	v_pk_fma_f32 v[6:7], v[10:11], v[34:35], v[4:5] neg_lo:[0,0,1] neg_hi:[0,0,1]
	v_pk_fma_f32 v[4:5], v[10:11], v[34:35], v[4:5] op_sel_hi:[1,0,1]
	s_nop 0
	v_mov_b32_e32 v7, v5
	s_waitcnt vmcnt(1) lgkmcnt(1)
	v_pk_mul_f32 v[4:5], v[12:13], v[96:97] op_sel:[1,1] op_sel_hi:[0,1]
	v_pk_add_f32 v[2:3], v[2:3], v[6:7]
	v_pk_fma_f32 v[6:7], v[12:13], v[96:97], v[4:5] neg_lo:[0,0,1] neg_hi:[0,0,1]
	v_pk_fma_f32 v[4:5], v[12:13], v[96:97], v[4:5] op_sel_hi:[1,0,1]
	s_nop 0
	v_mov_b32_e32 v4, v99
	v_mov_b32_e32 v7, v5
	v_pk_mul_f32 v[4:5], v[14:15], v[4:5] op_sel:[1,0] op_sel_hi:[0,0]
	v_pk_add_f32 v[2:3], v[2:3], v[6:7]
	v_pk_fma_f32 v[6:7], v[14:15], v[98:99], v[4:5] neg_lo:[0,0,1] neg_hi:[0,0,1]
	v_pk_fma_f32 v[4:5], v[14:15], v[98:99], v[4:5] op_sel_hi:[1,0,1]
	s_nop 0
	v_mov_b32_e32 v7, v5
	s_waitcnt vmcnt(0) lgkmcnt(0)
	v_pk_mul_f32 v[4:5], v[16:17], v[100:101] op_sel:[1,1] op_sel_hi:[0,1]
	v_pk_add_f32 v[2:3], v[2:3], v[6:7]
	v_pk_fma_f32 v[6:7], v[16:17], v[100:101], v[4:5] neg_lo:[0,0,1] neg_hi:[0,0,1]
	v_pk_fma_f32 v[4:5], v[16:17], v[100:101], v[4:5] op_sel_hi:[1,0,1]
	s_nop 0
	v_mov_b32_e32 v4, v103
	v_mov_b32_e32 v7, v5
	v_pk_mul_f32 v[4:5], v[18:19], v[4:5] op_sel:[1,0] op_sel_hi:[0,0]
	v_pk_add_f32 v[2:3], v[2:3], v[6:7]
	v_pk_fma_f32 v[6:7], v[18:19], v[102:103], v[4:5] neg_lo:[0,0,1] neg_hi:[0,0,1]
	v_pk_fma_f32 v[4:5], v[18:19], v[102:103], v[4:5] op_sel_hi:[1,0,1]
	s_nop 0
	v_mov_b32_e32 v7, v5
	scratch_load_dwordx2 v[4:5], off, off offset:112
	v_pk_add_f32 v[2:3], v[2:3], v[6:7]
	s_waitcnt vmcnt(0)
	v_pk_add_f32 v[2:3], v[4:5], v[2:3] neg_lo:[0,1] neg_hi:[0,1]
	scratch_store_dwordx2 off, v[2:3], off offset:112
	s_and_saveexec_b64 s[0:1], vcc
	s_cbranch_execz .LBB92_161
; %bb.160:
	scratch_load_dwordx2 v[2:3], off, off offset:104
	v_mov_b32_e32 v4, 0
	v_mov_b32_e32 v5, v4
	scratch_store_dwordx2 off, v[4:5], off offset:104
	s_waitcnt vmcnt(1)
	ds_write_b64 v1, v[2:3]
.LBB92_161:
	s_or_b64 exec, exec, s[0:1]
	v_mov_b32_e32 v2, 0
	s_waitcnt lgkmcnt(0)
	; wave barrier
	ds_read_b128 v[4:7], v2 offset:352
	ds_read_b128 v[8:11], v2 offset:368
	;; [unrolled: 1-line block ×4, first 2 shown]
	scratch_load_dwordx4 v[20:23], off, off offset:112
	v_cmp_lt_u32_e32 vcc, 12, v0
	s_waitcnt vmcnt(0) lgkmcnt(3)
	v_mul_f32_e32 v3, v4, v21
	v_fmac_f32_e32 v3, v5, v20
	v_mul_f32_e32 v24, v6, v23
	v_add_f32_e32 v3, 0, v3
	v_fmac_f32_e32 v24, v7, v22
	v_add_f32_e32 v3, v3, v24
	scratch_load_dwordx4 v[24:27], off, off offset:128
	s_waitcnt vmcnt(0) lgkmcnt(2)
	v_mul_f32_e32 v28, v8, v25
	v_fmac_f32_e32 v28, v9, v24
	v_add_f32_e32 v3, v3, v28
	v_mul_f32_e32 v28, v10, v27
	v_fmac_f32_e32 v28, v11, v26
	v_add_f32_e32 v3, v3, v28
	scratch_load_dwordx4 v[28:31], off, off offset:144
	s_waitcnt vmcnt(0) lgkmcnt(1)
	v_mul_f32_e32 v32, v12, v29
	v_fmac_f32_e32 v32, v13, v28
	v_add_f32_e32 v37, v3, v32
	scratch_load_dwordx4 v[32:35], off, off offset:160
	scratch_load_dwordx4 v[96:99], off, off offset:176
	;; [unrolled: 1-line block ×4, first 2 shown]
	scratch_load_dwordx2 v[112:113], off, off offset:224
	v_mul_f32_e32 v3, v5, v21
	v_fma_f32 v3, v4, v20, -v3
	v_mul_f32_e32 v4, v7, v23
	v_add_f32_e32 v3, 0, v3
	v_fma_f32 v4, v6, v22, -v4
	v_add_f32_e32 v3, v3, v4
	v_mul_f32_e32 v4, v9, v25
	v_fma_f32 v4, v8, v24, -v4
	v_add_f32_e32 v3, v3, v4
	v_mul_f32_e32 v4, v11, v27
	;; [unrolled: 3-line block ×3, first 2 shown]
	v_fma_f32 v4, v12, v28, -v4
	v_mul_f32_e32 v109, v14, v31
	v_add_f32_e32 v36, v3, v4
	v_mul_f32_e32 v3, v15, v31
	v_fmac_f32_e32 v109, v15, v30
	v_fma_f32 v108, v14, v30, -v3
	v_pk_add_f32 v[20:21], v[36:37], v[108:109]
	s_waitcnt vmcnt(4)
	v_mov_b32_e32 v22, v35
	s_waitcnt lgkmcnt(0)
	v_mul_f32_e32 v111, v16, v33
	v_mul_f32_e32 v3, v17, v33
	v_pk_mul_f32 v[22:23], v[18:19], v[22:23] op_sel:[1,0] op_sel_hi:[0,0]
	v_fmac_f32_e32 v111, v17, v32
	v_fma_f32 v110, v16, v32, -v3
	ds_read_b128 v[4:7], v2 offset:416
	ds_read_b128 v[8:11], v2 offset:432
	;; [unrolled: 1-line block ×3, first 2 shown]
	ds_read_b64 v[16:17], v2 offset:464
	v_pk_fma_f32 v[24:25], v[18:19], v[34:35], v[22:23] neg_lo:[0,0,1] neg_hi:[0,0,1]
	v_pk_fma_f32 v[18:19], v[18:19], v[34:35], v[22:23] op_sel_hi:[1,0,1]
	v_pk_add_f32 v[20:21], v[20:21], v[110:111]
	v_mov_b32_e32 v25, v19
	v_pk_add_f32 v[18:19], v[20:21], v[24:25]
	s_waitcnt vmcnt(3) lgkmcnt(3)
	v_pk_mul_f32 v[20:21], v[4:5], v[96:97] op_sel:[1,1] op_sel_hi:[0,1]
	v_pk_fma_f32 v[22:23], v[4:5], v[96:97], v[20:21] neg_lo:[0,0,1] neg_hi:[0,0,1]
	v_pk_fma_f32 v[4:5], v[4:5], v[96:97], v[20:21] op_sel_hi:[1,0,1]
	s_nop 0
	v_mov_b32_e32 v23, v5
	v_pk_add_f32 v[4:5], v[18:19], v[22:23]
	v_mov_b32_e32 v18, v99
	v_pk_mul_f32 v[18:19], v[6:7], v[18:19] op_sel:[1,0] op_sel_hi:[0,0]
	v_pk_fma_f32 v[20:21], v[6:7], v[98:99], v[18:19] neg_lo:[0,0,1] neg_hi:[0,0,1]
	v_pk_fma_f32 v[6:7], v[6:7], v[98:99], v[18:19] op_sel_hi:[1,0,1]
	s_nop 0
	v_mov_b32_e32 v21, v7
	s_waitcnt vmcnt(2) lgkmcnt(2)
	v_pk_mul_f32 v[6:7], v[8:9], v[100:101] op_sel:[1,1] op_sel_hi:[0,1]
	v_pk_fma_f32 v[18:19], v[8:9], v[100:101], v[6:7] neg_lo:[0,0,1] neg_hi:[0,0,1]
	v_pk_fma_f32 v[6:7], v[8:9], v[100:101], v[6:7] op_sel_hi:[1,0,1]
	v_pk_add_f32 v[4:5], v[4:5], v[20:21]
	v_mov_b32_e32 v6, v103
	v_mov_b32_e32 v19, v7
	v_pk_mul_f32 v[6:7], v[10:11], v[6:7] op_sel:[1,0] op_sel_hi:[0,0]
	v_pk_fma_f32 v[8:9], v[10:11], v[102:103], v[6:7] neg_lo:[0,0,1] neg_hi:[0,0,1]
	v_pk_fma_f32 v[6:7], v[10:11], v[102:103], v[6:7] op_sel_hi:[1,0,1]
	v_pk_add_f32 v[4:5], v[4:5], v[18:19]
	v_mov_b32_e32 v9, v7
	s_waitcnt vmcnt(1) lgkmcnt(1)
	v_pk_mul_f32 v[6:7], v[12:13], v[104:105] op_sel:[1,1] op_sel_hi:[0,1]
	v_pk_add_f32 v[4:5], v[4:5], v[8:9]
	v_pk_fma_f32 v[8:9], v[12:13], v[104:105], v[6:7] neg_lo:[0,0,1] neg_hi:[0,0,1]
	v_pk_fma_f32 v[6:7], v[12:13], v[104:105], v[6:7] op_sel_hi:[1,0,1]
	s_nop 0
	v_mov_b32_e32 v6, v107
	v_mov_b32_e32 v9, v7
	v_pk_mul_f32 v[6:7], v[14:15], v[6:7] op_sel:[1,0] op_sel_hi:[0,0]
	v_pk_add_f32 v[4:5], v[4:5], v[8:9]
	v_pk_fma_f32 v[8:9], v[14:15], v[106:107], v[6:7] neg_lo:[0,0,1] neg_hi:[0,0,1]
	v_pk_fma_f32 v[6:7], v[14:15], v[106:107], v[6:7] op_sel_hi:[1,0,1]
	s_nop 0
	v_mov_b32_e32 v9, v7
	s_waitcnt vmcnt(0) lgkmcnt(0)
	v_pk_mul_f32 v[6:7], v[16:17], v[112:113] op_sel:[1,1] op_sel_hi:[0,1]
	v_pk_add_f32 v[4:5], v[4:5], v[8:9]
	v_pk_fma_f32 v[8:9], v[16:17], v[112:113], v[6:7] neg_lo:[0,0,1] neg_hi:[0,0,1]
	v_pk_fma_f32 v[6:7], v[16:17], v[112:113], v[6:7] op_sel_hi:[1,0,1]
	s_nop 0
	v_mov_b32_e32 v9, v7
	scratch_load_dwordx2 v[6:7], off, off offset:104
	v_pk_add_f32 v[4:5], v[4:5], v[8:9]
	s_waitcnt vmcnt(0)
	v_pk_add_f32 v[4:5], v[6:7], v[4:5] neg_lo:[0,1] neg_hi:[0,1]
	scratch_store_dwordx2 off, v[4:5], off offset:104
	s_and_saveexec_b64 s[0:1], vcc
	s_cbranch_execz .LBB92_163
; %bb.162:
	scratch_load_dwordx2 v[4:5], off, off offset:96
	v_mov_b32_e32 v3, v2
	scratch_store_dwordx2 off, v[2:3], off offset:96
	s_waitcnt vmcnt(1)
	ds_write_b64 v1, v[4:5]
.LBB92_163:
	s_or_b64 exec, exec, s[0:1]
	s_waitcnt lgkmcnt(0)
	; wave barrier
	scratch_load_dwordx4 v[8:11], off, off offset:104
	scratch_load_dwordx4 v[16:19], off, off offset:120
	;; [unrolled: 1-line block ×4, first 2 shown]
	ds_read2_b64 v[4:7], v2 offset0:43 offset1:44
	v_cmp_lt_u32_e32 vcc, 11, v0
	s_waitcnt vmcnt(3) lgkmcnt(0)
	v_mul_f32_e32 v3, v4, v9
	v_fmac_f32_e32 v3, v5, v8
	v_mul_f32_e32 v12, v6, v11
	v_add_f32_e32 v3, 0, v3
	v_fmac_f32_e32 v12, v7, v10
	v_add_f32_e32 v3, v3, v12
	ds_read2_b64 v[12:15], v2 offset0:45 offset1:46
	s_waitcnt vmcnt(2) lgkmcnt(0)
	v_mul_f32_e32 v20, v12, v17
	v_fmac_f32_e32 v20, v13, v16
	v_add_f32_e32 v3, v3, v20
	v_mul_f32_e32 v20, v14, v19
	v_fmac_f32_e32 v20, v15, v18
	v_add_f32_e32 v3, v3, v20
	ds_read2_b64 v[20:23], v2 offset0:47 offset1:48
	s_waitcnt vmcnt(1) lgkmcnt(0)
	v_mul_f32_e32 v28, v20, v25
	v_fmac_f32_e32 v28, v21, v24
	v_add_f32_e32 v3, v3, v28
	v_mul_f32_e32 v28, v22, v27
	v_fmac_f32_e32 v28, v23, v26
	v_add_f32_e32 v37, v3, v28
	ds_read2_b64 v[28:31], v2 offset0:49 offset1:50
	scratch_load_dwordx4 v[96:99], off, off offset:168
	scratch_load_dwordx4 v[100:103], off, off offset:184
	;; [unrolled: 1-line block ×4, first 2 shown]
	v_mul_f32_e32 v3, v5, v9
	v_fma_f32 v3, v4, v8, -v3
	v_mul_f32_e32 v4, v7, v11
	v_add_f32_e32 v3, 0, v3
	v_fma_f32 v4, v6, v10, -v4
	v_add_f32_e32 v3, v3, v4
	v_mul_f32_e32 v4, v13, v17
	v_fma_f32 v4, v12, v16, -v4
	v_add_f32_e32 v3, v3, v4
	v_mul_f32_e32 v4, v15, v19
	;; [unrolled: 3-line block ×4, first 2 shown]
	v_fma_f32 v4, v22, v26, -v4
	v_add_f32_e32 v36, v3, v4
	ds_read2_b64 v[4:7], v2 offset0:51 offset1:52
	ds_read2_b64 v[8:11], v2 offset0:53 offset1:54
	ds_read2_b64 v[12:15], v2 offset0:55 offset1:56
	ds_read2_b64 v[16:19], v2 offset0:57 offset1:58
	s_waitcnt vmcnt(4) lgkmcnt(4)
	v_mul_f32_e32 v113, v28, v33
	v_mul_f32_e32 v3, v29, v33
	v_fmac_f32_e32 v113, v29, v32
	v_mul_f32_e32 v115, v30, v35
	v_fma_f32 v112, v28, v32, -v3
	v_mul_f32_e32 v3, v31, v35
	v_fmac_f32_e32 v115, v31, v34
	v_fma_f32 v114, v30, v34, -v3
	v_pk_add_f32 v[2:3], v[36:37], v[112:113]
	s_waitcnt vmcnt(3) lgkmcnt(3)
	v_pk_mul_f32 v[20:21], v[4:5], v[96:97] op_sel:[1,1] op_sel_hi:[0,1]
	v_pk_fma_f32 v[22:23], v[4:5], v[96:97], v[20:21] neg_lo:[0,0,1] neg_hi:[0,0,1]
	v_pk_fma_f32 v[4:5], v[4:5], v[96:97], v[20:21] op_sel_hi:[1,0,1]
	v_pk_add_f32 v[2:3], v[2:3], v[114:115]
	v_mov_b32_e32 v4, v99
	v_mov_b32_e32 v23, v5
	v_pk_mul_f32 v[4:5], v[6:7], v[4:5] op_sel:[1,0] op_sel_hi:[0,0]
	v_pk_fma_f32 v[20:21], v[6:7], v[98:99], v[4:5] neg_lo:[0,0,1] neg_hi:[0,0,1]
	v_pk_fma_f32 v[4:5], v[6:7], v[98:99], v[4:5] op_sel_hi:[1,0,1]
	v_pk_add_f32 v[2:3], v[2:3], v[22:23]
	v_mov_b32_e32 v21, v5
	s_waitcnt vmcnt(2) lgkmcnt(2)
	v_pk_mul_f32 v[4:5], v[8:9], v[100:101] op_sel:[1,1] op_sel_hi:[0,1]
	v_pk_fma_f32 v[6:7], v[8:9], v[100:101], v[4:5] neg_lo:[0,0,1] neg_hi:[0,0,1]
	v_pk_fma_f32 v[4:5], v[8:9], v[100:101], v[4:5] op_sel_hi:[1,0,1]
	v_pk_add_f32 v[2:3], v[2:3], v[20:21]
	v_mov_b32_e32 v4, v103
	v_mov_b32_e32 v7, v5
	v_pk_mul_f32 v[4:5], v[10:11], v[4:5] op_sel:[1,0] op_sel_hi:[0,0]
	v_pk_add_f32 v[2:3], v[2:3], v[6:7]
	v_pk_fma_f32 v[6:7], v[10:11], v[102:103], v[4:5] neg_lo:[0,0,1] neg_hi:[0,0,1]
	v_pk_fma_f32 v[4:5], v[10:11], v[102:103], v[4:5] op_sel_hi:[1,0,1]
	s_nop 0
	v_mov_b32_e32 v7, v5
	s_waitcnt vmcnt(1) lgkmcnt(1)
	v_pk_mul_f32 v[4:5], v[12:13], v[104:105] op_sel:[1,1] op_sel_hi:[0,1]
	v_pk_add_f32 v[2:3], v[2:3], v[6:7]
	v_pk_fma_f32 v[6:7], v[12:13], v[104:105], v[4:5] neg_lo:[0,0,1] neg_hi:[0,0,1]
	v_pk_fma_f32 v[4:5], v[12:13], v[104:105], v[4:5] op_sel_hi:[1,0,1]
	s_nop 0
	v_mov_b32_e32 v4, v107
	v_mov_b32_e32 v7, v5
	v_pk_mul_f32 v[4:5], v[14:15], v[4:5] op_sel:[1,0] op_sel_hi:[0,0]
	v_pk_add_f32 v[2:3], v[2:3], v[6:7]
	v_pk_fma_f32 v[6:7], v[14:15], v[106:107], v[4:5] neg_lo:[0,0,1] neg_hi:[0,0,1]
	v_pk_fma_f32 v[4:5], v[14:15], v[106:107], v[4:5] op_sel_hi:[1,0,1]
	s_nop 0
	v_mov_b32_e32 v7, v5
	s_waitcnt vmcnt(0) lgkmcnt(0)
	v_pk_mul_f32 v[4:5], v[16:17], v[108:109] op_sel:[1,1] op_sel_hi:[0,1]
	v_pk_add_f32 v[2:3], v[2:3], v[6:7]
	v_pk_fma_f32 v[6:7], v[16:17], v[108:109], v[4:5] neg_lo:[0,0,1] neg_hi:[0,0,1]
	v_pk_fma_f32 v[4:5], v[16:17], v[108:109], v[4:5] op_sel_hi:[1,0,1]
	s_nop 0
	v_mov_b32_e32 v4, v111
	v_mov_b32_e32 v7, v5
	v_pk_mul_f32 v[4:5], v[18:19], v[4:5] op_sel:[1,0] op_sel_hi:[0,0]
	v_pk_add_f32 v[2:3], v[2:3], v[6:7]
	v_pk_fma_f32 v[6:7], v[18:19], v[110:111], v[4:5] neg_lo:[0,0,1] neg_hi:[0,0,1]
	v_pk_fma_f32 v[4:5], v[18:19], v[110:111], v[4:5] op_sel_hi:[1,0,1]
	s_nop 0
	v_mov_b32_e32 v7, v5
	scratch_load_dwordx2 v[4:5], off, off offset:96
	v_pk_add_f32 v[2:3], v[2:3], v[6:7]
	s_waitcnt vmcnt(0)
	v_pk_add_f32 v[2:3], v[4:5], v[2:3] neg_lo:[0,1] neg_hi:[0,1]
	scratch_store_dwordx2 off, v[2:3], off offset:96
	s_and_saveexec_b64 s[0:1], vcc
	s_cbranch_execz .LBB92_165
; %bb.164:
	scratch_load_dwordx2 v[2:3], off, off offset:88
	v_mov_b32_e32 v4, 0
	v_mov_b32_e32 v5, v4
	scratch_store_dwordx2 off, v[4:5], off offset:88
	s_waitcnt vmcnt(1)
	ds_write_b64 v1, v[2:3]
.LBB92_165:
	s_or_b64 exec, exec, s[0:1]
	v_mov_b32_e32 v2, 0
	s_waitcnt lgkmcnt(0)
	; wave barrier
	ds_read_b128 v[4:7], v2 offset:336
	ds_read_b128 v[8:11], v2 offset:352
	;; [unrolled: 1-line block ×4, first 2 shown]
	scratch_load_dwordx4 v[20:23], off, off offset:96
	scratch_load_dwordx4 v[100:103], off, off offset:160
	ds_read_b128 v[96:99], v2 offset:400
	v_cmp_lt_u32_e32 vcc, 10, v0
	s_waitcnt vmcnt(1) lgkmcnt(4)
	v_mul_f32_e32 v3, v4, v21
	v_fmac_f32_e32 v3, v5, v20
	v_mul_f32_e32 v24, v6, v23
	v_add_f32_e32 v3, 0, v3
	v_fmac_f32_e32 v24, v7, v22
	v_add_f32_e32 v3, v3, v24
	scratch_load_dwordx4 v[24:27], off, off offset:112
	s_waitcnt vmcnt(1) lgkmcnt(0)
	v_mul_f32_e32 v119, v96, v101
	v_fmac_f32_e32 v119, v97, v100
	s_waitcnt vmcnt(0)
	v_mul_f32_e32 v28, v8, v25
	v_fmac_f32_e32 v28, v9, v24
	v_add_f32_e32 v3, v3, v28
	v_mul_f32_e32 v28, v10, v27
	v_fmac_f32_e32 v28, v11, v26
	v_add_f32_e32 v3, v3, v28
	scratch_load_dwordx4 v[28:31], off, off offset:128
	s_waitcnt vmcnt(0)
	v_mul_f32_e32 v32, v12, v29
	v_fmac_f32_e32 v32, v13, v28
	v_add_f32_e32 v3, v3, v32
	v_mul_f32_e32 v32, v14, v31
	v_fmac_f32_e32 v32, v15, v30
	v_add_f32_e32 v3, v3, v32
	scratch_load_dwordx4 v[32:35], off, off offset:144
	scratch_load_dwordx4 v[104:107], off, off offset:176
	;; [unrolled: 1-line block ×4, first 2 shown]
	scratch_load_dwordx2 v[120:121], off, off offset:224
	s_waitcnt vmcnt(4)
	v_mul_f32_e32 v36, v16, v33
	v_fmac_f32_e32 v36, v17, v32
	v_add_f32_e32 v37, v3, v36
	v_mul_f32_e32 v3, v5, v21
	v_fma_f32 v3, v4, v20, -v3
	v_mul_f32_e32 v4, v7, v23
	v_add_f32_e32 v3, 0, v3
	v_fma_f32 v4, v6, v22, -v4
	v_add_f32_e32 v3, v3, v4
	v_mul_f32_e32 v4, v9, v25
	v_fma_f32 v4, v8, v24, -v4
	v_add_f32_e32 v3, v3, v4
	v_mul_f32_e32 v4, v11, v27
	;; [unrolled: 3-line block ×5, first 2 shown]
	v_fma_f32 v4, v16, v32, -v4
	v_mul_f32_e32 v117, v18, v35
	v_add_f32_e32 v36, v3, v4
	v_mul_f32_e32 v3, v19, v35
	v_mov_b32_e32 v20, v103
	v_fmac_f32_e32 v117, v19, v34
	v_fma_f32 v116, v18, v34, -v3
	v_mul_f32_e32 v3, v97, v101
	ds_read_b128 v[4:7], v2 offset:416
	ds_read_b128 v[8:11], v2 offset:432
	;; [unrolled: 1-line block ×3, first 2 shown]
	ds_read_b64 v[16:17], v2 offset:464
	v_pk_mul_f32 v[20:21], v[98:99], v[20:21] op_sel:[1,0] op_sel_hi:[0,0]
	v_fma_f32 v118, v96, v100, -v3
	v_pk_add_f32 v[18:19], v[36:37], v[116:117]
	v_pk_fma_f32 v[22:23], v[98:99], v[102:103], v[20:21] neg_lo:[0,0,1] neg_hi:[0,0,1]
	v_pk_fma_f32 v[20:21], v[98:99], v[102:103], v[20:21] op_sel_hi:[1,0,1]
	v_pk_add_f32 v[18:19], v[18:19], v[118:119]
	v_mov_b32_e32 v23, v21
	s_waitcnt vmcnt(3) lgkmcnt(3)
	v_pk_mul_f32 v[20:21], v[4:5], v[104:105] op_sel:[1,1] op_sel_hi:[0,1]
	v_pk_add_f32 v[18:19], v[18:19], v[22:23]
	v_pk_fma_f32 v[22:23], v[4:5], v[104:105], v[20:21] neg_lo:[0,0,1] neg_hi:[0,0,1]
	v_pk_fma_f32 v[4:5], v[4:5], v[104:105], v[20:21] op_sel_hi:[1,0,1]
	s_nop 0
	v_mov_b32_e32 v23, v5
	v_pk_add_f32 v[4:5], v[18:19], v[22:23]
	v_mov_b32_e32 v18, v107
	v_pk_mul_f32 v[18:19], v[6:7], v[18:19] op_sel:[1,0] op_sel_hi:[0,0]
	v_pk_fma_f32 v[20:21], v[6:7], v[106:107], v[18:19] neg_lo:[0,0,1] neg_hi:[0,0,1]
	v_pk_fma_f32 v[6:7], v[6:7], v[106:107], v[18:19] op_sel_hi:[1,0,1]
	s_nop 0
	v_mov_b32_e32 v21, v7
	s_waitcnt vmcnt(2) lgkmcnt(2)
	v_pk_mul_f32 v[6:7], v[8:9], v[108:109] op_sel:[1,1] op_sel_hi:[0,1]
	v_pk_fma_f32 v[18:19], v[8:9], v[108:109], v[6:7] neg_lo:[0,0,1] neg_hi:[0,0,1]
	v_pk_fma_f32 v[6:7], v[8:9], v[108:109], v[6:7] op_sel_hi:[1,0,1]
	v_pk_add_f32 v[4:5], v[4:5], v[20:21]
	v_mov_b32_e32 v6, v111
	v_mov_b32_e32 v19, v7
	v_pk_mul_f32 v[6:7], v[10:11], v[6:7] op_sel:[1,0] op_sel_hi:[0,0]
	v_pk_fma_f32 v[8:9], v[10:11], v[110:111], v[6:7] neg_lo:[0,0,1] neg_hi:[0,0,1]
	v_pk_fma_f32 v[6:7], v[10:11], v[110:111], v[6:7] op_sel_hi:[1,0,1]
	v_pk_add_f32 v[4:5], v[4:5], v[18:19]
	v_mov_b32_e32 v9, v7
	s_waitcnt vmcnt(1) lgkmcnt(1)
	v_pk_mul_f32 v[6:7], v[12:13], v[112:113] op_sel:[1,1] op_sel_hi:[0,1]
	v_pk_add_f32 v[4:5], v[4:5], v[8:9]
	v_pk_fma_f32 v[8:9], v[12:13], v[112:113], v[6:7] neg_lo:[0,0,1] neg_hi:[0,0,1]
	v_pk_fma_f32 v[6:7], v[12:13], v[112:113], v[6:7] op_sel_hi:[1,0,1]
	s_nop 0
	v_mov_b32_e32 v6, v115
	v_mov_b32_e32 v9, v7
	v_pk_mul_f32 v[6:7], v[14:15], v[6:7] op_sel:[1,0] op_sel_hi:[0,0]
	v_pk_add_f32 v[4:5], v[4:5], v[8:9]
	v_pk_fma_f32 v[8:9], v[14:15], v[114:115], v[6:7] neg_lo:[0,0,1] neg_hi:[0,0,1]
	v_pk_fma_f32 v[6:7], v[14:15], v[114:115], v[6:7] op_sel_hi:[1,0,1]
	s_nop 0
	v_mov_b32_e32 v9, v7
	s_waitcnt vmcnt(0) lgkmcnt(0)
	v_pk_mul_f32 v[6:7], v[16:17], v[120:121] op_sel:[1,1] op_sel_hi:[0,1]
	v_pk_add_f32 v[4:5], v[4:5], v[8:9]
	v_pk_fma_f32 v[8:9], v[16:17], v[120:121], v[6:7] neg_lo:[0,0,1] neg_hi:[0,0,1]
	v_pk_fma_f32 v[6:7], v[16:17], v[120:121], v[6:7] op_sel_hi:[1,0,1]
	s_nop 0
	v_mov_b32_e32 v9, v7
	scratch_load_dwordx2 v[6:7], off, off offset:88
	v_pk_add_f32 v[4:5], v[4:5], v[8:9]
	s_waitcnt vmcnt(0)
	v_pk_add_f32 v[4:5], v[6:7], v[4:5] neg_lo:[0,1] neg_hi:[0,1]
	scratch_store_dwordx2 off, v[4:5], off offset:88
	s_and_saveexec_b64 s[0:1], vcc
	s_cbranch_execz .LBB92_167
; %bb.166:
	scratch_load_dwordx2 v[4:5], off, off offset:80
	v_mov_b32_e32 v3, v2
	scratch_store_dwordx2 off, v[2:3], off offset:80
	s_waitcnt vmcnt(1)
	ds_write_b64 v1, v[4:5]
.LBB92_167:
	s_or_b64 exec, exec, s[0:1]
	s_waitcnt lgkmcnt(0)
	; wave barrier
	scratch_load_dwordx4 v[8:11], off, off offset:88
	scratch_load_dwordx4 v[16:19], off, off offset:104
	;; [unrolled: 1-line block ×4, first 2 shown]
	ds_read2_b64 v[4:7], v2 offset0:41 offset1:42
	ds_read2_b64 v[96:99], v2 offset0:49 offset1:50
	scratch_load_dwordx4 v[100:103], off, off offset:152
	v_cmp_lt_u32_e32 vcc, 9, v0
	s_waitcnt vmcnt(4) lgkmcnt(1)
	v_mul_f32_e32 v3, v4, v9
	v_fmac_f32_e32 v3, v5, v8
	v_mul_f32_e32 v12, v6, v11
	v_add_f32_e32 v3, 0, v3
	v_fmac_f32_e32 v12, v7, v10
	v_add_f32_e32 v3, v3, v12
	ds_read2_b64 v[12:15], v2 offset0:43 offset1:44
	s_waitcnt vmcnt(0) lgkmcnt(1)
	v_mul_f32_e32 v121, v96, v101
	v_fmac_f32_e32 v121, v97, v100
	v_mul_f32_e32 v123, v98, v103
	v_fmac_f32_e32 v123, v99, v102
	s_waitcnt lgkmcnt(0)
	v_mul_f32_e32 v20, v12, v17
	v_fmac_f32_e32 v20, v13, v16
	v_add_f32_e32 v3, v3, v20
	v_mul_f32_e32 v20, v14, v19
	v_fmac_f32_e32 v20, v15, v18
	v_add_f32_e32 v3, v3, v20
	ds_read2_b64 v[20:23], v2 offset0:45 offset1:46
	s_waitcnt lgkmcnt(0)
	v_mul_f32_e32 v28, v20, v25
	v_fmac_f32_e32 v28, v21, v24
	v_add_f32_e32 v3, v3, v28
	v_mul_f32_e32 v28, v22, v27
	v_fmac_f32_e32 v28, v23, v26
	v_add_f32_e32 v3, v3, v28
	ds_read2_b64 v[28:31], v2 offset0:47 offset1:48
	scratch_load_dwordx4 v[104:107], off, off offset:168
	scratch_load_dwordx4 v[108:111], off, off offset:184
	;; [unrolled: 1-line block ×4, first 2 shown]
	s_waitcnt lgkmcnt(0)
	v_mul_f32_e32 v36, v28, v33
	v_fmac_f32_e32 v36, v29, v32
	v_add_f32_e32 v3, v3, v36
	v_mul_f32_e32 v36, v30, v35
	v_fmac_f32_e32 v36, v31, v34
	v_add_f32_e32 v37, v3, v36
	v_mul_f32_e32 v3, v5, v9
	v_fma_f32 v3, v4, v8, -v3
	v_mul_f32_e32 v4, v7, v11
	v_add_f32_e32 v3, 0, v3
	v_fma_f32 v4, v6, v10, -v4
	v_add_f32_e32 v3, v3, v4
	v_mul_f32_e32 v4, v13, v17
	v_fma_f32 v4, v12, v16, -v4
	v_add_f32_e32 v3, v3, v4
	v_mul_f32_e32 v4, v15, v19
	v_fma_f32 v4, v14, v18, -v4
	v_add_f32_e32 v3, v3, v4
	v_mul_f32_e32 v4, v21, v25
	v_fma_f32 v4, v20, v24, -v4
	v_add_f32_e32 v3, v3, v4
	v_mul_f32_e32 v4, v23, v27
	v_fma_f32 v4, v22, v26, -v4
	v_add_f32_e32 v3, v3, v4
	v_mul_f32_e32 v4, v29, v33
	v_fma_f32 v4, v28, v32, -v4
	v_add_f32_e32 v3, v3, v4
	v_mul_f32_e32 v4, v31, v35
	v_fma_f32 v4, v30, v34, -v4
	v_add_f32_e32 v36, v3, v4
	ds_read2_b64 v[4:7], v2 offset0:51 offset1:52
	ds_read2_b64 v[8:11], v2 offset0:53 offset1:54
	;; [unrolled: 1-line block ×4, first 2 shown]
	v_mul_f32_e32 v3, v97, v101
	v_fma_f32 v120, v96, v100, -v3
	v_mul_f32_e32 v3, v99, v103
	v_fma_f32 v122, v98, v102, -v3
	v_pk_add_f32 v[2:3], v[36:37], v[120:121]
	s_waitcnt vmcnt(3) lgkmcnt(3)
	v_pk_mul_f32 v[20:21], v[4:5], v[104:105] op_sel:[1,1] op_sel_hi:[0,1]
	v_pk_fma_f32 v[22:23], v[4:5], v[104:105], v[20:21] neg_lo:[0,0,1] neg_hi:[0,0,1]
	v_pk_fma_f32 v[4:5], v[4:5], v[104:105], v[20:21] op_sel_hi:[1,0,1]
	v_pk_add_f32 v[2:3], v[2:3], v[122:123]
	v_mov_b32_e32 v4, v107
	v_mov_b32_e32 v23, v5
	v_pk_mul_f32 v[4:5], v[6:7], v[4:5] op_sel:[1,0] op_sel_hi:[0,0]
	v_pk_fma_f32 v[20:21], v[6:7], v[106:107], v[4:5] neg_lo:[0,0,1] neg_hi:[0,0,1]
	v_pk_fma_f32 v[4:5], v[6:7], v[106:107], v[4:5] op_sel_hi:[1,0,1]
	v_pk_add_f32 v[2:3], v[2:3], v[22:23]
	v_mov_b32_e32 v21, v5
	s_waitcnt vmcnt(2) lgkmcnt(2)
	v_pk_mul_f32 v[4:5], v[8:9], v[108:109] op_sel:[1,1] op_sel_hi:[0,1]
	v_pk_fma_f32 v[6:7], v[8:9], v[108:109], v[4:5] neg_lo:[0,0,1] neg_hi:[0,0,1]
	v_pk_fma_f32 v[4:5], v[8:9], v[108:109], v[4:5] op_sel_hi:[1,0,1]
	v_pk_add_f32 v[2:3], v[2:3], v[20:21]
	v_mov_b32_e32 v4, v111
	v_mov_b32_e32 v7, v5
	v_pk_mul_f32 v[4:5], v[10:11], v[4:5] op_sel:[1,0] op_sel_hi:[0,0]
	v_pk_add_f32 v[2:3], v[2:3], v[6:7]
	v_pk_fma_f32 v[6:7], v[10:11], v[110:111], v[4:5] neg_lo:[0,0,1] neg_hi:[0,0,1]
	v_pk_fma_f32 v[4:5], v[10:11], v[110:111], v[4:5] op_sel_hi:[1,0,1]
	s_nop 0
	v_mov_b32_e32 v7, v5
	s_waitcnt vmcnt(1) lgkmcnt(1)
	v_pk_mul_f32 v[4:5], v[12:13], v[112:113] op_sel:[1,1] op_sel_hi:[0,1]
	v_pk_add_f32 v[2:3], v[2:3], v[6:7]
	v_pk_fma_f32 v[6:7], v[12:13], v[112:113], v[4:5] neg_lo:[0,0,1] neg_hi:[0,0,1]
	v_pk_fma_f32 v[4:5], v[12:13], v[112:113], v[4:5] op_sel_hi:[1,0,1]
	s_nop 0
	v_mov_b32_e32 v4, v115
	v_mov_b32_e32 v7, v5
	v_pk_mul_f32 v[4:5], v[14:15], v[4:5] op_sel:[1,0] op_sel_hi:[0,0]
	v_pk_add_f32 v[2:3], v[2:3], v[6:7]
	v_pk_fma_f32 v[6:7], v[14:15], v[114:115], v[4:5] neg_lo:[0,0,1] neg_hi:[0,0,1]
	v_pk_fma_f32 v[4:5], v[14:15], v[114:115], v[4:5] op_sel_hi:[1,0,1]
	s_nop 0
	v_mov_b32_e32 v7, v5
	s_waitcnt vmcnt(0) lgkmcnt(0)
	v_pk_mul_f32 v[4:5], v[16:17], v[116:117] op_sel:[1,1] op_sel_hi:[0,1]
	v_pk_add_f32 v[2:3], v[2:3], v[6:7]
	v_pk_fma_f32 v[6:7], v[16:17], v[116:117], v[4:5] neg_lo:[0,0,1] neg_hi:[0,0,1]
	v_pk_fma_f32 v[4:5], v[16:17], v[116:117], v[4:5] op_sel_hi:[1,0,1]
	s_nop 0
	v_mov_b32_e32 v4, v119
	v_mov_b32_e32 v7, v5
	v_pk_mul_f32 v[4:5], v[18:19], v[4:5] op_sel:[1,0] op_sel_hi:[0,0]
	v_pk_add_f32 v[2:3], v[2:3], v[6:7]
	v_pk_fma_f32 v[6:7], v[18:19], v[118:119], v[4:5] neg_lo:[0,0,1] neg_hi:[0,0,1]
	v_pk_fma_f32 v[4:5], v[18:19], v[118:119], v[4:5] op_sel_hi:[1,0,1]
	s_nop 0
	v_mov_b32_e32 v7, v5
	scratch_load_dwordx2 v[4:5], off, off offset:80
	v_pk_add_f32 v[2:3], v[2:3], v[6:7]
	s_waitcnt vmcnt(0)
	v_pk_add_f32 v[2:3], v[4:5], v[2:3] neg_lo:[0,1] neg_hi:[0,1]
	scratch_store_dwordx2 off, v[2:3], off offset:80
	s_and_saveexec_b64 s[0:1], vcc
	s_cbranch_execz .LBB92_169
; %bb.168:
	scratch_load_dwordx2 v[2:3], off, off offset:72
	v_mov_b32_e32 v4, 0
	v_mov_b32_e32 v5, v4
	scratch_store_dwordx2 off, v[4:5], off offset:72
	s_waitcnt vmcnt(1)
	ds_write_b64 v1, v[2:3]
.LBB92_169:
	s_or_b64 exec, exec, s[0:1]
	v_mov_b32_e32 v2, 0
	s_waitcnt lgkmcnt(0)
	; wave barrier
	ds_read_b128 v[4:7], v2 offset:320
	ds_read_b128 v[8:11], v2 offset:336
	;; [unrolled: 1-line block ×4, first 2 shown]
	scratch_load_dwordx4 v[20:23], off, off offset:80
	scratch_load_dwordx4 v[100:103], off, off offset:144
	ds_read_b128 v[96:99], v2 offset:384
	ds_read_b128 v[104:107], v2 offset:400
	v_cmp_lt_u32_e32 vcc, 8, v0
	scratch_load_dwordx4 v[108:111], off, off offset:160
	s_waitcnt vmcnt(2) lgkmcnt(5)
	v_mul_f32_e32 v3, v4, v21
	v_fmac_f32_e32 v3, v5, v20
	v_mul_f32_e32 v24, v6, v23
	v_add_f32_e32 v3, 0, v3
	v_fmac_f32_e32 v24, v7, v22
	v_add_f32_e32 v3, v3, v24
	scratch_load_dwordx4 v[24:27], off, off offset:96
	s_waitcnt vmcnt(2) lgkmcnt(1)
	v_mul_f32_e32 v125, v98, v103
	v_fmac_f32_e32 v125, v99, v102
	s_waitcnt vmcnt(1) lgkmcnt(0)
	v_mul_f32_e32 v127, v104, v109
	v_fmac_f32_e32 v127, v105, v108
	s_waitcnt vmcnt(0)
	v_mul_f32_e32 v28, v8, v25
	v_fmac_f32_e32 v28, v9, v24
	v_add_f32_e32 v3, v3, v28
	v_mul_f32_e32 v28, v10, v27
	v_fmac_f32_e32 v28, v11, v26
	v_add_f32_e32 v3, v3, v28
	scratch_load_dwordx4 v[28:31], off, off offset:112
	s_waitcnt vmcnt(0)
	v_mul_f32_e32 v32, v12, v29
	v_fmac_f32_e32 v32, v13, v28
	v_add_f32_e32 v3, v3, v32
	v_mul_f32_e32 v32, v14, v31
	v_fmac_f32_e32 v32, v15, v30
	v_add_f32_e32 v3, v3, v32
	scratch_load_dwordx4 v[32:35], off, off offset:128
	scratch_load_dwordx4 v[112:115], off, off offset:176
	;; [unrolled: 1-line block ×4, first 2 shown]
	scratch_load_dwordx2 v[128:129], off, off offset:224
	s_waitcnt vmcnt(4)
	v_mul_f32_e32 v36, v16, v33
	v_fmac_f32_e32 v36, v17, v32
	v_add_f32_e32 v3, v3, v36
	v_mul_f32_e32 v36, v18, v35
	v_fmac_f32_e32 v36, v19, v34
	v_add_f32_e32 v3, v3, v36
	;; [unrolled: 3-line block ×3, first 2 shown]
	v_mul_f32_e32 v3, v5, v21
	v_fma_f32 v3, v4, v20, -v3
	v_mul_f32_e32 v4, v7, v23
	v_add_f32_e32 v3, 0, v3
	v_fma_f32 v4, v6, v22, -v4
	v_add_f32_e32 v3, v3, v4
	v_mul_f32_e32 v4, v9, v25
	v_fma_f32 v4, v8, v24, -v4
	v_add_f32_e32 v3, v3, v4
	v_mul_f32_e32 v4, v11, v27
	;; [unrolled: 3-line block ×8, first 2 shown]
	v_mov_b32_e32 v20, v111
	v_fma_f32 v124, v98, v102, -v3
	v_mul_f32_e32 v3, v105, v109
	ds_read_b128 v[4:7], v2 offset:416
	ds_read_b128 v[8:11], v2 offset:432
	;; [unrolled: 1-line block ×3, first 2 shown]
	ds_read_b64 v[16:17], v2 offset:464
	v_pk_mul_f32 v[20:21], v[106:107], v[20:21] op_sel:[1,0] op_sel_hi:[0,0]
	v_fma_f32 v126, v104, v108, -v3
	v_pk_add_f32 v[18:19], v[36:37], v[124:125]
	v_pk_fma_f32 v[22:23], v[106:107], v[110:111], v[20:21] neg_lo:[0,0,1] neg_hi:[0,0,1]
	v_pk_fma_f32 v[20:21], v[106:107], v[110:111], v[20:21] op_sel_hi:[1,0,1]
	v_pk_add_f32 v[18:19], v[18:19], v[126:127]
	v_mov_b32_e32 v23, v21
	s_waitcnt vmcnt(3) lgkmcnt(3)
	v_pk_mul_f32 v[20:21], v[4:5], v[112:113] op_sel:[1,1] op_sel_hi:[0,1]
	v_pk_add_f32 v[18:19], v[18:19], v[22:23]
	v_pk_fma_f32 v[22:23], v[4:5], v[112:113], v[20:21] neg_lo:[0,0,1] neg_hi:[0,0,1]
	v_pk_fma_f32 v[4:5], v[4:5], v[112:113], v[20:21] op_sel_hi:[1,0,1]
	s_nop 0
	v_mov_b32_e32 v23, v5
	v_pk_add_f32 v[4:5], v[18:19], v[22:23]
	v_mov_b32_e32 v18, v115
	v_pk_mul_f32 v[18:19], v[6:7], v[18:19] op_sel:[1,0] op_sel_hi:[0,0]
	v_pk_fma_f32 v[20:21], v[6:7], v[114:115], v[18:19] neg_lo:[0,0,1] neg_hi:[0,0,1]
	v_pk_fma_f32 v[6:7], v[6:7], v[114:115], v[18:19] op_sel_hi:[1,0,1]
	s_nop 0
	v_mov_b32_e32 v21, v7
	s_waitcnt vmcnt(2) lgkmcnt(2)
	v_pk_mul_f32 v[6:7], v[8:9], v[116:117] op_sel:[1,1] op_sel_hi:[0,1]
	v_pk_fma_f32 v[18:19], v[8:9], v[116:117], v[6:7] neg_lo:[0,0,1] neg_hi:[0,0,1]
	v_pk_fma_f32 v[6:7], v[8:9], v[116:117], v[6:7] op_sel_hi:[1,0,1]
	v_pk_add_f32 v[4:5], v[4:5], v[20:21]
	v_mov_b32_e32 v6, v119
	v_mov_b32_e32 v19, v7
	v_pk_mul_f32 v[6:7], v[10:11], v[6:7] op_sel:[1,0] op_sel_hi:[0,0]
	v_pk_fma_f32 v[8:9], v[10:11], v[118:119], v[6:7] neg_lo:[0,0,1] neg_hi:[0,0,1]
	v_pk_fma_f32 v[6:7], v[10:11], v[118:119], v[6:7] op_sel_hi:[1,0,1]
	v_pk_add_f32 v[4:5], v[4:5], v[18:19]
	v_mov_b32_e32 v9, v7
	s_waitcnt vmcnt(1) lgkmcnt(1)
	v_pk_mul_f32 v[6:7], v[12:13], v[120:121] op_sel:[1,1] op_sel_hi:[0,1]
	v_pk_add_f32 v[4:5], v[4:5], v[8:9]
	v_pk_fma_f32 v[8:9], v[12:13], v[120:121], v[6:7] neg_lo:[0,0,1] neg_hi:[0,0,1]
	v_pk_fma_f32 v[6:7], v[12:13], v[120:121], v[6:7] op_sel_hi:[1,0,1]
	s_nop 0
	v_mov_b32_e32 v6, v123
	v_mov_b32_e32 v9, v7
	v_pk_mul_f32 v[6:7], v[14:15], v[6:7] op_sel:[1,0] op_sel_hi:[0,0]
	v_pk_add_f32 v[4:5], v[4:5], v[8:9]
	v_pk_fma_f32 v[8:9], v[14:15], v[122:123], v[6:7] neg_lo:[0,0,1] neg_hi:[0,0,1]
	v_pk_fma_f32 v[6:7], v[14:15], v[122:123], v[6:7] op_sel_hi:[1,0,1]
	s_nop 0
	v_mov_b32_e32 v9, v7
	s_waitcnt vmcnt(0) lgkmcnt(0)
	v_pk_mul_f32 v[6:7], v[16:17], v[128:129] op_sel:[1,1] op_sel_hi:[0,1]
	v_pk_add_f32 v[4:5], v[4:5], v[8:9]
	v_pk_fma_f32 v[8:9], v[16:17], v[128:129], v[6:7] neg_lo:[0,0,1] neg_hi:[0,0,1]
	v_pk_fma_f32 v[6:7], v[16:17], v[128:129], v[6:7] op_sel_hi:[1,0,1]
	s_nop 0
	v_mov_b32_e32 v9, v7
	scratch_load_dwordx2 v[6:7], off, off offset:72
	v_pk_add_f32 v[4:5], v[4:5], v[8:9]
	s_waitcnt vmcnt(0)
	v_pk_add_f32 v[4:5], v[6:7], v[4:5] neg_lo:[0,1] neg_hi:[0,1]
	scratch_store_dwordx2 off, v[4:5], off offset:72
	s_and_saveexec_b64 s[0:1], vcc
	s_cbranch_execz .LBB92_171
; %bb.170:
	scratch_load_dwordx2 v[4:5], off, off offset:64
	v_mov_b32_e32 v3, v2
	scratch_store_dwordx2 off, v[2:3], off offset:64
	s_waitcnt vmcnt(1)
	ds_write_b64 v1, v[4:5]
.LBB92_171:
	s_or_b64 exec, exec, s[0:1]
	s_waitcnt lgkmcnt(0)
	; wave barrier
	scratch_load_dwordx4 v[4:7], off, off offset:72
	scratch_load_dwordx4 v[8:11], off, off offset:88
	;; [unrolled: 1-line block ×7, first 2 shown]
	ds_read2_b64 v[32:35], v2 offset0:39 offset1:40
	ds_read2_b64 v[96:99], v2 offset0:41 offset1:42
	;; [unrolled: 1-line block ×6, first 2 shown]
	scratch_load_dwordx4 v[116:119], off, off offset:184
	scratch_load_dwordx4 v[120:123], off, off offset:200
	;; [unrolled: 1-line block ×3, first 2 shown]
	ds_read2_b64 v[128:131], v2 offset0:51 offset1:52
	ds_read2_b64 v[132:135], v2 offset0:53 offset1:54
	;; [unrolled: 1-line block ×4, first 2 shown]
	scratch_load_dwordx2 v[2:3], off, off offset:64
	v_cmp_lt_u32_e32 vcc, 7, v0
	s_waitcnt vmcnt(10) lgkmcnt(9)
	v_mul_f32_e32 v148, v32, v5
	v_mul_f32_e32 v5, v33, v5
	;; [unrolled: 1-line block ×3, first 2 shown]
	s_waitcnt vmcnt(9) lgkmcnt(8)
	v_mul_f32_e32 v150, v96, v9
	s_waitcnt vmcnt(8) lgkmcnt(7)
	v_mul_f32_e32 v153, v102, v15
	v_mul_f32_e32 v7, v35, v7
	;; [unrolled: 1-line block ×4, first 2 shown]
	v_fmac_f32_e32 v148, v33, v4
	v_fma_f32 v4, v32, v4, -v5
	v_fmac_f32_e32 v149, v35, v6
	v_fmac_f32_e32 v153, v103, v14
	v_fma_f32 v5, v34, v6, -v7
	v_fma_f32 v6, v96, v8, -v9
	;; [unrolled: 1-line block ×3, first 2 shown]
	v_add_f32_e32 v14, 0, v148
	v_add_f32_e32 v4, 0, v4
	v_mul_f32_e32 v151, v98, v11
	v_mul_f32_e32 v11, v99, v11
	v_fmac_f32_e32 v150, v97, v8
	v_add_f32_e32 v14, v14, v149
	v_add_f32_e32 v4, v4, v5
	v_mul_f32_e32 v152, v100, v13
	v_mul_f32_e32 v13, v101, v13
	v_fmac_f32_e32 v151, v99, v10
	v_fma_f32 v7, v98, v10, -v11
	v_add_f32_e32 v5, v14, v150
	v_add_f32_e32 v4, v4, v6
	v_fmac_f32_e32 v152, v101, v12
	v_fma_f32 v8, v100, v12, -v13
	v_add_f32_e32 v5, v5, v151
	v_add_f32_e32 v4, v4, v7
	s_waitcnt vmcnt(7) lgkmcnt(6)
	v_mul_f32_e32 v154, v104, v17
	v_mul_f32_e32 v17, v105, v17
	v_add_f32_e32 v5, v5, v152
	v_add_f32_e32 v4, v4, v8
	v_mul_f32_e32 v155, v106, v19
	v_mul_f32_e32 v19, v107, v19
	v_fmac_f32_e32 v154, v105, v16
	v_fma_f32 v10, v104, v16, -v17
	v_add_f32_e32 v5, v5, v153
	v_add_f32_e32 v4, v4, v9
	s_waitcnt vmcnt(6) lgkmcnt(5)
	v_mul_f32_e32 v156, v108, v21
	v_mul_f32_e32 v21, v109, v21
	v_fmac_f32_e32 v155, v107, v18
	v_fma_f32 v11, v106, v18, -v19
	v_add_f32_e32 v5, v5, v154
	v_add_f32_e32 v4, v4, v10
	v_mul_f32_e32 v157, v110, v23
	v_mul_f32_e32 v23, v111, v23
	v_fmac_f32_e32 v156, v109, v20
	v_fma_f32 v12, v108, v20, -v21
	v_add_f32_e32 v5, v5, v155
	v_add_f32_e32 v4, v4, v11
	s_waitcnt vmcnt(5) lgkmcnt(4)
	v_mul_f32_e32 v37, v112, v25
	v_mul_f32_e32 v25, v113, v25
	v_fmac_f32_e32 v157, v111, v22
	v_fma_f32 v13, v110, v22, -v23
	v_add_f32_e32 v5, v5, v156
	v_add_f32_e32 v4, v4, v12
	v_mul_f32_e32 v145, v114, v27
	v_mul_f32_e32 v27, v115, v27
	s_waitcnt vmcnt(4) lgkmcnt(3)
	v_pk_mul_f32 v[146:147], v[128:129], v[28:29] op_sel:[1,1] op_sel_hi:[0,1]
	v_fmac_f32_e32 v37, v113, v24
	v_fma_f32 v36, v112, v24, -v25
	v_add_f32_e32 v5, v5, v157
	v_add_f32_e32 v4, v4, v13
	v_fmac_f32_e32 v145, v115, v26
	v_fma_f32 v144, v114, v26, -v27
	v_pk_add_f32 v[4:5], v[4:5], v[36:37]
	v_pk_fma_f32 v[6:7], v[128:129], v[28:29], v[146:147] neg_lo:[0,0,1] neg_hi:[0,0,1]
	v_pk_fma_f32 v[8:9], v[128:129], v[28:29], v[146:147] op_sel_hi:[1,0,1]
	v_pk_add_f32 v[4:5], v[4:5], v[144:145]
	v_mov_b32_e32 v7, v9
	v_pk_add_f32 v[4:5], v[4:5], v[6:7]
	v_mov_b32_e32 v6, v31
	v_pk_mul_f32 v[6:7], v[130:131], v[6:7] op_sel:[1,0] op_sel_hi:[0,0]
	v_pk_fma_f32 v[8:9], v[130:131], v[30:31], v[6:7] neg_lo:[0,0,1] neg_hi:[0,0,1]
	v_pk_fma_f32 v[6:7], v[130:131], v[30:31], v[6:7] op_sel_hi:[1,0,1]
	s_nop 0
	v_mov_b32_e32 v9, v7
	s_waitcnt vmcnt(3) lgkmcnt(2)
	v_pk_mul_f32 v[6:7], v[132:133], v[116:117] op_sel:[1,1] op_sel_hi:[0,1]
	v_pk_add_f32 v[4:5], v[4:5], v[8:9]
	v_pk_fma_f32 v[8:9], v[132:133], v[116:117], v[6:7] neg_lo:[0,0,1] neg_hi:[0,0,1]
	v_pk_fma_f32 v[6:7], v[132:133], v[116:117], v[6:7] op_sel_hi:[1,0,1]
	s_nop 0
	v_mov_b32_e32 v6, v119
	v_mov_b32_e32 v9, v7
	v_pk_mul_f32 v[6:7], v[134:135], v[6:7] op_sel:[1,0] op_sel_hi:[0,0]
	v_pk_add_f32 v[4:5], v[4:5], v[8:9]
	v_pk_fma_f32 v[8:9], v[134:135], v[118:119], v[6:7] neg_lo:[0,0,1] neg_hi:[0,0,1]
	v_pk_fma_f32 v[6:7], v[134:135], v[118:119], v[6:7] op_sel_hi:[1,0,1]
	s_nop 0
	v_mov_b32_e32 v9, v7
	s_waitcnt vmcnt(2) lgkmcnt(1)
	v_pk_mul_f32 v[6:7], v[136:137], v[120:121] op_sel:[1,1] op_sel_hi:[0,1]
	v_pk_add_f32 v[4:5], v[4:5], v[8:9]
	v_pk_fma_f32 v[8:9], v[136:137], v[120:121], v[6:7] neg_lo:[0,0,1] neg_hi:[0,0,1]
	v_pk_fma_f32 v[6:7], v[136:137], v[120:121], v[6:7] op_sel_hi:[1,0,1]
	s_nop 0
	v_mov_b32_e32 v6, v123
	v_mov_b32_e32 v9, v7
	v_pk_mul_f32 v[6:7], v[138:139], v[6:7] op_sel:[1,0] op_sel_hi:[0,0]
	v_pk_add_f32 v[4:5], v[4:5], v[8:9]
	;; [unrolled: 14-line block ×3, first 2 shown]
	v_pk_fma_f32 v[8:9], v[142:143], v[126:127], v[6:7] neg_lo:[0,0,1] neg_hi:[0,0,1]
	v_pk_fma_f32 v[6:7], v[142:143], v[126:127], v[6:7] op_sel_hi:[1,0,1]
	s_nop 0
	v_mov_b32_e32 v9, v7
	v_pk_add_f32 v[4:5], v[4:5], v[8:9]
	s_waitcnt vmcnt(0)
	v_pk_add_f32 v[2:3], v[2:3], v[4:5] neg_lo:[0,1] neg_hi:[0,1]
	scratch_store_dwordx2 off, v[2:3], off offset:64
	s_and_saveexec_b64 s[0:1], vcc
	s_cbranch_execz .LBB92_173
; %bb.172:
	scratch_load_dwordx2 v[2:3], off, off offset:56
	v_mov_b32_e32 v4, 0
	v_mov_b32_e32 v5, v4
	scratch_store_dwordx2 off, v[4:5], off offset:56
	s_waitcnt vmcnt(1)
	ds_write_b64 v1, v[2:3]
.LBB92_173:
	s_or_b64 exec, exec, s[0:1]
	s_waitcnt lgkmcnt(0)
	; wave barrier
	scratch_load_dwordx4 v[2:5], off, off offset:64
	scratch_load_dwordx4 v[6:9], off, off offset:80
	;; [unrolled: 1-line block ×10, first 2 shown]
	scratch_load_dwordx2 v[36:37], off, off offset:224
	scratch_load_dwordx2 v[136:137], off, off offset:56
	v_mov_b32_e32 v10, 0
	ds_read_b128 v[104:107], v10 offset:304
	ds_read_b128 v[108:111], v10 offset:320
	;; [unrolled: 1-line block ×8, first 2 shown]
	v_cmp_lt_u32_e32 vcc, 6, v0
	s_waitcnt vmcnt(11) lgkmcnt(7)
	v_mul_f32_e32 v11, v104, v3
	v_mul_f32_e32 v3, v105, v3
	;; [unrolled: 1-line block ×4, first 2 shown]
	v_fmac_f32_e32 v11, v105, v2
	v_fma_f32 v2, v104, v2, -v3
	s_waitcnt vmcnt(10) lgkmcnt(6)
	v_mul_f32_e32 v140, v108, v7
	v_mul_f32_e32 v7, v109, v7
	v_fma_f32 v3, v106, v4, -v5
	v_add_f32_e32 v2, 0, v2
	v_mul_f32_e32 v142, v110, v9
	v_mul_f32_e32 v9, v111, v9
	v_fmac_f32_e32 v138, v107, v4
	v_fma_f32 v4, v108, v6, -v7
	v_add_f32_e32 v11, 0, v11
	v_add_f32_e32 v2, v2, v3
	s_waitcnt vmcnt(9) lgkmcnt(5)
	v_mul_f32_e32 v143, v112, v13
	v_mul_f32_e32 v13, v113, v13
	v_fmac_f32_e32 v140, v109, v6
	v_fma_f32 v5, v110, v8, -v9
	v_add_f32_e32 v11, v11, v138
	v_add_f32_e32 v2, v2, v4
	v_mul_f32_e32 v144, v114, v15
	v_mul_f32_e32 v15, v115, v15
	v_fmac_f32_e32 v142, v111, v8
	v_fma_f32 v6, v112, v12, -v13
	v_add_f32_e32 v3, v11, v140
	v_add_f32_e32 v2, v2, v5
	s_waitcnt vmcnt(8) lgkmcnt(4)
	v_mul_f32_e32 v145, v116, v17
	v_mul_f32_e32 v17, v117, v17
	v_fmac_f32_e32 v143, v113, v12
	v_fma_f32 v7, v114, v14, -v15
	v_add_f32_e32 v3, v3, v142
	;; [unrolled: 13-line block ×4, first 2 shown]
	v_add_f32_e32 v2, v2, v12
	v_fmac_f32_e32 v148, v123, v22
	v_fma_f32 v14, v124, v24, -v25
	v_add_f32_e32 v3, v3, v147
	v_add_f32_e32 v2, v2, v13
	v_mul_f32_e32 v139, v126, v27
	v_fmac_f32_e32 v149, v125, v24
	v_add_f32_e32 v3, v3, v148
	v_add_f32_e32 v12, v2, v14
	v_mul_f32_e32 v2, v127, v27
	s_waitcnt vmcnt(5)
	v_mov_b32_e32 v16, v31
	s_waitcnt lgkmcnt(1)
	v_mul_f32_e32 v141, v128, v29
	v_fmac_f32_e32 v139, v127, v26
	v_add_f32_e32 v13, v3, v149
	v_fma_f32 v138, v126, v26, -v2
	v_mul_f32_e32 v2, v129, v29
	v_pk_mul_f32 v[16:17], v[130:131], v[16:17] op_sel:[1,0] op_sel_hi:[0,0]
	v_fmac_f32_e32 v141, v129, v28
	v_fma_f32 v140, v128, v28, -v2
	v_pk_add_f32 v[12:13], v[12:13], v[138:139]
	v_pk_fma_f32 v[18:19], v[130:131], v[30:31], v[16:17] neg_lo:[0,0,1] neg_hi:[0,0,1]
	v_pk_fma_f32 v[16:17], v[130:131], v[30:31], v[16:17] op_sel_hi:[1,0,1]
	v_pk_add_f32 v[12:13], v[12:13], v[140:141]
	v_mov_b32_e32 v19, v17
	s_waitcnt vmcnt(4) lgkmcnt(0)
	v_pk_mul_f32 v[16:17], v[132:133], v[32:33] op_sel:[1,1] op_sel_hi:[0,1]
	v_pk_add_f32 v[12:13], v[12:13], v[18:19]
	v_pk_fma_f32 v[18:19], v[132:133], v[32:33], v[16:17] neg_lo:[0,0,1] neg_hi:[0,0,1]
	v_pk_fma_f32 v[16:17], v[132:133], v[32:33], v[16:17] op_sel_hi:[1,0,1]
	ds_read_b128 v[2:5], v10 offset:432
	ds_read_b128 v[6:9], v10 offset:448
	ds_read_b64 v[14:15], v10 offset:464
	v_mov_b32_e32 v16, v35
	v_mov_b32_e32 v19, v17
	v_pk_mul_f32 v[16:17], v[134:135], v[16:17] op_sel:[1,0] op_sel_hi:[0,0]
	v_pk_add_f32 v[12:13], v[12:13], v[18:19]
	v_pk_fma_f32 v[18:19], v[134:135], v[34:35], v[16:17] neg_lo:[0,0,1] neg_hi:[0,0,1]
	v_pk_fma_f32 v[16:17], v[134:135], v[34:35], v[16:17] op_sel_hi:[1,0,1]
	s_nop 0
	v_mov_b32_e32 v19, v17
	s_waitcnt vmcnt(3) lgkmcnt(2)
	v_pk_mul_f32 v[16:17], v[2:3], v[96:97] op_sel:[1,1] op_sel_hi:[0,1]
	v_pk_add_f32 v[12:13], v[12:13], v[18:19]
	v_pk_fma_f32 v[18:19], v[2:3], v[96:97], v[16:17] neg_lo:[0,0,1] neg_hi:[0,0,1]
	v_pk_fma_f32 v[2:3], v[2:3], v[96:97], v[16:17] op_sel_hi:[1,0,1]
	s_nop 0
	v_mov_b32_e32 v19, v3
	v_pk_add_f32 v[2:3], v[12:13], v[18:19]
	v_mov_b32_e32 v12, v99
	v_pk_mul_f32 v[12:13], v[4:5], v[12:13] op_sel:[1,0] op_sel_hi:[0,0]
	v_pk_fma_f32 v[16:17], v[4:5], v[98:99], v[12:13] neg_lo:[0,0,1] neg_hi:[0,0,1]
	v_pk_fma_f32 v[4:5], v[4:5], v[98:99], v[12:13] op_sel_hi:[1,0,1]
	s_nop 0
	v_mov_b32_e32 v17, v5
	s_waitcnt vmcnt(2) lgkmcnt(1)
	v_pk_mul_f32 v[4:5], v[6:7], v[100:101] op_sel:[1,1] op_sel_hi:[0,1]
	v_pk_fma_f32 v[12:13], v[6:7], v[100:101], v[4:5] neg_lo:[0,0,1] neg_hi:[0,0,1]
	v_pk_fma_f32 v[4:5], v[6:7], v[100:101], v[4:5] op_sel_hi:[1,0,1]
	v_pk_add_f32 v[2:3], v[2:3], v[16:17]
	v_mov_b32_e32 v4, v103
	v_mov_b32_e32 v13, v5
	v_pk_mul_f32 v[4:5], v[8:9], v[4:5] op_sel:[1,0] op_sel_hi:[0,0]
	v_pk_fma_f32 v[6:7], v[8:9], v[102:103], v[4:5] neg_lo:[0,0,1] neg_hi:[0,0,1]
	v_pk_fma_f32 v[4:5], v[8:9], v[102:103], v[4:5] op_sel_hi:[1,0,1]
	v_pk_add_f32 v[2:3], v[2:3], v[12:13]
	v_mov_b32_e32 v7, v5
	s_waitcnt vmcnt(1) lgkmcnt(0)
	v_pk_mul_f32 v[4:5], v[14:15], v[36:37] op_sel:[1,1] op_sel_hi:[0,1]
	v_pk_add_f32 v[2:3], v[2:3], v[6:7]
	v_pk_fma_f32 v[6:7], v[14:15], v[36:37], v[4:5] neg_lo:[0,0,1] neg_hi:[0,0,1]
	v_pk_fma_f32 v[4:5], v[14:15], v[36:37], v[4:5] op_sel_hi:[1,0,1]
	s_nop 0
	v_mov_b32_e32 v7, v5
	v_pk_add_f32 v[2:3], v[2:3], v[6:7]
	s_waitcnt vmcnt(0)
	v_pk_add_f32 v[2:3], v[136:137], v[2:3] neg_lo:[0,1] neg_hi:[0,1]
	scratch_store_dwordx2 off, v[2:3], off offset:56
	s_and_saveexec_b64 s[0:1], vcc
	s_cbranch_execz .LBB92_175
; %bb.174:
	scratch_load_dwordx2 v[2:3], off, off offset:48
	v_mov_b32_e32 v11, v10
	scratch_store_dwordx2 off, v[10:11], off offset:48
	s_waitcnt vmcnt(1)
	ds_write_b64 v1, v[2:3]
.LBB92_175:
	s_or_b64 exec, exec, s[0:1]
	s_waitcnt lgkmcnt(0)
	; wave barrier
	scratch_load_dwordx4 v[6:9], off, off offset:56
	scratch_load_dwordx4 v[12:15], off, off offset:72
	scratch_load_dwordx4 v[16:19], off, off offset:88
	scratch_load_dwordx4 v[20:23], off, off offset:104
	scratch_load_dwordx4 v[24:27], off, off offset:120
	scratch_load_dwordx4 v[28:31], off, off offset:136
	scratch_load_dwordx4 v[32:35], off, off offset:152
	ds_read2_b64 v[96:99], v10 offset0:37 offset1:38
	ds_read2_b64 v[100:103], v10 offset0:39 offset1:40
	;; [unrolled: 1-line block ×6, first 2 shown]
	scratch_load_dwordx4 v[120:123], off, off offset:168
	scratch_load_dwordx4 v[124:127], off, off offset:184
	;; [unrolled: 1-line block ×4, first 2 shown]
	ds_read2_b64 v[132:135], v10 offset0:49 offset1:50
	ds_read2_b64 v[136:139], v10 offset0:51 offset1:52
	scratch_load_dwordx2 v[36:37], off, off offset:48
	v_cmp_lt_u32_e32 vcc, 5, v0
	s_waitcnt vmcnt(11) lgkmcnt(7)
	v_mul_f32_e32 v11, v96, v7
	v_mul_f32_e32 v140, v98, v9
	;; [unrolled: 1-line block ×3, first 2 shown]
	v_fmac_f32_e32 v11, v97, v6
	s_waitcnt vmcnt(10) lgkmcnt(6)
	v_mul_f32_e32 v142, v100, v13
	v_mul_f32_e32 v9, v99, v9
	v_fmac_f32_e32 v140, v99, v8
	v_fma_f32 v6, v96, v6, -v7
	v_add_f32_e32 v11, 0, v11
	v_mul_f32_e32 v144, v102, v15
	v_fmac_f32_e32 v142, v101, v12
	v_fma_f32 v7, v98, v8, -v9
	v_add_f32_e32 v6, 0, v6
	v_add_f32_e32 v11, v11, v140
	s_waitcnt vmcnt(9) lgkmcnt(5)
	v_mul_f32_e32 v145, v104, v17
	v_mul_f32_e32 v13, v101, v13
	v_fmac_f32_e32 v144, v103, v14
	v_add_f32_e32 v6, v6, v7
	v_add_f32_e32 v7, v11, v142
	v_mul_f32_e32 v146, v106, v19
	v_mul_f32_e32 v15, v103, v15
	v_fmac_f32_e32 v145, v105, v16
	v_fma_f32 v8, v100, v12, -v13
	v_add_f32_e32 v7, v7, v144
	s_waitcnt vmcnt(8) lgkmcnt(4)
	v_mul_f32_e32 v147, v108, v21
	v_mul_f32_e32 v17, v105, v17
	v_fmac_f32_e32 v146, v107, v18
	v_fma_f32 v9, v102, v14, -v15
	v_add_f32_e32 v6, v6, v8
	v_add_f32_e32 v7, v7, v145
	v_mul_f32_e32 v148, v110, v23
	v_mul_f32_e32 v19, v107, v19
	v_fmac_f32_e32 v147, v109, v20
	v_fma_f32 v12, v104, v16, -v17
	v_add_f32_e32 v6, v6, v9
	v_add_f32_e32 v7, v7, v146
	s_waitcnt vmcnt(7) lgkmcnt(3)
	v_mul_f32_e32 v149, v112, v25
	v_mul_f32_e32 v21, v109, v21
	v_fmac_f32_e32 v148, v111, v22
	v_fma_f32 v13, v106, v18, -v19
	v_add_f32_e32 v6, v6, v12
	v_add_f32_e32 v7, v7, v147
	v_mul_f32_e32 v150, v114, v27
	v_mul_f32_e32 v23, v111, v23
	v_fmac_f32_e32 v149, v113, v24
	v_fma_f32 v14, v108, v20, -v21
	v_add_f32_e32 v6, v6, v13
	;; [unrolled: 13-line block ×3, first 2 shown]
	v_add_f32_e32 v7, v7, v150
	v_mul_f32_e32 v29, v117, v29
	v_fmac_f32_e32 v152, v119, v30
	v_fma_f32 v17, v114, v26, -v27
	v_add_f32_e32 v6, v6, v16
	v_add_f32_e32 v7, v7, v151
	v_fma_f32 v18, v116, v28, -v29
	v_add_f32_e32 v6, v6, v17
	v_add_f32_e32 v21, v7, v152
	v_mul_f32_e32 v7, v119, v31
	v_add_f32_e32 v6, v6, v18
	v_fma_f32 v7, v118, v30, -v7
	s_waitcnt vmcnt(5) lgkmcnt(1)
	v_mul_f32_e32 v141, v132, v33
	v_add_f32_e32 v20, v6, v7
	v_mul_f32_e32 v6, v133, v33
	v_fmac_f32_e32 v141, v133, v32
	v_fma_f32 v140, v132, v32, -v6
	v_mul_f32_e32 v6, v135, v35
	v_fma_f32 v142, v134, v34, -v6
	ds_read2_b64 v[6:9], v10 offset0:53 offset1:54
	ds_read2_b64 v[12:15], v10 offset0:55 offset1:56
	ds_read2_b64 v[16:19], v10 offset0:57 offset1:58
	v_pk_add_f32 v[10:11], v[20:21], v[140:141]
	s_waitcnt vmcnt(4) lgkmcnt(3)
	v_pk_mul_f32 v[20:21], v[136:137], v[120:121] op_sel:[1,1] op_sel_hi:[0,1]
	v_mul_f32_e32 v143, v134, v35
	v_pk_fma_f32 v[22:23], v[136:137], v[120:121], v[20:21] neg_lo:[0,0,1] neg_hi:[0,0,1]
	v_pk_fma_f32 v[20:21], v[136:137], v[120:121], v[20:21] op_sel_hi:[1,0,1]
	v_fmac_f32_e32 v143, v135, v34
	v_mov_b32_e32 v20, v123
	v_pk_add_f32 v[10:11], v[10:11], v[142:143]
	v_mov_b32_e32 v23, v21
	v_pk_mul_f32 v[20:21], v[138:139], v[20:21] op_sel:[1,0] op_sel_hi:[0,0]
	v_pk_add_f32 v[10:11], v[10:11], v[22:23]
	v_pk_fma_f32 v[22:23], v[138:139], v[122:123], v[20:21] neg_lo:[0,0,1] neg_hi:[0,0,1]
	v_pk_fma_f32 v[20:21], v[138:139], v[122:123], v[20:21] op_sel_hi:[1,0,1]
	s_nop 0
	v_mov_b32_e32 v23, v21
	s_waitcnt vmcnt(3) lgkmcnt(2)
	v_pk_mul_f32 v[20:21], v[6:7], v[124:125] op_sel:[1,1] op_sel_hi:[0,1]
	v_pk_add_f32 v[10:11], v[10:11], v[22:23]
	v_pk_fma_f32 v[22:23], v[6:7], v[124:125], v[20:21] neg_lo:[0,0,1] neg_hi:[0,0,1]
	v_pk_fma_f32 v[6:7], v[6:7], v[124:125], v[20:21] op_sel_hi:[1,0,1]
	s_nop 0
	v_mov_b32_e32 v23, v7
	v_pk_add_f32 v[6:7], v[10:11], v[22:23]
	v_mov_b32_e32 v10, v127
	v_pk_mul_f32 v[10:11], v[8:9], v[10:11] op_sel:[1,0] op_sel_hi:[0,0]
	v_pk_fma_f32 v[20:21], v[8:9], v[126:127], v[10:11] neg_lo:[0,0,1] neg_hi:[0,0,1]
	v_pk_fma_f32 v[8:9], v[8:9], v[126:127], v[10:11] op_sel_hi:[1,0,1]
	s_nop 0
	v_mov_b32_e32 v21, v9
	s_waitcnt vmcnt(2) lgkmcnt(1)
	v_pk_mul_f32 v[8:9], v[12:13], v[128:129] op_sel:[1,1] op_sel_hi:[0,1]
	v_pk_fma_f32 v[10:11], v[12:13], v[128:129], v[8:9] neg_lo:[0,0,1] neg_hi:[0,0,1]
	v_pk_fma_f32 v[8:9], v[12:13], v[128:129], v[8:9] op_sel_hi:[1,0,1]
	v_pk_add_f32 v[6:7], v[6:7], v[20:21]
	v_mov_b32_e32 v8, v131
	v_mov_b32_e32 v11, v9
	v_pk_mul_f32 v[8:9], v[14:15], v[8:9] op_sel:[1,0] op_sel_hi:[0,0]
	v_pk_add_f32 v[6:7], v[6:7], v[10:11]
	v_pk_fma_f32 v[10:11], v[14:15], v[130:131], v[8:9] neg_lo:[0,0,1] neg_hi:[0,0,1]
	v_pk_fma_f32 v[8:9], v[14:15], v[130:131], v[8:9] op_sel_hi:[1,0,1]
	s_nop 0
	v_mov_b32_e32 v11, v9
	s_waitcnt vmcnt(1) lgkmcnt(0)
	v_pk_mul_f32 v[8:9], v[16:17], v[2:3] op_sel:[1,1] op_sel_hi:[0,1]
	v_pk_add_f32 v[6:7], v[6:7], v[10:11]
	v_pk_fma_f32 v[10:11], v[16:17], v[2:3], v[8:9] neg_lo:[0,0,1] neg_hi:[0,0,1]
	v_pk_fma_f32 v[2:3], v[16:17], v[2:3], v[8:9] op_sel_hi:[1,0,1]
	s_nop 0
	v_mov_b32_e32 v11, v3
	v_pk_add_f32 v[2:3], v[6:7], v[10:11]
	v_mov_b32_e32 v6, v5
	v_pk_mul_f32 v[6:7], v[18:19], v[6:7] op_sel:[1,0] op_sel_hi:[0,0]
	v_pk_fma_f32 v[8:9], v[18:19], v[4:5], v[6:7] neg_lo:[0,0,1] neg_hi:[0,0,1]
	v_pk_fma_f32 v[4:5], v[18:19], v[4:5], v[6:7] op_sel_hi:[1,0,1]
	s_nop 0
	v_mov_b32_e32 v9, v5
	v_pk_add_f32 v[2:3], v[2:3], v[8:9]
	s_waitcnt vmcnt(0)
	v_pk_add_f32 v[2:3], v[36:37], v[2:3] neg_lo:[0,1] neg_hi:[0,1]
	scratch_store_dwordx2 off, v[2:3], off offset:48
	s_and_saveexec_b64 s[0:1], vcc
	s_cbranch_execz .LBB92_177
; %bb.176:
	scratch_load_dwordx2 v[2:3], off, off offset:40
	v_mov_b32_e32 v4, 0
	v_mov_b32_e32 v5, v4
	scratch_store_dwordx2 off, v[4:5], off offset:40
	s_waitcnt vmcnt(1)
	ds_write_b64 v1, v[2:3]
.LBB92_177:
	s_or_b64 exec, exec, s[0:1]
	s_waitcnt lgkmcnt(0)
	; wave barrier
	scratch_load_dwordx4 v[6:9], off, off offset:48
	scratch_load_dwordx4 v[14:17], off, off offset:64
	;; [unrolled: 1-line block ×11, first 2 shown]
	scratch_load_dwordx2 v[22:23], off, off offset:224
	scratch_load_dwordx2 v[36:37], off, off offset:40
	v_mov_b32_e32 v96, 0
	ds_read_b128 v[110:113], v96 offset:288
	ds_read_b128 v[114:117], v96 offset:304
	;; [unrolled: 1-line block ×8, first 2 shown]
	v_cmp_lt_u32_e32 vcc, 4, v0
	s_waitcnt vmcnt(12) lgkmcnt(7)
	v_mul_f32_e32 v97, v110, v7
	v_mul_f32_e32 v142, v112, v9
	;; [unrolled: 1-line block ×3, first 2 shown]
	v_fmac_f32_e32 v97, v111, v6
	s_waitcnt vmcnt(8) lgkmcnt(3)
	v_mul_f32_e32 v151, v126, v19
	v_mul_f32_e32 v19, v127, v19
	;; [unrolled: 1-line block ×4, first 2 shown]
	v_fmac_f32_e32 v142, v113, v8
	v_fmac_f32_e32 v151, v127, v18
	v_fma_f32 v6, v110, v6, -v7
	v_fma_f32 v18, v126, v18, -v19
	v_add_f32_e32 v19, 0, v97
	v_mul_f32_e32 v146, v116, v17
	v_fmac_f32_e32 v144, v115, v14
	v_fma_f32 v7, v112, v8, -v9
	v_add_f32_e32 v6, 0, v6
	v_add_f32_e32 v19, v19, v142
	v_mul_f32_e32 v147, v118, v25
	v_fmac_f32_e32 v146, v117, v16
	v_add_f32_e32 v6, v6, v7
	v_add_f32_e32 v7, v19, v144
	v_mul_f32_e32 v148, v120, v27
	v_fmac_f32_e32 v147, v119, v24
	v_add_f32_e32 v7, v7, v146
	v_mul_f32_e32 v149, v122, v29
	v_mul_f32_e32 v15, v115, v15
	v_fmac_f32_e32 v148, v121, v26
	v_add_f32_e32 v7, v7, v147
	v_mul_f32_e32 v150, v124, v31
	v_mul_f32_e32 v17, v117, v17
	v_fmac_f32_e32 v149, v123, v28
	v_fma_f32 v8, v114, v14, -v15
	v_add_f32_e32 v7, v7, v148
	v_mul_f32_e32 v25, v119, v25
	v_fmac_f32_e32 v150, v125, v30
	v_fma_f32 v9, v116, v16, -v17
	v_add_f32_e32 v6, v6, v8
	v_add_f32_e32 v7, v7, v149
	v_mul_f32_e32 v152, v128, v21
	v_mul_f32_e32 v27, v121, v27
	v_fma_f32 v14, v118, v24, -v25
	v_add_f32_e32 v6, v6, v9
	v_add_f32_e32 v7, v7, v150
	s_waitcnt vmcnt(7) lgkmcnt(2)
	v_mul_f32_e32 v153, v130, v33
	v_mul_f32_e32 v29, v123, v29
	v_fmac_f32_e32 v152, v129, v20
	v_fma_f32 v15, v120, v26, -v27
	v_add_f32_e32 v6, v6, v14
	v_add_f32_e32 v7, v7, v151
	v_mul_f32_e32 v154, v132, v35
	v_mul_f32_e32 v31, v125, v31
	v_fmac_f32_e32 v153, v131, v32
	v_fma_f32 v16, v122, v28, -v29
	v_add_f32_e32 v6, v6, v15
	v_add_f32_e32 v7, v7, v152
	s_waitcnt vmcnt(6) lgkmcnt(1)
	v_mul_f32_e32 v155, v134, v99
	v_fmac_f32_e32 v154, v133, v34
	v_fma_f32 v17, v124, v30, -v31
	v_add_f32_e32 v6, v6, v16
	v_add_f32_e32 v7, v7, v153
	v_mul_f32_e32 v21, v129, v21
	v_fmac_f32_e32 v155, v135, v98
	v_add_f32_e32 v6, v6, v17
	v_add_f32_e32 v7, v7, v154
	;; [unrolled: 1-line block ×4, first 2 shown]
	v_fma_f32 v7, v128, v20, -v21
	v_add_f32_e32 v6, v6, v7
	v_mul_f32_e32 v7, v131, v33
	v_fma_f32 v7, v130, v32, -v7
	v_add_f32_e32 v6, v6, v7
	v_mul_f32_e32 v7, v133, v35
	;; [unrolled: 3-line block ×4, first 2 shown]
	v_mul_f32_e32 v143, v136, v101
	v_fma_f32 v142, v136, v100, -v6
	s_waitcnt vmcnt(5) lgkmcnt(0)
	v_mul_f32_e32 v6, v139, v103
	v_mov_b32_e32 v28, v105
	v_mul_f32_e32 v145, v138, v103
	v_fmac_f32_e32 v143, v137, v100
	v_fma_f32 v144, v138, v102, -v6
	ds_read_b128 v[6:9], v96 offset:416
	ds_read_b128 v[14:17], v96 offset:432
	;; [unrolled: 1-line block ×3, first 2 shown]
	ds_read_b64 v[26:27], v96 offset:464
	v_pk_mul_f32 v[28:29], v[140:141], v[28:29] op_sel:[1,0] op_sel_hi:[0,0]
	v_fmac_f32_e32 v145, v139, v102
	v_pk_add_f32 v[24:25], v[24:25], v[142:143]
	v_pk_fma_f32 v[30:31], v[140:141], v[104:105], v[28:29] neg_lo:[0,0,1] neg_hi:[0,0,1]
	v_pk_fma_f32 v[28:29], v[140:141], v[104:105], v[28:29] op_sel_hi:[1,0,1]
	v_pk_add_f32 v[24:25], v[24:25], v[144:145]
	v_mov_b32_e32 v31, v29
	s_waitcnt vmcnt(4) lgkmcnt(3)
	v_pk_mul_f32 v[28:29], v[6:7], v[106:107] op_sel:[1,1] op_sel_hi:[0,1]
	v_pk_add_f32 v[24:25], v[24:25], v[30:31]
	v_pk_fma_f32 v[30:31], v[6:7], v[106:107], v[28:29] neg_lo:[0,0,1] neg_hi:[0,0,1]
	v_pk_fma_f32 v[6:7], v[6:7], v[106:107], v[28:29] op_sel_hi:[1,0,1]
	s_nop 0
	v_mov_b32_e32 v31, v7
	v_pk_add_f32 v[6:7], v[24:25], v[30:31]
	v_mov_b32_e32 v24, v109
	v_pk_mul_f32 v[24:25], v[8:9], v[24:25] op_sel:[1,0] op_sel_hi:[0,0]
	v_pk_fma_f32 v[28:29], v[8:9], v[108:109], v[24:25] neg_lo:[0,0,1] neg_hi:[0,0,1]
	v_pk_fma_f32 v[8:9], v[8:9], v[108:109], v[24:25] op_sel_hi:[1,0,1]
	s_nop 0
	v_mov_b32_e32 v29, v9
	s_waitcnt vmcnt(3) lgkmcnt(2)
	v_pk_mul_f32 v[8:9], v[14:15], v[10:11] op_sel:[1,1] op_sel_hi:[0,1]
	v_pk_fma_f32 v[24:25], v[14:15], v[10:11], v[8:9] neg_lo:[0,0,1] neg_hi:[0,0,1]
	v_pk_fma_f32 v[8:9], v[14:15], v[10:11], v[8:9] op_sel_hi:[1,0,1]
	v_pk_add_f32 v[6:7], v[6:7], v[28:29]
	v_mov_b32_e32 v8, v13
	v_mov_b32_e32 v25, v9
	v_pk_mul_f32 v[8:9], v[16:17], v[8:9] op_sel:[1,0] op_sel_hi:[0,0]
	v_pk_fma_f32 v[10:11], v[16:17], v[12:13], v[8:9] neg_lo:[0,0,1] neg_hi:[0,0,1]
	v_pk_fma_f32 v[8:9], v[16:17], v[12:13], v[8:9] op_sel_hi:[1,0,1]
	v_pk_add_f32 v[6:7], v[6:7], v[24:25]
	v_mov_b32_e32 v11, v9
	s_waitcnt vmcnt(2) lgkmcnt(1)
	v_pk_mul_f32 v[8:9], v[18:19], v[2:3] op_sel:[1,1] op_sel_hi:[0,1]
	v_pk_add_f32 v[6:7], v[6:7], v[10:11]
	v_pk_fma_f32 v[10:11], v[18:19], v[2:3], v[8:9] neg_lo:[0,0,1] neg_hi:[0,0,1]
	v_pk_fma_f32 v[2:3], v[18:19], v[2:3], v[8:9] op_sel_hi:[1,0,1]
	s_nop 0
	v_mov_b32_e32 v11, v3
	v_pk_add_f32 v[2:3], v[6:7], v[10:11]
	v_mov_b32_e32 v6, v5
	v_pk_mul_f32 v[6:7], v[20:21], v[6:7] op_sel:[1,0] op_sel_hi:[0,0]
	v_pk_fma_f32 v[8:9], v[20:21], v[4:5], v[6:7] neg_lo:[0,0,1] neg_hi:[0,0,1]
	v_pk_fma_f32 v[4:5], v[20:21], v[4:5], v[6:7] op_sel_hi:[1,0,1]
	s_nop 0
	v_mov_b32_e32 v9, v5
	s_waitcnt vmcnt(1) lgkmcnt(0)
	v_pk_mul_f32 v[4:5], v[26:27], v[22:23] op_sel:[1,1] op_sel_hi:[0,1]
	v_pk_fma_f32 v[6:7], v[26:27], v[22:23], v[4:5] neg_lo:[0,0,1] neg_hi:[0,0,1]
	v_pk_fma_f32 v[4:5], v[26:27], v[22:23], v[4:5] op_sel_hi:[1,0,1]
	v_pk_add_f32 v[2:3], v[2:3], v[8:9]
	v_mov_b32_e32 v7, v5
	v_pk_add_f32 v[2:3], v[2:3], v[6:7]
	s_waitcnt vmcnt(0)
	v_pk_add_f32 v[2:3], v[36:37], v[2:3] neg_lo:[0,1] neg_hi:[0,1]
	scratch_store_dwordx2 off, v[2:3], off offset:40
	s_and_saveexec_b64 s[0:1], vcc
	s_cbranch_execz .LBB92_179
; %bb.178:
	scratch_load_dwordx2 v[2:3], off, off offset:32
	v_mov_b32_e32 v97, v96
	scratch_store_dwordx2 off, v[96:97], off offset:32
	s_waitcnt vmcnt(1)
	ds_write_b64 v1, v[2:3]
.LBB92_179:
	s_or_b64 exec, exec, s[0:1]
	s_waitcnt lgkmcnt(0)
	; wave barrier
	scratch_load_dwordx4 v[2:5], off, off offset:40
	scratch_load_dwordx4 v[14:17], off, off offset:56
	;; [unrolled: 1-line block ×8, first 2 shown]
	ds_read2_b64 v[106:109], v96 offset0:35 offset1:36
	ds_read2_b64 v[110:113], v96 offset0:37 offset1:38
	;; [unrolled: 1-line block ×8, first 2 shown]
	scratch_load_dwordx4 v[138:141], off, off offset:168
	scratch_load_dwordx4 v[26:29], off, off offset:184
	;; [unrolled: 1-line block ×4, first 2 shown]
	scratch_load_dwordx2 v[142:143], off, off offset:32
	v_cmp_lt_u32_e32 vcc, 3, v0
	s_waitcnt vmcnt(12) lgkmcnt(7)
	v_mul_f32_e32 v97, v106, v3
	v_mul_f32_e32 v144, v108, v5
	v_mul_f32_e32 v3, v107, v3
	v_fmac_f32_e32 v97, v107, v2
	s_waitcnt vmcnt(8) lgkmcnt(3)
	v_mul_f32_e32 v153, v122, v19
	v_mul_f32_e32 v19, v123, v19
	v_mul_f32_e32 v146, v110, v15
	v_mul_f32_e32 v5, v109, v5
	v_fmac_f32_e32 v144, v109, v4
	v_fmac_f32_e32 v153, v123, v18
	v_fma_f32 v2, v106, v2, -v3
	v_fma_f32 v18, v122, v18, -v19
	v_add_f32_e32 v19, 0, v97
	v_mul_f32_e32 v148, v112, v17
	v_fmac_f32_e32 v146, v111, v14
	v_fma_f32 v3, v108, v4, -v5
	v_add_f32_e32 v2, 0, v2
	v_add_f32_e32 v19, v19, v144
	v_mul_f32_e32 v149, v114, v31
	v_fmac_f32_e32 v148, v113, v16
	v_add_f32_e32 v2, v2, v3
	v_add_f32_e32 v3, v19, v146
	v_mul_f32_e32 v150, v116, v33
	v_fmac_f32_e32 v149, v115, v30
	v_add_f32_e32 v3, v3, v148
	v_mul_f32_e32 v151, v118, v99
	v_fmac_f32_e32 v150, v117, v32
	v_add_f32_e32 v3, v3, v149
	v_mul_f32_e32 v152, v120, v101
	v_fmac_f32_e32 v151, v119, v98
	v_add_f32_e32 v3, v3, v150
	v_mul_f32_e32 v15, v111, v15
	v_fmac_f32_e32 v152, v121, v100
	v_add_f32_e32 v3, v3, v151
	v_mul_f32_e32 v154, v124, v21
	v_mul_f32_e32 v17, v113, v17
	v_fma_f32 v4, v110, v14, -v15
	v_add_f32_e32 v3, v3, v152
	s_waitcnt vmcnt(7) lgkmcnt(2)
	v_mul_f32_e32 v155, v126, v23
	v_mul_f32_e32 v31, v115, v31
	v_fmac_f32_e32 v154, v125, v20
	v_fma_f32 v5, v112, v16, -v17
	v_add_f32_e32 v2, v2, v4
	v_add_f32_e32 v3, v3, v153
	v_mul_f32_e32 v156, v128, v25
	v_mul_f32_e32 v33, v117, v33
	v_fmac_f32_e32 v155, v127, v22
	v_fma_f32 v14, v114, v30, -v31
	v_add_f32_e32 v2, v2, v5
	v_add_f32_e32 v3, v3, v154
	s_waitcnt vmcnt(6) lgkmcnt(1)
	v_mul_f32_e32 v157, v130, v35
	v_mul_f32_e32 v99, v119, v99
	v_fmac_f32_e32 v156, v129, v24
	v_fma_f32 v15, v116, v32, -v33
	v_add_f32_e32 v2, v2, v14
	v_add_f32_e32 v3, v3, v155
	v_mul_f32_e32 v158, v132, v37
	v_mul_f32_e32 v101, v121, v101
	v_fmac_f32_e32 v157, v131, v34
	v_fma_f32 v16, v118, v98, -v99
	v_add_f32_e32 v2, v2, v15
	v_add_f32_e32 v3, v3, v156
	v_fmac_f32_e32 v158, v133, v36
	v_fma_f32 v17, v120, v100, -v101
	v_add_f32_e32 v2, v2, v16
	v_add_f32_e32 v3, v3, v157
	;; [unrolled: 1-line block ×4, first 2 shown]
	v_mul_f32_e32 v3, v125, v21
	v_add_f32_e32 v2, v2, v18
	v_fma_f32 v3, v124, v20, -v3
	v_add_f32_e32 v2, v2, v3
	v_mul_f32_e32 v3, v127, v23
	v_fma_f32 v3, v126, v22, -v3
	v_add_f32_e32 v2, v2, v3
	v_mul_f32_e32 v3, v129, v25
	;; [unrolled: 3-line block ×4, first 2 shown]
	v_fma_f32 v3, v132, v36, -v3
	v_add_f32_e32 v30, v2, v3
	s_waitcnt vmcnt(5) lgkmcnt(0)
	v_mul_f32_e32 v2, v135, v103
	v_fma_f32 v144, v134, v102, -v2
	v_mul_f32_e32 v2, v137, v105
	v_fma_f32 v146, v136, v104, -v2
	ds_read2_b64 v[2:5], v96 offset0:51 offset1:52
	ds_read2_b64 v[14:17], v96 offset0:53 offset1:54
	;; [unrolled: 1-line block ×4, first 2 shown]
	v_mul_f32_e32 v145, v134, v103
	v_mul_f32_e32 v147, v136, v105
	v_fmac_f32_e32 v145, v135, v102
	s_waitcnt vmcnt(4) lgkmcnt(3)
	v_pk_mul_f32 v[32:33], v[2:3], v[138:139] op_sel:[1,1] op_sel_hi:[0,1]
	v_fmac_f32_e32 v147, v137, v104
	v_pk_add_f32 v[30:31], v[30:31], v[144:145]
	v_pk_fma_f32 v[34:35], v[2:3], v[138:139], v[32:33] neg_lo:[0,0,1] neg_hi:[0,0,1]
	v_pk_fma_f32 v[2:3], v[2:3], v[138:139], v[32:33] op_sel_hi:[1,0,1]
	v_pk_add_f32 v[30:31], v[30:31], v[146:147]
	v_mov_b32_e32 v35, v3
	v_pk_add_f32 v[2:3], v[30:31], v[34:35]
	v_mov_b32_e32 v30, v141
	v_pk_mul_f32 v[30:31], v[4:5], v[30:31] op_sel:[1,0] op_sel_hi:[0,0]
	v_pk_fma_f32 v[32:33], v[4:5], v[140:141], v[30:31] neg_lo:[0,0,1] neg_hi:[0,0,1]
	v_pk_fma_f32 v[4:5], v[4:5], v[140:141], v[30:31] op_sel_hi:[1,0,1]
	s_nop 0
	v_mov_b32_e32 v33, v5
	s_waitcnt vmcnt(3) lgkmcnt(2)
	v_pk_mul_f32 v[4:5], v[14:15], v[26:27] op_sel:[1,1] op_sel_hi:[0,1]
	v_pk_fma_f32 v[30:31], v[14:15], v[26:27], v[4:5] neg_lo:[0,0,1] neg_hi:[0,0,1]
	v_pk_fma_f32 v[4:5], v[14:15], v[26:27], v[4:5] op_sel_hi:[1,0,1]
	v_pk_add_f32 v[2:3], v[2:3], v[32:33]
	v_mov_b32_e32 v4, v29
	v_mov_b32_e32 v31, v5
	v_pk_mul_f32 v[4:5], v[16:17], v[4:5] op_sel:[1,0] op_sel_hi:[0,0]
	v_pk_fma_f32 v[14:15], v[16:17], v[28:29], v[4:5] neg_lo:[0,0,1] neg_hi:[0,0,1]
	v_pk_fma_f32 v[4:5], v[16:17], v[28:29], v[4:5] op_sel_hi:[1,0,1]
	v_pk_add_f32 v[2:3], v[2:3], v[30:31]
	v_mov_b32_e32 v15, v5
	s_waitcnt vmcnt(2) lgkmcnt(1)
	v_pk_mul_f32 v[4:5], v[18:19], v[10:11] op_sel:[1,1] op_sel_hi:[0,1]
	v_pk_add_f32 v[2:3], v[2:3], v[14:15]
	v_pk_fma_f32 v[14:15], v[18:19], v[10:11], v[4:5] neg_lo:[0,0,1] neg_hi:[0,0,1]
	v_pk_fma_f32 v[4:5], v[18:19], v[10:11], v[4:5] op_sel_hi:[1,0,1]
	s_nop 0
	v_mov_b32_e32 v4, v13
	v_mov_b32_e32 v15, v5
	v_pk_mul_f32 v[4:5], v[20:21], v[4:5] op_sel:[1,0] op_sel_hi:[0,0]
	v_pk_fma_f32 v[10:11], v[20:21], v[12:13], v[4:5] neg_lo:[0,0,1] neg_hi:[0,0,1]
	v_pk_fma_f32 v[4:5], v[20:21], v[12:13], v[4:5] op_sel_hi:[1,0,1]
	v_pk_add_f32 v[2:3], v[2:3], v[14:15]
	v_mov_b32_e32 v11, v5
	s_waitcnt vmcnt(1) lgkmcnt(0)
	v_pk_mul_f32 v[4:5], v[22:23], v[6:7] op_sel:[1,1] op_sel_hi:[0,1]
	v_pk_add_f32 v[2:3], v[2:3], v[10:11]
	v_pk_fma_f32 v[10:11], v[22:23], v[6:7], v[4:5] neg_lo:[0,0,1] neg_hi:[0,0,1]
	v_pk_fma_f32 v[4:5], v[22:23], v[6:7], v[4:5] op_sel_hi:[1,0,1]
	s_nop 0
	v_mov_b32_e32 v4, v9
	v_mov_b32_e32 v11, v5
	v_pk_mul_f32 v[4:5], v[24:25], v[4:5] op_sel:[1,0] op_sel_hi:[0,0]
	v_pk_fma_f32 v[6:7], v[24:25], v[8:9], v[4:5] neg_lo:[0,0,1] neg_hi:[0,0,1]
	v_pk_fma_f32 v[4:5], v[24:25], v[8:9], v[4:5] op_sel_hi:[1,0,1]
	v_pk_add_f32 v[2:3], v[2:3], v[10:11]
	v_mov_b32_e32 v7, v5
	v_pk_add_f32 v[2:3], v[2:3], v[6:7]
	s_waitcnt vmcnt(0)
	v_pk_add_f32 v[2:3], v[142:143], v[2:3] neg_lo:[0,1] neg_hi:[0,1]
	scratch_store_dwordx2 off, v[2:3], off offset:32
	s_and_saveexec_b64 s[0:1], vcc
	s_cbranch_execz .LBB92_181
; %bb.180:
	scratch_load_dwordx2 v[2:3], off, off offset:24
	v_mov_b32_e32 v4, 0
	v_mov_b32_e32 v5, v4
	scratch_store_dwordx2 off, v[4:5], off offset:24
	s_waitcnt vmcnt(1)
	ds_write_b64 v1, v[2:3]
.LBB92_181:
	s_or_b64 exec, exec, s[0:1]
	v_mov_b32_e32 v2, 0
	s_waitcnt lgkmcnt(0)
	; wave barrier
	ds_read_b128 v[4:7], v2 offset:272
	ds_read_b128 v[8:11], v2 offset:288
	;; [unrolled: 1-line block ×4, first 2 shown]
	scratch_load_dwordx4 v[20:23], off, off offset:32
	scratch_load_dwordx4 v[100:103], off, off offset:96
	;; [unrolled: 1-line block ×3, first 2 shown]
	ds_read_b128 v[96:99], v2 offset:336
	ds_read_b128 v[104:107], v2 offset:352
	;; [unrolled: 1-line block ×5, first 2 shown]
	v_cmp_lt_u32_e32 vcc, 2, v0
	scratch_load_dwordx4 v[108:111], off, off offset:112
	scratch_load_dwordx4 v[116:119], off, off offset:128
	;; [unrolled: 1-line block ×3, first 2 shown]
	s_waitcnt vmcnt(5) lgkmcnt(8)
	v_mul_f32_e32 v3, v4, v21
	v_fmac_f32_e32 v3, v5, v20
	v_mul_f32_e32 v24, v6, v23
	v_add_f32_e32 v3, 0, v3
	v_fmac_f32_e32 v24, v7, v22
	v_add_f32_e32 v3, v3, v24
	scratch_load_dwordx4 v[24:27], off, off offset:48
	s_waitcnt vmcnt(4) lgkmcnt(0)
	v_mul_f32_e32 v151, v128, v133
	v_fmac_f32_e32 v151, v129, v132
	s_waitcnt vmcnt(1)
	v_mul_f32_e32 v149, v122, v127
	v_fmac_f32_e32 v149, v123, v126
	s_waitcnt vmcnt(0)
	v_mul_f32_e32 v28, v8, v25
	v_fmac_f32_e32 v28, v9, v24
	v_add_f32_e32 v3, v3, v28
	v_mul_f32_e32 v28, v10, v27
	v_fmac_f32_e32 v28, v11, v26
	v_add_f32_e32 v3, v3, v28
	scratch_load_dwordx4 v[28:31], off, off offset:64
	s_waitcnt vmcnt(0)
	v_mul_f32_e32 v32, v12, v29
	v_fmac_f32_e32 v32, v13, v28
	v_add_f32_e32 v3, v3, v32
	v_mul_f32_e32 v32, v14, v31
	v_fmac_f32_e32 v32, v15, v30
	v_add_f32_e32 v3, v3, v32
	scratch_load_dwordx4 v[32:35], off, off offset:80
	scratch_load_dwordx4 v[136:139], off, off offset:176
	;; [unrolled: 1-line block ×4, first 2 shown]
	scratch_load_dwordx2 v[152:153], off, off offset:224
	s_waitcnt vmcnt(4)
	v_mul_f32_e32 v36, v16, v33
	v_fmac_f32_e32 v36, v17, v32
	v_add_f32_e32 v3, v3, v36
	v_mul_f32_e32 v36, v18, v35
	v_fmac_f32_e32 v36, v19, v34
	v_add_f32_e32 v3, v3, v36
	v_mul_f32_e32 v36, v96, v101
	v_fmac_f32_e32 v36, v97, v100
	v_add_f32_e32 v3, v3, v36
	v_mul_f32_e32 v36, v98, v103
	v_fmac_f32_e32 v36, v99, v102
	v_add_f32_e32 v3, v3, v36
	v_mul_f32_e32 v36, v104, v109
	v_fmac_f32_e32 v36, v105, v108
	v_add_f32_e32 v3, v3, v36
	v_mul_f32_e32 v36, v106, v111
	v_fmac_f32_e32 v36, v107, v110
	v_add_f32_e32 v3, v3, v36
	v_mul_f32_e32 v36, v112, v117
	v_fmac_f32_e32 v36, v113, v116
	v_add_f32_e32 v3, v3, v36
	v_mul_f32_e32 v36, v114, v119
	v_fmac_f32_e32 v36, v115, v118
	v_add_f32_e32 v3, v3, v36
	v_mul_f32_e32 v36, v120, v125
	v_fmac_f32_e32 v36, v121, v124
	v_add_f32_e32 v37, v3, v36
	v_mul_f32_e32 v3, v5, v21
	v_fma_f32 v3, v4, v20, -v3
	v_mul_f32_e32 v4, v7, v23
	v_add_f32_e32 v3, 0, v3
	v_fma_f32 v4, v6, v22, -v4
	v_add_f32_e32 v3, v3, v4
	v_mul_f32_e32 v4, v9, v25
	v_fma_f32 v4, v8, v24, -v4
	v_add_f32_e32 v3, v3, v4
	v_mul_f32_e32 v4, v11, v27
	;; [unrolled: 3-line block ×14, first 2 shown]
	v_mov_b32_e32 v20, v135
	v_fma_f32 v148, v122, v126, -v3
	v_mul_f32_e32 v3, v129, v133
	ds_read_b128 v[4:7], v2 offset:416
	ds_read_b128 v[8:11], v2 offset:432
	;; [unrolled: 1-line block ×3, first 2 shown]
	ds_read_b64 v[16:17], v2 offset:464
	v_pk_mul_f32 v[20:21], v[130:131], v[20:21] op_sel:[1,0] op_sel_hi:[0,0]
	v_fma_f32 v150, v128, v132, -v3
	v_pk_add_f32 v[18:19], v[36:37], v[148:149]
	v_pk_fma_f32 v[22:23], v[130:131], v[134:135], v[20:21] neg_lo:[0,0,1] neg_hi:[0,0,1]
	v_pk_fma_f32 v[20:21], v[130:131], v[134:135], v[20:21] op_sel_hi:[1,0,1]
	v_pk_add_f32 v[18:19], v[18:19], v[150:151]
	v_mov_b32_e32 v23, v21
	s_waitcnt vmcnt(3) lgkmcnt(3)
	v_pk_mul_f32 v[20:21], v[4:5], v[136:137] op_sel:[1,1] op_sel_hi:[0,1]
	v_pk_add_f32 v[18:19], v[18:19], v[22:23]
	v_pk_fma_f32 v[22:23], v[4:5], v[136:137], v[20:21] neg_lo:[0,0,1] neg_hi:[0,0,1]
	v_pk_fma_f32 v[4:5], v[4:5], v[136:137], v[20:21] op_sel_hi:[1,0,1]
	s_nop 0
	v_mov_b32_e32 v23, v5
	v_pk_add_f32 v[4:5], v[18:19], v[22:23]
	v_mov_b32_e32 v18, v139
	v_pk_mul_f32 v[18:19], v[6:7], v[18:19] op_sel:[1,0] op_sel_hi:[0,0]
	v_pk_fma_f32 v[20:21], v[6:7], v[138:139], v[18:19] neg_lo:[0,0,1] neg_hi:[0,0,1]
	v_pk_fma_f32 v[6:7], v[6:7], v[138:139], v[18:19] op_sel_hi:[1,0,1]
	s_nop 0
	v_mov_b32_e32 v21, v7
	s_waitcnt vmcnt(2) lgkmcnt(2)
	v_pk_mul_f32 v[6:7], v[8:9], v[140:141] op_sel:[1,1] op_sel_hi:[0,1]
	v_pk_fma_f32 v[18:19], v[8:9], v[140:141], v[6:7] neg_lo:[0,0,1] neg_hi:[0,0,1]
	v_pk_fma_f32 v[6:7], v[8:9], v[140:141], v[6:7] op_sel_hi:[1,0,1]
	v_pk_add_f32 v[4:5], v[4:5], v[20:21]
	v_mov_b32_e32 v6, v143
	v_mov_b32_e32 v19, v7
	v_pk_mul_f32 v[6:7], v[10:11], v[6:7] op_sel:[1,0] op_sel_hi:[0,0]
	v_pk_fma_f32 v[8:9], v[10:11], v[142:143], v[6:7] neg_lo:[0,0,1] neg_hi:[0,0,1]
	v_pk_fma_f32 v[6:7], v[10:11], v[142:143], v[6:7] op_sel_hi:[1,0,1]
	v_pk_add_f32 v[4:5], v[4:5], v[18:19]
	v_mov_b32_e32 v9, v7
	s_waitcnt vmcnt(1) lgkmcnt(1)
	v_pk_mul_f32 v[6:7], v[12:13], v[144:145] op_sel:[1,1] op_sel_hi:[0,1]
	v_pk_add_f32 v[4:5], v[4:5], v[8:9]
	v_pk_fma_f32 v[8:9], v[12:13], v[144:145], v[6:7] neg_lo:[0,0,1] neg_hi:[0,0,1]
	v_pk_fma_f32 v[6:7], v[12:13], v[144:145], v[6:7] op_sel_hi:[1,0,1]
	s_nop 0
	v_mov_b32_e32 v6, v147
	v_mov_b32_e32 v9, v7
	v_pk_mul_f32 v[6:7], v[14:15], v[6:7] op_sel:[1,0] op_sel_hi:[0,0]
	v_pk_add_f32 v[4:5], v[4:5], v[8:9]
	v_pk_fma_f32 v[8:9], v[14:15], v[146:147], v[6:7] neg_lo:[0,0,1] neg_hi:[0,0,1]
	v_pk_fma_f32 v[6:7], v[14:15], v[146:147], v[6:7] op_sel_hi:[1,0,1]
	s_nop 0
	v_mov_b32_e32 v9, v7
	s_waitcnt vmcnt(0) lgkmcnt(0)
	v_pk_mul_f32 v[6:7], v[16:17], v[152:153] op_sel:[1,1] op_sel_hi:[0,1]
	v_pk_add_f32 v[4:5], v[4:5], v[8:9]
	v_pk_fma_f32 v[8:9], v[16:17], v[152:153], v[6:7] neg_lo:[0,0,1] neg_hi:[0,0,1]
	v_pk_fma_f32 v[6:7], v[16:17], v[152:153], v[6:7] op_sel_hi:[1,0,1]
	s_nop 0
	v_mov_b32_e32 v9, v7
	scratch_load_dwordx2 v[6:7], off, off offset:24
	v_pk_add_f32 v[4:5], v[4:5], v[8:9]
	s_waitcnt vmcnt(0)
	v_pk_add_f32 v[4:5], v[6:7], v[4:5] neg_lo:[0,1] neg_hi:[0,1]
	scratch_store_dwordx2 off, v[4:5], off offset:24
	s_and_saveexec_b64 s[0:1], vcc
	s_cbranch_execz .LBB92_183
; %bb.182:
	scratch_load_dwordx2 v[4:5], off, off offset:16
	v_mov_b32_e32 v3, v2
	scratch_store_dwordx2 off, v[2:3], off offset:16
	s_waitcnt vmcnt(1)
	ds_write_b64 v1, v[4:5]
.LBB92_183:
	s_or_b64 exec, exec, s[0:1]
	s_waitcnt lgkmcnt(0)
	; wave barrier
	scratch_load_dwordx4 v[8:11], off, off offset:24
	scratch_load_dwordx4 v[16:19], off, off offset:40
	;; [unrolled: 1-line block ×8, first 2 shown]
	ds_read2_b64 v[4:7], v2 offset0:33 offset1:34
	ds_read2_b64 v[96:99], v2 offset0:41 offset1:42
	;; [unrolled: 1-line block ×3, first 2 shown]
	scratch_load_dwordx4 v[132:135], off, off offset:152
	v_cmp_lt_u32_e32 vcc, 1, v0
	ds_read2_b64 v[104:107], v2 offset0:43 offset1:44
	ds_read2_b64 v[112:115], v2 offset0:45 offset1:46
	;; [unrolled: 1-line block ×3, first 2 shown]
	s_waitcnt vmcnt(8) lgkmcnt(5)
	v_mul_f32_e32 v3, v4, v9
	v_fmac_f32_e32 v3, v5, v8
	v_mul_f32_e32 v12, v6, v11
	v_add_f32_e32 v3, 0, v3
	v_fmac_f32_e32 v12, v7, v10
	v_add_f32_e32 v3, v3, v12
	ds_read2_b64 v[12:15], v2 offset0:35 offset1:36
	s_waitcnt vmcnt(7) lgkmcnt(0)
	v_mul_f32_e32 v20, v12, v17
	v_fmac_f32_e32 v20, v13, v16
	v_add_f32_e32 v3, v3, v20
	v_mul_f32_e32 v20, v14, v19
	v_fmac_f32_e32 v20, v15, v18
	v_add_f32_e32 v3, v3, v20
	ds_read2_b64 v[20:23], v2 offset0:37 offset1:38
	s_waitcnt vmcnt(0)
	v_mul_f32_e32 v153, v128, v133
	v_fmac_f32_e32 v153, v129, v132
	v_mul_f32_e32 v155, v130, v135
	v_fmac_f32_e32 v155, v131, v134
	s_waitcnt lgkmcnt(0)
	v_mul_f32_e32 v28, v20, v25
	v_fmac_f32_e32 v28, v21, v24
	v_add_f32_e32 v3, v3, v28
	v_mul_f32_e32 v28, v22, v27
	v_fmac_f32_e32 v28, v23, v26
	v_add_f32_e32 v3, v3, v28
	ds_read2_b64 v[28:31], v2 offset0:39 offset1:40
	scratch_load_dwordx4 v[136:139], off, off offset:168
	scratch_load_dwordx4 v[140:143], off, off offset:184
	;; [unrolled: 1-line block ×4, first 2 shown]
	s_waitcnt lgkmcnt(0)
	v_mul_f32_e32 v36, v28, v33
	v_fmac_f32_e32 v36, v29, v32
	v_add_f32_e32 v3, v3, v36
	v_mul_f32_e32 v36, v30, v35
	v_fmac_f32_e32 v36, v31, v34
	v_add_f32_e32 v3, v3, v36
	;; [unrolled: 3-line block ×10, first 2 shown]
	v_mul_f32_e32 v3, v5, v9
	v_fma_f32 v3, v4, v8, -v3
	v_mul_f32_e32 v4, v7, v11
	v_add_f32_e32 v3, 0, v3
	v_fma_f32 v4, v6, v10, -v4
	v_add_f32_e32 v3, v3, v4
	v_mul_f32_e32 v4, v13, v17
	v_fma_f32 v4, v12, v16, -v4
	v_add_f32_e32 v3, v3, v4
	v_mul_f32_e32 v4, v15, v19
	;; [unrolled: 3-line block ×14, first 2 shown]
	v_fma_f32 v4, v122, v126, -v4
	v_add_f32_e32 v36, v3, v4
	ds_read2_b64 v[4:7], v2 offset0:51 offset1:52
	ds_read2_b64 v[8:11], v2 offset0:53 offset1:54
	;; [unrolled: 1-line block ×4, first 2 shown]
	v_mul_f32_e32 v3, v129, v133
	s_waitcnt vmcnt(3) lgkmcnt(3)
	v_pk_mul_f32 v[20:21], v[4:5], v[136:137] op_sel:[1,1] op_sel_hi:[0,1]
	v_pk_fma_f32 v[22:23], v[4:5], v[136:137], v[20:21] neg_lo:[0,0,1] neg_hi:[0,0,1]
	v_pk_fma_f32 v[4:5], v[4:5], v[136:137], v[20:21] op_sel_hi:[1,0,1]
	v_fma_f32 v152, v128, v132, -v3
	v_mov_b32_e32 v4, v139
	v_mov_b32_e32 v23, v5
	v_pk_mul_f32 v[4:5], v[6:7], v[4:5] op_sel:[1,0] op_sel_hi:[0,0]
	v_mul_f32_e32 v3, v131, v135
	v_pk_fma_f32 v[20:21], v[6:7], v[138:139], v[4:5] neg_lo:[0,0,1] neg_hi:[0,0,1]
	v_pk_fma_f32 v[4:5], v[6:7], v[138:139], v[4:5] op_sel_hi:[1,0,1]
	v_fma_f32 v154, v130, v134, -v3
	v_pk_add_f32 v[2:3], v[36:37], v[152:153]
	v_mov_b32_e32 v21, v5
	s_waitcnt vmcnt(2) lgkmcnt(2)
	v_pk_mul_f32 v[4:5], v[8:9], v[140:141] op_sel:[1,1] op_sel_hi:[0,1]
	v_pk_add_f32 v[2:3], v[2:3], v[154:155]
	v_pk_fma_f32 v[6:7], v[8:9], v[140:141], v[4:5] neg_lo:[0,0,1] neg_hi:[0,0,1]
	v_pk_fma_f32 v[4:5], v[8:9], v[140:141], v[4:5] op_sel_hi:[1,0,1]
	v_pk_add_f32 v[2:3], v[2:3], v[22:23]
	v_mov_b32_e32 v4, v143
	v_pk_add_f32 v[2:3], v[2:3], v[20:21]
	v_mov_b32_e32 v7, v5
	v_pk_mul_f32 v[4:5], v[10:11], v[4:5] op_sel:[1,0] op_sel_hi:[0,0]
	v_pk_add_f32 v[2:3], v[2:3], v[6:7]
	v_pk_fma_f32 v[6:7], v[10:11], v[142:143], v[4:5] neg_lo:[0,0,1] neg_hi:[0,0,1]
	v_pk_fma_f32 v[4:5], v[10:11], v[142:143], v[4:5] op_sel_hi:[1,0,1]
	s_nop 0
	v_mov_b32_e32 v7, v5
	s_waitcnt vmcnt(1) lgkmcnt(1)
	v_pk_mul_f32 v[4:5], v[12:13], v[144:145] op_sel:[1,1] op_sel_hi:[0,1]
	v_pk_add_f32 v[2:3], v[2:3], v[6:7]
	v_pk_fma_f32 v[6:7], v[12:13], v[144:145], v[4:5] neg_lo:[0,0,1] neg_hi:[0,0,1]
	v_pk_fma_f32 v[4:5], v[12:13], v[144:145], v[4:5] op_sel_hi:[1,0,1]
	s_nop 0
	v_mov_b32_e32 v4, v147
	v_mov_b32_e32 v7, v5
	v_pk_mul_f32 v[4:5], v[14:15], v[4:5] op_sel:[1,0] op_sel_hi:[0,0]
	v_pk_add_f32 v[2:3], v[2:3], v[6:7]
	v_pk_fma_f32 v[6:7], v[14:15], v[146:147], v[4:5] neg_lo:[0,0,1] neg_hi:[0,0,1]
	v_pk_fma_f32 v[4:5], v[14:15], v[146:147], v[4:5] op_sel_hi:[1,0,1]
	s_nop 0
	v_mov_b32_e32 v7, v5
	s_waitcnt vmcnt(0) lgkmcnt(0)
	v_pk_mul_f32 v[4:5], v[16:17], v[148:149] op_sel:[1,1] op_sel_hi:[0,1]
	v_pk_add_f32 v[2:3], v[2:3], v[6:7]
	v_pk_fma_f32 v[6:7], v[16:17], v[148:149], v[4:5] neg_lo:[0,0,1] neg_hi:[0,0,1]
	v_pk_fma_f32 v[4:5], v[16:17], v[148:149], v[4:5] op_sel_hi:[1,0,1]
	s_nop 0
	v_mov_b32_e32 v4, v151
	v_mov_b32_e32 v7, v5
	v_pk_mul_f32 v[4:5], v[18:19], v[4:5] op_sel:[1,0] op_sel_hi:[0,0]
	v_pk_add_f32 v[2:3], v[2:3], v[6:7]
	v_pk_fma_f32 v[6:7], v[18:19], v[150:151], v[4:5] neg_lo:[0,0,1] neg_hi:[0,0,1]
	v_pk_fma_f32 v[4:5], v[18:19], v[150:151], v[4:5] op_sel_hi:[1,0,1]
	s_nop 0
	v_mov_b32_e32 v7, v5
	scratch_load_dwordx2 v[4:5], off, off offset:16
	v_pk_add_f32 v[2:3], v[2:3], v[6:7]
	s_waitcnt vmcnt(0)
	v_pk_add_f32 v[2:3], v[4:5], v[2:3] neg_lo:[0,1] neg_hi:[0,1]
	scratch_store_dwordx2 off, v[2:3], off offset:16
	s_and_saveexec_b64 s[0:1], vcc
	s_cbranch_execz .LBB92_185
; %bb.184:
	scratch_load_dwordx2 v[2:3], off, off offset:8
	v_mov_b32_e32 v4, 0
	v_mov_b32_e32 v5, v4
	scratch_store_dwordx2 off, v[4:5], off offset:8
	s_waitcnt vmcnt(1)
	ds_write_b64 v1, v[2:3]
.LBB92_185:
	s_or_b64 exec, exec, s[0:1]
	v_mov_b32_e32 v2, 0
	s_waitcnt lgkmcnt(0)
	; wave barrier
	ds_read_b128 v[4:7], v2 offset:256
	ds_read_b128 v[8:11], v2 offset:272
	;; [unrolled: 1-line block ×4, first 2 shown]
	scratch_load_dwordx4 v[20:23], off, off offset:16
	scratch_load_dwordx4 v[100:103], off, off offset:80
	;; [unrolled: 1-line block ×4, first 2 shown]
	ds_read_b128 v[96:99], v2 offset:320
	ds_read_b128 v[104:107], v2 offset:336
	;; [unrolled: 1-line block ×6, first 2 shown]
	v_cmp_ne_u32_e32 vcc, 0, v0
	scratch_load_dwordx4 v[108:111], off, off offset:96
	scratch_load_dwordx4 v[116:119], off, off offset:112
	;; [unrolled: 1-line block ×3, first 2 shown]
	s_waitcnt vmcnt(6) lgkmcnt(9)
	v_mul_f32_e32 v3, v4, v21
	v_fmac_f32_e32 v3, v5, v20
	v_mul_f32_e32 v24, v6, v23
	v_add_f32_e32 v3, 0, v3
	v_fmac_f32_e32 v24, v7, v22
	v_add_f32_e32 v3, v3, v24
	scratch_load_dwordx4 v[24:27], off, off offset:32
	s_waitcnt vmcnt(5) lgkmcnt(1)
	v_mul_f32_e32 v157, v130, v135
	v_fmac_f32_e32 v157, v131, v134
	s_waitcnt vmcnt(4) lgkmcnt(0)
	v_mul_f32_e32 v159, v136, v141
	v_fmac_f32_e32 v159, v137, v140
	s_waitcnt vmcnt(0)
	v_mul_f32_e32 v28, v8, v25
	v_fmac_f32_e32 v28, v9, v24
	v_add_f32_e32 v3, v3, v28
	v_mul_f32_e32 v28, v10, v27
	v_fmac_f32_e32 v28, v11, v26
	v_add_f32_e32 v3, v3, v28
	scratch_load_dwordx4 v[28:31], off, off offset:48
	s_waitcnt vmcnt(0)
	v_mul_f32_e32 v32, v12, v29
	v_fmac_f32_e32 v32, v13, v28
	v_add_f32_e32 v3, v3, v32
	v_mul_f32_e32 v32, v14, v31
	v_fmac_f32_e32 v32, v15, v30
	v_add_f32_e32 v3, v3, v32
	scratch_load_dwordx4 v[32:35], off, off offset:64
	scratch_load_dwordx4 v[144:147], off, off offset:176
	;; [unrolled: 1-line block ×4, first 2 shown]
	scratch_load_dwordx2 v[160:161], off, off offset:224
	s_waitcnt vmcnt(4)
	v_mul_f32_e32 v36, v16, v33
	v_fmac_f32_e32 v36, v17, v32
	v_add_f32_e32 v3, v3, v36
	v_mul_f32_e32 v36, v18, v35
	v_fmac_f32_e32 v36, v19, v34
	v_add_f32_e32 v3, v3, v36
	;; [unrolled: 3-line block ×11, first 2 shown]
	v_mul_f32_e32 v3, v5, v21
	v_fma_f32 v3, v4, v20, -v3
	v_mul_f32_e32 v4, v7, v23
	v_add_f32_e32 v3, 0, v3
	v_fma_f32 v4, v6, v22, -v4
	v_add_f32_e32 v3, v3, v4
	v_mul_f32_e32 v4, v9, v25
	v_fma_f32 v4, v8, v24, -v4
	v_add_f32_e32 v3, v3, v4
	v_mul_f32_e32 v4, v11, v27
	;; [unrolled: 3-line block ×16, first 2 shown]
	v_mov_b32_e32 v20, v143
	v_fma_f32 v156, v130, v134, -v3
	v_mul_f32_e32 v3, v137, v141
	ds_read_b128 v[4:7], v2 offset:416
	ds_read_b128 v[8:11], v2 offset:432
	;; [unrolled: 1-line block ×3, first 2 shown]
	ds_read_b64 v[16:17], v2 offset:464
	v_pk_mul_f32 v[20:21], v[138:139], v[20:21] op_sel:[1,0] op_sel_hi:[0,0]
	v_fma_f32 v158, v136, v140, -v3
	v_pk_add_f32 v[18:19], v[36:37], v[156:157]
	v_pk_fma_f32 v[22:23], v[138:139], v[142:143], v[20:21] neg_lo:[0,0,1] neg_hi:[0,0,1]
	v_pk_fma_f32 v[20:21], v[138:139], v[142:143], v[20:21] op_sel_hi:[1,0,1]
	v_pk_add_f32 v[18:19], v[18:19], v[158:159]
	v_mov_b32_e32 v23, v21
	s_waitcnt vmcnt(3) lgkmcnt(3)
	v_pk_mul_f32 v[20:21], v[4:5], v[144:145] op_sel:[1,1] op_sel_hi:[0,1]
	v_pk_add_f32 v[18:19], v[18:19], v[22:23]
	v_pk_fma_f32 v[22:23], v[4:5], v[144:145], v[20:21] neg_lo:[0,0,1] neg_hi:[0,0,1]
	v_pk_fma_f32 v[4:5], v[4:5], v[144:145], v[20:21] op_sel_hi:[1,0,1]
	s_nop 0
	v_mov_b32_e32 v23, v5
	v_pk_add_f32 v[4:5], v[18:19], v[22:23]
	v_mov_b32_e32 v18, v147
	v_pk_mul_f32 v[18:19], v[6:7], v[18:19] op_sel:[1,0] op_sel_hi:[0,0]
	v_pk_fma_f32 v[20:21], v[6:7], v[146:147], v[18:19] neg_lo:[0,0,1] neg_hi:[0,0,1]
	v_pk_fma_f32 v[6:7], v[6:7], v[146:147], v[18:19] op_sel_hi:[1,0,1]
	s_nop 0
	v_mov_b32_e32 v21, v7
	s_waitcnt vmcnt(2) lgkmcnt(2)
	v_pk_mul_f32 v[6:7], v[8:9], v[148:149] op_sel:[1,1] op_sel_hi:[0,1]
	v_pk_fma_f32 v[18:19], v[8:9], v[148:149], v[6:7] neg_lo:[0,0,1] neg_hi:[0,0,1]
	v_pk_fma_f32 v[6:7], v[8:9], v[148:149], v[6:7] op_sel_hi:[1,0,1]
	v_pk_add_f32 v[4:5], v[4:5], v[20:21]
	v_mov_b32_e32 v6, v151
	v_mov_b32_e32 v19, v7
	v_pk_mul_f32 v[6:7], v[10:11], v[6:7] op_sel:[1,0] op_sel_hi:[0,0]
	v_pk_fma_f32 v[8:9], v[10:11], v[150:151], v[6:7] neg_lo:[0,0,1] neg_hi:[0,0,1]
	v_pk_fma_f32 v[6:7], v[10:11], v[150:151], v[6:7] op_sel_hi:[1,0,1]
	v_pk_add_f32 v[4:5], v[4:5], v[18:19]
	v_mov_b32_e32 v9, v7
	s_waitcnt vmcnt(1) lgkmcnt(1)
	v_pk_mul_f32 v[6:7], v[12:13], v[152:153] op_sel:[1,1] op_sel_hi:[0,1]
	v_pk_add_f32 v[4:5], v[4:5], v[8:9]
	v_pk_fma_f32 v[8:9], v[12:13], v[152:153], v[6:7] neg_lo:[0,0,1] neg_hi:[0,0,1]
	v_pk_fma_f32 v[6:7], v[12:13], v[152:153], v[6:7] op_sel_hi:[1,0,1]
	s_nop 0
	v_mov_b32_e32 v6, v155
	v_mov_b32_e32 v9, v7
	v_pk_mul_f32 v[6:7], v[14:15], v[6:7] op_sel:[1,0] op_sel_hi:[0,0]
	v_pk_add_f32 v[4:5], v[4:5], v[8:9]
	v_pk_fma_f32 v[8:9], v[14:15], v[154:155], v[6:7] neg_lo:[0,0,1] neg_hi:[0,0,1]
	v_pk_fma_f32 v[6:7], v[14:15], v[154:155], v[6:7] op_sel_hi:[1,0,1]
	s_nop 0
	v_mov_b32_e32 v9, v7
	s_waitcnt vmcnt(0) lgkmcnt(0)
	v_pk_mul_f32 v[6:7], v[16:17], v[160:161] op_sel:[1,1] op_sel_hi:[0,1]
	v_pk_add_f32 v[4:5], v[4:5], v[8:9]
	v_pk_fma_f32 v[8:9], v[16:17], v[160:161], v[6:7] neg_lo:[0,0,1] neg_hi:[0,0,1]
	v_pk_fma_f32 v[6:7], v[16:17], v[160:161], v[6:7] op_sel_hi:[1,0,1]
	s_nop 0
	v_mov_b32_e32 v9, v7
	scratch_load_dwordx2 v[6:7], off, off offset:8
	v_pk_add_f32 v[4:5], v[4:5], v[8:9]
	s_waitcnt vmcnt(0)
	v_pk_add_f32 v[4:5], v[6:7], v[4:5] neg_lo:[0,1] neg_hi:[0,1]
	scratch_store_dwordx2 off, v[4:5], off offset:8
	s_and_saveexec_b64 s[0:1], vcc
	s_cbranch_execz .LBB92_187
; %bb.186:
	scratch_load_dwordx2 v[4:5], off, off
	v_mov_b32_e32 v3, v2
	scratch_store_dwordx2 off, v[2:3], off
	s_waitcnt vmcnt(1)
	ds_write_b64 v1, v[4:5]
.LBB92_187:
	s_or_b64 exec, exec, s[0:1]
	s_waitcnt lgkmcnt(0)
	; wave barrier
	scratch_load_dwordx4 v[8:11], off, off offset:8
	scratch_load_dwordx4 v[16:19], off, off offset:24
	scratch_load_dwordx4 v[24:27], off, off offset:40
	scratch_load_dwordx4 v[32:35], off, off offset:56
	scratch_load_dwordx4 v[100:103], off, off offset:72
	scratch_load_dwordx4 v[108:111], off, off offset:88
	scratch_load_dwordx4 v[116:119], off, off offset:104
	scratch_load_dwordx4 v[124:127], off, off offset:120
	scratch_load_dwordx4 v[132:135], off, off offset:136
	scratch_load_dwordx4 v[140:143], off, off offset:152
	ds_read2_b64 v[4:7], v2 offset0:31 offset1:32
	ds_read2_b64 v[12:15], v2 offset0:33 offset1:34
	;; [unrolled: 1-line block ×10, first 2 shown]
	scratch_load_dwordx4 v[144:147], off, off offset:168
	scratch_load_dwordx4 v[148:151], off, off offset:184
	;; [unrolled: 1-line block ×4, first 2 shown]
	s_and_b64 vcc, exec, s[10:11]
	s_waitcnt vmcnt(13) lgkmcnt(9)
	v_mul_f32_e32 v0, v4, v9
	v_fmac_f32_e32 v0, v5, v8
	v_mul_f32_e32 v1, v6, v11
	v_add_f32_e32 v0, 0, v0
	v_fmac_f32_e32 v1, v7, v10
	v_add_f32_e32 v0, v0, v1
	s_waitcnt vmcnt(12) lgkmcnt(8)
	v_mul_f32_e32 v1, v12, v17
	v_fmac_f32_e32 v1, v13, v16
	v_add_f32_e32 v0, v0, v1
	v_mul_f32_e32 v1, v14, v19
	v_fmac_f32_e32 v1, v15, v18
	v_add_f32_e32 v0, v0, v1
	s_waitcnt vmcnt(11) lgkmcnt(7)
	v_mul_f32_e32 v1, v20, v25
	v_fmac_f32_e32 v1, v21, v24
	v_add_f32_e32 v0, v0, v1
	v_mul_f32_e32 v1, v22, v27
	;; [unrolled: 7-line block ×8, first 2 shown]
	v_fmac_f32_e32 v1, v131, v134
	v_add_f32_e32 v37, v0, v1
	v_mul_f32_e32 v0, v5, v9
	v_fma_f32 v0, v4, v8, -v0
	v_mul_f32_e32 v1, v7, v11
	v_add_f32_e32 v0, 0, v0
	v_fma_f32 v1, v6, v10, -v1
	v_add_f32_e32 v0, v0, v1
	v_mul_f32_e32 v1, v13, v17
	v_fma_f32 v1, v12, v16, -v1
	v_add_f32_e32 v0, v0, v1
	v_mul_f32_e32 v1, v15, v19
	;; [unrolled: 3-line block ×16, first 2 shown]
	v_fma_f32 v1, v130, v134, -v1
	v_add_f32_e32 v36, v0, v1
	s_waitcnt vmcnt(4) lgkmcnt(0)
	v_mul_f32_e32 v0, v137, v141
	v_fma_f32 v160, v136, v140, -v0
	v_mul_f32_e32 v0, v139, v143
	v_fma_f32 v162, v138, v142, -v0
	ds_read2_b64 v[4:7], v2 offset0:51 offset1:52
	ds_read2_b64 v[8:11], v2 offset0:53 offset1:54
	;; [unrolled: 1-line block ×4, first 2 shown]
	v_mul_f32_e32 v161, v136, v141
	v_fmac_f32_e32 v161, v137, v140
	v_mul_f32_e32 v163, v138, v143
	s_waitcnt vmcnt(3) lgkmcnt(3)
	v_pk_mul_f32 v[18:19], v[4:5], v[144:145] op_sel:[1,1] op_sel_hi:[0,1]
	v_fmac_f32_e32 v163, v139, v142
	v_pk_add_f32 v[16:17], v[36:37], v[160:161]
	v_pk_fma_f32 v[20:21], v[4:5], v[144:145], v[18:19] neg_lo:[0,0,1] neg_hi:[0,0,1]
	v_pk_fma_f32 v[4:5], v[4:5], v[144:145], v[18:19] op_sel_hi:[1,0,1]
	v_pk_add_f32 v[16:17], v[16:17], v[162:163]
	v_mov_b32_e32 v21, v5
	v_pk_add_f32 v[4:5], v[16:17], v[20:21]
	v_mov_b32_e32 v16, v147
	v_pk_mul_f32 v[16:17], v[6:7], v[16:17] op_sel:[1,0] op_sel_hi:[0,0]
	v_pk_fma_f32 v[18:19], v[6:7], v[146:147], v[16:17] neg_lo:[0,0,1] neg_hi:[0,0,1]
	v_pk_fma_f32 v[6:7], v[6:7], v[146:147], v[16:17] op_sel_hi:[1,0,1]
	s_nop 0
	v_mov_b32_e32 v19, v7
	s_waitcnt vmcnt(2) lgkmcnt(2)
	v_pk_mul_f32 v[6:7], v[8:9], v[148:149] op_sel:[1,1] op_sel_hi:[0,1]
	v_pk_fma_f32 v[16:17], v[8:9], v[148:149], v[6:7] neg_lo:[0,0,1] neg_hi:[0,0,1]
	v_pk_fma_f32 v[6:7], v[8:9], v[148:149], v[6:7] op_sel_hi:[1,0,1]
	v_pk_add_f32 v[4:5], v[4:5], v[18:19]
	v_mov_b32_e32 v6, v151
	v_mov_b32_e32 v17, v7
	v_pk_mul_f32 v[6:7], v[10:11], v[6:7] op_sel:[1,0] op_sel_hi:[0,0]
	v_pk_fma_f32 v[8:9], v[10:11], v[150:151], v[6:7] neg_lo:[0,0,1] neg_hi:[0,0,1]
	v_pk_fma_f32 v[6:7], v[10:11], v[150:151], v[6:7] op_sel_hi:[1,0,1]
	v_pk_add_f32 v[4:5], v[4:5], v[16:17]
	v_mov_b32_e32 v9, v7
	s_waitcnt vmcnt(1) lgkmcnt(1)
	v_pk_mul_f32 v[6:7], v[12:13], v[152:153] op_sel:[1,1] op_sel_hi:[0,1]
	v_pk_add_f32 v[4:5], v[4:5], v[8:9]
	v_pk_fma_f32 v[8:9], v[12:13], v[152:153], v[6:7] neg_lo:[0,0,1] neg_hi:[0,0,1]
	v_pk_fma_f32 v[6:7], v[12:13], v[152:153], v[6:7] op_sel_hi:[1,0,1]
	s_nop 0
	v_mov_b32_e32 v6, v155
	v_mov_b32_e32 v9, v7
	v_pk_mul_f32 v[6:7], v[14:15], v[6:7] op_sel:[1,0] op_sel_hi:[0,0]
	v_pk_add_f32 v[4:5], v[4:5], v[8:9]
	v_pk_fma_f32 v[8:9], v[14:15], v[154:155], v[6:7] neg_lo:[0,0,1] neg_hi:[0,0,1]
	v_pk_fma_f32 v[6:7], v[14:15], v[154:155], v[6:7] op_sel_hi:[1,0,1]
	s_nop 0
	v_mov_b32_e32 v9, v7
	s_waitcnt vmcnt(0) lgkmcnt(0)
	v_pk_mul_f32 v[6:7], v[0:1], v[156:157] op_sel:[1,1] op_sel_hi:[0,1]
	v_pk_add_f32 v[4:5], v[4:5], v[8:9]
	v_pk_fma_f32 v[8:9], v[0:1], v[156:157], v[6:7] neg_lo:[0,0,1] neg_hi:[0,0,1]
	v_pk_fma_f32 v[0:1], v[0:1], v[156:157], v[6:7] op_sel_hi:[1,0,1]
	s_nop 0
	v_mov_b32_e32 v9, v1
	v_pk_add_f32 v[0:1], v[4:5], v[8:9]
	v_mov_b32_e32 v4, v159
	v_pk_mul_f32 v[4:5], v[2:3], v[4:5] op_sel:[1,0] op_sel_hi:[0,0]
	v_pk_fma_f32 v[6:7], v[2:3], v[158:159], v[4:5] neg_lo:[0,0,1] neg_hi:[0,0,1]
	v_pk_fma_f32 v[2:3], v[2:3], v[158:159], v[4:5] op_sel_hi:[1,0,1]
	s_nop 0
	v_mov_b32_e32 v7, v3
	scratch_load_dwordx2 v[2:3], off, off
	v_pk_add_f32 v[0:1], v[0:1], v[6:7]
	s_waitcnt vmcnt(0)
	v_pk_add_f32 v[0:1], v[2:3], v[0:1] neg_lo:[0,1] neg_hi:[0,1]
	scratch_store_dwordx2 off, v[0:1], off
	s_cbranch_vccz .LBB92_244
; %bb.188:
	v_mov_b32_e32 v0, 0
	global_load_dword v1, v0, s[8:9] offset:108
	s_waitcnt vmcnt(0)
	v_readfirstlane_b32 s0, v1
	s_add_i32 s0, s0, -1
	s_cmp_lg_u32 s0, 27
	s_cbranch_scc0 .LBB92_190
; %bb.189:
	s_lshl_b32 s0, s0, 3
	s_nop 0
	scratch_load_dwordx2 v[2:3], off, s0
	scratch_load_dwordx2 v[4:5], off, off offset:216
	s_waitcnt vmcnt(1)
	scratch_store_dwordx2 off, v[2:3], off offset:216
	s_waitcnt vmcnt(1)
	scratch_store_dwordx2 off, v[4:5], s0
.LBB92_190:
	global_load_dword v0, v0, s[8:9] offset:104
	s_waitcnt vmcnt(0)
	v_readfirstlane_b32 s0, v0
	s_add_i32 s0, s0, -1
	s_cmp_eq_u32 s0, 26
	s_cbranch_scc1 .LBB92_192
; %bb.191:
	s_lshl_b32 s0, s0, 3
	s_nop 0
	scratch_load_dwordx2 v[0:1], off, s0
	scratch_load_dwordx2 v[2:3], off, off offset:208
	s_waitcnt vmcnt(1)
	scratch_store_dwordx2 off, v[0:1], off offset:208
	s_waitcnt vmcnt(1)
	scratch_store_dwordx2 off, v[2:3], s0
.LBB92_192:
	v_mov_b32_e32 v0, 0
	global_load_dword v1, v0, s[8:9] offset:100
	s_waitcnt vmcnt(0)
	v_readfirstlane_b32 s0, v1
	s_add_i32 s0, s0, -1
	s_cmp_eq_u32 s0, 25
	s_cbranch_scc1 .LBB92_194
; %bb.193:
	s_lshl_b32 s0, s0, 3
	s_nop 0
	scratch_load_dwordx2 v[2:3], off, s0
	scratch_load_dwordx2 v[4:5], off, off offset:200
	s_waitcnt vmcnt(1)
	scratch_store_dwordx2 off, v[2:3], off offset:200
	s_waitcnt vmcnt(1)
	scratch_store_dwordx2 off, v[4:5], s0
.LBB92_194:
	global_load_dword v0, v0, s[8:9] offset:96
	s_waitcnt vmcnt(0)
	v_readfirstlane_b32 s0, v0
	s_add_i32 s0, s0, -1
	s_cmp_eq_u32 s0, 24
	s_cbranch_scc1 .LBB92_196
; %bb.195:
	s_lshl_b32 s0, s0, 3
	s_nop 0
	scratch_load_dwordx2 v[0:1], off, s0
	scratch_load_dwordx2 v[2:3], off, off offset:192
	s_waitcnt vmcnt(1)
	scratch_store_dwordx2 off, v[0:1], off offset:192
	s_waitcnt vmcnt(1)
	scratch_store_dwordx2 off, v[2:3], s0
.LBB92_196:
	v_mov_b32_e32 v0, 0
	global_load_dword v1, v0, s[8:9] offset:92
	s_waitcnt vmcnt(0)
	v_readfirstlane_b32 s0, v1
	s_add_i32 s0, s0, -1
	s_cmp_eq_u32 s0, 23
	s_cbranch_scc1 .LBB92_198
; %bb.197:
	s_lshl_b32 s0, s0, 3
	s_nop 0
	scratch_load_dwordx2 v[2:3], off, s0
	scratch_load_dwordx2 v[4:5], off, off offset:184
	s_waitcnt vmcnt(1)
	scratch_store_dwordx2 off, v[2:3], off offset:184
	s_waitcnt vmcnt(1)
	scratch_store_dwordx2 off, v[4:5], s0
.LBB92_198:
	;; [unrolled: 33-line block ×13, first 2 shown]
	global_load_dword v2, v0, s[8:9]
	s_nop 0
	scratch_load_dwordx2 v[0:1], off, off
	s_waitcnt vmcnt(1)
	v_readfirstlane_b32 s0, v2
	s_add_i32 s0, s0, -1
	s_cmp_eq_u32 s0, 0
	s_cbranch_scc1 .LBB92_244
; %bb.243:
	s_lshl_b32 s0, s0, 3
	s_nop 0
	scratch_load_dwordx2 v[2:3], off, s0
	s_waitcnt vmcnt(0)
	scratch_store_dwordx2 off, v[2:3], off
	scratch_store_dwordx2 off, v[0:1], s0
	scratch_load_dwordx2 v[0:1], off, off
.LBB92_244:
	s_waitcnt vmcnt(0)
	flat_store_dwordx2 v[38:39], v[0:1]
	scratch_load_dwordx2 v[0:1], off, off offset:8
	s_waitcnt vmcnt(0)
	flat_store_dwordx2 v[40:41], v[0:1]
	scratch_load_dwordx2 v[0:1], off, off offset:16
	s_waitcnt vmcnt(0)
	flat_store_dwordx2 v[42:43], v[0:1]
	scratch_load_dwordx2 v[0:1], off, off offset:24
	s_waitcnt vmcnt(0)
	flat_store_dwordx2 v[44:45], v[0:1]
	scratch_load_dwordx2 v[0:1], off, off offset:32
	s_waitcnt vmcnt(0)
	flat_store_dwordx2 v[46:47], v[0:1]
	scratch_load_dwordx2 v[0:1], off, off offset:40
	s_waitcnt vmcnt(0)
	flat_store_dwordx2 v[48:49], v[0:1]
	scratch_load_dwordx2 v[0:1], off, off offset:48
	s_waitcnt vmcnt(0)
	flat_store_dwordx2 v[50:51], v[0:1]
	scratch_load_dwordx2 v[0:1], off, off offset:56
	s_waitcnt vmcnt(0)
	flat_store_dwordx2 v[52:53], v[0:1]
	scratch_load_dwordx2 v[0:1], off, off offset:64
	s_waitcnt vmcnt(0)
	flat_store_dwordx2 v[54:55], v[0:1]
	scratch_load_dwordx2 v[0:1], off, off offset:72
	s_waitcnt vmcnt(0)
	flat_store_dwordx2 v[56:57], v[0:1]
	scratch_load_dwordx2 v[0:1], off, off offset:80
	s_waitcnt vmcnt(0)
	flat_store_dwordx2 v[58:59], v[0:1]
	scratch_load_dwordx2 v[0:1], off, off offset:88
	s_waitcnt vmcnt(0)
	flat_store_dwordx2 v[60:61], v[0:1]
	scratch_load_dwordx2 v[0:1], off, off offset:96
	s_waitcnt vmcnt(0)
	flat_store_dwordx2 v[62:63], v[0:1]
	scratch_load_dwordx2 v[0:1], off, off offset:104
	s_waitcnt vmcnt(0)
	flat_store_dwordx2 v[64:65], v[0:1]
	scratch_load_dwordx2 v[0:1], off, off offset:112
	s_waitcnt vmcnt(0)
	flat_store_dwordx2 v[66:67], v[0:1]
	scratch_load_dwordx2 v[0:1], off, off offset:120
	s_waitcnt vmcnt(0)
	flat_store_dwordx2 v[68:69], v[0:1]
	scratch_load_dwordx2 v[0:1], off, off offset:128
	s_waitcnt vmcnt(0)
	flat_store_dwordx2 v[70:71], v[0:1]
	scratch_load_dwordx2 v[0:1], off, off offset:136
	s_waitcnt vmcnt(0)
	flat_store_dwordx2 v[72:73], v[0:1]
	scratch_load_dwordx2 v[0:1], off, off offset:144
	s_waitcnt vmcnt(0)
	flat_store_dwordx2 v[74:75], v[0:1]
	scratch_load_dwordx2 v[0:1], off, off offset:152
	s_waitcnt vmcnt(0)
	flat_store_dwordx2 v[76:77], v[0:1]
	scratch_load_dwordx2 v[0:1], off, off offset:160
	s_waitcnt vmcnt(0)
	flat_store_dwordx2 v[78:79], v[0:1]
	scratch_load_dwordx2 v[0:1], off, off offset:168
	s_waitcnt vmcnt(0)
	flat_store_dwordx2 v[80:81], v[0:1]
	scratch_load_dwordx2 v[0:1], off, off offset:176
	s_waitcnt vmcnt(0)
	flat_store_dwordx2 v[82:83], v[0:1]
	scratch_load_dwordx2 v[0:1], off, off offset:184
	s_waitcnt vmcnt(0)
	flat_store_dwordx2 v[84:85], v[0:1]
	scratch_load_dwordx2 v[0:1], off, off offset:192
	s_waitcnt vmcnt(0)
	flat_store_dwordx2 v[86:87], v[0:1]
	scratch_load_dwordx2 v[0:1], off, off offset:200
	s_waitcnt vmcnt(0)
	flat_store_dwordx2 v[88:89], v[0:1]
	scratch_load_dwordx2 v[0:1], off, off offset:208
	s_waitcnt vmcnt(0)
	flat_store_dwordx2 v[90:91], v[0:1]
	scratch_load_dwordx2 v[0:1], off, off offset:216
	s_waitcnt vmcnt(0)
	flat_store_dwordx2 v[92:93], v[0:1]
	scratch_load_dwordx2 v[0:1], off, off offset:224
	s_waitcnt vmcnt(0)
	flat_store_dwordx2 v[94:95], v[0:1]
	s_endpgm
	.section	.rodata,"a",@progbits
	.p2align	6, 0x0
	.amdhsa_kernel _ZN9rocsolver6v33100L18getri_kernel_smallILi29E19rocblas_complex_numIfEPKPS3_EEvT1_iilPiilS8_bb
		.amdhsa_group_segment_fixed_size 472
		.amdhsa_private_segment_fixed_size 240
		.amdhsa_kernarg_size 60
		.amdhsa_user_sgpr_count 2
		.amdhsa_user_sgpr_dispatch_ptr 0
		.amdhsa_user_sgpr_queue_ptr 0
		.amdhsa_user_sgpr_kernarg_segment_ptr 1
		.amdhsa_user_sgpr_dispatch_id 0
		.amdhsa_user_sgpr_kernarg_preload_length 0
		.amdhsa_user_sgpr_kernarg_preload_offset 0
		.amdhsa_user_sgpr_private_segment_size 0
		.amdhsa_uses_dynamic_stack 0
		.amdhsa_enable_private_segment 1
		.amdhsa_system_sgpr_workgroup_id_x 1
		.amdhsa_system_sgpr_workgroup_id_y 0
		.amdhsa_system_sgpr_workgroup_id_z 0
		.amdhsa_system_sgpr_workgroup_info 0
		.amdhsa_system_vgpr_workitem_id 0
		.amdhsa_next_free_vgpr 164
		.amdhsa_next_free_sgpr 17
		.amdhsa_accum_offset 164
		.amdhsa_reserve_vcc 1
		.amdhsa_float_round_mode_32 0
		.amdhsa_float_round_mode_16_64 0
		.amdhsa_float_denorm_mode_32 3
		.amdhsa_float_denorm_mode_16_64 3
		.amdhsa_dx10_clamp 1
		.amdhsa_ieee_mode 1
		.amdhsa_fp16_overflow 0
		.amdhsa_tg_split 0
		.amdhsa_exception_fp_ieee_invalid_op 0
		.amdhsa_exception_fp_denorm_src 0
		.amdhsa_exception_fp_ieee_div_zero 0
		.amdhsa_exception_fp_ieee_overflow 0
		.amdhsa_exception_fp_ieee_underflow 0
		.amdhsa_exception_fp_ieee_inexact 0
		.amdhsa_exception_int_div_zero 0
	.end_amdhsa_kernel
	.section	.text._ZN9rocsolver6v33100L18getri_kernel_smallILi29E19rocblas_complex_numIfEPKPS3_EEvT1_iilPiilS8_bb,"axG",@progbits,_ZN9rocsolver6v33100L18getri_kernel_smallILi29E19rocblas_complex_numIfEPKPS3_EEvT1_iilPiilS8_bb,comdat
.Lfunc_end92:
	.size	_ZN9rocsolver6v33100L18getri_kernel_smallILi29E19rocblas_complex_numIfEPKPS3_EEvT1_iilPiilS8_bb, .Lfunc_end92-_ZN9rocsolver6v33100L18getri_kernel_smallILi29E19rocblas_complex_numIfEPKPS3_EEvT1_iilPiilS8_bb
                                        ; -- End function
	.set _ZN9rocsolver6v33100L18getri_kernel_smallILi29E19rocblas_complex_numIfEPKPS3_EEvT1_iilPiilS8_bb.num_vgpr, 164
	.set _ZN9rocsolver6v33100L18getri_kernel_smallILi29E19rocblas_complex_numIfEPKPS3_EEvT1_iilPiilS8_bb.num_agpr, 0
	.set _ZN9rocsolver6v33100L18getri_kernel_smallILi29E19rocblas_complex_numIfEPKPS3_EEvT1_iilPiilS8_bb.numbered_sgpr, 17
	.set _ZN9rocsolver6v33100L18getri_kernel_smallILi29E19rocblas_complex_numIfEPKPS3_EEvT1_iilPiilS8_bb.num_named_barrier, 0
	.set _ZN9rocsolver6v33100L18getri_kernel_smallILi29E19rocblas_complex_numIfEPKPS3_EEvT1_iilPiilS8_bb.private_seg_size, 240
	.set _ZN9rocsolver6v33100L18getri_kernel_smallILi29E19rocblas_complex_numIfEPKPS3_EEvT1_iilPiilS8_bb.uses_vcc, 1
	.set _ZN9rocsolver6v33100L18getri_kernel_smallILi29E19rocblas_complex_numIfEPKPS3_EEvT1_iilPiilS8_bb.uses_flat_scratch, 0
	.set _ZN9rocsolver6v33100L18getri_kernel_smallILi29E19rocblas_complex_numIfEPKPS3_EEvT1_iilPiilS8_bb.has_dyn_sized_stack, 0
	.set _ZN9rocsolver6v33100L18getri_kernel_smallILi29E19rocblas_complex_numIfEPKPS3_EEvT1_iilPiilS8_bb.has_recursion, 0
	.set _ZN9rocsolver6v33100L18getri_kernel_smallILi29E19rocblas_complex_numIfEPKPS3_EEvT1_iilPiilS8_bb.has_indirect_call, 0
	.section	.AMDGPU.csdata,"",@progbits
; Kernel info:
; codeLenInByte = 30892
; TotalNumSgprs: 23
; NumVgprs: 164
; NumAgprs: 0
; TotalNumVgprs: 164
; ScratchSize: 240
; MemoryBound: 0
; FloatMode: 240
; IeeeMode: 1
; LDSByteSize: 472 bytes/workgroup (compile time only)
; SGPRBlocks: 2
; VGPRBlocks: 20
; NumSGPRsForWavesPerEU: 23
; NumVGPRsForWavesPerEU: 164
; AccumOffset: 164
; Occupancy: 3
; WaveLimiterHint : 1
; COMPUTE_PGM_RSRC2:SCRATCH_EN: 1
; COMPUTE_PGM_RSRC2:USER_SGPR: 2
; COMPUTE_PGM_RSRC2:TRAP_HANDLER: 0
; COMPUTE_PGM_RSRC2:TGID_X_EN: 1
; COMPUTE_PGM_RSRC2:TGID_Y_EN: 0
; COMPUTE_PGM_RSRC2:TGID_Z_EN: 0
; COMPUTE_PGM_RSRC2:TIDIG_COMP_CNT: 0
; COMPUTE_PGM_RSRC3_GFX90A:ACCUM_OFFSET: 40
; COMPUTE_PGM_RSRC3_GFX90A:TG_SPLIT: 0
	.section	.text._ZN9rocsolver6v33100L18getri_kernel_smallILi30E19rocblas_complex_numIfEPKPS3_EEvT1_iilPiilS8_bb,"axG",@progbits,_ZN9rocsolver6v33100L18getri_kernel_smallILi30E19rocblas_complex_numIfEPKPS3_EEvT1_iilPiilS8_bb,comdat
	.globl	_ZN9rocsolver6v33100L18getri_kernel_smallILi30E19rocblas_complex_numIfEPKPS3_EEvT1_iilPiilS8_bb ; -- Begin function _ZN9rocsolver6v33100L18getri_kernel_smallILi30E19rocblas_complex_numIfEPKPS3_EEvT1_iilPiilS8_bb
	.p2align	8
	.type	_ZN9rocsolver6v33100L18getri_kernel_smallILi30E19rocblas_complex_numIfEPKPS3_EEvT1_iilPiilS8_bb,@function
_ZN9rocsolver6v33100L18getri_kernel_smallILi30E19rocblas_complex_numIfEPKPS3_EEvT1_iilPiilS8_bb: ; @_ZN9rocsolver6v33100L18getri_kernel_smallILi30E19rocblas_complex_numIfEPKPS3_EEvT1_iilPiilS8_bb
; %bb.0:
	v_cmp_gt_u32_e32 vcc, 30, v0
	s_and_saveexec_b64 s[4:5], vcc
	s_cbranch_execz .LBB93_134
; %bb.1:
	s_load_dword s14, s[0:1], 0x38
	s_load_dwordx2 s[8:9], s[0:1], 0x0
	s_load_dwordx4 s[4:7], s[0:1], 0x28
	s_waitcnt lgkmcnt(0)
	s_bitcmp1_b32 s14, 8
	s_cselect_b64 s[10:11], -1, 0
	s_ashr_i32 s3, s2, 31
	s_lshl_b64 s[12:13], s[2:3], 3
	s_add_u32 s8, s8, s12
	s_addc_u32 s9, s9, s13
	s_load_dwordx2 s[12:13], s[8:9], 0x0
	s_bfe_u32 s8, s14, 0x10008
	s_cmp_eq_u32 s8, 0
                                        ; implicit-def: $sgpr8_sgpr9
	s_cbranch_scc1 .LBB93_3
; %bb.2:
	s_load_dword s8, s[0:1], 0x20
	s_load_dwordx2 s[14:15], s[0:1], 0x18
	s_mul_i32 s9, s4, s3
	s_mul_hi_u32 s16, s4, s2
	s_add_i32 s16, s16, s9
	s_mul_i32 s5, s5, s2
	s_add_i32 s5, s16, s5
	s_mul_i32 s4, s4, s2
	s_waitcnt lgkmcnt(0)
	s_ashr_i32 s9, s8, 31
	s_lshl_b64 s[4:5], s[4:5], 2
	s_add_u32 s14, s14, s4
	s_addc_u32 s15, s15, s5
	s_lshl_b64 s[4:5], s[8:9], 2
	s_add_u32 s8, s14, s4
	s_addc_u32 s9, s15, s5
.LBB93_3:
	s_load_dwordx2 s[4:5], s[0:1], 0x8
	s_load_dword s14, s[0:1], 0x38
	v_lshlrev_b32_e32 v2, 3, v0
	v_mov_b32_e32 v3, 0
	s_waitcnt lgkmcnt(0)
	s_ashr_i32 s1, s4, 31
	s_mov_b32 s0, s4
	s_lshl_b64 s[0:1], s[0:1], 3
	s_add_u32 s0, s12, s0
	s_addc_u32 s1, s13, s1
	v_lshl_add_u64 v[38:39], s[0:1], 0, v[2:3]
	flat_load_dwordx2 v[4:5], v[38:39]
	s_mov_b32 s12, s5
	s_ashr_i32 s13, s5, 31
	v_lshl_add_u64 v[40:41], s[12:13], 3, v[38:39]
	s_add_i32 s4, s5, s5
	v_add_u32_e32 v6, s4, v0
	v_ashrrev_i32_e32 v7, 31, v6
	v_lshl_add_u64 v[42:43], v[6:7], 3, s[0:1]
	v_add_u32_e32 v6, s5, v6
	v_ashrrev_i32_e32 v7, 31, v6
	v_lshl_add_u64 v[44:45], v[6:7], 3, s[0:1]
	;; [unrolled: 3-line block ×25, first 2 shown]
	s_waitcnt vmcnt(0) lgkmcnt(0)
	scratch_store_dwordx2 off, v[4:5], off
	flat_load_dwordx2 v[4:5], v[40:41]
	v_add_u32_e32 v6, s5, v6
	v_ashrrev_i32_e32 v7, 31, v6
	v_lshl_add_u64 v[92:93], v[6:7], 3, s[0:1]
	v_add_u32_e32 v6, s5, v6
	v_ashrrev_i32_e32 v7, 31, v6
	v_lshl_add_u64 v[94:95], v[6:7], 3, s[0:1]
	v_add_u32_e32 v6, s5, v6
	v_ashrrev_i32_e32 v7, 31, v6
	v_lshl_add_u64 v[96:97], v[6:7], 3, s[0:1]
	s_bitcmp0_b32 s14, 0
	s_mov_b64 s[4:5], -1
	s_waitcnt vmcnt(0) lgkmcnt(0)
	scratch_store_dwordx2 off, v[4:5], off offset:8
	flat_load_dwordx2 v[4:5], v[42:43]
	s_waitcnt vmcnt(0) lgkmcnt(0)
	scratch_store_dwordx2 off, v[4:5], off offset:16
	flat_load_dwordx2 v[4:5], v[44:45]
	;; [unrolled: 3-line block ×28, first 2 shown]
	s_waitcnt vmcnt(0) lgkmcnt(0)
	scratch_store_dwordx2 off, v[4:5], off offset:232
	s_cbranch_scc1 .LBB93_132
; %bb.4:
	v_cmp_eq_u32_e64 s[0:1], 0, v0
	s_and_saveexec_b64 s[4:5], s[0:1]
; %bb.5:
	v_mov_b32_e32 v1, 0
	ds_write_b32 v1, v1 offset:480
; %bb.6:
	s_or_b64 exec, exec, s[4:5]
	s_waitcnt lgkmcnt(0)
	; wave barrier
	scratch_load_dwordx2 v[4:5], v2, off
	s_waitcnt vmcnt(0)
	v_cmp_eq_f32_e32 vcc, 0, v4
	v_cmp_eq_f32_e64 s[4:5], 0, v5
	s_and_b64 s[4:5], vcc, s[4:5]
	s_and_saveexec_b64 s[12:13], s[4:5]
	s_cbranch_execz .LBB93_10
; %bb.7:
	v_mov_b32_e32 v1, 0
	ds_read_b32 v4, v1 offset:480
	v_add_u32_e32 v3, 1, v0
	s_waitcnt lgkmcnt(0)
	v_readfirstlane_b32 s4, v4
	s_cmp_eq_u32 s4, 0
	s_cselect_b64 s[14:15], -1, 0
	v_cmp_gt_i32_e32 vcc, s4, v3
	s_or_b64 s[14:15], s[14:15], vcc
	s_and_b64 exec, exec, s[14:15]
	s_cbranch_execz .LBB93_10
; %bb.8:
	s_mov_b64 s[14:15], 0
	v_mov_b32_e32 v4, s4
.LBB93_9:                               ; =>This Inner Loop Header: Depth=1
	ds_cmpst_rtn_b32 v4, v1, v4, v3 offset:480
	s_waitcnt lgkmcnt(0)
	v_cmp_ne_u32_e32 vcc, 0, v4
	v_cmp_le_i32_e64 s[4:5], v4, v3
	s_and_b64 s[4:5], vcc, s[4:5]
	s_and_b64 s[4:5], exec, s[4:5]
	s_or_b64 s[14:15], s[4:5], s[14:15]
	s_andn2_b64 exec, exec, s[14:15]
	s_cbranch_execnz .LBB93_9
.LBB93_10:
	s_or_b64 exec, exec, s[12:13]
	v_mov_b32_e32 v3, 0
	; wave barrier
	ds_read_b32 v1, v3 offset:480
	s_and_saveexec_b64 s[4:5], s[0:1]
	s_cbranch_execz .LBB93_12
; %bb.11:
	s_lshl_b64 s[12:13], s[2:3], 2
	s_add_u32 s12, s6, s12
	s_addc_u32 s13, s7, s13
	s_waitcnt lgkmcnt(0)
	global_store_dword v3, v1, s[12:13]
.LBB93_12:
	s_or_b64 exec, exec, s[4:5]
	s_waitcnt lgkmcnt(0)
	v_cmp_ne_u32_e32 vcc, 0, v1
	s_mov_b64 s[4:5], 0
	s_cbranch_vccnz .LBB93_132
; %bb.13:
	v_mov_b32_e32 v3, v2
	scratch_load_dwordx2 v[4:5], v3, off
                                        ; implicit-def: $vgpr7
                                        ; implicit-def: $vgpr8
	s_waitcnt vmcnt(0)
	v_cmp_ngt_f32_e64 s[4:5], |v4|, |v5|
	s_and_saveexec_b64 s[12:13], s[4:5]
	s_xor_b64 s[4:5], exec, s[12:13]
	s_cbranch_execz .LBB93_15
; %bb.14:
	v_div_scale_f32 v1, s[12:13], v5, v5, v4
	v_rcp_f32_e32 v6, v1
	v_div_scale_f32 v7, vcc, v4, v5, v4
	v_fma_f32 v8, -v1, v6, 1.0
	v_fmac_f32_e32 v6, v8, v6
	v_mul_f32_e32 v8, v7, v6
	v_fma_f32 v9, -v1, v8, v7
	v_fmac_f32_e32 v8, v9, v6
	v_fma_f32 v1, -v1, v8, v7
	v_div_fmas_f32 v1, v1, v6, v8
	v_div_fixup_f32 v1, v1, v5, v4
	v_fmac_f32_e32 v5, v4, v1
	v_div_scale_f32 v4, s[12:13], v5, v5, -1.0
	v_rcp_f32_e32 v6, v4
	s_nop 0
	v_fma_f32 v7, -v4, v6, 1.0
	v_fmac_f32_e32 v6, v7, v6
	v_div_scale_f32 v7, vcc, -1.0, v5, -1.0
	v_mul_f32_e32 v8, v7, v6
	v_fma_f32 v9, -v4, v8, v7
	v_fmac_f32_e32 v8, v9, v6
	v_fma_f32 v4, -v4, v8, v7
	v_div_fmas_f32 v4, v4, v6, v8
	v_div_fixup_f32 v7, v4, v5, -1.0
	v_mul_f32_e32 v8, v1, v7
	v_xor_b32_e32 v6, 0x80000000, v8
                                        ; implicit-def: $vgpr4_vgpr5
.LBB93_15:
	s_andn2_saveexec_b64 s[4:5], s[4:5]
	s_cbranch_execz .LBB93_17
; %bb.16:
	v_div_scale_f32 v1, s[12:13], v4, v4, v5
	v_rcp_f32_e32 v6, v1
	v_div_scale_f32 v7, vcc, v5, v4, v5
	v_fma_f32 v8, -v1, v6, 1.0
	v_fmac_f32_e32 v6, v8, v6
	v_mul_f32_e32 v8, v7, v6
	v_fma_f32 v9, -v1, v8, v7
	v_fmac_f32_e32 v8, v9, v6
	v_fma_f32 v1, -v1, v8, v7
	v_div_fmas_f32 v1, v1, v6, v8
	v_div_fixup_f32 v1, v1, v4, v5
	v_fmac_f32_e32 v4, v5, v1
	v_div_scale_f32 v5, s[12:13], v4, v4, 1.0
	v_rcp_f32_e32 v6, v5
	s_nop 0
	v_fma_f32 v7, -v5, v6, 1.0
	v_fmac_f32_e32 v6, v7, v6
	v_div_scale_f32 v7, vcc, 1.0, v4, 1.0
	v_mul_f32_e32 v8, v7, v6
	v_fma_f32 v9, -v5, v8, v7
	v_fmac_f32_e32 v8, v9, v6
	v_fma_f32 v5, -v5, v8, v7
	v_div_fmas_f32 v5, v5, v6, v8
	v_div_fixup_f32 v6, v5, v4, 1.0
	v_xor_b32_e32 v8, 0x80000000, v6
	v_mul_f32_e64 v7, v1, -v6
.LBB93_17:
	s_or_b64 exec, exec, s[4:5]
	scratch_store_dwordx2 v3, v[6:7], off
	scratch_load_dwordx2 v[4:5], off, off offset:8
	v_xor_b32_e32 v9, 0x80000000, v7
	v_add_u32_e32 v1, 0xf0, v2
	s_waitcnt vmcnt(0)
	ds_write2_b64 v2, v[8:9], v[4:5] offset1:30
	s_waitcnt lgkmcnt(0)
	; wave barrier
	s_and_saveexec_b64 s[4:5], s[0:1]
	s_cbranch_execz .LBB93_19
; %bb.18:
	scratch_load_dwordx2 v[4:5], v3, off
	ds_read_b64 v[6:7], v1
	v_mov_b32_e32 v8, 0
	ds_read_b64 v[8:9], v8 offset:8
	s_waitcnt vmcnt(0) lgkmcnt(1)
	v_pk_mul_f32 v[10:11], v[6:7], v[4:5] op_sel:[1,1] op_sel_hi:[0,1]
	v_pk_fma_f32 v[12:13], v[6:7], v[4:5], v[10:11] neg_lo:[0,0,1] neg_hi:[0,0,1]
	v_pk_fma_f32 v[4:5], v[6:7], v[4:5], v[10:11] op_sel_hi:[1,0,1]
	s_nop 0
	v_mov_b32_e32 v13, v5
	v_pk_add_f32 v[4:5], v[12:13], 0 op_sel_hi:[1,0]
	s_waitcnt lgkmcnt(0)
	v_pk_mul_f32 v[6:7], v[4:5], v[8:9] op_sel:[1,1] op_sel_hi:[0,1]
	v_pk_fma_f32 v[10:11], v[4:5], v[8:9], v[6:7] neg_lo:[0,0,1] neg_hi:[0,0,1]
	v_pk_fma_f32 v[4:5], v[4:5], v[8:9], v[6:7] op_sel_hi:[1,0,1]
	s_nop 0
	v_mov_b32_e32 v11, v5
	scratch_store_dwordx2 off, v[10:11], off offset:8
.LBB93_19:
	s_or_b64 exec, exec, s[4:5]
	; wave barrier
	scratch_load_dwordx2 v[4:5], off, off offset:16
	v_cmp_gt_u32_e32 vcc, 2, v0
	s_waitcnt vmcnt(0)
	ds_write_b64 v1, v[4:5]
	s_waitcnt lgkmcnt(0)
	; wave barrier
	s_and_saveexec_b64 s[4:5], vcc
	s_cbranch_execz .LBB93_23
; %bb.20:
	scratch_load_dwordx2 v[4:5], v3, off
	ds_read_b64 v[6:7], v1
	s_waitcnt vmcnt(0) lgkmcnt(0)
	v_pk_mul_f32 v[8:9], v[6:7], v[4:5] op_sel:[1,1] op_sel_hi:[0,1]
	v_pk_fma_f32 v[10:11], v[6:7], v[4:5], v[8:9] neg_lo:[0,0,1] neg_hi:[0,0,1]
	v_pk_fma_f32 v[4:5], v[6:7], v[4:5], v[8:9] op_sel_hi:[1,0,1]
	s_nop 0
	v_mov_b32_e32 v11, v5
	v_pk_add_f32 v[4:5], v[10:11], 0 op_sel_hi:[1,0]
	s_and_saveexec_b64 s[12:13], s[0:1]
	s_cbranch_execz .LBB93_22
; %bb.21:
	scratch_load_dwordx2 v[6:7], off, off offset:8
	v_mov_b32_e32 v3, 0
	ds_read_b64 v[8:9], v3 offset:248
	s_waitcnt vmcnt(0) lgkmcnt(0)
	v_pk_mul_f32 v[10:11], v[8:9], v[6:7] op_sel:[1,1] op_sel_hi:[0,1]
	v_pk_fma_f32 v[12:13], v[8:9], v[6:7], v[10:11] neg_lo:[0,0,1] neg_hi:[0,0,1]
	v_pk_fma_f32 v[6:7], v[8:9], v[6:7], v[10:11] op_sel_hi:[1,0,1]
	s_nop 0
	v_mov_b32_e32 v13, v7
	v_pk_add_f32 v[4:5], v[4:5], v[12:13]
.LBB93_22:
	s_or_b64 exec, exec, s[12:13]
	v_mov_b32_e32 v3, 0
	ds_read_b64 v[6:7], v3 offset:16
	s_waitcnt lgkmcnt(0)
	v_pk_mul_f32 v[8:9], v[4:5], v[6:7] op_sel:[1,1] op_sel_hi:[0,1]
	v_pk_fma_f32 v[10:11], v[4:5], v[6:7], v[8:9] neg_lo:[0,0,1] neg_hi:[0,0,1]
	v_pk_fma_f32 v[4:5], v[4:5], v[6:7], v[8:9] op_sel_hi:[1,0,1]
	s_nop 0
	v_mov_b32_e32 v11, v5
	scratch_store_dwordx2 off, v[10:11], off offset:16
.LBB93_23:
	s_or_b64 exec, exec, s[4:5]
	; wave barrier
	scratch_load_dwordx2 v[4:5], off, off offset:24
	v_cmp_gt_u32_e32 vcc, 3, v0
	v_add_u32_e32 v6, -1, v0
	s_waitcnt vmcnt(0)
	ds_write_b64 v1, v[4:5]
	s_waitcnt lgkmcnt(0)
	; wave barrier
	s_and_saveexec_b64 s[0:1], vcc
	s_cbranch_execz .LBB93_27
; %bb.24:
	v_mov_b32_e32 v4, 0
	v_add_u32_e32 v3, -1, v0
	v_add_u32_e32 v7, 0xf0, v2
	v_mov_b32_e32 v8, v2
	s_mov_b64 s[4:5], 0
	v_mov_b32_e32 v5, v4
.LBB93_25:                              ; =>This Inner Loop Header: Depth=1
	scratch_load_dwordx2 v[10:11], v8, off
	ds_read_b64 v[12:13], v7
	v_add_u32_e32 v3, 1, v3
	v_cmp_lt_u32_e32 vcc, 1, v3
	v_add_u32_e32 v7, 8, v7
	v_add_u32_e32 v8, 8, v8
	s_or_b64 s[4:5], vcc, s[4:5]
	s_waitcnt vmcnt(0) lgkmcnt(0)
	v_pk_mul_f32 v[14:15], v[12:13], v[10:11] op_sel:[1,1] op_sel_hi:[0,1]
	v_pk_fma_f32 v[16:17], v[12:13], v[10:11], v[14:15] neg_lo:[0,0,1] neg_hi:[0,0,1]
	v_pk_fma_f32 v[10:11], v[12:13], v[10:11], v[14:15] op_sel_hi:[1,0,1]
	s_nop 0
	v_mov_b32_e32 v17, v11
	v_pk_add_f32 v[4:5], v[4:5], v[16:17]
	s_andn2_b64 exec, exec, s[4:5]
	s_cbranch_execnz .LBB93_25
; %bb.26:
	s_or_b64 exec, exec, s[4:5]
	v_mov_b32_e32 v3, 0
	ds_read_b64 v[8:9], v3 offset:24
	s_waitcnt lgkmcnt(0)
	v_pk_mul_f32 v[10:11], v[4:5], v[8:9] op_sel:[1,1] op_sel_hi:[0,1]
	v_pk_fma_f32 v[12:13], v[4:5], v[8:9], v[10:11] neg_lo:[0,0,1] neg_hi:[0,0,1]
	v_pk_fma_f32 v[4:5], v[4:5], v[8:9], v[10:11] op_sel_hi:[1,0,1]
	s_nop 0
	v_mov_b32_e32 v13, v5
	scratch_store_dwordx2 off, v[12:13], off offset:24
.LBB93_27:
	s_or_b64 exec, exec, s[0:1]
	; wave barrier
	scratch_load_dwordx2 v[4:5], off, off offset:32
	v_cmp_gt_u32_e32 vcc, 4, v0
	s_waitcnt vmcnt(0)
	ds_write_b64 v1, v[4:5]
	s_waitcnt lgkmcnt(0)
	; wave barrier
	s_and_saveexec_b64 s[0:1], vcc
	s_cbranch_execz .LBB93_31
; %bb.28:
	v_mov_b32_e32 v4, 0
	v_add_u32_e32 v3, -1, v0
	v_add_u32_e32 v7, 0xf0, v2
	v_mov_b32_e32 v8, v2
	s_mov_b64 s[4:5], 0
	v_mov_b32_e32 v5, v4
.LBB93_29:                              ; =>This Inner Loop Header: Depth=1
	scratch_load_dwordx2 v[10:11], v8, off
	ds_read_b64 v[12:13], v7
	v_add_u32_e32 v3, 1, v3
	v_cmp_lt_u32_e32 vcc, 2, v3
	v_add_u32_e32 v7, 8, v7
	v_add_u32_e32 v8, 8, v8
	s_or_b64 s[4:5], vcc, s[4:5]
	s_waitcnt vmcnt(0) lgkmcnt(0)
	v_pk_mul_f32 v[14:15], v[12:13], v[10:11] op_sel:[1,1] op_sel_hi:[0,1]
	v_pk_fma_f32 v[16:17], v[12:13], v[10:11], v[14:15] neg_lo:[0,0,1] neg_hi:[0,0,1]
	v_pk_fma_f32 v[10:11], v[12:13], v[10:11], v[14:15] op_sel_hi:[1,0,1]
	s_nop 0
	v_mov_b32_e32 v17, v11
	v_pk_add_f32 v[4:5], v[4:5], v[16:17]
	s_andn2_b64 exec, exec, s[4:5]
	s_cbranch_execnz .LBB93_29
; %bb.30:
	s_or_b64 exec, exec, s[4:5]
	v_mov_b32_e32 v3, 0
	ds_read_b64 v[8:9], v3 offset:32
	s_waitcnt lgkmcnt(0)
	v_pk_mul_f32 v[10:11], v[4:5], v[8:9] op_sel:[1,1] op_sel_hi:[0,1]
	v_pk_fma_f32 v[12:13], v[4:5], v[8:9], v[10:11] neg_lo:[0,0,1] neg_hi:[0,0,1]
	v_pk_fma_f32 v[4:5], v[4:5], v[8:9], v[10:11] op_sel_hi:[1,0,1]
	s_nop 0
	v_mov_b32_e32 v13, v5
	scratch_store_dwordx2 off, v[12:13], off offset:32
.LBB93_31:
	s_or_b64 exec, exec, s[0:1]
	; wave barrier
	scratch_load_dwordx2 v[4:5], off, off offset:40
	v_cmp_gt_u32_e32 vcc, 5, v0
	;; [unrolled: 46-line block ×19, first 2 shown]
	s_waitcnt vmcnt(0)
	ds_write_b64 v1, v[4:5]
	s_waitcnt lgkmcnt(0)
	; wave barrier
	s_and_saveexec_b64 s[0:1], vcc
	s_cbranch_execz .LBB93_103
; %bb.100:
	v_mov_b32_e32 v4, 0
	v_add_u32_e32 v3, -1, v0
	v_add_u32_e32 v7, 0xf0, v2
	v_mov_b32_e32 v8, v2
	s_mov_b64 s[4:5], 0
	v_mov_b32_e32 v5, v4
.LBB93_101:                             ; =>This Inner Loop Header: Depth=1
	scratch_load_dwordx2 v[10:11], v8, off
	ds_read_b64 v[12:13], v7
	v_add_u32_e32 v3, 1, v3
	v_cmp_lt_u32_e32 vcc, 20, v3
	v_add_u32_e32 v7, 8, v7
	v_add_u32_e32 v8, 8, v8
	s_or_b64 s[4:5], vcc, s[4:5]
	s_waitcnt vmcnt(0) lgkmcnt(0)
	v_pk_mul_f32 v[14:15], v[12:13], v[10:11] op_sel:[1,1] op_sel_hi:[0,1]
	v_pk_fma_f32 v[16:17], v[12:13], v[10:11], v[14:15] neg_lo:[0,0,1] neg_hi:[0,0,1]
	v_pk_fma_f32 v[10:11], v[12:13], v[10:11], v[14:15] op_sel_hi:[1,0,1]
	s_nop 0
	v_mov_b32_e32 v17, v11
	v_pk_add_f32 v[4:5], v[4:5], v[16:17]
	s_andn2_b64 exec, exec, s[4:5]
	s_cbranch_execnz .LBB93_101
; %bb.102:
	s_or_b64 exec, exec, s[4:5]
	v_mov_b32_e32 v3, 0
	ds_read_b64 v[8:9], v3 offset:176
	s_waitcnt lgkmcnt(0)
	v_pk_mul_f32 v[10:11], v[4:5], v[8:9] op_sel:[1,1] op_sel_hi:[0,1]
	v_pk_fma_f32 v[12:13], v[4:5], v[8:9], v[10:11] neg_lo:[0,0,1] neg_hi:[0,0,1]
	v_pk_fma_f32 v[4:5], v[4:5], v[8:9], v[10:11] op_sel_hi:[1,0,1]
	s_nop 0
	v_mov_b32_e32 v13, v5
	scratch_store_dwordx2 off, v[12:13], off offset:176
.LBB93_103:
	s_or_b64 exec, exec, s[0:1]
	; wave barrier
	scratch_load_dwordx2 v[4:5], off, off offset:184
	v_cmp_gt_u32_e32 vcc, 23, v0
	s_waitcnt vmcnt(0)
	ds_write_b64 v1, v[4:5]
	s_waitcnt lgkmcnt(0)
	; wave barrier
	s_and_saveexec_b64 s[0:1], vcc
	s_cbranch_execz .LBB93_107
; %bb.104:
	v_mov_b32_e32 v4, 0
	v_add_u32_e32 v3, -1, v0
	v_add_u32_e32 v7, 0xf0, v2
	v_mov_b32_e32 v8, v2
	s_mov_b64 s[4:5], 0
	v_mov_b32_e32 v5, v4
.LBB93_105:                             ; =>This Inner Loop Header: Depth=1
	scratch_load_dwordx2 v[10:11], v8, off
	ds_read_b64 v[12:13], v7
	v_add_u32_e32 v3, 1, v3
	v_cmp_lt_u32_e32 vcc, 21, v3
	v_add_u32_e32 v7, 8, v7
	v_add_u32_e32 v8, 8, v8
	s_or_b64 s[4:5], vcc, s[4:5]
	s_waitcnt vmcnt(0) lgkmcnt(0)
	v_pk_mul_f32 v[14:15], v[12:13], v[10:11] op_sel:[1,1] op_sel_hi:[0,1]
	v_pk_fma_f32 v[16:17], v[12:13], v[10:11], v[14:15] neg_lo:[0,0,1] neg_hi:[0,0,1]
	v_pk_fma_f32 v[10:11], v[12:13], v[10:11], v[14:15] op_sel_hi:[1,0,1]
	s_nop 0
	v_mov_b32_e32 v17, v11
	v_pk_add_f32 v[4:5], v[4:5], v[16:17]
	s_andn2_b64 exec, exec, s[4:5]
	s_cbranch_execnz .LBB93_105
; %bb.106:
	s_or_b64 exec, exec, s[4:5]
	v_mov_b32_e32 v3, 0
	ds_read_b64 v[8:9], v3 offset:184
	s_waitcnt lgkmcnt(0)
	v_pk_mul_f32 v[10:11], v[4:5], v[8:9] op_sel:[1,1] op_sel_hi:[0,1]
	v_pk_fma_f32 v[12:13], v[4:5], v[8:9], v[10:11] neg_lo:[0,0,1] neg_hi:[0,0,1]
	v_pk_fma_f32 v[4:5], v[4:5], v[8:9], v[10:11] op_sel_hi:[1,0,1]
	s_nop 0
	v_mov_b32_e32 v13, v5
	scratch_store_dwordx2 off, v[12:13], off offset:184
.LBB93_107:
	s_or_b64 exec, exec, s[0:1]
	; wave barrier
	scratch_load_dwordx2 v[4:5], off, off offset:192
	v_cmp_gt_u32_e32 vcc, 24, v0
	;; [unrolled: 46-line block ×6, first 2 shown]
	s_waitcnt vmcnt(0)
	ds_write_b64 v1, v[4:5]
	s_waitcnt lgkmcnt(0)
	; wave barrier
	s_and_saveexec_b64 s[0:1], vcc
	s_cbranch_execz .LBB93_127
; %bb.124:
	v_mov_b32_e32 v4, 0
	v_add_u32_e32 v3, -1, v0
	v_add_u32_e32 v7, 0xf0, v2
	v_mov_b32_e32 v8, v2
	s_mov_b64 s[4:5], 0
	v_mov_b32_e32 v5, v4
.LBB93_125:                             ; =>This Inner Loop Header: Depth=1
	scratch_load_dwordx2 v[10:11], v8, off
	ds_read_b64 v[12:13], v7
	v_add_u32_e32 v3, 1, v3
	v_cmp_lt_u32_e32 vcc, 26, v3
	v_add_u32_e32 v7, 8, v7
	v_add_u32_e32 v8, 8, v8
	s_or_b64 s[4:5], vcc, s[4:5]
	s_waitcnt vmcnt(0) lgkmcnt(0)
	v_pk_mul_f32 v[14:15], v[12:13], v[10:11] op_sel:[1,1] op_sel_hi:[0,1]
	v_pk_fma_f32 v[16:17], v[12:13], v[10:11], v[14:15] neg_lo:[0,0,1] neg_hi:[0,0,1]
	v_pk_fma_f32 v[10:11], v[12:13], v[10:11], v[14:15] op_sel_hi:[1,0,1]
	s_nop 0
	v_mov_b32_e32 v17, v11
	v_pk_add_f32 v[4:5], v[4:5], v[16:17]
	s_andn2_b64 exec, exec, s[4:5]
	s_cbranch_execnz .LBB93_125
; %bb.126:
	s_or_b64 exec, exec, s[4:5]
	v_mov_b32_e32 v3, 0
	ds_read_b64 v[8:9], v3 offset:224
	s_waitcnt lgkmcnt(0)
	v_pk_mul_f32 v[10:11], v[4:5], v[8:9] op_sel:[1,1] op_sel_hi:[0,1]
	v_pk_fma_f32 v[12:13], v[4:5], v[8:9], v[10:11] neg_lo:[0,0,1] neg_hi:[0,0,1]
	v_pk_fma_f32 v[4:5], v[4:5], v[8:9], v[10:11] op_sel_hi:[1,0,1]
	s_nop 0
	v_mov_b32_e32 v13, v5
	scratch_store_dwordx2 off, v[12:13], off offset:224
.LBB93_127:
	s_or_b64 exec, exec, s[0:1]
	; wave barrier
	scratch_load_dwordx2 v[4:5], off, off offset:232
	v_cmp_ne_u32_e32 vcc, 29, v0
	s_waitcnt vmcnt(0)
	ds_write_b64 v1, v[4:5]
	s_waitcnt lgkmcnt(0)
	; wave barrier
	s_and_saveexec_b64 s[0:1], vcc
	s_cbranch_execz .LBB93_131
; %bb.128:
	v_add_u32_e32 v1, 0xf0, v2
	v_mov_b32_e32 v4, v2
	v_mov_b32_e32 v2, 0
	s_mov_b64 s[4:5], 0
	v_mov_b32_e32 v3, v2
.LBB93_129:                             ; =>This Inner Loop Header: Depth=1
	scratch_load_dwordx2 v[8:9], v4, off
	ds_read_b64 v[10:11], v1
	v_add_u32_e32 v6, 1, v6
	v_cmp_lt_u32_e32 vcc, 27, v6
	v_add_u32_e32 v1, 8, v1
	v_add_u32_e32 v4, 8, v4
	s_or_b64 s[4:5], vcc, s[4:5]
	s_waitcnt vmcnt(0) lgkmcnt(0)
	v_pk_mul_f32 v[12:13], v[10:11], v[8:9] op_sel:[1,1] op_sel_hi:[0,1]
	v_pk_fma_f32 v[14:15], v[10:11], v[8:9], v[12:13] neg_lo:[0,0,1] neg_hi:[0,0,1]
	v_pk_fma_f32 v[8:9], v[10:11], v[8:9], v[12:13] op_sel_hi:[1,0,1]
	s_nop 0
	v_mov_b32_e32 v15, v9
	v_pk_add_f32 v[2:3], v[2:3], v[14:15]
	s_andn2_b64 exec, exec, s[4:5]
	s_cbranch_execnz .LBB93_129
; %bb.130:
	s_or_b64 exec, exec, s[4:5]
	v_mov_b32_e32 v1, 0
	ds_read_b64 v[4:5], v1 offset:232
	s_waitcnt lgkmcnt(0)
	v_pk_mul_f32 v[6:7], v[2:3], v[4:5] op_sel:[1,1] op_sel_hi:[0,1]
	v_pk_fma_f32 v[8:9], v[2:3], v[4:5], v[6:7] neg_lo:[0,0,1] neg_hi:[0,0,1]
	v_pk_fma_f32 v[2:3], v[2:3], v[4:5], v[6:7] op_sel_hi:[1,0,1]
	s_nop 0
	v_mov_b32_e32 v9, v3
	scratch_store_dwordx2 off, v[8:9], off offset:232
.LBB93_131:
	s_or_b64 exec, exec, s[0:1]
	s_mov_b64 s[4:5], -1
	; wave barrier
.LBB93_132:
	s_and_b64 vcc, exec, s[4:5]
	s_cbranch_vccz .LBB93_134
; %bb.133:
	s_lshl_b64 s[0:1], s[2:3], 2
	s_add_u32 s0, s6, s0
	s_addc_u32 s1, s7, s1
	v_mov_b32_e32 v1, 0
	global_load_dword v1, v1, s[0:1]
	s_waitcnt vmcnt(0)
	v_cmp_ne_u32_e32 vcc, 0, v1
	s_cbranch_vccz .LBB93_135
.LBB93_134:
	s_endpgm
.LBB93_135:
	v_mov_b32_e32 v1, 0xf0
	v_lshl_add_u32 v1, v0, 3, v1
	v_cmp_eq_u32_e32 vcc, 29, v0
	s_and_saveexec_b64 s[0:1], vcc
	s_cbranch_execz .LBB93_137
; %bb.136:
	scratch_load_dwordx2 v[2:3], off, off offset:224
	v_mov_b32_e32 v4, 0
	v_mov_b32_e32 v5, v4
	scratch_store_dwordx2 off, v[4:5], off offset:224
	s_waitcnt vmcnt(1)
	ds_write_b64 v1, v[2:3]
.LBB93_137:
	s_or_b64 exec, exec, s[0:1]
	s_waitcnt lgkmcnt(0)
	; wave barrier
	scratch_load_dwordx2 v[4:5], off, off offset:232
	scratch_load_dwordx2 v[6:7], off, off offset:224
	v_mov_b32_e32 v2, 0
	ds_read_b64 v[8:9], v2 offset:472
	v_cmp_lt_u32_e32 vcc, 27, v0
	s_waitcnt vmcnt(1) lgkmcnt(0)
	v_pk_mul_f32 v[10:11], v[8:9], v[4:5] op_sel:[1,1] op_sel_hi:[0,1]
	v_pk_fma_f32 v[12:13], v[8:9], v[4:5], v[10:11] neg_lo:[0,0,1] neg_hi:[0,0,1]
	v_pk_fma_f32 v[4:5], v[8:9], v[4:5], v[10:11] op_sel_hi:[1,0,1]
	s_nop 0
	v_mov_b32_e32 v13, v5
	v_pk_add_f32 v[4:5], v[12:13], 0 op_sel_hi:[1,0]
	s_waitcnt vmcnt(0)
	v_pk_add_f32 v[4:5], v[6:7], v[4:5] neg_lo:[0,1] neg_hi:[0,1]
	scratch_store_dwordx2 off, v[4:5], off offset:224
	s_and_saveexec_b64 s[0:1], vcc
	s_cbranch_execz .LBB93_139
; %bb.138:
	scratch_load_dwordx2 v[4:5], off, off offset:216
	v_mov_b32_e32 v3, v2
	scratch_store_dwordx2 off, v[2:3], off offset:216
	s_waitcnt vmcnt(1)
	ds_write_b64 v1, v[4:5]
.LBB93_139:
	s_or_b64 exec, exec, s[0:1]
	s_waitcnt lgkmcnt(0)
	; wave barrier
	scratch_load_dwordx4 v[4:7], off, off offset:224
	scratch_load_dwordx2 v[12:13], off, off offset:216
	ds_read_b128 v[8:11], v2 offset:464
	v_cmp_lt_u32_e32 vcc, 26, v0
	s_waitcnt vmcnt(1) lgkmcnt(0)
	v_pk_mul_f32 v[2:3], v[8:9], v[4:5] op_sel:[1,1] op_sel_hi:[0,1]
	v_mov_b32_e32 v14, v7
	v_pk_fma_f32 v[16:17], v[8:9], v[4:5], v[2:3] neg_lo:[0,0,1] neg_hi:[0,0,1]
	v_pk_fma_f32 v[2:3], v[8:9], v[4:5], v[2:3] op_sel_hi:[1,0,1]
	v_pk_mul_f32 v[4:5], v[10:11], v[14:15] op_sel:[1,0] op_sel_hi:[0,0]
	v_mov_b32_e32 v17, v3
	v_pk_fma_f32 v[2:3], v[10:11], v[6:7], v[4:5] neg_lo:[0,0,1] neg_hi:[0,0,1]
	v_pk_fma_f32 v[4:5], v[10:11], v[6:7], v[4:5] op_sel_hi:[1,0,1]
	v_pk_add_f32 v[6:7], v[16:17], 0 op_sel_hi:[1,0]
	v_mov_b32_e32 v3, v5
	v_pk_add_f32 v[2:3], v[6:7], v[2:3]
	s_waitcnt vmcnt(0)
	v_pk_add_f32 v[2:3], v[12:13], v[2:3] neg_lo:[0,1] neg_hi:[0,1]
	scratch_store_dwordx2 off, v[2:3], off offset:216
	s_and_saveexec_b64 s[0:1], vcc
	s_cbranch_execz .LBB93_141
; %bb.140:
	scratch_load_dwordx2 v[2:3], off, off offset:208
	v_mov_b32_e32 v4, 0
	v_mov_b32_e32 v5, v4
	scratch_store_dwordx2 off, v[4:5], off offset:208
	s_waitcnt vmcnt(1)
	ds_write_b64 v1, v[2:3]
.LBB93_141:
	s_or_b64 exec, exec, s[0:1]
	s_waitcnt lgkmcnt(0)
	; wave barrier
	scratch_load_dwordx4 v[4:7], off, off offset:216
	scratch_load_dwordx2 v[12:13], off, off offset:232
	scratch_load_dwordx2 v[14:15], off, off offset:208
	v_mov_b32_e32 v2, 0
	ds_read2_b64 v[8:11], v2 offset0:57 offset1:58
	ds_read_b64 v[16:17], v2 offset:472
	v_cmp_lt_u32_e32 vcc, 25, v0
	s_waitcnt vmcnt(2) lgkmcnt(1)
	v_pk_mul_f32 v[18:19], v[8:9], v[4:5] op_sel:[1,1] op_sel_hi:[0,1]
	v_mov_b32_e32 v20, v7
	v_pk_fma_f32 v[24:25], v[8:9], v[4:5], v[18:19] neg_lo:[0,0,1] neg_hi:[0,0,1]
	v_pk_fma_f32 v[4:5], v[8:9], v[4:5], v[18:19] op_sel_hi:[1,0,1]
	v_pk_mul_f32 v[8:9], v[10:11], v[20:21] op_sel:[1,0] op_sel_hi:[0,0]
	s_waitcnt vmcnt(1) lgkmcnt(0)
	v_pk_mul_f32 v[22:23], v[16:17], v[12:13] op_sel:[1,1] op_sel_hi:[0,1]
	v_mov_b32_e32 v25, v5
	v_pk_fma_f32 v[4:5], v[10:11], v[6:7], v[8:9] neg_lo:[0,0,1] neg_hi:[0,0,1]
	v_pk_fma_f32 v[6:7], v[10:11], v[6:7], v[8:9] op_sel_hi:[1,0,1]
	v_pk_fma_f32 v[18:19], v[16:17], v[12:13], v[22:23] neg_lo:[0,0,1] neg_hi:[0,0,1]
	v_pk_fma_f32 v[12:13], v[16:17], v[12:13], v[22:23] op_sel_hi:[1,0,1]
	v_pk_add_f32 v[8:9], v[24:25], 0 op_sel_hi:[1,0]
	v_mov_b32_e32 v5, v7
	v_mov_b32_e32 v19, v13
	v_pk_add_f32 v[4:5], v[8:9], v[4:5]
	s_nop 0
	v_pk_add_f32 v[4:5], v[4:5], v[18:19]
	s_waitcnt vmcnt(0)
	v_pk_add_f32 v[4:5], v[14:15], v[4:5] neg_lo:[0,1] neg_hi:[0,1]
	scratch_store_dwordx2 off, v[4:5], off offset:208
	s_and_saveexec_b64 s[0:1], vcc
	s_cbranch_execz .LBB93_143
; %bb.142:
	scratch_load_dwordx2 v[4:5], off, off offset:200
	v_mov_b32_e32 v3, v2
	scratch_store_dwordx2 off, v[2:3], off offset:200
	s_waitcnt vmcnt(1)
	ds_write_b64 v1, v[4:5]
.LBB93_143:
	s_or_b64 exec, exec, s[0:1]
	s_waitcnt lgkmcnt(0)
	; wave barrier
	scratch_load_dwordx4 v[4:7], off, off offset:208
	scratch_load_dwordx4 v[8:11], off, off offset:224
	scratch_load_dwordx2 v[20:21], off, off offset:200
	ds_read_b128 v[12:15], v2 offset:448
	ds_read_b128 v[16:19], v2 offset:464
	v_cmp_lt_u32_e32 vcc, 24, v0
	s_waitcnt vmcnt(2) lgkmcnt(1)
	v_pk_mul_f32 v[2:3], v[12:13], v[4:5] op_sel:[1,1] op_sel_hi:[0,1]
	v_mov_b32_e32 v22, v7
	s_waitcnt vmcnt(1) lgkmcnt(0)
	v_pk_mul_f32 v[24:25], v[16:17], v[8:9] op_sel:[1,1] op_sel_hi:[0,1]
	v_mov_b32_e32 v26, v11
	v_pk_fma_f32 v[28:29], v[12:13], v[4:5], v[2:3] neg_lo:[0,0,1] neg_hi:[0,0,1]
	v_pk_fma_f32 v[2:3], v[12:13], v[4:5], v[2:3] op_sel_hi:[1,0,1]
	v_pk_mul_f32 v[4:5], v[14:15], v[22:23] op_sel:[1,0] op_sel_hi:[0,0]
	v_pk_fma_f32 v[12:13], v[16:17], v[8:9], v[24:25] neg_lo:[0,0,1] neg_hi:[0,0,1]
	v_pk_fma_f32 v[8:9], v[16:17], v[8:9], v[24:25] op_sel_hi:[1,0,1]
	v_pk_mul_f32 v[16:17], v[18:19], v[26:27] op_sel:[1,0] op_sel_hi:[0,0]
	v_mov_b32_e32 v29, v3
	v_pk_fma_f32 v[2:3], v[14:15], v[6:7], v[4:5] neg_lo:[0,0,1] neg_hi:[0,0,1]
	v_pk_fma_f32 v[4:5], v[14:15], v[6:7], v[4:5] op_sel_hi:[1,0,1]
	v_mov_b32_e32 v13, v9
	v_pk_fma_f32 v[6:7], v[18:19], v[10:11], v[16:17] neg_lo:[0,0,1] neg_hi:[0,0,1]
	v_pk_fma_f32 v[8:9], v[18:19], v[10:11], v[16:17] op_sel_hi:[1,0,1]
	v_pk_add_f32 v[10:11], v[28:29], 0 op_sel_hi:[1,0]
	v_mov_b32_e32 v3, v5
	v_pk_add_f32 v[2:3], v[10:11], v[2:3]
	v_mov_b32_e32 v7, v9
	v_pk_add_f32 v[2:3], v[2:3], v[12:13]
	s_nop 0
	v_pk_add_f32 v[2:3], v[2:3], v[6:7]
	s_waitcnt vmcnt(0)
	v_pk_add_f32 v[2:3], v[20:21], v[2:3] neg_lo:[0,1] neg_hi:[0,1]
	scratch_store_dwordx2 off, v[2:3], off offset:200
	s_and_saveexec_b64 s[0:1], vcc
	s_cbranch_execz .LBB93_145
; %bb.144:
	scratch_load_dwordx2 v[2:3], off, off offset:192
	v_mov_b32_e32 v4, 0
	v_mov_b32_e32 v5, v4
	scratch_store_dwordx2 off, v[4:5], off offset:192
	s_waitcnt vmcnt(1)
	ds_write_b64 v1, v[2:3]
.LBB93_145:
	s_or_b64 exec, exec, s[0:1]
	s_waitcnt lgkmcnt(0)
	; wave barrier
	scratch_load_dwordx4 v[4:7], off, off offset:200
	scratch_load_dwordx4 v[8:11], off, off offset:216
	scratch_load_dwordx2 v[20:21], off, off offset:232
	scratch_load_dwordx2 v[22:23], off, off offset:192
	v_mov_b32_e32 v2, 0
	ds_read2_b64 v[12:15], v2 offset0:55 offset1:56
	ds_read2_b64 v[16:19], v2 offset0:57 offset1:58
	ds_read_b64 v[24:25], v2 offset:472
	v_cmp_lt_u32_e32 vcc, 23, v0
	s_waitcnt vmcnt(3) lgkmcnt(2)
	v_pk_mul_f32 v[26:27], v[12:13], v[4:5] op_sel:[1,1] op_sel_hi:[0,1]
	v_mov_b32_e32 v28, v7
	v_pk_fma_f32 v[36:37], v[12:13], v[4:5], v[26:27] neg_lo:[0,0,1] neg_hi:[0,0,1]
	v_pk_fma_f32 v[4:5], v[12:13], v[4:5], v[26:27] op_sel_hi:[1,0,1]
	v_pk_mul_f32 v[12:13], v[14:15], v[28:29] op_sel:[1,0] op_sel_hi:[0,0]
	s_waitcnt vmcnt(2) lgkmcnt(1)
	v_pk_mul_f32 v[30:31], v[16:17], v[8:9] op_sel:[1,1] op_sel_hi:[0,1]
	v_mov_b32_e32 v32, v11
	v_mov_b32_e32 v37, v5
	v_pk_fma_f32 v[4:5], v[14:15], v[6:7], v[12:13] neg_lo:[0,0,1] neg_hi:[0,0,1]
	v_pk_fma_f32 v[6:7], v[14:15], v[6:7], v[12:13] op_sel_hi:[1,0,1]
	v_pk_fma_f32 v[26:27], v[16:17], v[8:9], v[30:31] neg_lo:[0,0,1] neg_hi:[0,0,1]
	v_pk_fma_f32 v[8:9], v[16:17], v[8:9], v[30:31] op_sel_hi:[1,0,1]
	v_pk_mul_f32 v[16:17], v[18:19], v[32:33] op_sel:[1,0] op_sel_hi:[0,0]
	v_pk_add_f32 v[12:13], v[36:37], 0 op_sel_hi:[1,0]
	v_mov_b32_e32 v5, v7
	s_waitcnt vmcnt(1) lgkmcnt(0)
	v_pk_mul_f32 v[34:35], v[24:25], v[20:21] op_sel:[1,1] op_sel_hi:[0,1]
	v_mov_b32_e32 v27, v9
	v_pk_fma_f32 v[8:9], v[18:19], v[10:11], v[16:17] neg_lo:[0,0,1] neg_hi:[0,0,1]
	v_pk_fma_f32 v[10:11], v[18:19], v[10:11], v[16:17] op_sel_hi:[1,0,1]
	v_pk_add_f32 v[4:5], v[12:13], v[4:5]
	v_pk_fma_f32 v[28:29], v[24:25], v[20:21], v[34:35] neg_lo:[0,0,1] neg_hi:[0,0,1]
	v_pk_fma_f32 v[20:21], v[24:25], v[20:21], v[34:35] op_sel_hi:[1,0,1]
	v_mov_b32_e32 v9, v11
	v_pk_add_f32 v[4:5], v[4:5], v[26:27]
	v_mov_b32_e32 v29, v21
	v_pk_add_f32 v[4:5], v[4:5], v[8:9]
	s_nop 0
	v_pk_add_f32 v[4:5], v[4:5], v[28:29]
	s_waitcnt vmcnt(0)
	v_pk_add_f32 v[4:5], v[22:23], v[4:5] neg_lo:[0,1] neg_hi:[0,1]
	scratch_store_dwordx2 off, v[4:5], off offset:192
	s_and_saveexec_b64 s[0:1], vcc
	s_cbranch_execz .LBB93_147
; %bb.146:
	scratch_load_dwordx2 v[4:5], off, off offset:184
	v_mov_b32_e32 v3, v2
	scratch_store_dwordx2 off, v[2:3], off offset:184
	s_waitcnt vmcnt(1)
	ds_write_b64 v1, v[4:5]
.LBB93_147:
	s_or_b64 exec, exec, s[0:1]
	s_waitcnt lgkmcnt(0)
	; wave barrier
	scratch_load_dwordx4 v[4:7], off, off offset:192
	scratch_load_dwordx4 v[8:11], off, off offset:208
	scratch_load_dwordx4 v[12:15], off, off offset:224
	scratch_load_dwordx2 v[28:29], off, off offset:184
	ds_read_b128 v[16:19], v2 offset:432
	ds_read_b128 v[20:23], v2 offset:448
	;; [unrolled: 1-line block ×3, first 2 shown]
	v_cmp_lt_u32_e32 vcc, 22, v0
	s_waitcnt vmcnt(3) lgkmcnt(2)
	v_pk_mul_f32 v[2:3], v[16:17], v[4:5] op_sel:[1,1] op_sel_hi:[0,1]
	v_mov_b32_e32 v30, v7
	s_waitcnt vmcnt(2) lgkmcnt(1)
	v_pk_mul_f32 v[32:33], v[20:21], v[8:9] op_sel:[1,1] op_sel_hi:[0,1]
	v_mov_b32_e32 v34, v11
	;; [unrolled: 3-line block ×3, first 2 shown]
	v_pk_fma_f32 v[100:101], v[16:17], v[4:5], v[2:3] neg_lo:[0,0,1] neg_hi:[0,0,1]
	v_pk_fma_f32 v[2:3], v[16:17], v[4:5], v[2:3] op_sel_hi:[1,0,1]
	v_pk_mul_f32 v[4:5], v[18:19], v[30:31] op_sel:[1,0] op_sel_hi:[0,0]
	v_pk_fma_f32 v[16:17], v[20:21], v[8:9], v[32:33] neg_lo:[0,0,1] neg_hi:[0,0,1]
	v_pk_fma_f32 v[8:9], v[20:21], v[8:9], v[32:33] op_sel_hi:[1,0,1]
	v_pk_mul_f32 v[20:21], v[22:23], v[34:35] op_sel:[1,0] op_sel_hi:[0,0]
	;; [unrolled: 3-line block ×3, first 2 shown]
	v_mov_b32_e32 v101, v3
	v_pk_fma_f32 v[2:3], v[18:19], v[6:7], v[4:5] neg_lo:[0,0,1] neg_hi:[0,0,1]
	v_pk_fma_f32 v[4:5], v[18:19], v[6:7], v[4:5] op_sel_hi:[1,0,1]
	v_mov_b32_e32 v17, v9
	v_pk_fma_f32 v[6:7], v[22:23], v[10:11], v[20:21] neg_lo:[0,0,1] neg_hi:[0,0,1]
	v_pk_fma_f32 v[8:9], v[22:23], v[10:11], v[20:21] op_sel_hi:[1,0,1]
	;; [unrolled: 3-line block ×3, first 2 shown]
	v_pk_add_f32 v[14:15], v[100:101], 0 op_sel_hi:[1,0]
	v_mov_b32_e32 v3, v5
	v_pk_add_f32 v[2:3], v[14:15], v[2:3]
	v_mov_b32_e32 v7, v9
	v_pk_add_f32 v[2:3], v[2:3], v[16:17]
	;; [unrolled: 2-line block ×3, first 2 shown]
	s_nop 0
	v_pk_add_f32 v[2:3], v[2:3], v[30:31]
	s_nop 0
	v_pk_add_f32 v[2:3], v[2:3], v[10:11]
	s_waitcnt vmcnt(0)
	v_pk_add_f32 v[2:3], v[28:29], v[2:3] neg_lo:[0,1] neg_hi:[0,1]
	scratch_store_dwordx2 off, v[2:3], off offset:184
	s_and_saveexec_b64 s[0:1], vcc
	s_cbranch_execz .LBB93_149
; %bb.148:
	scratch_load_dwordx2 v[2:3], off, off offset:176
	v_mov_b32_e32 v4, 0
	v_mov_b32_e32 v5, v4
	scratch_store_dwordx2 off, v[4:5], off offset:176
	s_waitcnt vmcnt(1)
	ds_write_b64 v1, v[2:3]
.LBB93_149:
	s_or_b64 exec, exec, s[0:1]
	s_waitcnt lgkmcnt(0)
	; wave barrier
	scratch_load_dwordx4 v[4:7], off, off offset:184
	scratch_load_dwordx4 v[8:11], off, off offset:200
	;; [unrolled: 1-line block ×3, first 2 shown]
	scratch_load_dwordx2 v[28:29], off, off offset:232
	scratch_load_dwordx2 v[30:31], off, off offset:176
	v_mov_b32_e32 v2, 0
	ds_read2_b64 v[16:19], v2 offset0:53 offset1:54
	ds_read2_b64 v[20:23], v2 offset0:55 offset1:56
	;; [unrolled: 1-line block ×3, first 2 shown]
	ds_read_b64 v[32:33], v2 offset:472
	v_cmp_lt_u32_e32 vcc, 21, v0
	s_waitcnt vmcnt(4) lgkmcnt(3)
	v_pk_mul_f32 v[34:35], v[16:17], v[4:5] op_sel:[1,1] op_sel_hi:[0,1]
	v_mov_b32_e32 v36, v7
	v_pk_fma_f32 v[108:109], v[16:17], v[4:5], v[34:35] neg_lo:[0,0,1] neg_hi:[0,0,1]
	v_pk_fma_f32 v[4:5], v[16:17], v[4:5], v[34:35] op_sel_hi:[1,0,1]
	v_pk_mul_f32 v[16:17], v[18:19], v[36:37] op_sel:[1,0] op_sel_hi:[0,0]
	s_waitcnt vmcnt(3) lgkmcnt(2)
	v_pk_mul_f32 v[98:99], v[20:21], v[8:9] op_sel:[1,1] op_sel_hi:[0,1]
	v_mov_b32_e32 v100, v11
	v_mov_b32_e32 v109, v5
	v_pk_fma_f32 v[4:5], v[18:19], v[6:7], v[16:17] neg_lo:[0,0,1] neg_hi:[0,0,1]
	v_pk_fma_f32 v[6:7], v[18:19], v[6:7], v[16:17] op_sel_hi:[1,0,1]
	v_pk_fma_f32 v[34:35], v[20:21], v[8:9], v[98:99] neg_lo:[0,0,1] neg_hi:[0,0,1]
	v_pk_fma_f32 v[8:9], v[20:21], v[8:9], v[98:99] op_sel_hi:[1,0,1]
	v_pk_mul_f32 v[20:21], v[22:23], v[100:101] op_sel:[1,0] op_sel_hi:[0,0]
	v_pk_add_f32 v[16:17], v[108:109], 0 op_sel_hi:[1,0]
	v_mov_b32_e32 v5, v7
	s_waitcnt vmcnt(2) lgkmcnt(1)
	v_pk_mul_f32 v[102:103], v[24:25], v[12:13] op_sel:[1,1] op_sel_hi:[0,1]
	v_mov_b32_e32 v104, v15
	v_mov_b32_e32 v35, v9
	v_pk_fma_f32 v[8:9], v[22:23], v[10:11], v[20:21] neg_lo:[0,0,1] neg_hi:[0,0,1]
	v_pk_fma_f32 v[10:11], v[22:23], v[10:11], v[20:21] op_sel_hi:[1,0,1]
	v_pk_add_f32 v[4:5], v[16:17], v[4:5]
	v_pk_fma_f32 v[36:37], v[24:25], v[12:13], v[102:103] neg_lo:[0,0,1] neg_hi:[0,0,1]
	v_pk_fma_f32 v[12:13], v[24:25], v[12:13], v[102:103] op_sel_hi:[1,0,1]
	v_pk_mul_f32 v[24:25], v[26:27], v[104:105] op_sel:[1,0] op_sel_hi:[0,0]
	v_mov_b32_e32 v9, v11
	v_pk_add_f32 v[4:5], v[4:5], v[34:35]
	s_waitcnt vmcnt(1) lgkmcnt(0)
	v_pk_mul_f32 v[106:107], v[32:33], v[28:29] op_sel:[1,1] op_sel_hi:[0,1]
	v_mov_b32_e32 v37, v13
	v_pk_fma_f32 v[12:13], v[26:27], v[14:15], v[24:25] neg_lo:[0,0,1] neg_hi:[0,0,1]
	v_pk_fma_f32 v[14:15], v[26:27], v[14:15], v[24:25] op_sel_hi:[1,0,1]
	v_pk_add_f32 v[4:5], v[4:5], v[8:9]
	v_pk_fma_f32 v[98:99], v[32:33], v[28:29], v[106:107] neg_lo:[0,0,1] neg_hi:[0,0,1]
	v_pk_fma_f32 v[28:29], v[32:33], v[28:29], v[106:107] op_sel_hi:[1,0,1]
	v_mov_b32_e32 v13, v15
	v_pk_add_f32 v[4:5], v[4:5], v[36:37]
	v_mov_b32_e32 v99, v29
	v_pk_add_f32 v[4:5], v[4:5], v[12:13]
	s_nop 0
	v_pk_add_f32 v[4:5], v[4:5], v[98:99]
	s_waitcnt vmcnt(0)
	v_pk_add_f32 v[4:5], v[30:31], v[4:5] neg_lo:[0,1] neg_hi:[0,1]
	scratch_store_dwordx2 off, v[4:5], off offset:176
	s_and_saveexec_b64 s[0:1], vcc
	s_cbranch_execz .LBB93_151
; %bb.150:
	scratch_load_dwordx2 v[4:5], off, off offset:168
	v_mov_b32_e32 v3, v2
	scratch_store_dwordx2 off, v[2:3], off offset:168
	s_waitcnt vmcnt(1)
	ds_write_b64 v1, v[4:5]
.LBB93_151:
	s_or_b64 exec, exec, s[0:1]
	s_waitcnt lgkmcnt(0)
	; wave barrier
	scratch_load_dwordx4 v[4:7], off, off offset:176
	scratch_load_dwordx4 v[8:11], off, off offset:192
	;; [unrolled: 1-line block ×4, first 2 shown]
	scratch_load_dwordx2 v[36:37], off, off offset:168
	ds_read_b128 v[20:23], v2 offset:416
	ds_read_b128 v[24:27], v2 offset:432
	;; [unrolled: 1-line block ×4, first 2 shown]
	v_cmp_lt_u32_e32 vcc, 20, v0
	s_waitcnt vmcnt(4) lgkmcnt(3)
	v_pk_mul_f32 v[2:3], v[20:21], v[4:5] op_sel:[1,1] op_sel_hi:[0,1]
	v_mov_b32_e32 v98, v7
	s_waitcnt vmcnt(3) lgkmcnt(2)
	v_pk_mul_f32 v[100:101], v[24:25], v[8:9] op_sel:[1,1] op_sel_hi:[0,1]
	v_mov_b32_e32 v102, v11
	;; [unrolled: 3-line block ×4, first 2 shown]
	v_pk_fma_f32 v[112:113], v[20:21], v[4:5], v[2:3] neg_lo:[0,0,1] neg_hi:[0,0,1]
	v_pk_fma_f32 v[2:3], v[20:21], v[4:5], v[2:3] op_sel_hi:[1,0,1]
	v_pk_mul_f32 v[4:5], v[22:23], v[98:99] op_sel:[1,0] op_sel_hi:[0,0]
	v_pk_fma_f32 v[20:21], v[24:25], v[8:9], v[100:101] neg_lo:[0,0,1] neg_hi:[0,0,1]
	v_pk_fma_f32 v[8:9], v[24:25], v[8:9], v[100:101] op_sel_hi:[1,0,1]
	v_pk_mul_f32 v[24:25], v[26:27], v[102:103] op_sel:[1,0] op_sel_hi:[0,0]
	;; [unrolled: 3-line block ×4, first 2 shown]
	v_mov_b32_e32 v113, v3
	v_pk_fma_f32 v[2:3], v[22:23], v[6:7], v[4:5] neg_lo:[0,0,1] neg_hi:[0,0,1]
	v_pk_fma_f32 v[4:5], v[22:23], v[6:7], v[4:5] op_sel_hi:[1,0,1]
	v_mov_b32_e32 v21, v9
	v_pk_fma_f32 v[6:7], v[26:27], v[10:11], v[24:25] neg_lo:[0,0,1] neg_hi:[0,0,1]
	v_pk_fma_f32 v[8:9], v[26:27], v[10:11], v[24:25] op_sel_hi:[1,0,1]
	;; [unrolled: 3-line block ×4, first 2 shown]
	v_pk_add_f32 v[18:19], v[112:113], 0 op_sel_hi:[1,0]
	v_mov_b32_e32 v3, v5
	v_pk_add_f32 v[2:3], v[18:19], v[2:3]
	v_mov_b32_e32 v7, v9
	v_pk_add_f32 v[2:3], v[2:3], v[20:21]
	;; [unrolled: 2-line block ×4, first 2 shown]
	s_nop 0
	v_pk_add_f32 v[2:3], v[2:3], v[10:11]
	s_nop 0
	v_pk_add_f32 v[2:3], v[2:3], v[100:101]
	;; [unrolled: 2-line block ×3, first 2 shown]
	s_waitcnt vmcnt(0)
	v_pk_add_f32 v[2:3], v[36:37], v[2:3] neg_lo:[0,1] neg_hi:[0,1]
	scratch_store_dwordx2 off, v[2:3], off offset:168
	s_and_saveexec_b64 s[0:1], vcc
	s_cbranch_execz .LBB93_153
; %bb.152:
	scratch_load_dwordx2 v[2:3], off, off offset:160
	v_mov_b32_e32 v4, 0
	v_mov_b32_e32 v5, v4
	scratch_store_dwordx2 off, v[4:5], off offset:160
	s_waitcnt vmcnt(1)
	ds_write_b64 v1, v[2:3]
.LBB93_153:
	s_or_b64 exec, exec, s[0:1]
	s_waitcnt lgkmcnt(0)
	; wave barrier
	scratch_load_dwordx4 v[4:7], off, off offset:168
	scratch_load_dwordx4 v[8:11], off, off offset:184
	;; [unrolled: 1-line block ×4, first 2 shown]
	scratch_load_dwordx2 v[36:37], off, off offset:232
	scratch_load_dwordx2 v[98:99], off, off offset:160
	v_mov_b32_e32 v2, 0
	ds_read2_b64 v[20:23], v2 offset0:51 offset1:52
	ds_read2_b64 v[24:27], v2 offset0:53 offset1:54
	;; [unrolled: 1-line block ×4, first 2 shown]
	ds_read_b64 v[100:101], v2 offset:472
	v_cmp_lt_u32_e32 vcc, 19, v0
	s_waitcnt vmcnt(5) lgkmcnt(4)
	v_mul_f32_e32 v103, v20, v5
	v_mul_f32_e32 v3, v21, v5
	v_mov_b32_e32 v104, v7
	s_waitcnt vmcnt(4) lgkmcnt(3)
	v_pk_mul_f32 v[106:107], v[24:25], v[8:9] op_sel:[1,1] op_sel_hi:[0,1]
	v_mov_b32_e32 v108, v11
	s_waitcnt vmcnt(1) lgkmcnt(0)
	v_pk_mul_f32 v[118:119], v[100:101], v[36:37] op_sel:[1,1] op_sel_hi:[0,1]
	v_fmac_f32_e32 v103, v21, v4
	v_fma_f32 v102, v20, v4, -v3
	v_pk_mul_f32 v[4:5], v[22:23], v[104:105] op_sel:[1,0] op_sel_hi:[0,0]
	v_pk_fma_f32 v[20:21], v[24:25], v[8:9], v[106:107] neg_lo:[0,0,1] neg_hi:[0,0,1]
	v_pk_fma_f32 v[8:9], v[24:25], v[8:9], v[106:107] op_sel_hi:[1,0,1]
	v_pk_mul_f32 v[24:25], v[26:27], v[108:109] op_sel:[1,0] op_sel_hi:[0,0]
	v_pk_fma_f32 v[108:109], v[100:101], v[36:37], v[118:119] neg_lo:[0,0,1] neg_hi:[0,0,1]
	v_pk_fma_f32 v[36:37], v[100:101], v[36:37], v[118:119] op_sel_hi:[1,0,1]
	v_pk_add_f32 v[100:101], v[102:103], 0 op_sel_hi:[1,0]
	v_pk_fma_f32 v[102:103], v[22:23], v[6:7], v[4:5] neg_lo:[0,0,1] neg_hi:[0,0,1]
	v_pk_fma_f32 v[4:5], v[22:23], v[6:7], v[4:5] op_sel_hi:[1,0,1]
	v_pk_mul_f32 v[110:111], v[28:29], v[12:13] op_sel:[1,1] op_sel_hi:[0,1]
	v_mov_b32_e32 v103, v5
	v_mov_b32_e32 v112, v15
	;; [unrolled: 1-line block ×3, first 2 shown]
	v_pk_fma_f32 v[6:7], v[26:27], v[10:11], v[24:25] neg_lo:[0,0,1] neg_hi:[0,0,1]
	v_pk_fma_f32 v[8:9], v[26:27], v[10:11], v[24:25] op_sel_hi:[1,0,1]
	v_pk_add_f32 v[4:5], v[100:101], v[102:103]
	v_pk_fma_f32 v[104:105], v[28:29], v[12:13], v[110:111] neg_lo:[0,0,1] neg_hi:[0,0,1]
	v_pk_fma_f32 v[12:13], v[28:29], v[12:13], v[110:111] op_sel_hi:[1,0,1]
	v_pk_mul_f32 v[28:29], v[30:31], v[112:113] op_sel:[1,0] op_sel_hi:[0,0]
	v_mov_b32_e32 v7, v9
	v_pk_add_f32 v[4:5], v[4:5], v[20:21]
	v_pk_mul_f32 v[114:115], v[32:33], v[16:17] op_sel:[1,1] op_sel_hi:[0,1]
	v_mov_b32_e32 v116, v19
	v_mov_b32_e32 v105, v13
	v_pk_fma_f32 v[10:11], v[30:31], v[14:15], v[28:29] neg_lo:[0,0,1] neg_hi:[0,0,1]
	v_pk_fma_f32 v[12:13], v[30:31], v[14:15], v[28:29] op_sel_hi:[1,0,1]
	v_pk_add_f32 v[4:5], v[4:5], v[6:7]
	v_pk_fma_f32 v[106:107], v[32:33], v[16:17], v[114:115] neg_lo:[0,0,1] neg_hi:[0,0,1]
	v_pk_fma_f32 v[16:17], v[32:33], v[16:17], v[114:115] op_sel_hi:[1,0,1]
	v_pk_mul_f32 v[32:33], v[34:35], v[116:117] op_sel:[1,0] op_sel_hi:[0,0]
	v_mov_b32_e32 v11, v13
	v_pk_add_f32 v[4:5], v[4:5], v[104:105]
	v_mov_b32_e32 v107, v17
	v_pk_fma_f32 v[14:15], v[34:35], v[18:19], v[32:33] neg_lo:[0,0,1] neg_hi:[0,0,1]
	v_pk_fma_f32 v[16:17], v[34:35], v[18:19], v[32:33] op_sel_hi:[1,0,1]
	v_pk_add_f32 v[4:5], v[4:5], v[10:11]
	v_mov_b32_e32 v15, v17
	v_pk_add_f32 v[4:5], v[4:5], v[106:107]
	v_mov_b32_e32 v109, v37
	v_pk_add_f32 v[4:5], v[4:5], v[14:15]
	s_nop 0
	v_pk_add_f32 v[4:5], v[4:5], v[108:109]
	s_waitcnt vmcnt(0)
	v_pk_add_f32 v[4:5], v[98:99], v[4:5] neg_lo:[0,1] neg_hi:[0,1]
	scratch_store_dwordx2 off, v[4:5], off offset:160
	s_and_saveexec_b64 s[0:1], vcc
	s_cbranch_execz .LBB93_155
; %bb.154:
	scratch_load_dwordx2 v[4:5], off, off offset:152
	v_mov_b32_e32 v3, v2
	scratch_store_dwordx2 off, v[2:3], off offset:152
	s_waitcnt vmcnt(1)
	ds_write_b64 v1, v[4:5]
.LBB93_155:
	s_or_b64 exec, exec, s[0:1]
	s_waitcnt lgkmcnt(0)
	; wave barrier
	scratch_load_dwordx4 v[4:7], off, off offset:160
	scratch_load_dwordx4 v[8:11], off, off offset:176
	;; [unrolled: 1-line block ×5, first 2 shown]
	scratch_load_dwordx2 v[36:37], off, off offset:152
	ds_read_b128 v[24:27], v2 offset:400
	ds_read_b128 v[28:31], v2 offset:416
	;; [unrolled: 1-line block ×5, first 2 shown]
	v_cmp_lt_u32_e32 vcc, 18, v0
	s_waitcnt vmcnt(5) lgkmcnt(4)
	v_mul_f32_e32 v3, v24, v5
	v_mul_f32_e32 v2, v25, v5
	;; [unrolled: 1-line block ×4, first 2 shown]
	s_waitcnt vmcnt(4) lgkmcnt(3)
	v_pk_mul_f32 v[108:109], v[28:29], v[8:9] op_sel:[1,1] op_sel_hi:[0,1]
	v_mov_b32_e32 v110, v11
	v_fmac_f32_e32 v3, v25, v4
	v_fma_f32 v2, v24, v4, -v2
	v_fmac_f32_e32 v107, v27, v6
	v_fma_f32 v106, v26, v6, -v5
	v_pk_fma_f32 v[4:5], v[28:29], v[8:9], v[108:109] neg_lo:[0,0,1] neg_hi:[0,0,1]
	v_pk_fma_f32 v[6:7], v[28:29], v[8:9], v[108:109] op_sel_hi:[1,0,1]
	v_pk_mul_f32 v[8:9], v[30:31], v[110:111] op_sel:[1,0] op_sel_hi:[0,0]
	v_pk_add_f32 v[2:3], v[2:3], 0 op_sel_hi:[1,0]
	s_waitcnt vmcnt(3) lgkmcnt(2)
	v_pk_mul_f32 v[112:113], v[32:33], v[12:13] op_sel:[1,1] op_sel_hi:[0,1]
	v_mov_b32_e32 v114, v15
	v_mov_b32_e32 v5, v7
	v_pk_fma_f32 v[6:7], v[30:31], v[10:11], v[8:9] neg_lo:[0,0,1] neg_hi:[0,0,1]
	v_pk_fma_f32 v[8:9], v[30:31], v[10:11], v[8:9] op_sel_hi:[1,0,1]
	v_pk_add_f32 v[2:3], v[2:3], v[106:107]
	v_pk_fma_f32 v[24:25], v[32:33], v[12:13], v[112:113] neg_lo:[0,0,1] neg_hi:[0,0,1]
	v_pk_fma_f32 v[12:13], v[32:33], v[12:13], v[112:113] op_sel_hi:[1,0,1]
	v_pk_mul_f32 v[26:27], v[34:35], v[114:115] op_sel:[1,0] op_sel_hi:[0,0]
	v_mov_b32_e32 v7, v9
	v_pk_add_f32 v[2:3], v[2:3], v[4:5]
	s_waitcnt vmcnt(2) lgkmcnt(1)
	v_pk_mul_f32 v[116:117], v[98:99], v[16:17] op_sel:[1,1] op_sel_hi:[0,1]
	v_mov_b32_e32 v118, v19
	v_mov_b32_e32 v25, v13
	v_pk_fma_f32 v[10:11], v[34:35], v[14:15], v[26:27] neg_lo:[0,0,1] neg_hi:[0,0,1]
	v_pk_fma_f32 v[12:13], v[34:35], v[14:15], v[26:27] op_sel_hi:[1,0,1]
	v_pk_add_f32 v[2:3], v[2:3], v[6:7]
	v_pk_fma_f32 v[28:29], v[98:99], v[16:17], v[116:117] neg_lo:[0,0,1] neg_hi:[0,0,1]
	v_pk_fma_f32 v[16:17], v[98:99], v[16:17], v[116:117] op_sel_hi:[1,0,1]
	v_pk_mul_f32 v[32:33], v[100:101], v[118:119] op_sel:[1,0] op_sel_hi:[0,0]
	v_mov_b32_e32 v11, v13
	v_pk_add_f32 v[2:3], v[2:3], v[24:25]
	;; [unrolled: 12-line block ×3, first 2 shown]
	v_mov_b32_e32 v99, v21
	v_pk_fma_f32 v[18:19], v[104:105], v[22:23], v[102:103] neg_lo:[0,0,1] neg_hi:[0,0,1]
	v_pk_fma_f32 v[20:21], v[104:105], v[22:23], v[102:103] op_sel_hi:[1,0,1]
	v_pk_add_f32 v[2:3], v[2:3], v[14:15]
	v_mov_b32_e32 v19, v21
	v_pk_add_f32 v[2:3], v[2:3], v[98:99]
	s_nop 0
	v_pk_add_f32 v[2:3], v[2:3], v[18:19]
	s_waitcnt vmcnt(0)
	v_pk_add_f32 v[2:3], v[36:37], v[2:3] neg_lo:[0,1] neg_hi:[0,1]
	scratch_store_dwordx2 off, v[2:3], off offset:152
	s_and_saveexec_b64 s[0:1], vcc
	s_cbranch_execz .LBB93_157
; %bb.156:
	scratch_load_dwordx2 v[2:3], off, off offset:144
	v_mov_b32_e32 v4, 0
	v_mov_b32_e32 v5, v4
	scratch_store_dwordx2 off, v[4:5], off offset:144
	s_waitcnt vmcnt(1)
	ds_write_b64 v1, v[2:3]
.LBB93_157:
	s_or_b64 exec, exec, s[0:1]
	s_waitcnt lgkmcnt(0)
	; wave barrier
	scratch_load_dwordx4 v[4:7], off, off offset:152
	scratch_load_dwordx4 v[8:11], off, off offset:168
	;; [unrolled: 1-line block ×5, first 2 shown]
	scratch_load_dwordx2 v[36:37], off, off offset:232
	scratch_load_dwordx2 v[106:107], off, off offset:144
	v_mov_b32_e32 v2, 0
	ds_read2_b64 v[24:27], v2 offset0:49 offset1:50
	ds_read2_b64 v[28:31], v2 offset0:51 offset1:52
	;; [unrolled: 1-line block ×5, first 2 shown]
	ds_read_b64 v[108:109], v2 offset:472
	v_cmp_lt_u32_e32 vcc, 17, v0
	s_waitcnt vmcnt(6) lgkmcnt(5)
	v_mul_f32_e32 v3, v24, v5
	v_mul_f32_e32 v5, v25, v5
	;; [unrolled: 1-line block ×3, first 2 shown]
	s_waitcnt vmcnt(5) lgkmcnt(4)
	v_mul_f32_e32 v113, v28, v9
	v_mul_f32_e32 v7, v27, v7
	;; [unrolled: 1-line block ×3, first 2 shown]
	v_mov_b32_e32 v114, v11
	s_waitcnt vmcnt(2) lgkmcnt(1)
	v_pk_mul_f32 v[124:125], v[102:103], v[20:21] op_sel:[1,1] op_sel_hi:[0,1]
	v_fmac_f32_e32 v3, v25, v4
	v_fma_f32 v115, v24, v4, -v5
	v_pk_mul_f32 v[120:121], v[98:99], v[16:17] op_sel:[1,1] op_sel_hi:[0,1]
	s_waitcnt vmcnt(1) lgkmcnt(0)
	v_pk_mul_f32 v[128:129], v[108:109], v[36:37] op_sel:[1,1] op_sel_hi:[0,1]
	v_fmac_f32_e32 v111, v27, v6
	v_fmac_f32_e32 v113, v29, v8
	v_fma_f32 v110, v26, v6, -v7
	v_fma_f32 v112, v28, v8, -v9
	v_pk_mul_f32 v[4:5], v[30:31], v[114:115] op_sel:[1,0] op_sel_hi:[0,0]
	v_pk_fma_f32 v[28:29], v[102:103], v[20:21], v[124:125] neg_lo:[0,0,1] neg_hi:[0,0,1]
	v_pk_fma_f32 v[20:21], v[102:103], v[20:21], v[124:125] op_sel_hi:[1,0,1]
	v_add_f32_e32 v103, 0, v3
	v_add_f32_e32 v102, 0, v115
	v_pk_mul_f32 v[116:117], v[32:33], v[12:13] op_sel:[1,1] op_sel_hi:[0,1]
	v_mov_b32_e32 v118, v15
	v_pk_fma_f32 v[24:25], v[98:99], v[16:17], v[120:121] neg_lo:[0,0,1] neg_hi:[0,0,1]
	v_pk_fma_f32 v[16:17], v[98:99], v[16:17], v[120:121] op_sel_hi:[1,0,1]
	v_pk_fma_f32 v[98:99], v[108:109], v[36:37], v[128:129] neg_lo:[0,0,1] neg_hi:[0,0,1]
	v_pk_fma_f32 v[36:37], v[108:109], v[36:37], v[128:129] op_sel_hi:[1,0,1]
	;; [unrolled: 2-line block ×3, first 2 shown]
	v_mov_b32_e32 v29, v21
	v_pk_add_f32 v[20:21], v[102:103], v[110:111]
	v_pk_fma_f32 v[6:7], v[32:33], v[12:13], v[116:117] neg_lo:[0,0,1] neg_hi:[0,0,1]
	v_pk_fma_f32 v[8:9], v[32:33], v[12:13], v[116:117] op_sel_hi:[1,0,1]
	v_pk_mul_f32 v[12:13], v[34:35], v[118:119] op_sel:[1,0] op_sel_hi:[0,0]
	v_mov_b32_e32 v109, v5
	v_pk_add_f32 v[4:5], v[20:21], v[112:113]
	v_mov_b32_e32 v122, v19
	v_mov_b32_e32 v7, v9
	v_pk_fma_f32 v[8:9], v[34:35], v[14:15], v[12:13] neg_lo:[0,0,1] neg_hi:[0,0,1]
	v_pk_fma_f32 v[10:11], v[34:35], v[14:15], v[12:13] op_sel_hi:[1,0,1]
	v_pk_add_f32 v[4:5], v[4:5], v[108:109]
	v_pk_mul_f32 v[26:27], v[100:101], v[122:123] op_sel:[1,0] op_sel_hi:[0,0]
	v_mov_b32_e32 v9, v11
	v_pk_add_f32 v[4:5], v[4:5], v[6:7]
	v_mov_b32_e32 v126, v23
	v_mov_b32_e32 v25, v17
	v_pk_fma_f32 v[12:13], v[100:101], v[18:19], v[26:27] neg_lo:[0,0,1] neg_hi:[0,0,1]
	v_pk_fma_f32 v[14:15], v[100:101], v[18:19], v[26:27] op_sel_hi:[1,0,1]
	v_pk_add_f32 v[4:5], v[4:5], v[8:9]
	v_pk_mul_f32 v[32:33], v[104:105], v[126:127] op_sel:[1,0] op_sel_hi:[0,0]
	v_mov_b32_e32 v13, v15
	v_pk_add_f32 v[4:5], v[4:5], v[24:25]
	v_pk_fma_f32 v[16:17], v[104:105], v[22:23], v[32:33] neg_lo:[0,0,1] neg_hi:[0,0,1]
	v_pk_fma_f32 v[18:19], v[104:105], v[22:23], v[32:33] op_sel_hi:[1,0,1]
	v_pk_add_f32 v[4:5], v[4:5], v[12:13]
	v_mov_b32_e32 v17, v19
	v_pk_add_f32 v[4:5], v[4:5], v[28:29]
	v_mov_b32_e32 v99, v37
	v_pk_add_f32 v[4:5], v[4:5], v[16:17]
	s_nop 0
	v_pk_add_f32 v[4:5], v[4:5], v[98:99]
	s_waitcnt vmcnt(0)
	v_pk_add_f32 v[4:5], v[106:107], v[4:5] neg_lo:[0,1] neg_hi:[0,1]
	scratch_store_dwordx2 off, v[4:5], off offset:144
	s_and_saveexec_b64 s[0:1], vcc
	s_cbranch_execz .LBB93_159
; %bb.158:
	scratch_load_dwordx2 v[4:5], off, off offset:136
	v_mov_b32_e32 v3, v2
	scratch_store_dwordx2 off, v[2:3], off offset:136
	s_waitcnt vmcnt(1)
	ds_write_b64 v1, v[4:5]
.LBB93_159:
	s_or_b64 exec, exec, s[0:1]
	s_waitcnt lgkmcnt(0)
	; wave barrier
	scratch_load_dwordx4 v[4:7], off, off offset:144
	scratch_load_dwordx4 v[8:11], off, off offset:160
	;; [unrolled: 1-line block ×6, first 2 shown]
	scratch_load_dwordx2 v[36:37], off, off offset:136
	ds_read_b128 v[28:31], v2 offset:384
	ds_read_b128 v[32:35], v2 offset:400
	;; [unrolled: 1-line block ×6, first 2 shown]
	v_cmp_lt_u32_e32 vcc, 16, v0
	s_waitcnt vmcnt(6) lgkmcnt(5)
	v_mul_f32_e32 v119, v28, v5
	v_mul_f32_e32 v123, v30, v7
	s_waitcnt vmcnt(5) lgkmcnt(4)
	v_mul_f32_e32 v3, v32, v9
	v_mul_f32_e32 v2, v29, v5
	;; [unrolled: 1-line block ×4, first 2 shown]
	s_waitcnt vmcnt(1) lgkmcnt(0)
	v_pk_mul_f32 v[128:129], v[110:111], v[24:25] op_sel:[1,1] op_sel_hi:[0,1]
	v_pk_mul_f32 v[116:117], v[98:99], v[12:13] op_sel:[1,1] op_sel_hi:[0,1]
	v_fmac_f32_e32 v119, v29, v4
	v_fmac_f32_e32 v3, v33, v8
	v_fma_f32 v127, v28, v4, -v2
	v_fma_f32 v2, v32, v8, -v7
	v_pk_fma_f32 v[32:33], v[110:111], v[24:25], v[128:129] neg_lo:[0,0,1] neg_hi:[0,0,1]
	v_pk_fma_f32 v[24:25], v[110:111], v[24:25], v[128:129] op_sel_hi:[1,0,1]
	v_fmac_f32_e32 v123, v31, v6
	v_fma_f32 v131, v30, v6, -v5
	v_pk_fma_f32 v[4:5], v[98:99], v[12:13], v[116:117] neg_lo:[0,0,1] neg_hi:[0,0,1]
	v_pk_fma_f32 v[6:7], v[98:99], v[12:13], v[116:117] op_sel_hi:[1,0,1]
	v_add_f32_e32 v24, 0, v119
	v_add_f32_e32 v98, 0, v127
	v_mul_f32_e32 v115, v34, v11
	v_mul_f32_e32 v9, v35, v11
	v_mov_b32_e32 v118, v15
	v_mov_b32_e32 v33, v25
	v_add_f32_e32 v25, v24, v123
	v_add_f32_e32 v24, v98, v131
	v_fmac_f32_e32 v115, v35, v10
	v_fma_f32 v114, v34, v10, -v9
	v_pk_mul_f32 v[8:9], v[100:101], v[118:119] op_sel:[1,0] op_sel_hi:[0,0]
	v_pk_add_f32 v[2:3], v[24:25], v[2:3]
	v_pk_mul_f32 v[120:121], v[102:103], v[16:17] op_sel:[1,1] op_sel_hi:[0,1]
	v_mov_b32_e32 v122, v19
	v_mov_b32_e32 v5, v7
	v_pk_fma_f32 v[6:7], v[100:101], v[14:15], v[8:9] neg_lo:[0,0,1] neg_hi:[0,0,1]
	v_pk_fma_f32 v[8:9], v[100:101], v[14:15], v[8:9] op_sel_hi:[1,0,1]
	v_pk_add_f32 v[2:3], v[2:3], v[114:115]
	v_pk_fma_f32 v[10:11], v[102:103], v[16:17], v[120:121] neg_lo:[0,0,1] neg_hi:[0,0,1]
	v_pk_fma_f32 v[12:13], v[102:103], v[16:17], v[120:121] op_sel_hi:[1,0,1]
	v_pk_mul_f32 v[16:17], v[104:105], v[122:123] op_sel:[1,0] op_sel_hi:[0,0]
	v_mov_b32_e32 v7, v9
	v_pk_add_f32 v[2:3], v[2:3], v[4:5]
	v_pk_mul_f32 v[124:125], v[106:107], v[20:21] op_sel:[1,1] op_sel_hi:[0,1]
	v_mov_b32_e32 v126, v23
	v_mov_b32_e32 v11, v13
	v_pk_fma_f32 v[12:13], v[104:105], v[18:19], v[16:17] neg_lo:[0,0,1] neg_hi:[0,0,1]
	v_pk_fma_f32 v[14:15], v[104:105], v[18:19], v[16:17] op_sel_hi:[1,0,1]
	v_pk_add_f32 v[2:3], v[2:3], v[6:7]
	v_pk_fma_f32 v[28:29], v[106:107], v[20:21], v[124:125] neg_lo:[0,0,1] neg_hi:[0,0,1]
	v_pk_fma_f32 v[20:21], v[106:107], v[20:21], v[124:125] op_sel_hi:[1,0,1]
	v_pk_mul_f32 v[30:31], v[108:109], v[126:127] op_sel:[1,0] op_sel_hi:[0,0]
	v_mov_b32_e32 v13, v15
	v_pk_add_f32 v[2:3], v[2:3], v[10:11]
	v_mov_b32_e32 v130, v27
	v_mov_b32_e32 v29, v21
	v_pk_fma_f32 v[16:17], v[108:109], v[22:23], v[30:31] neg_lo:[0,0,1] neg_hi:[0,0,1]
	v_pk_fma_f32 v[18:19], v[108:109], v[22:23], v[30:31] op_sel_hi:[1,0,1]
	v_pk_add_f32 v[2:3], v[2:3], v[12:13]
	v_pk_mul_f32 v[34:35], v[112:113], v[130:131] op_sel:[1,0] op_sel_hi:[0,0]
	v_mov_b32_e32 v17, v19
	v_pk_add_f32 v[2:3], v[2:3], v[28:29]
	v_pk_fma_f32 v[20:21], v[112:113], v[26:27], v[34:35] neg_lo:[0,0,1] neg_hi:[0,0,1]
	v_pk_fma_f32 v[22:23], v[112:113], v[26:27], v[34:35] op_sel_hi:[1,0,1]
	v_pk_add_f32 v[2:3], v[2:3], v[16:17]
	v_mov_b32_e32 v21, v23
	v_pk_add_f32 v[2:3], v[2:3], v[32:33]
	s_nop 0
	v_pk_add_f32 v[2:3], v[2:3], v[20:21]
	s_waitcnt vmcnt(0)
	v_pk_add_f32 v[2:3], v[36:37], v[2:3] neg_lo:[0,1] neg_hi:[0,1]
	scratch_store_dwordx2 off, v[2:3], off offset:136
	s_and_saveexec_b64 s[0:1], vcc
	s_cbranch_execz .LBB93_161
; %bb.160:
	scratch_load_dwordx2 v[2:3], off, off offset:128
	v_mov_b32_e32 v4, 0
	v_mov_b32_e32 v5, v4
	scratch_store_dwordx2 off, v[4:5], off offset:128
	s_waitcnt vmcnt(1)
	ds_write_b64 v1, v[2:3]
.LBB93_161:
	s_or_b64 exec, exec, s[0:1]
	s_waitcnt lgkmcnt(0)
	; wave barrier
	scratch_load_dwordx4 v[8:11], off, off offset:136
	scratch_load_dwordx4 v[16:19], off, off offset:152
	v_mov_b32_e32 v2, 0
	ds_read2_b64 v[4:7], v2 offset0:47 offset1:48
	scratch_load_dwordx4 v[24:27], off, off offset:168
	v_cmp_lt_u32_e32 vcc, 15, v0
	s_waitcnt vmcnt(2) lgkmcnt(0)
	v_mul_f32_e32 v3, v4, v9
	v_fmac_f32_e32 v3, v5, v8
	v_mul_f32_e32 v12, v6, v11
	v_add_f32_e32 v3, 0, v3
	v_fmac_f32_e32 v12, v7, v10
	v_add_f32_e32 v3, v3, v12
	ds_read2_b64 v[12:15], v2 offset0:49 offset1:50
	s_waitcnt vmcnt(1) lgkmcnt(0)
	v_mul_f32_e32 v20, v12, v17
	v_fmac_f32_e32 v20, v13, v16
	v_add_f32_e32 v37, v3, v20
	ds_read2_b64 v[20:23], v2 offset0:51 offset1:52
	scratch_load_dwordx4 v[28:31], off, off offset:184
	scratch_load_dwordx4 v[32:35], off, off offset:200
	;; [unrolled: 1-line block ×3, first 2 shown]
	scratch_load_dwordx2 v[106:107], off, off offset:232
	v_mul_f32_e32 v3, v5, v9
	v_fma_f32 v3, v4, v8, -v3
	v_mul_f32_e32 v4, v7, v11
	v_add_f32_e32 v3, 0, v3
	v_fma_f32 v4, v6, v10, -v4
	v_add_f32_e32 v3, v3, v4
	v_mul_f32_e32 v4, v13, v17
	v_fma_f32 v4, v12, v16, -v4
	v_add_f32_e32 v36, v3, v4
	v_mul_f32_e32 v3, v15, v19
	v_fma_f32 v102, v14, v18, -v3
	s_waitcnt vmcnt(4) lgkmcnt(0)
	v_mul_f32_e32 v3, v21, v25
	v_mul_f32_e32 v103, v14, v19
	;; [unrolled: 1-line block ×3, first 2 shown]
	v_fma_f32 v104, v20, v24, -v3
	v_mov_b32_e32 v20, v27
	v_fmac_f32_e32 v103, v15, v18
	v_fmac_f32_e32 v105, v21, v24
	ds_read2_b64 v[4:7], v2 offset0:53 offset1:54
	ds_read2_b64 v[8:11], v2 offset0:55 offset1:56
	;; [unrolled: 1-line block ×3, first 2 shown]
	ds_read_b64 v[16:17], v2 offset:472
	v_pk_mul_f32 v[20:21], v[22:23], v[20:21] op_sel:[1,0] op_sel_hi:[0,0]
	v_pk_fma_f32 v[24:25], v[22:23], v[26:27], v[20:21] neg_lo:[0,0,1] neg_hi:[0,0,1]
	v_pk_fma_f32 v[20:21], v[22:23], v[26:27], v[20:21] op_sel_hi:[1,0,1]
	v_pk_add_f32 v[18:19], v[36:37], v[102:103]
	v_mov_b32_e32 v25, v21
	v_pk_add_f32 v[18:19], v[18:19], v[104:105]
	s_waitcnt vmcnt(3) lgkmcnt(3)
	v_pk_mul_f32 v[20:21], v[4:5], v[28:29] op_sel:[1,1] op_sel_hi:[0,1]
	v_pk_fma_f32 v[22:23], v[4:5], v[28:29], v[20:21] neg_lo:[0,0,1] neg_hi:[0,0,1]
	v_pk_fma_f32 v[4:5], v[4:5], v[28:29], v[20:21] op_sel_hi:[1,0,1]
	v_pk_add_f32 v[18:19], v[18:19], v[24:25]
	v_mov_b32_e32 v23, v5
	v_pk_add_f32 v[4:5], v[18:19], v[22:23]
	v_mov_b32_e32 v18, v31
	v_pk_mul_f32 v[18:19], v[6:7], v[18:19] op_sel:[1,0] op_sel_hi:[0,0]
	v_pk_fma_f32 v[20:21], v[6:7], v[30:31], v[18:19] neg_lo:[0,0,1] neg_hi:[0,0,1]
	v_pk_fma_f32 v[6:7], v[6:7], v[30:31], v[18:19] op_sel_hi:[1,0,1]
	s_nop 0
	v_mov_b32_e32 v21, v7
	s_waitcnt vmcnt(2) lgkmcnt(2)
	v_pk_mul_f32 v[6:7], v[8:9], v[32:33] op_sel:[1,1] op_sel_hi:[0,1]
	v_pk_fma_f32 v[18:19], v[8:9], v[32:33], v[6:7] neg_lo:[0,0,1] neg_hi:[0,0,1]
	v_pk_fma_f32 v[6:7], v[8:9], v[32:33], v[6:7] op_sel_hi:[1,0,1]
	v_pk_add_f32 v[4:5], v[4:5], v[20:21]
	v_mov_b32_e32 v6, v35
	v_mov_b32_e32 v19, v7
	v_pk_mul_f32 v[6:7], v[10:11], v[6:7] op_sel:[1,0] op_sel_hi:[0,0]
	v_pk_fma_f32 v[8:9], v[10:11], v[34:35], v[6:7] neg_lo:[0,0,1] neg_hi:[0,0,1]
	v_pk_fma_f32 v[6:7], v[10:11], v[34:35], v[6:7] op_sel_hi:[1,0,1]
	v_pk_add_f32 v[4:5], v[4:5], v[18:19]
	v_mov_b32_e32 v9, v7
	s_waitcnt vmcnt(1) lgkmcnt(1)
	v_pk_mul_f32 v[6:7], v[12:13], v[98:99] op_sel:[1,1] op_sel_hi:[0,1]
	v_pk_add_f32 v[4:5], v[4:5], v[8:9]
	v_pk_fma_f32 v[8:9], v[12:13], v[98:99], v[6:7] neg_lo:[0,0,1] neg_hi:[0,0,1]
	v_pk_fma_f32 v[6:7], v[12:13], v[98:99], v[6:7] op_sel_hi:[1,0,1]
	s_nop 0
	v_mov_b32_e32 v6, v101
	v_mov_b32_e32 v9, v7
	v_pk_mul_f32 v[6:7], v[14:15], v[6:7] op_sel:[1,0] op_sel_hi:[0,0]
	v_pk_add_f32 v[4:5], v[4:5], v[8:9]
	v_pk_fma_f32 v[8:9], v[14:15], v[100:101], v[6:7] neg_lo:[0,0,1] neg_hi:[0,0,1]
	v_pk_fma_f32 v[6:7], v[14:15], v[100:101], v[6:7] op_sel_hi:[1,0,1]
	s_nop 0
	v_mov_b32_e32 v9, v7
	s_waitcnt vmcnt(0) lgkmcnt(0)
	v_pk_mul_f32 v[6:7], v[16:17], v[106:107] op_sel:[1,1] op_sel_hi:[0,1]
	v_pk_add_f32 v[4:5], v[4:5], v[8:9]
	v_pk_fma_f32 v[8:9], v[16:17], v[106:107], v[6:7] neg_lo:[0,0,1] neg_hi:[0,0,1]
	v_pk_fma_f32 v[6:7], v[16:17], v[106:107], v[6:7] op_sel_hi:[1,0,1]
	s_nop 0
	v_mov_b32_e32 v9, v7
	scratch_load_dwordx2 v[6:7], off, off offset:128
	v_pk_add_f32 v[4:5], v[4:5], v[8:9]
	s_waitcnt vmcnt(0)
	v_pk_add_f32 v[4:5], v[6:7], v[4:5] neg_lo:[0,1] neg_hi:[0,1]
	scratch_store_dwordx2 off, v[4:5], off offset:128
	s_and_saveexec_b64 s[0:1], vcc
	s_cbranch_execz .LBB93_163
; %bb.162:
	scratch_load_dwordx2 v[4:5], off, off offset:120
	v_mov_b32_e32 v3, v2
	scratch_store_dwordx2 off, v[2:3], off offset:120
	s_waitcnt vmcnt(1)
	ds_write_b64 v1, v[4:5]
.LBB93_163:
	s_or_b64 exec, exec, s[0:1]
	s_waitcnt lgkmcnt(0)
	; wave barrier
	ds_read_b128 v[4:7], v2 offset:368
	ds_read_b128 v[8:11], v2 offset:384
	;; [unrolled: 1-line block ×4, first 2 shown]
	scratch_load_dwordx4 v[20:23], off, off offset:128
	v_cmp_lt_u32_e32 vcc, 14, v0
	s_waitcnt vmcnt(0) lgkmcnt(3)
	v_mul_f32_e32 v3, v4, v21
	v_fmac_f32_e32 v3, v5, v20
	v_mul_f32_e32 v24, v6, v23
	v_add_f32_e32 v3, 0, v3
	v_fmac_f32_e32 v24, v7, v22
	v_add_f32_e32 v3, v3, v24
	scratch_load_dwordx4 v[24:27], off, off offset:144
	s_waitcnt vmcnt(0) lgkmcnt(2)
	v_mul_f32_e32 v28, v8, v25
	v_fmac_f32_e32 v28, v9, v24
	v_add_f32_e32 v3, v3, v28
	v_mul_f32_e32 v28, v10, v27
	v_fmac_f32_e32 v28, v11, v26
	v_add_f32_e32 v37, v3, v28
	scratch_load_dwordx4 v[28:31], off, off offset:160
	scratch_load_dwordx4 v[32:35], off, off offset:176
	;; [unrolled: 1-line block ×5, first 2 shown]
	v_mul_f32_e32 v3, v5, v21
	v_fma_f32 v3, v4, v20, -v3
	v_mul_f32_e32 v4, v7, v23
	v_add_f32_e32 v3, 0, v3
	v_fma_f32 v4, v6, v22, -v4
	v_add_f32_e32 v3, v3, v4
	v_mul_f32_e32 v4, v9, v25
	v_fma_f32 v4, v8, v24, -v4
	v_add_f32_e32 v3, v3, v4
	v_mul_f32_e32 v4, v11, v27
	v_fma_f32 v4, v10, v26, -v4
	v_add_f32_e32 v36, v3, v4
	s_waitcnt vmcnt(3) lgkmcnt(0)
	v_pk_mul_f32 v[20:21], v[16:17], v[32:33] op_sel:[1,1] op_sel_hi:[0,1]
	v_pk_fma_f32 v[22:23], v[16:17], v[32:33], v[20:21] neg_lo:[0,0,1] neg_hi:[0,0,1]
	v_mul_f32_e32 v3, v13, v29
	v_mul_f32_e32 v111, v12, v29
	;; [unrolled: 1-line block ×3, first 2 shown]
	v_fma_f32 v110, v12, v28, -v3
	v_mul_f32_e32 v3, v15, v31
	v_pk_fma_f32 v[16:17], v[16:17], v[32:33], v[20:21] op_sel_hi:[1,0,1]
	v_fmac_f32_e32 v111, v13, v28
	v_fmac_f32_e32 v113, v15, v30
	v_fma_f32 v112, v14, v30, -v3
	ds_read_b128 v[4:7], v2 offset:432
	ds_read_b128 v[8:11], v2 offset:448
	;; [unrolled: 1-line block ×3, first 2 shown]
	v_mov_b32_e32 v16, v35
	v_mov_b32_e32 v23, v17
	v_pk_mul_f32 v[16:17], v[18:19], v[16:17] op_sel:[1,0] op_sel_hi:[0,0]
	v_pk_fma_f32 v[20:21], v[18:19], v[34:35], v[16:17] neg_lo:[0,0,1] neg_hi:[0,0,1]
	v_pk_fma_f32 v[16:17], v[18:19], v[34:35], v[16:17] op_sel_hi:[1,0,1]
	v_pk_add_f32 v[2:3], v[36:37], v[110:111]
	v_mov_b32_e32 v21, v17
	s_waitcnt vmcnt(2) lgkmcnt(2)
	v_pk_mul_f32 v[16:17], v[4:5], v[98:99] op_sel:[1,1] op_sel_hi:[0,1]
	v_pk_fma_f32 v[18:19], v[4:5], v[98:99], v[16:17] neg_lo:[0,0,1] neg_hi:[0,0,1]
	v_pk_fma_f32 v[4:5], v[4:5], v[98:99], v[16:17] op_sel_hi:[1,0,1]
	v_pk_add_f32 v[2:3], v[2:3], v[112:113]
	v_mov_b32_e32 v4, v101
	v_mov_b32_e32 v19, v5
	v_pk_mul_f32 v[4:5], v[6:7], v[4:5] op_sel:[1,0] op_sel_hi:[0,0]
	v_pk_fma_f32 v[16:17], v[6:7], v[100:101], v[4:5] neg_lo:[0,0,1] neg_hi:[0,0,1]
	v_pk_fma_f32 v[4:5], v[6:7], v[100:101], v[4:5] op_sel_hi:[1,0,1]
	v_pk_add_f32 v[2:3], v[2:3], v[22:23]
	v_mov_b32_e32 v17, v5
	s_waitcnt vmcnt(1) lgkmcnt(1)
	v_pk_mul_f32 v[4:5], v[8:9], v[102:103] op_sel:[1,1] op_sel_hi:[0,1]
	v_pk_add_f32 v[2:3], v[2:3], v[20:21]
	v_pk_fma_f32 v[6:7], v[8:9], v[102:103], v[4:5] neg_lo:[0,0,1] neg_hi:[0,0,1]
	v_pk_fma_f32 v[4:5], v[8:9], v[102:103], v[4:5] op_sel_hi:[1,0,1]
	v_pk_add_f32 v[2:3], v[2:3], v[18:19]
	v_mov_b32_e32 v4, v105
	v_pk_add_f32 v[2:3], v[2:3], v[16:17]
	v_mov_b32_e32 v7, v5
	v_pk_mul_f32 v[4:5], v[10:11], v[4:5] op_sel:[1,0] op_sel_hi:[0,0]
	v_pk_add_f32 v[2:3], v[2:3], v[6:7]
	v_pk_fma_f32 v[6:7], v[10:11], v[104:105], v[4:5] neg_lo:[0,0,1] neg_hi:[0,0,1]
	v_pk_fma_f32 v[4:5], v[10:11], v[104:105], v[4:5] op_sel_hi:[1,0,1]
	s_nop 0
	v_mov_b32_e32 v7, v5
	s_waitcnt vmcnt(0) lgkmcnt(0)
	v_pk_mul_f32 v[4:5], v[12:13], v[106:107] op_sel:[1,1] op_sel_hi:[0,1]
	v_pk_add_f32 v[2:3], v[2:3], v[6:7]
	v_pk_fma_f32 v[6:7], v[12:13], v[106:107], v[4:5] neg_lo:[0,0,1] neg_hi:[0,0,1]
	v_pk_fma_f32 v[4:5], v[12:13], v[106:107], v[4:5] op_sel_hi:[1,0,1]
	s_nop 0
	v_mov_b32_e32 v4, v109
	v_mov_b32_e32 v7, v5
	v_pk_mul_f32 v[4:5], v[14:15], v[4:5] op_sel:[1,0] op_sel_hi:[0,0]
	v_pk_add_f32 v[2:3], v[2:3], v[6:7]
	v_pk_fma_f32 v[6:7], v[14:15], v[108:109], v[4:5] neg_lo:[0,0,1] neg_hi:[0,0,1]
	v_pk_fma_f32 v[4:5], v[14:15], v[108:109], v[4:5] op_sel_hi:[1,0,1]
	s_nop 0
	v_mov_b32_e32 v7, v5
	scratch_load_dwordx2 v[4:5], off, off offset:120
	v_pk_add_f32 v[2:3], v[2:3], v[6:7]
	s_waitcnt vmcnt(0)
	v_pk_add_f32 v[2:3], v[4:5], v[2:3] neg_lo:[0,1] neg_hi:[0,1]
	scratch_store_dwordx2 off, v[2:3], off offset:120
	s_and_saveexec_b64 s[0:1], vcc
	s_cbranch_execz .LBB93_165
; %bb.164:
	scratch_load_dwordx2 v[2:3], off, off offset:112
	v_mov_b32_e32 v4, 0
	v_mov_b32_e32 v5, v4
	scratch_store_dwordx2 off, v[4:5], off offset:112
	s_waitcnt vmcnt(1)
	ds_write_b64 v1, v[2:3]
.LBB93_165:
	s_or_b64 exec, exec, s[0:1]
	s_waitcnt lgkmcnt(0)
	; wave barrier
	scratch_load_dwordx4 v[8:11], off, off offset:120
	scratch_load_dwordx4 v[16:19], off, off offset:136
	;; [unrolled: 1-line block ×4, first 2 shown]
	v_mov_b32_e32 v2, 0
	ds_read2_b64 v[4:7], v2 offset0:45 offset1:46
	v_cmp_lt_u32_e32 vcc, 13, v0
	s_waitcnt vmcnt(3) lgkmcnt(0)
	v_mul_f32_e32 v3, v4, v9
	v_fmac_f32_e32 v3, v5, v8
	v_mul_f32_e32 v12, v6, v11
	v_add_f32_e32 v3, 0, v3
	v_fmac_f32_e32 v12, v7, v10
	v_add_f32_e32 v3, v3, v12
	ds_read2_b64 v[12:15], v2 offset0:47 offset1:48
	s_waitcnt vmcnt(2) lgkmcnt(0)
	v_mul_f32_e32 v20, v12, v17
	v_fmac_f32_e32 v20, v13, v16
	v_add_f32_e32 v3, v3, v20
	v_mul_f32_e32 v20, v14, v19
	v_fmac_f32_e32 v20, v15, v18
	v_add_f32_e32 v3, v3, v20
	ds_read2_b64 v[20:23], v2 offset0:49 offset1:50
	s_waitcnt vmcnt(1) lgkmcnt(0)
	v_mul_f32_e32 v28, v20, v25
	v_fmac_f32_e32 v28, v21, v24
	v_add_f32_e32 v37, v3, v28
	ds_read2_b64 v[28:31], v2 offset0:51 offset1:52
	scratch_load_dwordx4 v[98:101], off, off offset:184
	scratch_load_dwordx4 v[102:105], off, off offset:200
	;; [unrolled: 1-line block ×3, first 2 shown]
	scratch_load_dwordx2 v[114:115], off, off offset:232
	v_mul_f32_e32 v3, v5, v9
	v_fma_f32 v3, v4, v8, -v3
	v_mul_f32_e32 v4, v7, v11
	v_add_f32_e32 v3, 0, v3
	v_fma_f32 v4, v6, v10, -v4
	v_add_f32_e32 v3, v3, v4
	v_mul_f32_e32 v4, v13, v17
	v_fma_f32 v4, v12, v16, -v4
	v_add_f32_e32 v3, v3, v4
	v_mul_f32_e32 v4, v15, v19
	;; [unrolled: 3-line block ×3, first 2 shown]
	v_fma_f32 v4, v20, v24, -v4
	v_mul_f32_e32 v111, v22, v27
	v_add_f32_e32 v36, v3, v4
	v_mul_f32_e32 v3, v23, v27
	s_waitcnt vmcnt(4)
	v_mov_b32_e32 v20, v35
	v_fmac_f32_e32 v111, v23, v26
	s_waitcnt lgkmcnt(0)
	v_mul_f32_e32 v113, v28, v33
	v_fma_f32 v110, v22, v26, -v3
	v_mul_f32_e32 v3, v29, v33
	ds_read2_b64 v[4:7], v2 offset0:53 offset1:54
	ds_read2_b64 v[8:11], v2 offset0:55 offset1:56
	;; [unrolled: 1-line block ×3, first 2 shown]
	ds_read_b64 v[16:17], v2 offset:472
	v_pk_mul_f32 v[20:21], v[30:31], v[20:21] op_sel:[1,0] op_sel_hi:[0,0]
	v_fmac_f32_e32 v113, v29, v32
	v_fma_f32 v112, v28, v32, -v3
	v_pk_add_f32 v[18:19], v[36:37], v[110:111]
	v_pk_fma_f32 v[22:23], v[30:31], v[34:35], v[20:21] neg_lo:[0,0,1] neg_hi:[0,0,1]
	v_pk_fma_f32 v[20:21], v[30:31], v[34:35], v[20:21] op_sel_hi:[1,0,1]
	v_pk_add_f32 v[18:19], v[18:19], v[112:113]
	v_mov_b32_e32 v23, v21
	v_pk_add_f32 v[18:19], v[18:19], v[22:23]
	s_waitcnt vmcnt(3) lgkmcnt(3)
	v_pk_mul_f32 v[20:21], v[4:5], v[98:99] op_sel:[1,1] op_sel_hi:[0,1]
	v_pk_fma_f32 v[22:23], v[4:5], v[98:99], v[20:21] neg_lo:[0,0,1] neg_hi:[0,0,1]
	v_pk_fma_f32 v[4:5], v[4:5], v[98:99], v[20:21] op_sel_hi:[1,0,1]
	s_nop 0
	v_mov_b32_e32 v23, v5
	v_pk_add_f32 v[4:5], v[18:19], v[22:23]
	v_mov_b32_e32 v18, v101
	v_pk_mul_f32 v[18:19], v[6:7], v[18:19] op_sel:[1,0] op_sel_hi:[0,0]
	v_pk_fma_f32 v[20:21], v[6:7], v[100:101], v[18:19] neg_lo:[0,0,1] neg_hi:[0,0,1]
	v_pk_fma_f32 v[6:7], v[6:7], v[100:101], v[18:19] op_sel_hi:[1,0,1]
	s_nop 0
	v_mov_b32_e32 v21, v7
	s_waitcnt vmcnt(2) lgkmcnt(2)
	v_pk_mul_f32 v[6:7], v[8:9], v[102:103] op_sel:[1,1] op_sel_hi:[0,1]
	v_pk_fma_f32 v[18:19], v[8:9], v[102:103], v[6:7] neg_lo:[0,0,1] neg_hi:[0,0,1]
	v_pk_fma_f32 v[6:7], v[8:9], v[102:103], v[6:7] op_sel_hi:[1,0,1]
	v_pk_add_f32 v[4:5], v[4:5], v[20:21]
	v_mov_b32_e32 v6, v105
	v_mov_b32_e32 v19, v7
	v_pk_mul_f32 v[6:7], v[10:11], v[6:7] op_sel:[1,0] op_sel_hi:[0,0]
	v_pk_fma_f32 v[8:9], v[10:11], v[104:105], v[6:7] neg_lo:[0,0,1] neg_hi:[0,0,1]
	v_pk_fma_f32 v[6:7], v[10:11], v[104:105], v[6:7] op_sel_hi:[1,0,1]
	v_pk_add_f32 v[4:5], v[4:5], v[18:19]
	v_mov_b32_e32 v9, v7
	s_waitcnt vmcnt(1) lgkmcnt(1)
	v_pk_mul_f32 v[6:7], v[12:13], v[106:107] op_sel:[1,1] op_sel_hi:[0,1]
	v_pk_add_f32 v[4:5], v[4:5], v[8:9]
	v_pk_fma_f32 v[8:9], v[12:13], v[106:107], v[6:7] neg_lo:[0,0,1] neg_hi:[0,0,1]
	v_pk_fma_f32 v[6:7], v[12:13], v[106:107], v[6:7] op_sel_hi:[1,0,1]
	s_nop 0
	v_mov_b32_e32 v6, v109
	v_mov_b32_e32 v9, v7
	v_pk_mul_f32 v[6:7], v[14:15], v[6:7] op_sel:[1,0] op_sel_hi:[0,0]
	v_pk_add_f32 v[4:5], v[4:5], v[8:9]
	v_pk_fma_f32 v[8:9], v[14:15], v[108:109], v[6:7] neg_lo:[0,0,1] neg_hi:[0,0,1]
	v_pk_fma_f32 v[6:7], v[14:15], v[108:109], v[6:7] op_sel_hi:[1,0,1]
	s_nop 0
	v_mov_b32_e32 v9, v7
	s_waitcnt vmcnt(0) lgkmcnt(0)
	v_pk_mul_f32 v[6:7], v[16:17], v[114:115] op_sel:[1,1] op_sel_hi:[0,1]
	v_pk_add_f32 v[4:5], v[4:5], v[8:9]
	v_pk_fma_f32 v[8:9], v[16:17], v[114:115], v[6:7] neg_lo:[0,0,1] neg_hi:[0,0,1]
	v_pk_fma_f32 v[6:7], v[16:17], v[114:115], v[6:7] op_sel_hi:[1,0,1]
	s_nop 0
	v_mov_b32_e32 v9, v7
	scratch_load_dwordx2 v[6:7], off, off offset:112
	v_pk_add_f32 v[4:5], v[4:5], v[8:9]
	s_waitcnt vmcnt(0)
	v_pk_add_f32 v[4:5], v[6:7], v[4:5] neg_lo:[0,1] neg_hi:[0,1]
	scratch_store_dwordx2 off, v[4:5], off offset:112
	s_and_saveexec_b64 s[0:1], vcc
	s_cbranch_execz .LBB93_167
; %bb.166:
	scratch_load_dwordx2 v[4:5], off, off offset:104
	v_mov_b32_e32 v3, v2
	scratch_store_dwordx2 off, v[2:3], off offset:104
	s_waitcnt vmcnt(1)
	ds_write_b64 v1, v[4:5]
.LBB93_167:
	s_or_b64 exec, exec, s[0:1]
	s_waitcnt lgkmcnt(0)
	; wave barrier
	ds_read_b128 v[4:7], v2 offset:352
	ds_read_b128 v[8:11], v2 offset:368
	ds_read_b128 v[12:15], v2 offset:384
	ds_read_b128 v[16:19], v2 offset:400
	scratch_load_dwordx4 v[20:23], off, off offset:112
	v_cmp_lt_u32_e32 vcc, 12, v0
	s_waitcnt vmcnt(0) lgkmcnt(3)
	v_mul_f32_e32 v3, v4, v21
	v_fmac_f32_e32 v3, v5, v20
	v_mul_f32_e32 v24, v6, v23
	v_add_f32_e32 v3, 0, v3
	v_fmac_f32_e32 v24, v7, v22
	v_add_f32_e32 v3, v3, v24
	scratch_load_dwordx4 v[24:27], off, off offset:128
	s_waitcnt vmcnt(0) lgkmcnt(2)
	v_mul_f32_e32 v28, v8, v25
	v_fmac_f32_e32 v28, v9, v24
	v_add_f32_e32 v3, v3, v28
	v_mul_f32_e32 v28, v10, v27
	v_fmac_f32_e32 v28, v11, v26
	v_add_f32_e32 v3, v3, v28
	scratch_load_dwordx4 v[28:31], off, off offset:144
	s_waitcnt vmcnt(0) lgkmcnt(1)
	v_mul_f32_e32 v32, v12, v29
	v_fmac_f32_e32 v32, v13, v28
	v_add_f32_e32 v3, v3, v32
	v_mul_f32_e32 v32, v14, v31
	v_fmac_f32_e32 v32, v15, v30
	v_add_f32_e32 v37, v3, v32
	scratch_load_dwordx4 v[32:35], off, off offset:160
	scratch_load_dwordx4 v[98:101], off, off offset:176
	;; [unrolled: 1-line block ×5, first 2 shown]
	v_mul_f32_e32 v3, v5, v21
	v_fma_f32 v3, v4, v20, -v3
	v_mul_f32_e32 v4, v7, v23
	v_add_f32_e32 v3, 0, v3
	v_fma_f32 v4, v6, v22, -v4
	v_add_f32_e32 v3, v3, v4
	v_mul_f32_e32 v4, v9, v25
	v_fma_f32 v4, v8, v24, -v4
	v_add_f32_e32 v3, v3, v4
	v_mul_f32_e32 v4, v11, v27
	;; [unrolled: 3-line block ×4, first 2 shown]
	v_fma_f32 v4, v14, v30, -v4
	v_add_f32_e32 v36, v3, v4
	s_waitcnt vmcnt(4) lgkmcnt(0)
	v_mul_f32_e32 v3, v17, v33
	v_mul_f32_e32 v115, v16, v33
	;; [unrolled: 1-line block ×3, first 2 shown]
	v_fma_f32 v114, v16, v32, -v3
	v_mul_f32_e32 v3, v19, v35
	v_fmac_f32_e32 v115, v17, v32
	v_fmac_f32_e32 v117, v19, v34
	v_fma_f32 v116, v18, v34, -v3
	ds_read_b128 v[4:7], v2 offset:416
	ds_read_b128 v[8:11], v2 offset:432
	;; [unrolled: 1-line block ×4, first 2 shown]
	v_pk_add_f32 v[2:3], v[36:37], v[114:115]
	s_waitcnt vmcnt(3) lgkmcnt(3)
	v_pk_mul_f32 v[20:21], v[4:5], v[98:99] op_sel:[1,1] op_sel_hi:[0,1]
	v_pk_fma_f32 v[22:23], v[4:5], v[98:99], v[20:21] neg_lo:[0,0,1] neg_hi:[0,0,1]
	v_pk_fma_f32 v[4:5], v[4:5], v[98:99], v[20:21] op_sel_hi:[1,0,1]
	v_pk_add_f32 v[2:3], v[2:3], v[116:117]
	v_mov_b32_e32 v4, v101
	v_mov_b32_e32 v23, v5
	v_pk_mul_f32 v[4:5], v[6:7], v[4:5] op_sel:[1,0] op_sel_hi:[0,0]
	v_pk_fma_f32 v[20:21], v[6:7], v[100:101], v[4:5] neg_lo:[0,0,1] neg_hi:[0,0,1]
	v_pk_fma_f32 v[4:5], v[6:7], v[100:101], v[4:5] op_sel_hi:[1,0,1]
	v_pk_add_f32 v[2:3], v[2:3], v[22:23]
	v_mov_b32_e32 v21, v5
	s_waitcnt vmcnt(2) lgkmcnt(2)
	v_pk_mul_f32 v[4:5], v[8:9], v[102:103] op_sel:[1,1] op_sel_hi:[0,1]
	v_pk_fma_f32 v[6:7], v[8:9], v[102:103], v[4:5] neg_lo:[0,0,1] neg_hi:[0,0,1]
	v_pk_fma_f32 v[4:5], v[8:9], v[102:103], v[4:5] op_sel_hi:[1,0,1]
	v_pk_add_f32 v[2:3], v[2:3], v[20:21]
	v_mov_b32_e32 v4, v105
	v_mov_b32_e32 v7, v5
	v_pk_mul_f32 v[4:5], v[10:11], v[4:5] op_sel:[1,0] op_sel_hi:[0,0]
	v_pk_add_f32 v[2:3], v[2:3], v[6:7]
	v_pk_fma_f32 v[6:7], v[10:11], v[104:105], v[4:5] neg_lo:[0,0,1] neg_hi:[0,0,1]
	v_pk_fma_f32 v[4:5], v[10:11], v[104:105], v[4:5] op_sel_hi:[1,0,1]
	s_nop 0
	v_mov_b32_e32 v7, v5
	s_waitcnt vmcnt(1) lgkmcnt(1)
	v_pk_mul_f32 v[4:5], v[12:13], v[106:107] op_sel:[1,1] op_sel_hi:[0,1]
	v_pk_add_f32 v[2:3], v[2:3], v[6:7]
	v_pk_fma_f32 v[6:7], v[12:13], v[106:107], v[4:5] neg_lo:[0,0,1] neg_hi:[0,0,1]
	v_pk_fma_f32 v[4:5], v[12:13], v[106:107], v[4:5] op_sel_hi:[1,0,1]
	s_nop 0
	v_mov_b32_e32 v4, v109
	v_mov_b32_e32 v7, v5
	v_pk_mul_f32 v[4:5], v[14:15], v[4:5] op_sel:[1,0] op_sel_hi:[0,0]
	v_pk_add_f32 v[2:3], v[2:3], v[6:7]
	v_pk_fma_f32 v[6:7], v[14:15], v[108:109], v[4:5] neg_lo:[0,0,1] neg_hi:[0,0,1]
	v_pk_fma_f32 v[4:5], v[14:15], v[108:109], v[4:5] op_sel_hi:[1,0,1]
	s_nop 0
	v_mov_b32_e32 v7, v5
	s_waitcnt vmcnt(0) lgkmcnt(0)
	v_pk_mul_f32 v[4:5], v[16:17], v[110:111] op_sel:[1,1] op_sel_hi:[0,1]
	v_pk_add_f32 v[2:3], v[2:3], v[6:7]
	v_pk_fma_f32 v[6:7], v[16:17], v[110:111], v[4:5] neg_lo:[0,0,1] neg_hi:[0,0,1]
	v_pk_fma_f32 v[4:5], v[16:17], v[110:111], v[4:5] op_sel_hi:[1,0,1]
	s_nop 0
	v_mov_b32_e32 v4, v113
	v_mov_b32_e32 v7, v5
	v_pk_mul_f32 v[4:5], v[18:19], v[4:5] op_sel:[1,0] op_sel_hi:[0,0]
	v_pk_add_f32 v[2:3], v[2:3], v[6:7]
	v_pk_fma_f32 v[6:7], v[18:19], v[112:113], v[4:5] neg_lo:[0,0,1] neg_hi:[0,0,1]
	v_pk_fma_f32 v[4:5], v[18:19], v[112:113], v[4:5] op_sel_hi:[1,0,1]
	s_nop 0
	v_mov_b32_e32 v7, v5
	scratch_load_dwordx2 v[4:5], off, off offset:104
	v_pk_add_f32 v[2:3], v[2:3], v[6:7]
	s_waitcnt vmcnt(0)
	v_pk_add_f32 v[2:3], v[4:5], v[2:3] neg_lo:[0,1] neg_hi:[0,1]
	scratch_store_dwordx2 off, v[2:3], off offset:104
	s_and_saveexec_b64 s[0:1], vcc
	s_cbranch_execz .LBB93_169
; %bb.168:
	scratch_load_dwordx2 v[2:3], off, off offset:96
	v_mov_b32_e32 v4, 0
	v_mov_b32_e32 v5, v4
	scratch_store_dwordx2 off, v[4:5], off offset:96
	s_waitcnt vmcnt(1)
	ds_write_b64 v1, v[2:3]
.LBB93_169:
	s_or_b64 exec, exec, s[0:1]
	s_waitcnt lgkmcnt(0)
	; wave barrier
	scratch_load_dwordx4 v[8:11], off, off offset:104
	scratch_load_dwordx4 v[16:19], off, off offset:120
	;; [unrolled: 1-line block ×4, first 2 shown]
	v_mov_b32_e32 v2, 0
	ds_read2_b64 v[4:7], v2 offset0:43 offset1:44
	ds_read2_b64 v[98:101], v2 offset0:51 offset1:52
	scratch_load_dwordx4 v[102:105], off, off offset:168
	v_cmp_lt_u32_e32 vcc, 11, v0
	s_waitcnt vmcnt(4) lgkmcnt(1)
	v_mul_f32_e32 v3, v4, v9
	v_fmac_f32_e32 v3, v5, v8
	v_mul_f32_e32 v12, v6, v11
	v_add_f32_e32 v3, 0, v3
	v_fmac_f32_e32 v12, v7, v10
	v_add_f32_e32 v3, v3, v12
	ds_read2_b64 v[12:15], v2 offset0:45 offset1:46
	s_waitcnt vmcnt(0) lgkmcnt(1)
	v_mul_f32_e32 v121, v98, v103
	v_fmac_f32_e32 v121, v99, v102
	s_waitcnt lgkmcnt(0)
	v_mul_f32_e32 v20, v12, v17
	v_fmac_f32_e32 v20, v13, v16
	v_add_f32_e32 v3, v3, v20
	v_mul_f32_e32 v20, v14, v19
	v_fmac_f32_e32 v20, v15, v18
	v_add_f32_e32 v3, v3, v20
	ds_read2_b64 v[20:23], v2 offset0:47 offset1:48
	s_waitcnt lgkmcnt(0)
	v_mul_f32_e32 v28, v20, v25
	v_fmac_f32_e32 v28, v21, v24
	v_add_f32_e32 v3, v3, v28
	v_mul_f32_e32 v28, v22, v27
	v_fmac_f32_e32 v28, v23, v26
	v_add_f32_e32 v3, v3, v28
	ds_read2_b64 v[28:31], v2 offset0:49 offset1:50
	scratch_load_dwordx4 v[106:109], off, off offset:184
	scratch_load_dwordx4 v[110:113], off, off offset:200
	;; [unrolled: 1-line block ×3, first 2 shown]
	scratch_load_dwordx2 v[122:123], off, off offset:232
	s_waitcnt lgkmcnt(0)
	v_mul_f32_e32 v36, v28, v33
	v_fmac_f32_e32 v36, v29, v32
	v_add_f32_e32 v37, v3, v36
	v_mul_f32_e32 v3, v5, v9
	v_fma_f32 v3, v4, v8, -v3
	v_mul_f32_e32 v4, v7, v11
	v_add_f32_e32 v3, 0, v3
	v_fma_f32 v4, v6, v10, -v4
	v_add_f32_e32 v3, v3, v4
	v_mul_f32_e32 v4, v13, v17
	v_fma_f32 v4, v12, v16, -v4
	v_add_f32_e32 v3, v3, v4
	v_mul_f32_e32 v4, v15, v19
	;; [unrolled: 3-line block ×5, first 2 shown]
	v_fma_f32 v4, v28, v32, -v4
	v_mul_f32_e32 v119, v30, v35
	v_add_f32_e32 v36, v3, v4
	v_mul_f32_e32 v3, v31, v35
	v_mov_b32_e32 v20, v105
	v_fmac_f32_e32 v119, v31, v34
	v_fma_f32 v118, v30, v34, -v3
	v_mul_f32_e32 v3, v99, v103
	ds_read2_b64 v[4:7], v2 offset0:53 offset1:54
	ds_read2_b64 v[8:11], v2 offset0:55 offset1:56
	;; [unrolled: 1-line block ×3, first 2 shown]
	ds_read_b64 v[16:17], v2 offset:472
	v_pk_mul_f32 v[20:21], v[100:101], v[20:21] op_sel:[1,0] op_sel_hi:[0,0]
	v_fma_f32 v120, v98, v102, -v3
	v_pk_add_f32 v[18:19], v[36:37], v[118:119]
	v_pk_fma_f32 v[22:23], v[100:101], v[104:105], v[20:21] neg_lo:[0,0,1] neg_hi:[0,0,1]
	v_pk_fma_f32 v[20:21], v[100:101], v[104:105], v[20:21] op_sel_hi:[1,0,1]
	v_pk_add_f32 v[18:19], v[18:19], v[120:121]
	v_mov_b32_e32 v23, v21
	v_pk_add_f32 v[18:19], v[18:19], v[22:23]
	s_waitcnt vmcnt(3) lgkmcnt(3)
	v_pk_mul_f32 v[20:21], v[4:5], v[106:107] op_sel:[1,1] op_sel_hi:[0,1]
	v_pk_fma_f32 v[22:23], v[4:5], v[106:107], v[20:21] neg_lo:[0,0,1] neg_hi:[0,0,1]
	v_pk_fma_f32 v[4:5], v[4:5], v[106:107], v[20:21] op_sel_hi:[1,0,1]
	s_nop 0
	v_mov_b32_e32 v23, v5
	v_pk_add_f32 v[4:5], v[18:19], v[22:23]
	v_mov_b32_e32 v18, v109
	v_pk_mul_f32 v[18:19], v[6:7], v[18:19] op_sel:[1,0] op_sel_hi:[0,0]
	v_pk_fma_f32 v[20:21], v[6:7], v[108:109], v[18:19] neg_lo:[0,0,1] neg_hi:[0,0,1]
	v_pk_fma_f32 v[6:7], v[6:7], v[108:109], v[18:19] op_sel_hi:[1,0,1]
	s_nop 0
	v_mov_b32_e32 v21, v7
	s_waitcnt vmcnt(2) lgkmcnt(2)
	v_pk_mul_f32 v[6:7], v[8:9], v[110:111] op_sel:[1,1] op_sel_hi:[0,1]
	v_pk_fma_f32 v[18:19], v[8:9], v[110:111], v[6:7] neg_lo:[0,0,1] neg_hi:[0,0,1]
	v_pk_fma_f32 v[6:7], v[8:9], v[110:111], v[6:7] op_sel_hi:[1,0,1]
	v_pk_add_f32 v[4:5], v[4:5], v[20:21]
	v_mov_b32_e32 v6, v113
	v_mov_b32_e32 v19, v7
	v_pk_mul_f32 v[6:7], v[10:11], v[6:7] op_sel:[1,0] op_sel_hi:[0,0]
	v_pk_fma_f32 v[8:9], v[10:11], v[112:113], v[6:7] neg_lo:[0,0,1] neg_hi:[0,0,1]
	v_pk_fma_f32 v[6:7], v[10:11], v[112:113], v[6:7] op_sel_hi:[1,0,1]
	v_pk_add_f32 v[4:5], v[4:5], v[18:19]
	v_mov_b32_e32 v9, v7
	s_waitcnt vmcnt(1) lgkmcnt(1)
	v_pk_mul_f32 v[6:7], v[12:13], v[114:115] op_sel:[1,1] op_sel_hi:[0,1]
	v_pk_add_f32 v[4:5], v[4:5], v[8:9]
	v_pk_fma_f32 v[8:9], v[12:13], v[114:115], v[6:7] neg_lo:[0,0,1] neg_hi:[0,0,1]
	v_pk_fma_f32 v[6:7], v[12:13], v[114:115], v[6:7] op_sel_hi:[1,0,1]
	s_nop 0
	v_mov_b32_e32 v6, v117
	v_mov_b32_e32 v9, v7
	v_pk_mul_f32 v[6:7], v[14:15], v[6:7] op_sel:[1,0] op_sel_hi:[0,0]
	v_pk_add_f32 v[4:5], v[4:5], v[8:9]
	v_pk_fma_f32 v[8:9], v[14:15], v[116:117], v[6:7] neg_lo:[0,0,1] neg_hi:[0,0,1]
	v_pk_fma_f32 v[6:7], v[14:15], v[116:117], v[6:7] op_sel_hi:[1,0,1]
	s_nop 0
	v_mov_b32_e32 v9, v7
	s_waitcnt vmcnt(0) lgkmcnt(0)
	v_pk_mul_f32 v[6:7], v[16:17], v[122:123] op_sel:[1,1] op_sel_hi:[0,1]
	v_pk_add_f32 v[4:5], v[4:5], v[8:9]
	v_pk_fma_f32 v[8:9], v[16:17], v[122:123], v[6:7] neg_lo:[0,0,1] neg_hi:[0,0,1]
	v_pk_fma_f32 v[6:7], v[16:17], v[122:123], v[6:7] op_sel_hi:[1,0,1]
	s_nop 0
	v_mov_b32_e32 v9, v7
	scratch_load_dwordx2 v[6:7], off, off offset:96
	v_pk_add_f32 v[4:5], v[4:5], v[8:9]
	s_waitcnt vmcnt(0)
	v_pk_add_f32 v[4:5], v[6:7], v[4:5] neg_lo:[0,1] neg_hi:[0,1]
	scratch_store_dwordx2 off, v[4:5], off offset:96
	s_and_saveexec_b64 s[0:1], vcc
	s_cbranch_execz .LBB93_171
; %bb.170:
	scratch_load_dwordx2 v[4:5], off, off offset:88
	v_mov_b32_e32 v3, v2
	scratch_store_dwordx2 off, v[2:3], off offset:88
	s_waitcnt vmcnt(1)
	ds_write_b64 v1, v[4:5]
.LBB93_171:
	s_or_b64 exec, exec, s[0:1]
	s_waitcnt lgkmcnt(0)
	; wave barrier
	ds_read_b128 v[4:7], v2 offset:336
	ds_read_b128 v[8:11], v2 offset:352
	;; [unrolled: 1-line block ×4, first 2 shown]
	scratch_load_dwordx4 v[20:23], off, off offset:96
	scratch_load_dwordx4 v[102:105], off, off offset:160
	ds_read_b128 v[98:101], v2 offset:400
	v_cmp_lt_u32_e32 vcc, 10, v0
	s_waitcnt vmcnt(1) lgkmcnt(4)
	v_mul_f32_e32 v3, v4, v21
	v_fmac_f32_e32 v3, v5, v20
	v_mul_f32_e32 v24, v6, v23
	v_add_f32_e32 v3, 0, v3
	v_fmac_f32_e32 v24, v7, v22
	v_add_f32_e32 v3, v3, v24
	scratch_load_dwordx4 v[24:27], off, off offset:112
	s_waitcnt vmcnt(1) lgkmcnt(0)
	v_mul_f32_e32 v123, v98, v103
	v_fmac_f32_e32 v123, v99, v102
	v_mul_f32_e32 v125, v100, v105
	v_fmac_f32_e32 v125, v101, v104
	s_waitcnt vmcnt(0)
	v_mul_f32_e32 v28, v8, v25
	v_fmac_f32_e32 v28, v9, v24
	v_add_f32_e32 v3, v3, v28
	v_mul_f32_e32 v28, v10, v27
	v_fmac_f32_e32 v28, v11, v26
	v_add_f32_e32 v3, v3, v28
	scratch_load_dwordx4 v[28:31], off, off offset:128
	s_waitcnt vmcnt(0)
	v_mul_f32_e32 v32, v12, v29
	v_fmac_f32_e32 v32, v13, v28
	v_add_f32_e32 v3, v3, v32
	v_mul_f32_e32 v32, v14, v31
	v_fmac_f32_e32 v32, v15, v30
	v_add_f32_e32 v3, v3, v32
	scratch_load_dwordx4 v[32:35], off, off offset:144
	scratch_load_dwordx4 v[106:109], off, off offset:176
	;; [unrolled: 1-line block ×5, first 2 shown]
	s_waitcnt vmcnt(4)
	v_mul_f32_e32 v36, v16, v33
	v_fmac_f32_e32 v36, v17, v32
	v_add_f32_e32 v3, v3, v36
	v_mul_f32_e32 v36, v18, v35
	v_fmac_f32_e32 v36, v19, v34
	v_add_f32_e32 v37, v3, v36
	v_mul_f32_e32 v3, v5, v21
	v_fma_f32 v3, v4, v20, -v3
	v_mul_f32_e32 v4, v7, v23
	v_add_f32_e32 v3, 0, v3
	v_fma_f32 v4, v6, v22, -v4
	v_add_f32_e32 v3, v3, v4
	v_mul_f32_e32 v4, v9, v25
	v_fma_f32 v4, v8, v24, -v4
	v_add_f32_e32 v3, v3, v4
	v_mul_f32_e32 v4, v11, v27
	;; [unrolled: 3-line block ×6, first 2 shown]
	v_fma_f32 v4, v18, v34, -v4
	v_add_f32_e32 v36, v3, v4
	ds_read_b128 v[4:7], v2 offset:416
	ds_read_b128 v[8:11], v2 offset:432
	;; [unrolled: 1-line block ×4, first 2 shown]
	v_mul_f32_e32 v3, v99, v103
	s_waitcnt vmcnt(3) lgkmcnt(3)
	v_pk_mul_f32 v[20:21], v[4:5], v[106:107] op_sel:[1,1] op_sel_hi:[0,1]
	v_pk_fma_f32 v[22:23], v[4:5], v[106:107], v[20:21] neg_lo:[0,0,1] neg_hi:[0,0,1]
	v_pk_fma_f32 v[4:5], v[4:5], v[106:107], v[20:21] op_sel_hi:[1,0,1]
	v_fma_f32 v122, v98, v102, -v3
	v_mov_b32_e32 v4, v109
	v_mov_b32_e32 v23, v5
	v_pk_mul_f32 v[4:5], v[6:7], v[4:5] op_sel:[1,0] op_sel_hi:[0,0]
	v_mul_f32_e32 v3, v101, v105
	v_pk_fma_f32 v[20:21], v[6:7], v[108:109], v[4:5] neg_lo:[0,0,1] neg_hi:[0,0,1]
	v_pk_fma_f32 v[4:5], v[6:7], v[108:109], v[4:5] op_sel_hi:[1,0,1]
	v_fma_f32 v124, v100, v104, -v3
	v_pk_add_f32 v[2:3], v[36:37], v[122:123]
	v_mov_b32_e32 v21, v5
	s_waitcnt vmcnt(2) lgkmcnt(2)
	v_pk_mul_f32 v[4:5], v[8:9], v[110:111] op_sel:[1,1] op_sel_hi:[0,1]
	v_pk_add_f32 v[2:3], v[2:3], v[124:125]
	v_pk_fma_f32 v[6:7], v[8:9], v[110:111], v[4:5] neg_lo:[0,0,1] neg_hi:[0,0,1]
	v_pk_fma_f32 v[4:5], v[8:9], v[110:111], v[4:5] op_sel_hi:[1,0,1]
	v_pk_add_f32 v[2:3], v[2:3], v[22:23]
	v_mov_b32_e32 v4, v113
	v_pk_add_f32 v[2:3], v[2:3], v[20:21]
	v_mov_b32_e32 v7, v5
	v_pk_mul_f32 v[4:5], v[10:11], v[4:5] op_sel:[1,0] op_sel_hi:[0,0]
	v_pk_add_f32 v[2:3], v[2:3], v[6:7]
	v_pk_fma_f32 v[6:7], v[10:11], v[112:113], v[4:5] neg_lo:[0,0,1] neg_hi:[0,0,1]
	v_pk_fma_f32 v[4:5], v[10:11], v[112:113], v[4:5] op_sel_hi:[1,0,1]
	s_nop 0
	v_mov_b32_e32 v7, v5
	s_waitcnt vmcnt(1) lgkmcnt(1)
	v_pk_mul_f32 v[4:5], v[12:13], v[114:115] op_sel:[1,1] op_sel_hi:[0,1]
	v_pk_add_f32 v[2:3], v[2:3], v[6:7]
	v_pk_fma_f32 v[6:7], v[12:13], v[114:115], v[4:5] neg_lo:[0,0,1] neg_hi:[0,0,1]
	v_pk_fma_f32 v[4:5], v[12:13], v[114:115], v[4:5] op_sel_hi:[1,0,1]
	s_nop 0
	v_mov_b32_e32 v4, v117
	v_mov_b32_e32 v7, v5
	v_pk_mul_f32 v[4:5], v[14:15], v[4:5] op_sel:[1,0] op_sel_hi:[0,0]
	v_pk_add_f32 v[2:3], v[2:3], v[6:7]
	v_pk_fma_f32 v[6:7], v[14:15], v[116:117], v[4:5] neg_lo:[0,0,1] neg_hi:[0,0,1]
	v_pk_fma_f32 v[4:5], v[14:15], v[116:117], v[4:5] op_sel_hi:[1,0,1]
	s_nop 0
	v_mov_b32_e32 v7, v5
	s_waitcnt vmcnt(0) lgkmcnt(0)
	v_pk_mul_f32 v[4:5], v[16:17], v[118:119] op_sel:[1,1] op_sel_hi:[0,1]
	v_pk_add_f32 v[2:3], v[2:3], v[6:7]
	v_pk_fma_f32 v[6:7], v[16:17], v[118:119], v[4:5] neg_lo:[0,0,1] neg_hi:[0,0,1]
	v_pk_fma_f32 v[4:5], v[16:17], v[118:119], v[4:5] op_sel_hi:[1,0,1]
	s_nop 0
	v_mov_b32_e32 v4, v121
	v_mov_b32_e32 v7, v5
	v_pk_mul_f32 v[4:5], v[18:19], v[4:5] op_sel:[1,0] op_sel_hi:[0,0]
	v_pk_add_f32 v[2:3], v[2:3], v[6:7]
	v_pk_fma_f32 v[6:7], v[18:19], v[120:121], v[4:5] neg_lo:[0,0,1] neg_hi:[0,0,1]
	v_pk_fma_f32 v[4:5], v[18:19], v[120:121], v[4:5] op_sel_hi:[1,0,1]
	s_nop 0
	v_mov_b32_e32 v7, v5
	scratch_load_dwordx2 v[4:5], off, off offset:88
	v_pk_add_f32 v[2:3], v[2:3], v[6:7]
	s_waitcnt vmcnt(0)
	v_pk_add_f32 v[2:3], v[4:5], v[2:3] neg_lo:[0,1] neg_hi:[0,1]
	scratch_store_dwordx2 off, v[2:3], off offset:88
	s_and_saveexec_b64 s[0:1], vcc
	s_cbranch_execz .LBB93_173
; %bb.172:
	scratch_load_dwordx2 v[2:3], off, off offset:80
	v_mov_b32_e32 v4, 0
	v_mov_b32_e32 v5, v4
	scratch_store_dwordx2 off, v[4:5], off offset:80
	s_waitcnt vmcnt(1)
	ds_write_b64 v1, v[2:3]
.LBB93_173:
	s_or_b64 exec, exec, s[0:1]
	s_waitcnt lgkmcnt(0)
	; wave barrier
	scratch_load_dwordx4 v[4:7], off, off offset:88
	scratch_load_dwordx4 v[8:11], off, off offset:104
	scratch_load_dwordx4 v[12:15], off, off offset:120
	scratch_load_dwordx4 v[16:19], off, off offset:136
	scratch_load_dwordx4 v[20:23], off, off offset:152
	scratch_load_dwordx4 v[24:27], off, off offset:168
	scratch_load_dwordx4 v[28:31], off, off offset:184
	scratch_load_dwordx4 v[32:35], off, off offset:200
	scratch_load_dwordx4 v[98:101], off, off offset:216
	scratch_load_dwordx2 v[36:37], off, off offset:232
	scratch_load_dwordx2 v[138:139], off, off offset:80
	v_mov_b32_e32 v2, 0
	ds_read2_b64 v[102:105], v2 offset0:41 offset1:42
	ds_read2_b64 v[106:109], v2 offset0:43 offset1:44
	;; [unrolled: 1-line block ×9, first 2 shown]
	ds_read_b64 v[140:141], v2 offset:472
	v_cmp_lt_u32_e32 vcc, 9, v0
	s_waitcnt vmcnt(10) lgkmcnt(9)
	v_mul_f32_e32 v147, v104, v7
	v_mul_f32_e32 v3, v102, v5
	;; [unrolled: 1-line block ×3, first 2 shown]
	v_fmac_f32_e32 v147, v105, v6
	s_waitcnt vmcnt(9) lgkmcnt(8)
	v_mul_f32_e32 v148, v106, v9
	s_waitcnt vmcnt(5)
	v_mov_b32_e32 v146, v27
	v_mul_f32_e32 v149, v108, v11
	s_waitcnt lgkmcnt(7)
	v_mul_f32_e32 v151, v112, v15
	v_mul_f32_e32 v7, v105, v7
	;; [unrolled: 1-line block ×5, first 2 shown]
	v_fmac_f32_e32 v3, v103, v4
	v_fma_f32 v102, v102, v4, -v5
	s_waitcnt lgkmcnt(4)
	v_pk_mul_f32 v[4:5], v[124:125], v[146:147] op_sel:[1,0] op_sel_hi:[0,0]
	v_fmac_f32_e32 v148, v107, v8
	v_fma_f32 v103, v104, v6, -v7
	v_fma_f32 v8, v106, v8, -v9
	;; [unrolled: 1-line block ×4, first 2 shown]
	v_add_f32_e32 v3, 0, v3
	v_add_f32_e32 v15, 0, v102
	v_pk_fma_f32 v[6:7], v[124:125], v[26:27], v[4:5] neg_lo:[0,0,1] neg_hi:[0,0,1]
	v_pk_fma_f32 v[4:5], v[124:125], v[26:27], v[4:5] op_sel_hi:[1,0,1]
	v_add_f32_e32 v3, v3, v147
	v_add_f32_e32 v4, v15, v103
	v_mul_f32_e32 v150, v110, v13
	v_mul_f32_e32 v13, v111, v13
	v_fmac_f32_e32 v149, v109, v10
	v_add_f32_e32 v3, v3, v148
	v_add_f32_e32 v4, v4, v8
	v_fmac_f32_e32 v150, v111, v12
	v_fma_f32 v10, v110, v12, -v13
	v_add_f32_e32 v3, v3, v149
	v_add_f32_e32 v4, v4, v9
	v_mul_f32_e32 v152, v114, v17
	v_mul_f32_e32 v17, v115, v17
	v_fmac_f32_e32 v151, v113, v14
	v_add_f32_e32 v3, v3, v150
	v_add_f32_e32 v4, v4, v10
	v_mul_f32_e32 v153, v116, v19
	v_mul_f32_e32 v19, v117, v19
	v_fmac_f32_e32 v152, v115, v16
	v_fma_f32 v12, v114, v16, -v17
	v_add_f32_e32 v3, v3, v151
	v_add_f32_e32 v4, v4, v11
	v_mul_f32_e32 v154, v118, v21
	v_mul_f32_e32 v21, v119, v21
	v_fmac_f32_e32 v153, v117, v18
	v_fma_f32 v13, v116, v18, -v19
	;; [unrolled: 6-line block ×4, first 2 shown]
	v_mov_b32_e32 v7, v5
	v_add_f32_e32 v5, v3, v154
	v_add_f32_e32 v4, v4, v14
	v_fmac_f32_e32 v145, v123, v24
	v_fma_f32 v144, v122, v24, -v25
	v_pk_add_f32 v[4:5], v[4:5], v[142:143]
	s_nop 0
	v_pk_add_f32 v[4:5], v[4:5], v[144:145]
	s_nop 0
	v_pk_add_f32 v[4:5], v[4:5], v[6:7]
	s_waitcnt vmcnt(4) lgkmcnt(3)
	v_pk_mul_f32 v[6:7], v[126:127], v[28:29] op_sel:[1,1] op_sel_hi:[0,1]
	v_pk_fma_f32 v[8:9], v[126:127], v[28:29], v[6:7] neg_lo:[0,0,1] neg_hi:[0,0,1]
	v_pk_fma_f32 v[6:7], v[126:127], v[28:29], v[6:7] op_sel_hi:[1,0,1]
	s_nop 0
	v_mov_b32_e32 v6, v31
	v_mov_b32_e32 v9, v7
	v_pk_mul_f32 v[6:7], v[128:129], v[6:7] op_sel:[1,0] op_sel_hi:[0,0]
	v_pk_add_f32 v[4:5], v[4:5], v[8:9]
	v_pk_fma_f32 v[8:9], v[128:129], v[30:31], v[6:7] neg_lo:[0,0,1] neg_hi:[0,0,1]
	v_pk_fma_f32 v[6:7], v[128:129], v[30:31], v[6:7] op_sel_hi:[1,0,1]
	s_nop 0
	v_mov_b32_e32 v9, v7
	s_waitcnt vmcnt(3) lgkmcnt(2)
	v_pk_mul_f32 v[6:7], v[130:131], v[32:33] op_sel:[1,1] op_sel_hi:[0,1]
	v_pk_add_f32 v[4:5], v[4:5], v[8:9]
	v_pk_fma_f32 v[8:9], v[130:131], v[32:33], v[6:7] neg_lo:[0,0,1] neg_hi:[0,0,1]
	v_pk_fma_f32 v[6:7], v[130:131], v[32:33], v[6:7] op_sel_hi:[1,0,1]
	s_nop 0
	v_mov_b32_e32 v6, v35
	v_mov_b32_e32 v9, v7
	v_pk_mul_f32 v[6:7], v[132:133], v[6:7] op_sel:[1,0] op_sel_hi:[0,0]
	v_pk_add_f32 v[4:5], v[4:5], v[8:9]
	v_pk_fma_f32 v[8:9], v[132:133], v[34:35], v[6:7] neg_lo:[0,0,1] neg_hi:[0,0,1]
	v_pk_fma_f32 v[6:7], v[132:133], v[34:35], v[6:7] op_sel_hi:[1,0,1]
	s_nop 0
	v_mov_b32_e32 v9, v7
	s_waitcnt vmcnt(2) lgkmcnt(1)
	v_pk_mul_f32 v[6:7], v[134:135], v[98:99] op_sel:[1,1] op_sel_hi:[0,1]
	v_pk_add_f32 v[4:5], v[4:5], v[8:9]
	;; [unrolled: 14-line block ×3, first 2 shown]
	v_pk_fma_f32 v[8:9], v[140:141], v[36:37], v[6:7] neg_lo:[0,0,1] neg_hi:[0,0,1]
	v_pk_fma_f32 v[6:7], v[140:141], v[36:37], v[6:7] op_sel_hi:[1,0,1]
	s_nop 0
	v_mov_b32_e32 v9, v7
	v_pk_add_f32 v[4:5], v[4:5], v[8:9]
	s_waitcnt vmcnt(0)
	v_pk_add_f32 v[4:5], v[138:139], v[4:5] neg_lo:[0,1] neg_hi:[0,1]
	scratch_store_dwordx2 off, v[4:5], off offset:80
	s_and_saveexec_b64 s[0:1], vcc
	s_cbranch_execz .LBB93_175
; %bb.174:
	scratch_load_dwordx2 v[4:5], off, off offset:72
	v_mov_b32_e32 v3, v2
	scratch_store_dwordx2 off, v[2:3], off offset:72
	s_waitcnt vmcnt(1)
	ds_write_b64 v1, v[4:5]
.LBB93_175:
	s_or_b64 exec, exec, s[0:1]
	s_waitcnt lgkmcnt(0)
	; wave barrier
	scratch_load_dwordx4 v[4:7], off, off offset:80
	scratch_load_dwordx4 v[8:11], off, off offset:96
	;; [unrolled: 1-line block ×7, first 2 shown]
	ds_read_b128 v[32:35], v2 offset:320
	ds_read_b128 v[98:101], v2 offset:336
	;; [unrolled: 1-line block ×6, first 2 shown]
	scratch_load_dwordx4 v[118:121], off, off offset:192
	scratch_load_dwordx4 v[122:125], off, off offset:208
	;; [unrolled: 1-line block ×3, first 2 shown]
	ds_read_b128 v[130:133], v2 offset:416
	ds_read_b128 v[134:137], v2 offset:432
	;; [unrolled: 1-line block ×4, first 2 shown]
	scratch_load_dwordx2 v[2:3], off, off offset:72
	v_cmp_lt_u32_e32 vcc, 8, v0
	s_waitcnt vmcnt(10) lgkmcnt(9)
	v_mul_f32_e32 v150, v32, v5
	v_mul_f32_e32 v5, v33, v5
	;; [unrolled: 1-line block ×3, first 2 shown]
	s_waitcnt vmcnt(9) lgkmcnt(8)
	v_mul_f32_e32 v152, v98, v9
	s_waitcnt vmcnt(8) lgkmcnt(7)
	v_mul_f32_e32 v155, v104, v15
	v_mul_f32_e32 v7, v35, v7
	;; [unrolled: 1-line block ×4, first 2 shown]
	v_fmac_f32_e32 v150, v33, v4
	v_fma_f32 v4, v32, v4, -v5
	v_fmac_f32_e32 v151, v35, v6
	v_fmac_f32_e32 v155, v105, v14
	v_fma_f32 v5, v34, v6, -v7
	v_fma_f32 v6, v98, v8, -v9
	;; [unrolled: 1-line block ×3, first 2 shown]
	v_add_f32_e32 v14, 0, v150
	v_add_f32_e32 v4, 0, v4
	v_mul_f32_e32 v153, v100, v11
	v_mul_f32_e32 v11, v101, v11
	v_fmac_f32_e32 v152, v99, v8
	v_add_f32_e32 v14, v14, v151
	v_add_f32_e32 v4, v4, v5
	v_mul_f32_e32 v154, v102, v13
	v_mul_f32_e32 v13, v103, v13
	v_fmac_f32_e32 v153, v101, v10
	v_fma_f32 v7, v100, v10, -v11
	v_add_f32_e32 v5, v14, v152
	v_add_f32_e32 v4, v4, v6
	v_fmac_f32_e32 v154, v103, v12
	v_fma_f32 v8, v102, v12, -v13
	v_add_f32_e32 v5, v5, v153
	v_add_f32_e32 v4, v4, v7
	s_waitcnt vmcnt(7) lgkmcnt(6)
	v_mul_f32_e32 v156, v106, v17
	v_mul_f32_e32 v17, v107, v17
	v_add_f32_e32 v5, v5, v154
	v_add_f32_e32 v4, v4, v8
	v_mul_f32_e32 v157, v108, v19
	v_mul_f32_e32 v19, v109, v19
	v_fmac_f32_e32 v156, v107, v16
	v_fma_f32 v10, v106, v16, -v17
	v_add_f32_e32 v5, v5, v155
	v_add_f32_e32 v4, v4, v9
	s_waitcnt vmcnt(6) lgkmcnt(5)
	v_mul_f32_e32 v158, v110, v21
	v_mul_f32_e32 v21, v111, v21
	v_fmac_f32_e32 v157, v109, v18
	v_fma_f32 v11, v108, v18, -v19
	v_add_f32_e32 v5, v5, v156
	v_add_f32_e32 v4, v4, v10
	v_mul_f32_e32 v159, v112, v23
	v_mul_f32_e32 v23, v113, v23
	v_fmac_f32_e32 v158, v111, v20
	v_fma_f32 v12, v110, v20, -v21
	v_add_f32_e32 v5, v5, v157
	v_add_f32_e32 v4, v4, v11
	s_waitcnt vmcnt(5) lgkmcnt(4)
	v_mul_f32_e32 v37, v114, v25
	v_mul_f32_e32 v25, v115, v25
	v_fmac_f32_e32 v159, v113, v22
	v_fma_f32 v13, v112, v22, -v23
	v_add_f32_e32 v5, v5, v158
	v_add_f32_e32 v4, v4, v12
	v_mul_f32_e32 v147, v116, v27
	v_mul_f32_e32 v27, v117, v27
	s_waitcnt vmcnt(4) lgkmcnt(3)
	v_pk_mul_f32 v[148:149], v[130:131], v[28:29] op_sel:[1,1] op_sel_hi:[0,1]
	v_fmac_f32_e32 v37, v115, v24
	v_fma_f32 v36, v114, v24, -v25
	v_add_f32_e32 v5, v5, v159
	v_add_f32_e32 v4, v4, v13
	v_fmac_f32_e32 v147, v117, v26
	v_fma_f32 v146, v116, v26, -v27
	v_pk_add_f32 v[4:5], v[4:5], v[36:37]
	v_pk_fma_f32 v[6:7], v[130:131], v[28:29], v[148:149] neg_lo:[0,0,1] neg_hi:[0,0,1]
	v_pk_fma_f32 v[8:9], v[130:131], v[28:29], v[148:149] op_sel_hi:[1,0,1]
	v_pk_add_f32 v[4:5], v[4:5], v[146:147]
	v_mov_b32_e32 v7, v9
	v_pk_add_f32 v[4:5], v[4:5], v[6:7]
	v_mov_b32_e32 v6, v31
	v_pk_mul_f32 v[6:7], v[132:133], v[6:7] op_sel:[1,0] op_sel_hi:[0,0]
	v_pk_fma_f32 v[8:9], v[132:133], v[30:31], v[6:7] neg_lo:[0,0,1] neg_hi:[0,0,1]
	v_pk_fma_f32 v[6:7], v[132:133], v[30:31], v[6:7] op_sel_hi:[1,0,1]
	s_nop 0
	v_mov_b32_e32 v9, v7
	s_waitcnt vmcnt(3) lgkmcnt(2)
	v_pk_mul_f32 v[6:7], v[134:135], v[118:119] op_sel:[1,1] op_sel_hi:[0,1]
	v_pk_add_f32 v[4:5], v[4:5], v[8:9]
	v_pk_fma_f32 v[8:9], v[134:135], v[118:119], v[6:7] neg_lo:[0,0,1] neg_hi:[0,0,1]
	v_pk_fma_f32 v[6:7], v[134:135], v[118:119], v[6:7] op_sel_hi:[1,0,1]
	s_nop 0
	v_mov_b32_e32 v6, v121
	v_mov_b32_e32 v9, v7
	v_pk_mul_f32 v[6:7], v[136:137], v[6:7] op_sel:[1,0] op_sel_hi:[0,0]
	v_pk_add_f32 v[4:5], v[4:5], v[8:9]
	v_pk_fma_f32 v[8:9], v[136:137], v[120:121], v[6:7] neg_lo:[0,0,1] neg_hi:[0,0,1]
	v_pk_fma_f32 v[6:7], v[136:137], v[120:121], v[6:7] op_sel_hi:[1,0,1]
	s_nop 0
	v_mov_b32_e32 v9, v7
	s_waitcnt vmcnt(2) lgkmcnt(1)
	v_pk_mul_f32 v[6:7], v[138:139], v[122:123] op_sel:[1,1] op_sel_hi:[0,1]
	v_pk_add_f32 v[4:5], v[4:5], v[8:9]
	v_pk_fma_f32 v[8:9], v[138:139], v[122:123], v[6:7] neg_lo:[0,0,1] neg_hi:[0,0,1]
	v_pk_fma_f32 v[6:7], v[138:139], v[122:123], v[6:7] op_sel_hi:[1,0,1]
	s_nop 0
	v_mov_b32_e32 v6, v125
	v_mov_b32_e32 v9, v7
	v_pk_mul_f32 v[6:7], v[140:141], v[6:7] op_sel:[1,0] op_sel_hi:[0,0]
	v_pk_add_f32 v[4:5], v[4:5], v[8:9]
	v_pk_fma_f32 v[8:9], v[140:141], v[124:125], v[6:7] neg_lo:[0,0,1] neg_hi:[0,0,1]
	v_pk_fma_f32 v[6:7], v[140:141], v[124:125], v[6:7] op_sel_hi:[1,0,1]
	s_nop 0
	v_mov_b32_e32 v9, v7
	s_waitcnt vmcnt(1) lgkmcnt(0)
	v_pk_mul_f32 v[6:7], v[142:143], v[126:127] op_sel:[1,1] op_sel_hi:[0,1]
	v_pk_add_f32 v[4:5], v[4:5], v[8:9]
	v_pk_fma_f32 v[8:9], v[142:143], v[126:127], v[6:7] neg_lo:[0,0,1] neg_hi:[0,0,1]
	v_pk_fma_f32 v[6:7], v[142:143], v[126:127], v[6:7] op_sel_hi:[1,0,1]
	s_nop 0
	v_mov_b32_e32 v6, v129
	v_mov_b32_e32 v9, v7
	v_pk_mul_f32 v[6:7], v[144:145], v[6:7] op_sel:[1,0] op_sel_hi:[0,0]
	v_pk_add_f32 v[4:5], v[4:5], v[8:9]
	v_pk_fma_f32 v[8:9], v[144:145], v[128:129], v[6:7] neg_lo:[0,0,1] neg_hi:[0,0,1]
	v_pk_fma_f32 v[6:7], v[144:145], v[128:129], v[6:7] op_sel_hi:[1,0,1]
	s_nop 0
	v_mov_b32_e32 v9, v7
	v_pk_add_f32 v[4:5], v[4:5], v[8:9]
	s_waitcnt vmcnt(0)
	v_pk_add_f32 v[2:3], v[2:3], v[4:5] neg_lo:[0,1] neg_hi:[0,1]
	scratch_store_dwordx2 off, v[2:3], off offset:72
	s_and_saveexec_b64 s[0:1], vcc
	s_cbranch_execz .LBB93_177
; %bb.176:
	scratch_load_dwordx2 v[2:3], off, off offset:64
	v_mov_b32_e32 v4, 0
	v_mov_b32_e32 v5, v4
	scratch_store_dwordx2 off, v[4:5], off offset:64
	s_waitcnt vmcnt(1)
	ds_write_b64 v1, v[2:3]
.LBB93_177:
	s_or_b64 exec, exec, s[0:1]
	s_waitcnt lgkmcnt(0)
	; wave barrier
	scratch_load_dwordx4 v[2:5], off, off offset:72
	scratch_load_dwordx4 v[8:11], off, off offset:88
	;; [unrolled: 1-line block ×10, first 2 shown]
	scratch_load_dwordx2 v[36:37], off, off offset:232
	scratch_load_dwordx2 v[138:139], off, off offset:64
	v_mov_b32_e32 v6, 0
	ds_read2_b64 v[106:109], v6 offset0:39 offset1:40
	ds_read2_b64 v[110:113], v6 offset0:41 offset1:42
	;; [unrolled: 1-line block ×8, first 2 shown]
	v_cmp_lt_u32_e32 vcc, 7, v0
	s_waitcnt vmcnt(11) lgkmcnt(7)
	v_mul_f32_e32 v7, v106, v3
	v_mul_f32_e32 v3, v107, v3
	;; [unrolled: 1-line block ×4, first 2 shown]
	v_fmac_f32_e32 v7, v107, v2
	v_fma_f32 v2, v106, v2, -v3
	s_waitcnt vmcnt(10) lgkmcnt(6)
	v_mul_f32_e32 v142, v110, v9
	v_mul_f32_e32 v9, v111, v9
	v_fma_f32 v3, v108, v4, -v5
	v_add_f32_e32 v2, 0, v2
	v_mul_f32_e32 v144, v112, v11
	v_mul_f32_e32 v11, v113, v11
	v_fmac_f32_e32 v140, v109, v4
	v_fma_f32 v4, v110, v8, -v9
	v_add_f32_e32 v7, 0, v7
	v_add_f32_e32 v2, v2, v3
	s_waitcnt vmcnt(9) lgkmcnt(5)
	v_mul_f32_e32 v145, v114, v13
	v_mul_f32_e32 v13, v115, v13
	v_fmac_f32_e32 v142, v111, v8
	v_fma_f32 v5, v112, v10, -v11
	v_add_f32_e32 v7, v7, v140
	v_add_f32_e32 v2, v2, v4
	v_mul_f32_e32 v146, v116, v15
	v_mul_f32_e32 v15, v117, v15
	v_fmac_f32_e32 v144, v113, v10
	v_fma_f32 v8, v114, v12, -v13
	v_add_f32_e32 v3, v7, v142
	v_add_f32_e32 v2, v2, v5
	s_waitcnt vmcnt(8) lgkmcnt(4)
	v_mul_f32_e32 v147, v118, v17
	v_mul_f32_e32 v17, v119, v17
	v_fmac_f32_e32 v145, v115, v12
	v_fma_f32 v9, v116, v14, -v15
	v_add_f32_e32 v3, v3, v144
	;; [unrolled: 13-line block ×4, first 2 shown]
	v_add_f32_e32 v2, v2, v12
	v_fmac_f32_e32 v150, v125, v22
	v_fma_f32 v14, v126, v24, -v25
	v_add_f32_e32 v3, v3, v149
	v_add_f32_e32 v2, v2, v13
	v_mul_f32_e32 v141, v128, v27
	v_fmac_f32_e32 v151, v127, v24
	v_add_f32_e32 v3, v3, v150
	v_add_f32_e32 v12, v2, v14
	v_mul_f32_e32 v2, v129, v27
	s_waitcnt vmcnt(5)
	v_mov_b32_e32 v16, v31
	s_waitcnt lgkmcnt(1)
	v_mul_f32_e32 v143, v130, v29
	v_fmac_f32_e32 v141, v129, v26
	v_add_f32_e32 v13, v3, v151
	v_fma_f32 v140, v128, v26, -v2
	v_mul_f32_e32 v2, v131, v29
	v_pk_mul_f32 v[16:17], v[132:133], v[16:17] op_sel:[1,0] op_sel_hi:[0,0]
	v_fmac_f32_e32 v143, v131, v28
	v_fma_f32 v142, v130, v28, -v2
	v_pk_add_f32 v[12:13], v[12:13], v[140:141]
	v_pk_fma_f32 v[18:19], v[132:133], v[30:31], v[16:17] neg_lo:[0,0,1] neg_hi:[0,0,1]
	v_pk_fma_f32 v[16:17], v[132:133], v[30:31], v[16:17] op_sel_hi:[1,0,1]
	v_pk_add_f32 v[12:13], v[12:13], v[142:143]
	v_mov_b32_e32 v19, v17
	s_waitcnt vmcnt(4) lgkmcnt(0)
	v_pk_mul_f32 v[16:17], v[134:135], v[32:33] op_sel:[1,1] op_sel_hi:[0,1]
	v_pk_add_f32 v[12:13], v[12:13], v[18:19]
	v_pk_fma_f32 v[18:19], v[134:135], v[32:33], v[16:17] neg_lo:[0,0,1] neg_hi:[0,0,1]
	v_pk_fma_f32 v[16:17], v[134:135], v[32:33], v[16:17] op_sel_hi:[1,0,1]
	ds_read2_b64 v[2:5], v6 offset0:55 offset1:56
	ds_read2_b64 v[8:11], v6 offset0:57 offset1:58
	ds_read_b64 v[14:15], v6 offset:472
	v_mov_b32_e32 v16, v35
	v_mov_b32_e32 v19, v17
	v_pk_mul_f32 v[16:17], v[136:137], v[16:17] op_sel:[1,0] op_sel_hi:[0,0]
	v_pk_add_f32 v[12:13], v[12:13], v[18:19]
	v_pk_fma_f32 v[18:19], v[136:137], v[34:35], v[16:17] neg_lo:[0,0,1] neg_hi:[0,0,1]
	v_pk_fma_f32 v[16:17], v[136:137], v[34:35], v[16:17] op_sel_hi:[1,0,1]
	s_nop 0
	v_mov_b32_e32 v19, v17
	s_waitcnt vmcnt(3) lgkmcnt(2)
	v_pk_mul_f32 v[16:17], v[2:3], v[98:99] op_sel:[1,1] op_sel_hi:[0,1]
	v_pk_add_f32 v[12:13], v[12:13], v[18:19]
	v_pk_fma_f32 v[18:19], v[2:3], v[98:99], v[16:17] neg_lo:[0,0,1] neg_hi:[0,0,1]
	v_pk_fma_f32 v[2:3], v[2:3], v[98:99], v[16:17] op_sel_hi:[1,0,1]
	s_nop 0
	v_mov_b32_e32 v19, v3
	v_pk_add_f32 v[2:3], v[12:13], v[18:19]
	v_mov_b32_e32 v12, v101
	v_pk_mul_f32 v[12:13], v[4:5], v[12:13] op_sel:[1,0] op_sel_hi:[0,0]
	v_pk_fma_f32 v[16:17], v[4:5], v[100:101], v[12:13] neg_lo:[0,0,1] neg_hi:[0,0,1]
	v_pk_fma_f32 v[4:5], v[4:5], v[100:101], v[12:13] op_sel_hi:[1,0,1]
	s_nop 0
	v_mov_b32_e32 v17, v5
	s_waitcnt vmcnt(2) lgkmcnt(1)
	v_pk_mul_f32 v[4:5], v[8:9], v[102:103] op_sel:[1,1] op_sel_hi:[0,1]
	v_pk_fma_f32 v[12:13], v[8:9], v[102:103], v[4:5] neg_lo:[0,0,1] neg_hi:[0,0,1]
	v_pk_fma_f32 v[4:5], v[8:9], v[102:103], v[4:5] op_sel_hi:[1,0,1]
	v_pk_add_f32 v[2:3], v[2:3], v[16:17]
	v_mov_b32_e32 v4, v105
	v_mov_b32_e32 v13, v5
	v_pk_mul_f32 v[4:5], v[10:11], v[4:5] op_sel:[1,0] op_sel_hi:[0,0]
	v_pk_fma_f32 v[8:9], v[10:11], v[104:105], v[4:5] neg_lo:[0,0,1] neg_hi:[0,0,1]
	v_pk_fma_f32 v[4:5], v[10:11], v[104:105], v[4:5] op_sel_hi:[1,0,1]
	v_pk_add_f32 v[2:3], v[2:3], v[12:13]
	v_mov_b32_e32 v9, v5
	s_waitcnt vmcnt(1) lgkmcnt(0)
	v_pk_mul_f32 v[4:5], v[14:15], v[36:37] op_sel:[1,1] op_sel_hi:[0,1]
	v_pk_add_f32 v[2:3], v[2:3], v[8:9]
	v_pk_fma_f32 v[8:9], v[14:15], v[36:37], v[4:5] neg_lo:[0,0,1] neg_hi:[0,0,1]
	v_pk_fma_f32 v[4:5], v[14:15], v[36:37], v[4:5] op_sel_hi:[1,0,1]
	s_nop 0
	v_mov_b32_e32 v9, v5
	v_pk_add_f32 v[2:3], v[2:3], v[8:9]
	s_waitcnt vmcnt(0)
	v_pk_add_f32 v[2:3], v[138:139], v[2:3] neg_lo:[0,1] neg_hi:[0,1]
	scratch_store_dwordx2 off, v[2:3], off offset:64
	s_and_saveexec_b64 s[0:1], vcc
	s_cbranch_execz .LBB93_179
; %bb.178:
	scratch_load_dwordx2 v[2:3], off, off offset:56
	v_mov_b32_e32 v7, v6
	scratch_store_dwordx2 off, v[6:7], off offset:56
	s_waitcnt vmcnt(1)
	ds_write_b64 v1, v[2:3]
.LBB93_179:
	s_or_b64 exec, exec, s[0:1]
	s_waitcnt lgkmcnt(0)
	; wave barrier
	scratch_load_dwordx4 v[8:11], off, off offset:64
	scratch_load_dwordx4 v[12:15], off, off offset:80
	scratch_load_dwordx4 v[16:19], off, off offset:96
	scratch_load_dwordx4 v[20:23], off, off offset:112
	scratch_load_dwordx4 v[24:27], off, off offset:128
	scratch_load_dwordx4 v[28:31], off, off offset:144
	scratch_load_dwordx4 v[32:35], off, off offset:160
	ds_read_b128 v[98:101], v6 offset:304
	ds_read_b128 v[102:105], v6 offset:320
	;; [unrolled: 1-line block ×6, first 2 shown]
	scratch_load_dwordx4 v[122:125], off, off offset:176
	scratch_load_dwordx4 v[126:129], off, off offset:192
	;; [unrolled: 1-line block ×4, first 2 shown]
	ds_read_b128 v[134:137], v6 offset:400
	ds_read_b128 v[138:141], v6 offset:416
	scratch_load_dwordx2 v[36:37], off, off offset:56
	v_cmp_lt_u32_e32 vcc, 6, v0
	s_waitcnt vmcnt(11) lgkmcnt(7)
	v_mul_f32_e32 v7, v98, v9
	v_mul_f32_e32 v142, v100, v11
	v_mul_f32_e32 v9, v99, v9
	v_fmac_f32_e32 v7, v99, v8
	s_waitcnt vmcnt(10) lgkmcnt(6)
	v_mul_f32_e32 v144, v102, v13
	v_mul_f32_e32 v11, v101, v11
	v_fmac_f32_e32 v142, v101, v10
	v_fma_f32 v8, v98, v8, -v9
	v_add_f32_e32 v7, 0, v7
	v_mul_f32_e32 v146, v104, v15
	v_mul_f32_e32 v13, v103, v13
	v_fmac_f32_e32 v144, v103, v12
	v_fma_f32 v9, v100, v10, -v11
	v_add_f32_e32 v8, 0, v8
	v_add_f32_e32 v7, v7, v142
	s_waitcnt vmcnt(9) lgkmcnt(5)
	v_mul_f32_e32 v147, v106, v17
	v_mul_f32_e32 v15, v105, v15
	v_fmac_f32_e32 v146, v105, v14
	v_fma_f32 v10, v102, v12, -v13
	v_add_f32_e32 v8, v8, v9
	v_add_f32_e32 v7, v7, v144
	v_mul_f32_e32 v148, v108, v19
	v_mul_f32_e32 v17, v107, v17
	v_fmac_f32_e32 v147, v107, v16
	v_fma_f32 v11, v104, v14, -v15
	v_add_f32_e32 v8, v8, v10
	v_add_f32_e32 v7, v7, v146
	s_waitcnt vmcnt(8) lgkmcnt(4)
	v_mul_f32_e32 v149, v110, v21
	v_mul_f32_e32 v19, v109, v19
	v_fmac_f32_e32 v148, v109, v18
	v_fma_f32 v12, v106, v16, -v17
	v_add_f32_e32 v8, v8, v11
	;; [unrolled: 13-line block ×4, first 2 shown]
	v_add_f32_e32 v7, v7, v151
	v_mul_f32_e32 v154, v120, v31
	v_mul_f32_e32 v29, v119, v29
	v_fmac_f32_e32 v153, v119, v28
	v_fma_f32 v17, v116, v26, -v27
	v_add_f32_e32 v8, v8, v16
	v_add_f32_e32 v7, v7, v152
	v_fmac_f32_e32 v154, v121, v30
	v_fma_f32 v18, v118, v28, -v29
	v_add_f32_e32 v8, v8, v17
	v_add_f32_e32 v7, v7, v153
	;; [unrolled: 1-line block ×4, first 2 shown]
	v_mul_f32_e32 v8, v121, v31
	v_fma_f32 v8, v120, v30, -v8
	s_waitcnt vmcnt(5) lgkmcnt(1)
	v_mul_f32_e32 v143, v134, v33
	v_add_f32_e32 v20, v7, v8
	v_mul_f32_e32 v7, v135, v33
	v_fmac_f32_e32 v143, v135, v32
	v_fma_f32 v142, v134, v32, -v7
	v_mul_f32_e32 v7, v137, v35
	v_fma_f32 v144, v136, v34, -v7
	ds_read_b128 v[8:11], v6 offset:432
	ds_read_b128 v[12:15], v6 offset:448
	;; [unrolled: 1-line block ×3, first 2 shown]
	v_pk_add_f32 v[6:7], v[20:21], v[142:143]
	s_waitcnt vmcnt(4) lgkmcnt(3)
	v_pk_mul_f32 v[20:21], v[138:139], v[122:123] op_sel:[1,1] op_sel_hi:[0,1]
	v_mul_f32_e32 v145, v136, v35
	v_pk_fma_f32 v[22:23], v[138:139], v[122:123], v[20:21] neg_lo:[0,0,1] neg_hi:[0,0,1]
	v_pk_fma_f32 v[20:21], v[138:139], v[122:123], v[20:21] op_sel_hi:[1,0,1]
	v_fmac_f32_e32 v145, v137, v34
	v_mov_b32_e32 v20, v125
	v_pk_add_f32 v[6:7], v[6:7], v[144:145]
	v_mov_b32_e32 v23, v21
	v_pk_mul_f32 v[20:21], v[140:141], v[20:21] op_sel:[1,0] op_sel_hi:[0,0]
	v_pk_add_f32 v[6:7], v[6:7], v[22:23]
	v_pk_fma_f32 v[22:23], v[140:141], v[124:125], v[20:21] neg_lo:[0,0,1] neg_hi:[0,0,1]
	v_pk_fma_f32 v[20:21], v[140:141], v[124:125], v[20:21] op_sel_hi:[1,0,1]
	s_nop 0
	v_mov_b32_e32 v23, v21
	s_waitcnt vmcnt(3) lgkmcnt(2)
	v_pk_mul_f32 v[20:21], v[8:9], v[126:127] op_sel:[1,1] op_sel_hi:[0,1]
	v_pk_add_f32 v[6:7], v[6:7], v[22:23]
	v_pk_fma_f32 v[22:23], v[8:9], v[126:127], v[20:21] neg_lo:[0,0,1] neg_hi:[0,0,1]
	v_pk_fma_f32 v[8:9], v[8:9], v[126:127], v[20:21] op_sel_hi:[1,0,1]
	s_nop 0
	v_mov_b32_e32 v8, v129
	v_mov_b32_e32 v23, v9
	v_pk_mul_f32 v[8:9], v[10:11], v[8:9] op_sel:[1,0] op_sel_hi:[0,0]
	v_pk_fma_f32 v[20:21], v[10:11], v[128:129], v[8:9] neg_lo:[0,0,1] neg_hi:[0,0,1]
	v_pk_fma_f32 v[8:9], v[10:11], v[128:129], v[8:9] op_sel_hi:[1,0,1]
	v_pk_add_f32 v[6:7], v[6:7], v[22:23]
	v_mov_b32_e32 v21, v9
	s_waitcnt vmcnt(2) lgkmcnt(1)
	v_pk_mul_f32 v[8:9], v[12:13], v[130:131] op_sel:[1,1] op_sel_hi:[0,1]
	v_pk_fma_f32 v[10:11], v[12:13], v[130:131], v[8:9] neg_lo:[0,0,1] neg_hi:[0,0,1]
	v_pk_fma_f32 v[8:9], v[12:13], v[130:131], v[8:9] op_sel_hi:[1,0,1]
	v_pk_add_f32 v[6:7], v[6:7], v[20:21]
	v_mov_b32_e32 v8, v133
	v_mov_b32_e32 v11, v9
	v_pk_mul_f32 v[8:9], v[14:15], v[8:9] op_sel:[1,0] op_sel_hi:[0,0]
	v_pk_add_f32 v[6:7], v[6:7], v[10:11]
	v_pk_fma_f32 v[10:11], v[14:15], v[132:133], v[8:9] neg_lo:[0,0,1] neg_hi:[0,0,1]
	v_pk_fma_f32 v[8:9], v[14:15], v[132:133], v[8:9] op_sel_hi:[1,0,1]
	s_nop 0
	v_mov_b32_e32 v11, v9
	s_waitcnt vmcnt(1) lgkmcnt(0)
	v_pk_mul_f32 v[8:9], v[16:17], v[2:3] op_sel:[1,1] op_sel_hi:[0,1]
	v_pk_add_f32 v[6:7], v[6:7], v[10:11]
	v_pk_fma_f32 v[10:11], v[16:17], v[2:3], v[8:9] neg_lo:[0,0,1] neg_hi:[0,0,1]
	v_pk_fma_f32 v[2:3], v[16:17], v[2:3], v[8:9] op_sel_hi:[1,0,1]
	s_nop 0
	v_mov_b32_e32 v11, v3
	v_pk_add_f32 v[2:3], v[6:7], v[10:11]
	v_mov_b32_e32 v6, v5
	v_pk_mul_f32 v[6:7], v[18:19], v[6:7] op_sel:[1,0] op_sel_hi:[0,0]
	v_pk_fma_f32 v[8:9], v[18:19], v[4:5], v[6:7] neg_lo:[0,0,1] neg_hi:[0,0,1]
	v_pk_fma_f32 v[4:5], v[18:19], v[4:5], v[6:7] op_sel_hi:[1,0,1]
	s_nop 0
	v_mov_b32_e32 v9, v5
	v_pk_add_f32 v[2:3], v[2:3], v[8:9]
	s_waitcnt vmcnt(0)
	v_pk_add_f32 v[2:3], v[36:37], v[2:3] neg_lo:[0,1] neg_hi:[0,1]
	scratch_store_dwordx2 off, v[2:3], off offset:56
	s_and_saveexec_b64 s[0:1], vcc
	s_cbranch_execz .LBB93_181
; %bb.180:
	scratch_load_dwordx2 v[2:3], off, off offset:48
	v_mov_b32_e32 v4, 0
	v_mov_b32_e32 v5, v4
	scratch_store_dwordx2 off, v[4:5], off offset:48
	s_waitcnt vmcnt(1)
	ds_write_b64 v1, v[2:3]
.LBB93_181:
	s_or_b64 exec, exec, s[0:1]
	s_waitcnt lgkmcnt(0)
	; wave barrier
	scratch_load_dwordx4 v[2:5], off, off offset:56
	scratch_load_dwordx4 v[14:17], off, off offset:72
	;; [unrolled: 1-line block ×11, first 2 shown]
	scratch_load_dwordx2 v[22:23], off, off offset:232
	scratch_load_dwordx2 v[36:37], off, off offset:48
	v_mov_b32_e32 v98, 0
	ds_read2_b64 v[112:115], v98 offset0:37 offset1:38
	ds_read2_b64 v[116:119], v98 offset0:39 offset1:40
	;; [unrolled: 1-line block ×8, first 2 shown]
	v_cmp_lt_u32_e32 vcc, 5, v0
	s_waitcnt vmcnt(12) lgkmcnt(7)
	v_mul_f32_e32 v99, v112, v3
	v_mul_f32_e32 v144, v114, v5
	;; [unrolled: 1-line block ×3, first 2 shown]
	v_fmac_f32_e32 v99, v113, v2
	s_waitcnt vmcnt(8) lgkmcnt(3)
	v_mul_f32_e32 v153, v128, v19
	v_mul_f32_e32 v19, v129, v19
	;; [unrolled: 1-line block ×4, first 2 shown]
	v_fmac_f32_e32 v144, v115, v4
	v_fmac_f32_e32 v153, v129, v18
	v_fma_f32 v2, v112, v2, -v3
	v_fma_f32 v18, v128, v18, -v19
	v_add_f32_e32 v19, 0, v99
	v_mul_f32_e32 v148, v118, v17
	v_fmac_f32_e32 v146, v117, v14
	v_fma_f32 v3, v114, v4, -v5
	v_add_f32_e32 v2, 0, v2
	v_add_f32_e32 v19, v19, v144
	v_mul_f32_e32 v149, v120, v25
	v_fmac_f32_e32 v148, v119, v16
	v_add_f32_e32 v2, v2, v3
	v_add_f32_e32 v3, v19, v146
	v_mul_f32_e32 v150, v122, v27
	v_fmac_f32_e32 v149, v121, v24
	v_add_f32_e32 v3, v3, v148
	v_mul_f32_e32 v151, v124, v29
	v_mul_f32_e32 v15, v117, v15
	v_fmac_f32_e32 v150, v123, v26
	v_add_f32_e32 v3, v3, v149
	v_mul_f32_e32 v152, v126, v31
	v_mul_f32_e32 v17, v119, v17
	v_fmac_f32_e32 v151, v125, v28
	v_fma_f32 v4, v116, v14, -v15
	v_add_f32_e32 v3, v3, v150
	v_mul_f32_e32 v25, v121, v25
	v_fmac_f32_e32 v152, v127, v30
	v_fma_f32 v5, v118, v16, -v17
	v_add_f32_e32 v2, v2, v4
	v_add_f32_e32 v3, v3, v151
	v_mul_f32_e32 v154, v130, v21
	v_mul_f32_e32 v27, v123, v27
	v_fma_f32 v14, v120, v24, -v25
	v_add_f32_e32 v2, v2, v5
	v_add_f32_e32 v3, v3, v152
	s_waitcnt vmcnt(7) lgkmcnt(2)
	v_mul_f32_e32 v155, v132, v33
	v_mul_f32_e32 v29, v125, v29
	v_fmac_f32_e32 v154, v131, v20
	v_fma_f32 v15, v122, v26, -v27
	v_add_f32_e32 v2, v2, v14
	v_add_f32_e32 v3, v3, v153
	v_mul_f32_e32 v156, v134, v35
	v_mul_f32_e32 v31, v127, v31
	v_fmac_f32_e32 v155, v133, v32
	v_fma_f32 v16, v124, v28, -v29
	v_add_f32_e32 v2, v2, v15
	v_add_f32_e32 v3, v3, v154
	s_waitcnt vmcnt(6) lgkmcnt(1)
	v_mul_f32_e32 v157, v136, v101
	v_fmac_f32_e32 v156, v135, v34
	v_fma_f32 v17, v126, v30, -v31
	v_add_f32_e32 v2, v2, v16
	v_add_f32_e32 v3, v3, v155
	v_mul_f32_e32 v21, v131, v21
	v_fmac_f32_e32 v157, v137, v100
	v_add_f32_e32 v2, v2, v17
	v_add_f32_e32 v3, v3, v156
	;; [unrolled: 1-line block ×4, first 2 shown]
	v_fma_f32 v3, v130, v20, -v21
	v_add_f32_e32 v2, v2, v3
	v_mul_f32_e32 v3, v133, v33
	v_fma_f32 v3, v132, v32, -v3
	v_add_f32_e32 v2, v2, v3
	v_mul_f32_e32 v3, v135, v35
	;; [unrolled: 3-line block ×4, first 2 shown]
	v_mul_f32_e32 v145, v138, v103
	v_fma_f32 v144, v138, v102, -v2
	s_waitcnt vmcnt(5) lgkmcnt(0)
	v_mul_f32_e32 v2, v141, v105
	v_mov_b32_e32 v28, v107
	v_mul_f32_e32 v147, v140, v105
	v_fmac_f32_e32 v145, v139, v102
	v_fma_f32 v146, v140, v104, -v2
	ds_read2_b64 v[2:5], v98 offset0:53 offset1:54
	ds_read2_b64 v[14:17], v98 offset0:55 offset1:56
	;; [unrolled: 1-line block ×3, first 2 shown]
	ds_read_b64 v[26:27], v98 offset:472
	v_pk_mul_f32 v[28:29], v[142:143], v[28:29] op_sel:[1,0] op_sel_hi:[0,0]
	v_fmac_f32_e32 v147, v141, v104
	v_pk_add_f32 v[24:25], v[24:25], v[144:145]
	v_pk_fma_f32 v[30:31], v[142:143], v[106:107], v[28:29] neg_lo:[0,0,1] neg_hi:[0,0,1]
	v_pk_fma_f32 v[28:29], v[142:143], v[106:107], v[28:29] op_sel_hi:[1,0,1]
	v_pk_add_f32 v[24:25], v[24:25], v[146:147]
	v_mov_b32_e32 v31, v29
	s_waitcnt vmcnt(4) lgkmcnt(3)
	v_pk_mul_f32 v[28:29], v[2:3], v[108:109] op_sel:[1,1] op_sel_hi:[0,1]
	v_pk_add_f32 v[24:25], v[24:25], v[30:31]
	v_pk_fma_f32 v[30:31], v[2:3], v[108:109], v[28:29] neg_lo:[0,0,1] neg_hi:[0,0,1]
	v_pk_fma_f32 v[2:3], v[2:3], v[108:109], v[28:29] op_sel_hi:[1,0,1]
	s_nop 0
	v_mov_b32_e32 v31, v3
	v_pk_add_f32 v[2:3], v[24:25], v[30:31]
	v_mov_b32_e32 v24, v111
	v_pk_mul_f32 v[24:25], v[4:5], v[24:25] op_sel:[1,0] op_sel_hi:[0,0]
	v_pk_fma_f32 v[28:29], v[4:5], v[110:111], v[24:25] neg_lo:[0,0,1] neg_hi:[0,0,1]
	v_pk_fma_f32 v[4:5], v[4:5], v[110:111], v[24:25] op_sel_hi:[1,0,1]
	s_nop 0
	v_mov_b32_e32 v29, v5
	s_waitcnt vmcnt(3) lgkmcnt(2)
	v_pk_mul_f32 v[4:5], v[14:15], v[10:11] op_sel:[1,1] op_sel_hi:[0,1]
	v_pk_fma_f32 v[24:25], v[14:15], v[10:11], v[4:5] neg_lo:[0,0,1] neg_hi:[0,0,1]
	v_pk_fma_f32 v[4:5], v[14:15], v[10:11], v[4:5] op_sel_hi:[1,0,1]
	v_pk_add_f32 v[2:3], v[2:3], v[28:29]
	v_mov_b32_e32 v4, v13
	v_mov_b32_e32 v25, v5
	v_pk_mul_f32 v[4:5], v[16:17], v[4:5] op_sel:[1,0] op_sel_hi:[0,0]
	v_pk_fma_f32 v[10:11], v[16:17], v[12:13], v[4:5] neg_lo:[0,0,1] neg_hi:[0,0,1]
	v_pk_fma_f32 v[4:5], v[16:17], v[12:13], v[4:5] op_sel_hi:[1,0,1]
	v_pk_add_f32 v[2:3], v[2:3], v[24:25]
	v_mov_b32_e32 v11, v5
	s_waitcnt vmcnt(2) lgkmcnt(1)
	v_pk_mul_f32 v[4:5], v[18:19], v[6:7] op_sel:[1,1] op_sel_hi:[0,1]
	v_pk_add_f32 v[2:3], v[2:3], v[10:11]
	v_pk_fma_f32 v[10:11], v[18:19], v[6:7], v[4:5] neg_lo:[0,0,1] neg_hi:[0,0,1]
	v_pk_fma_f32 v[4:5], v[18:19], v[6:7], v[4:5] op_sel_hi:[1,0,1]
	s_nop 0
	v_mov_b32_e32 v4, v9
	v_mov_b32_e32 v11, v5
	v_pk_mul_f32 v[4:5], v[20:21], v[4:5] op_sel:[1,0] op_sel_hi:[0,0]
	v_pk_fma_f32 v[6:7], v[20:21], v[8:9], v[4:5] neg_lo:[0,0,1] neg_hi:[0,0,1]
	v_pk_fma_f32 v[4:5], v[20:21], v[8:9], v[4:5] op_sel_hi:[1,0,1]
	v_pk_add_f32 v[2:3], v[2:3], v[10:11]
	v_mov_b32_e32 v7, v5
	s_waitcnt vmcnt(1) lgkmcnt(0)
	v_pk_mul_f32 v[4:5], v[26:27], v[22:23] op_sel:[1,1] op_sel_hi:[0,1]
	v_pk_add_f32 v[2:3], v[2:3], v[6:7]
	v_pk_fma_f32 v[6:7], v[26:27], v[22:23], v[4:5] neg_lo:[0,0,1] neg_hi:[0,0,1]
	v_pk_fma_f32 v[4:5], v[26:27], v[22:23], v[4:5] op_sel_hi:[1,0,1]
	s_nop 0
	v_mov_b32_e32 v7, v5
	v_pk_add_f32 v[2:3], v[2:3], v[6:7]
	s_waitcnt vmcnt(0)
	v_pk_add_f32 v[2:3], v[36:37], v[2:3] neg_lo:[0,1] neg_hi:[0,1]
	scratch_store_dwordx2 off, v[2:3], off offset:48
	s_and_saveexec_b64 s[0:1], vcc
	s_cbranch_execz .LBB93_183
; %bb.182:
	scratch_load_dwordx2 v[2:3], off, off offset:40
	v_mov_b32_e32 v99, v98
	scratch_store_dwordx2 off, v[98:99], off offset:40
	s_waitcnt vmcnt(1)
	ds_write_b64 v1, v[2:3]
.LBB93_183:
	s_or_b64 exec, exec, s[0:1]
	s_waitcnt lgkmcnt(0)
	; wave barrier
	scratch_load_dwordx4 v[6:9], off, off offset:48
	scratch_load_dwordx4 v[18:21], off, off offset:64
	;; [unrolled: 1-line block ×8, first 2 shown]
	ds_read_b128 v[108:111], v98 offset:288
	ds_read_b128 v[112:115], v98 offset:304
	;; [unrolled: 1-line block ×8, first 2 shown]
	scratch_load_dwordx4 v[140:143], off, off offset:176
	scratch_load_dwordx4 v[26:29], off, off offset:192
	;; [unrolled: 1-line block ×4, first 2 shown]
	scratch_load_dwordx2 v[144:145], off, off offset:40
	v_cmp_lt_u32_e32 vcc, 4, v0
	s_waitcnt vmcnt(12) lgkmcnt(7)
	v_mul_f32_e32 v99, v108, v7
	v_mul_f32_e32 v146, v110, v9
	;; [unrolled: 1-line block ×3, first 2 shown]
	v_fmac_f32_e32 v99, v109, v6
	s_waitcnt vmcnt(8) lgkmcnt(3)
	v_mul_f32_e32 v155, v124, v15
	v_mul_f32_e32 v15, v125, v15
	;; [unrolled: 1-line block ×4, first 2 shown]
	v_fmac_f32_e32 v146, v111, v8
	v_fmac_f32_e32 v155, v125, v14
	v_fma_f32 v6, v108, v6, -v7
	v_fma_f32 v14, v124, v14, -v15
	v_add_f32_e32 v15, 0, v99
	v_mul_f32_e32 v150, v114, v21
	v_fmac_f32_e32 v148, v113, v18
	v_fma_f32 v7, v110, v8, -v9
	v_add_f32_e32 v6, 0, v6
	v_add_f32_e32 v15, v15, v146
	v_mul_f32_e32 v151, v116, v35
	v_fmac_f32_e32 v150, v115, v20
	v_add_f32_e32 v6, v6, v7
	v_add_f32_e32 v7, v15, v148
	v_mul_f32_e32 v152, v118, v37
	v_fmac_f32_e32 v151, v117, v34
	v_add_f32_e32 v7, v7, v150
	v_mul_f32_e32 v153, v120, v101
	v_fmac_f32_e32 v152, v119, v36
	;; [unrolled: 3-line block ×4, first 2 shown]
	v_add_f32_e32 v7, v7, v153
	v_mul_f32_e32 v156, v126, v17
	v_mul_f32_e32 v21, v115, v21
	v_fma_f32 v8, v112, v18, -v19
	v_add_f32_e32 v7, v7, v154
	s_waitcnt vmcnt(7) lgkmcnt(2)
	v_mul_f32_e32 v157, v128, v23
	v_mul_f32_e32 v35, v117, v35
	v_fmac_f32_e32 v156, v127, v16
	v_fma_f32 v9, v114, v20, -v21
	v_add_f32_e32 v6, v6, v8
	v_add_f32_e32 v7, v7, v155
	v_mul_f32_e32 v158, v130, v25
	v_mul_f32_e32 v37, v119, v37
	v_fmac_f32_e32 v157, v129, v22
	v_fma_f32 v18, v116, v34, -v35
	v_add_f32_e32 v6, v6, v9
	v_add_f32_e32 v7, v7, v156
	s_waitcnt vmcnt(6) lgkmcnt(1)
	v_mul_f32_e32 v159, v132, v31
	v_mul_f32_e32 v101, v121, v101
	v_fmac_f32_e32 v158, v131, v24
	v_fma_f32 v19, v118, v36, -v37
	v_add_f32_e32 v6, v6, v18
	v_add_f32_e32 v7, v7, v157
	v_mul_f32_e32 v160, v134, v33
	v_mul_f32_e32 v103, v123, v103
	v_fmac_f32_e32 v159, v133, v30
	v_fma_f32 v20, v120, v100, -v101
	v_add_f32_e32 v6, v6, v19
	v_add_f32_e32 v7, v7, v158
	v_fmac_f32_e32 v160, v135, v32
	v_fma_f32 v21, v122, v102, -v103
	v_add_f32_e32 v6, v6, v20
	v_add_f32_e32 v7, v7, v159
	;; [unrolled: 1-line block ×4, first 2 shown]
	v_mul_f32_e32 v7, v127, v17
	v_add_f32_e32 v6, v6, v14
	v_fma_f32 v7, v126, v16, -v7
	v_add_f32_e32 v6, v6, v7
	v_mul_f32_e32 v7, v129, v23
	v_fma_f32 v7, v128, v22, -v7
	v_add_f32_e32 v6, v6, v7
	v_mul_f32_e32 v7, v131, v25
	;; [unrolled: 3-line block ×4, first 2 shown]
	v_fma_f32 v7, v134, v32, -v7
	v_add_f32_e32 v34, v6, v7
	s_waitcnt vmcnt(5) lgkmcnt(0)
	v_mul_f32_e32 v6, v137, v105
	v_fma_f32 v146, v136, v104, -v6
	v_mul_f32_e32 v6, v139, v107
	v_fma_f32 v148, v138, v106, -v6
	ds_read_b128 v[6:9], v98 offset:416
	ds_read_b128 v[14:17], v98 offset:432
	;; [unrolled: 1-line block ×4, first 2 shown]
	v_mul_f32_e32 v147, v136, v105
	v_mul_f32_e32 v149, v138, v107
	v_fmac_f32_e32 v147, v137, v104
	s_waitcnt vmcnt(4) lgkmcnt(3)
	v_pk_mul_f32 v[32:33], v[6:7], v[140:141] op_sel:[1,1] op_sel_hi:[0,1]
	v_fmac_f32_e32 v149, v139, v106
	v_pk_add_f32 v[30:31], v[34:35], v[146:147]
	v_pk_fma_f32 v[34:35], v[6:7], v[140:141], v[32:33] neg_lo:[0,0,1] neg_hi:[0,0,1]
	v_pk_fma_f32 v[6:7], v[6:7], v[140:141], v[32:33] op_sel_hi:[1,0,1]
	v_pk_add_f32 v[30:31], v[30:31], v[148:149]
	v_mov_b32_e32 v35, v7
	v_pk_add_f32 v[6:7], v[30:31], v[34:35]
	v_mov_b32_e32 v30, v143
	v_pk_mul_f32 v[30:31], v[8:9], v[30:31] op_sel:[1,0] op_sel_hi:[0,0]
	v_pk_fma_f32 v[32:33], v[8:9], v[142:143], v[30:31] neg_lo:[0,0,1] neg_hi:[0,0,1]
	v_pk_fma_f32 v[8:9], v[8:9], v[142:143], v[30:31] op_sel_hi:[1,0,1]
	s_nop 0
	v_mov_b32_e32 v33, v9
	s_waitcnt vmcnt(3) lgkmcnt(2)
	v_pk_mul_f32 v[8:9], v[14:15], v[26:27] op_sel:[1,1] op_sel_hi:[0,1]
	v_pk_fma_f32 v[30:31], v[14:15], v[26:27], v[8:9] neg_lo:[0,0,1] neg_hi:[0,0,1]
	v_pk_fma_f32 v[8:9], v[14:15], v[26:27], v[8:9] op_sel_hi:[1,0,1]
	v_pk_add_f32 v[6:7], v[6:7], v[32:33]
	v_mov_b32_e32 v8, v29
	v_mov_b32_e32 v31, v9
	v_pk_mul_f32 v[8:9], v[16:17], v[8:9] op_sel:[1,0] op_sel_hi:[0,0]
	v_pk_fma_f32 v[14:15], v[16:17], v[28:29], v[8:9] neg_lo:[0,0,1] neg_hi:[0,0,1]
	v_pk_fma_f32 v[8:9], v[16:17], v[28:29], v[8:9] op_sel_hi:[1,0,1]
	v_pk_add_f32 v[6:7], v[6:7], v[30:31]
	v_mov_b32_e32 v15, v9
	s_waitcnt vmcnt(2) lgkmcnt(1)
	v_pk_mul_f32 v[8:9], v[18:19], v[10:11] op_sel:[1,1] op_sel_hi:[0,1]
	v_pk_add_f32 v[6:7], v[6:7], v[14:15]
	v_pk_fma_f32 v[14:15], v[18:19], v[10:11], v[8:9] neg_lo:[0,0,1] neg_hi:[0,0,1]
	v_pk_fma_f32 v[8:9], v[18:19], v[10:11], v[8:9] op_sel_hi:[1,0,1]
	s_nop 0
	v_mov_b32_e32 v8, v13
	v_mov_b32_e32 v15, v9
	v_pk_mul_f32 v[8:9], v[20:21], v[8:9] op_sel:[1,0] op_sel_hi:[0,0]
	v_pk_fma_f32 v[10:11], v[20:21], v[12:13], v[8:9] neg_lo:[0,0,1] neg_hi:[0,0,1]
	v_pk_fma_f32 v[8:9], v[20:21], v[12:13], v[8:9] op_sel_hi:[1,0,1]
	v_pk_add_f32 v[6:7], v[6:7], v[14:15]
	v_mov_b32_e32 v11, v9
	s_waitcnt vmcnt(1) lgkmcnt(0)
	v_pk_mul_f32 v[8:9], v[22:23], v[2:3] op_sel:[1,1] op_sel_hi:[0,1]
	v_pk_add_f32 v[6:7], v[6:7], v[10:11]
	v_pk_fma_f32 v[10:11], v[22:23], v[2:3], v[8:9] neg_lo:[0,0,1] neg_hi:[0,0,1]
	v_pk_fma_f32 v[2:3], v[22:23], v[2:3], v[8:9] op_sel_hi:[1,0,1]
	s_nop 0
	v_mov_b32_e32 v11, v3
	v_pk_add_f32 v[2:3], v[6:7], v[10:11]
	v_mov_b32_e32 v6, v5
	v_pk_mul_f32 v[6:7], v[24:25], v[6:7] op_sel:[1,0] op_sel_hi:[0,0]
	v_pk_fma_f32 v[8:9], v[24:25], v[4:5], v[6:7] neg_lo:[0,0,1] neg_hi:[0,0,1]
	v_pk_fma_f32 v[4:5], v[24:25], v[4:5], v[6:7] op_sel_hi:[1,0,1]
	s_nop 0
	v_mov_b32_e32 v9, v5
	v_pk_add_f32 v[2:3], v[2:3], v[8:9]
	s_waitcnt vmcnt(0)
	v_pk_add_f32 v[2:3], v[144:145], v[2:3] neg_lo:[0,1] neg_hi:[0,1]
	scratch_store_dwordx2 off, v[2:3], off offset:40
	s_and_saveexec_b64 s[0:1], vcc
	s_cbranch_execz .LBB93_185
; %bb.184:
	scratch_load_dwordx2 v[2:3], off, off offset:32
	v_mov_b32_e32 v4, 0
	v_mov_b32_e32 v5, v4
	scratch_store_dwordx2 off, v[4:5], off offset:32
	s_waitcnt vmcnt(1)
	ds_write_b64 v1, v[2:3]
.LBB93_185:
	s_or_b64 exec, exec, s[0:1]
	s_waitcnt lgkmcnt(0)
	; wave barrier
	scratch_load_dwordx4 v[8:11], off, off offset:40
	scratch_load_dwordx4 v[16:19], off, off offset:56
	;; [unrolled: 1-line block ×8, first 2 shown]
	v_mov_b32_e32 v2, 0
	ds_read2_b64 v[4:7], v2 offset0:35 offset1:36
	ds_read2_b64 v[98:101], v2 offset0:43 offset1:44
	scratch_load_dwordx4 v[134:137], off, off offset:168
	ds_read2_b64 v[130:133], v2 offset0:51 offset1:52
	v_cmp_lt_u32_e32 vcc, 3, v0
	ds_read2_b64 v[106:109], v2 offset0:45 offset1:46
	ds_read2_b64 v[114:117], v2 offset0:47 offset1:48
	;; [unrolled: 1-line block ×3, first 2 shown]
	s_waitcnt vmcnt(8) lgkmcnt(5)
	v_mul_f32_e32 v3, v4, v9
	v_fmac_f32_e32 v3, v5, v8
	v_mul_f32_e32 v12, v6, v11
	v_add_f32_e32 v3, 0, v3
	v_fmac_f32_e32 v12, v7, v10
	v_add_f32_e32 v3, v3, v12
	ds_read2_b64 v[12:15], v2 offset0:37 offset1:38
	s_waitcnt vmcnt(1) lgkmcnt(1)
	v_mul_f32_e32 v151, v124, v129
	v_fmac_f32_e32 v151, v125, v128
	s_waitcnt lgkmcnt(0)
	v_mul_f32_e32 v20, v12, v17
	v_fmac_f32_e32 v20, v13, v16
	v_add_f32_e32 v3, v3, v20
	v_mul_f32_e32 v20, v14, v19
	v_fmac_f32_e32 v20, v15, v18
	v_add_f32_e32 v3, v3, v20
	ds_read2_b64 v[20:23], v2 offset0:39 offset1:40
	s_waitcnt vmcnt(0)
	v_mul_f32_e32 v153, v130, v135
	v_fmac_f32_e32 v153, v131, v134
	s_waitcnt lgkmcnt(0)
	v_mul_f32_e32 v28, v20, v25
	v_fmac_f32_e32 v28, v21, v24
	v_add_f32_e32 v3, v3, v28
	v_mul_f32_e32 v28, v22, v27
	v_fmac_f32_e32 v28, v23, v26
	v_add_f32_e32 v3, v3, v28
	ds_read2_b64 v[28:31], v2 offset0:41 offset1:42
	scratch_load_dwordx4 v[138:141], off, off offset:184
	scratch_load_dwordx4 v[142:145], off, off offset:200
	;; [unrolled: 1-line block ×3, first 2 shown]
	scratch_load_dwordx2 v[154:155], off, off offset:232
	s_waitcnt lgkmcnt(0)
	v_mul_f32_e32 v36, v28, v33
	v_fmac_f32_e32 v36, v29, v32
	v_add_f32_e32 v3, v3, v36
	v_mul_f32_e32 v36, v30, v35
	v_fmac_f32_e32 v36, v31, v34
	v_add_f32_e32 v3, v3, v36
	;; [unrolled: 3-line block ×9, first 2 shown]
	v_mul_f32_e32 v3, v5, v9
	v_fma_f32 v3, v4, v8, -v3
	v_mul_f32_e32 v4, v7, v11
	v_add_f32_e32 v3, 0, v3
	v_fma_f32 v4, v6, v10, -v4
	v_add_f32_e32 v3, v3, v4
	v_mul_f32_e32 v4, v13, v17
	v_fma_f32 v4, v12, v16, -v4
	v_add_f32_e32 v3, v3, v4
	v_mul_f32_e32 v4, v15, v19
	v_fma_f32 v4, v14, v18, -v4
	v_add_f32_e32 v3, v3, v4
	v_mul_f32_e32 v4, v21, v25
	v_fma_f32 v4, v20, v24, -v4
	v_add_f32_e32 v3, v3, v4
	v_mul_f32_e32 v4, v23, v27
	v_fma_f32 v4, v22, v26, -v4
	v_add_f32_e32 v3, v3, v4
	v_mul_f32_e32 v4, v29, v33
	v_fma_f32 v4, v28, v32, -v4
	v_add_f32_e32 v3, v3, v4
	v_mul_f32_e32 v4, v31, v35
	v_fma_f32 v4, v30, v34, -v4
	v_add_f32_e32 v3, v3, v4
	v_mul_f32_e32 v4, v99, v103
	v_fma_f32 v4, v98, v102, -v4
	v_add_f32_e32 v3, v3, v4
	v_mul_f32_e32 v4, v101, v105
	v_fma_f32 v4, v100, v104, -v4
	v_add_f32_e32 v3, v3, v4
	v_mul_f32_e32 v4, v107, v111
	v_fma_f32 v4, v106, v110, -v4
	v_add_f32_e32 v3, v3, v4
	v_mul_f32_e32 v4, v109, v113
	v_fma_f32 v4, v108, v112, -v4
	v_add_f32_e32 v3, v3, v4
	v_mul_f32_e32 v4, v115, v119
	v_fma_f32 v4, v114, v118, -v4
	v_add_f32_e32 v3, v3, v4
	v_mul_f32_e32 v4, v117, v121
	v_fma_f32 v4, v116, v120, -v4
	v_add_f32_e32 v3, v3, v4
	v_mul_f32_e32 v4, v123, v127
	v_fma_f32 v4, v122, v126, -v4
	v_add_f32_e32 v36, v3, v4
	v_mul_f32_e32 v3, v125, v129
	v_mov_b32_e32 v20, v137
	v_fma_f32 v150, v124, v128, -v3
	v_mul_f32_e32 v3, v131, v135
	ds_read2_b64 v[4:7], v2 offset0:53 offset1:54
	ds_read2_b64 v[8:11], v2 offset0:55 offset1:56
	;; [unrolled: 1-line block ×3, first 2 shown]
	ds_read_b64 v[16:17], v2 offset:472
	v_pk_mul_f32 v[20:21], v[132:133], v[20:21] op_sel:[1,0] op_sel_hi:[0,0]
	v_fma_f32 v152, v130, v134, -v3
	v_pk_add_f32 v[18:19], v[36:37], v[150:151]
	v_pk_fma_f32 v[22:23], v[132:133], v[136:137], v[20:21] neg_lo:[0,0,1] neg_hi:[0,0,1]
	v_pk_fma_f32 v[20:21], v[132:133], v[136:137], v[20:21] op_sel_hi:[1,0,1]
	v_pk_add_f32 v[18:19], v[18:19], v[152:153]
	v_mov_b32_e32 v23, v21
	s_waitcnt vmcnt(3) lgkmcnt(3)
	v_pk_mul_f32 v[20:21], v[4:5], v[138:139] op_sel:[1,1] op_sel_hi:[0,1]
	v_pk_add_f32 v[18:19], v[18:19], v[22:23]
	v_pk_fma_f32 v[22:23], v[4:5], v[138:139], v[20:21] neg_lo:[0,0,1] neg_hi:[0,0,1]
	v_pk_fma_f32 v[4:5], v[4:5], v[138:139], v[20:21] op_sel_hi:[1,0,1]
	s_nop 0
	v_mov_b32_e32 v23, v5
	v_pk_add_f32 v[4:5], v[18:19], v[22:23]
	v_mov_b32_e32 v18, v141
	v_pk_mul_f32 v[18:19], v[6:7], v[18:19] op_sel:[1,0] op_sel_hi:[0,0]
	v_pk_fma_f32 v[20:21], v[6:7], v[140:141], v[18:19] neg_lo:[0,0,1] neg_hi:[0,0,1]
	v_pk_fma_f32 v[6:7], v[6:7], v[140:141], v[18:19] op_sel_hi:[1,0,1]
	s_nop 0
	v_mov_b32_e32 v21, v7
	s_waitcnt vmcnt(2) lgkmcnt(2)
	v_pk_mul_f32 v[6:7], v[8:9], v[142:143] op_sel:[1,1] op_sel_hi:[0,1]
	v_pk_fma_f32 v[18:19], v[8:9], v[142:143], v[6:7] neg_lo:[0,0,1] neg_hi:[0,0,1]
	v_pk_fma_f32 v[6:7], v[8:9], v[142:143], v[6:7] op_sel_hi:[1,0,1]
	v_pk_add_f32 v[4:5], v[4:5], v[20:21]
	v_mov_b32_e32 v6, v145
	v_mov_b32_e32 v19, v7
	v_pk_mul_f32 v[6:7], v[10:11], v[6:7] op_sel:[1,0] op_sel_hi:[0,0]
	v_pk_fma_f32 v[8:9], v[10:11], v[144:145], v[6:7] neg_lo:[0,0,1] neg_hi:[0,0,1]
	v_pk_fma_f32 v[6:7], v[10:11], v[144:145], v[6:7] op_sel_hi:[1,0,1]
	v_pk_add_f32 v[4:5], v[4:5], v[18:19]
	v_mov_b32_e32 v9, v7
	s_waitcnt vmcnt(1) lgkmcnt(1)
	v_pk_mul_f32 v[6:7], v[12:13], v[146:147] op_sel:[1,1] op_sel_hi:[0,1]
	v_pk_add_f32 v[4:5], v[4:5], v[8:9]
	v_pk_fma_f32 v[8:9], v[12:13], v[146:147], v[6:7] neg_lo:[0,0,1] neg_hi:[0,0,1]
	v_pk_fma_f32 v[6:7], v[12:13], v[146:147], v[6:7] op_sel_hi:[1,0,1]
	s_nop 0
	v_mov_b32_e32 v6, v149
	v_mov_b32_e32 v9, v7
	v_pk_mul_f32 v[6:7], v[14:15], v[6:7] op_sel:[1,0] op_sel_hi:[0,0]
	v_pk_add_f32 v[4:5], v[4:5], v[8:9]
	v_pk_fma_f32 v[8:9], v[14:15], v[148:149], v[6:7] neg_lo:[0,0,1] neg_hi:[0,0,1]
	v_pk_fma_f32 v[6:7], v[14:15], v[148:149], v[6:7] op_sel_hi:[1,0,1]
	s_nop 0
	v_mov_b32_e32 v9, v7
	s_waitcnt vmcnt(0) lgkmcnt(0)
	v_pk_mul_f32 v[6:7], v[16:17], v[154:155] op_sel:[1,1] op_sel_hi:[0,1]
	v_pk_add_f32 v[4:5], v[4:5], v[8:9]
	v_pk_fma_f32 v[8:9], v[16:17], v[154:155], v[6:7] neg_lo:[0,0,1] neg_hi:[0,0,1]
	v_pk_fma_f32 v[6:7], v[16:17], v[154:155], v[6:7] op_sel_hi:[1,0,1]
	s_nop 0
	v_mov_b32_e32 v9, v7
	scratch_load_dwordx2 v[6:7], off, off offset:32
	v_pk_add_f32 v[4:5], v[4:5], v[8:9]
	s_waitcnt vmcnt(0)
	v_pk_add_f32 v[4:5], v[6:7], v[4:5] neg_lo:[0,1] neg_hi:[0,1]
	scratch_store_dwordx2 off, v[4:5], off offset:32
	s_and_saveexec_b64 s[0:1], vcc
	s_cbranch_execz .LBB93_187
; %bb.186:
	scratch_load_dwordx2 v[4:5], off, off offset:24
	v_mov_b32_e32 v3, v2
	scratch_store_dwordx2 off, v[2:3], off offset:24
	s_waitcnt vmcnt(1)
	ds_write_b64 v1, v[4:5]
.LBB93_187:
	s_or_b64 exec, exec, s[0:1]
	s_waitcnt lgkmcnt(0)
	; wave barrier
	ds_read_b128 v[4:7], v2 offset:272
	ds_read_b128 v[8:11], v2 offset:288
	;; [unrolled: 1-line block ×4, first 2 shown]
	scratch_load_dwordx4 v[20:23], off, off offset:32
	scratch_load_dwordx4 v[102:105], off, off offset:96
	ds_read_b128 v[98:101], v2 offset:336
	ds_read_b128 v[106:109], v2 offset:352
	;; [unrolled: 1-line block ×5, first 2 shown]
	scratch_load_dwordx4 v[134:137], off, off offset:160
	v_cmp_lt_u32_e32 vcc, 2, v0
	scratch_load_dwordx4 v[110:113], off, off offset:112
	scratch_load_dwordx4 v[118:121], off, off offset:128
	;; [unrolled: 1-line block ×3, first 2 shown]
	s_waitcnt vmcnt(5) lgkmcnt(8)
	v_mul_f32_e32 v3, v4, v21
	v_fmac_f32_e32 v3, v5, v20
	v_mul_f32_e32 v24, v6, v23
	v_add_f32_e32 v3, 0, v3
	v_fmac_f32_e32 v24, v7, v22
	v_add_f32_e32 v3, v3, v24
	scratch_load_dwordx4 v[24:27], off, off offset:48
	s_waitcnt vmcnt(4) lgkmcnt(0)
	v_mul_f32_e32 v155, v130, v135
	v_fmac_f32_e32 v155, v131, v134
	v_mul_f32_e32 v157, v132, v137
	v_fmac_f32_e32 v157, v133, v136
	s_waitcnt vmcnt(0)
	v_mul_f32_e32 v28, v8, v25
	v_fmac_f32_e32 v28, v9, v24
	v_add_f32_e32 v3, v3, v28
	v_mul_f32_e32 v28, v10, v27
	v_fmac_f32_e32 v28, v11, v26
	v_add_f32_e32 v3, v3, v28
	scratch_load_dwordx4 v[28:31], off, off offset:64
	s_waitcnt vmcnt(0)
	v_mul_f32_e32 v32, v12, v29
	v_fmac_f32_e32 v32, v13, v28
	v_add_f32_e32 v3, v3, v32
	v_mul_f32_e32 v32, v14, v31
	v_fmac_f32_e32 v32, v15, v30
	v_add_f32_e32 v3, v3, v32
	scratch_load_dwordx4 v[32:35], off, off offset:80
	scratch_load_dwordx4 v[138:141], off, off offset:176
	;; [unrolled: 1-line block ×5, first 2 shown]
	s_waitcnt vmcnt(4)
	v_mul_f32_e32 v36, v16, v33
	v_fmac_f32_e32 v36, v17, v32
	v_add_f32_e32 v3, v3, v36
	v_mul_f32_e32 v36, v18, v35
	v_fmac_f32_e32 v36, v19, v34
	v_add_f32_e32 v3, v3, v36
	;; [unrolled: 3-line block ×10, first 2 shown]
	v_mul_f32_e32 v3, v5, v21
	v_fma_f32 v3, v4, v20, -v3
	v_mul_f32_e32 v4, v7, v23
	v_add_f32_e32 v3, 0, v3
	v_fma_f32 v4, v6, v22, -v4
	v_add_f32_e32 v3, v3, v4
	v_mul_f32_e32 v4, v9, v25
	v_fma_f32 v4, v8, v24, -v4
	v_add_f32_e32 v3, v3, v4
	v_mul_f32_e32 v4, v11, v27
	v_fma_f32 v4, v10, v26, -v4
	v_add_f32_e32 v3, v3, v4
	v_mul_f32_e32 v4, v13, v29
	v_fma_f32 v4, v12, v28, -v4
	v_add_f32_e32 v3, v3, v4
	v_mul_f32_e32 v4, v15, v31
	v_fma_f32 v4, v14, v30, -v4
	v_add_f32_e32 v3, v3, v4
	v_mul_f32_e32 v4, v17, v33
	v_fma_f32 v4, v16, v32, -v4
	v_add_f32_e32 v3, v3, v4
	v_mul_f32_e32 v4, v19, v35
	v_fma_f32 v4, v18, v34, -v4
	v_add_f32_e32 v3, v3, v4
	v_mul_f32_e32 v4, v99, v103
	v_fma_f32 v4, v98, v102, -v4
	v_add_f32_e32 v3, v3, v4
	v_mul_f32_e32 v4, v101, v105
	v_fma_f32 v4, v100, v104, -v4
	v_add_f32_e32 v3, v3, v4
	v_mul_f32_e32 v4, v107, v111
	v_fma_f32 v4, v106, v110, -v4
	v_add_f32_e32 v3, v3, v4
	v_mul_f32_e32 v4, v109, v113
	v_fma_f32 v4, v108, v112, -v4
	v_add_f32_e32 v3, v3, v4
	v_mul_f32_e32 v4, v115, v119
	v_fma_f32 v4, v114, v118, -v4
	v_add_f32_e32 v3, v3, v4
	v_mul_f32_e32 v4, v117, v121
	v_fma_f32 v4, v116, v120, -v4
	v_add_f32_e32 v3, v3, v4
	v_mul_f32_e32 v4, v123, v127
	v_fma_f32 v4, v122, v126, -v4
	v_add_f32_e32 v3, v3, v4
	v_mul_f32_e32 v4, v125, v129
	v_fma_f32 v4, v124, v128, -v4
	v_add_f32_e32 v36, v3, v4
	ds_read_b128 v[4:7], v2 offset:416
	ds_read_b128 v[8:11], v2 offset:432
	;; [unrolled: 1-line block ×4, first 2 shown]
	v_mul_f32_e32 v3, v131, v135
	s_waitcnt vmcnt(3) lgkmcnt(3)
	v_pk_mul_f32 v[20:21], v[4:5], v[138:139] op_sel:[1,1] op_sel_hi:[0,1]
	v_pk_fma_f32 v[22:23], v[4:5], v[138:139], v[20:21] neg_lo:[0,0,1] neg_hi:[0,0,1]
	v_pk_fma_f32 v[4:5], v[4:5], v[138:139], v[20:21] op_sel_hi:[1,0,1]
	v_fma_f32 v154, v130, v134, -v3
	v_mov_b32_e32 v4, v141
	v_mov_b32_e32 v23, v5
	v_pk_mul_f32 v[4:5], v[6:7], v[4:5] op_sel:[1,0] op_sel_hi:[0,0]
	v_mul_f32_e32 v3, v133, v137
	v_pk_fma_f32 v[20:21], v[6:7], v[140:141], v[4:5] neg_lo:[0,0,1] neg_hi:[0,0,1]
	v_pk_fma_f32 v[4:5], v[6:7], v[140:141], v[4:5] op_sel_hi:[1,0,1]
	v_fma_f32 v156, v132, v136, -v3
	v_pk_add_f32 v[2:3], v[36:37], v[154:155]
	v_mov_b32_e32 v21, v5
	s_waitcnt vmcnt(2) lgkmcnt(2)
	v_pk_mul_f32 v[4:5], v[8:9], v[142:143] op_sel:[1,1] op_sel_hi:[0,1]
	v_pk_add_f32 v[2:3], v[2:3], v[156:157]
	v_pk_fma_f32 v[6:7], v[8:9], v[142:143], v[4:5] neg_lo:[0,0,1] neg_hi:[0,0,1]
	v_pk_fma_f32 v[4:5], v[8:9], v[142:143], v[4:5] op_sel_hi:[1,0,1]
	v_pk_add_f32 v[2:3], v[2:3], v[22:23]
	v_mov_b32_e32 v4, v145
	v_pk_add_f32 v[2:3], v[2:3], v[20:21]
	v_mov_b32_e32 v7, v5
	v_pk_mul_f32 v[4:5], v[10:11], v[4:5] op_sel:[1,0] op_sel_hi:[0,0]
	v_pk_add_f32 v[2:3], v[2:3], v[6:7]
	v_pk_fma_f32 v[6:7], v[10:11], v[144:145], v[4:5] neg_lo:[0,0,1] neg_hi:[0,0,1]
	v_pk_fma_f32 v[4:5], v[10:11], v[144:145], v[4:5] op_sel_hi:[1,0,1]
	s_nop 0
	v_mov_b32_e32 v7, v5
	s_waitcnt vmcnt(1) lgkmcnt(1)
	v_pk_mul_f32 v[4:5], v[12:13], v[146:147] op_sel:[1,1] op_sel_hi:[0,1]
	v_pk_add_f32 v[2:3], v[2:3], v[6:7]
	v_pk_fma_f32 v[6:7], v[12:13], v[146:147], v[4:5] neg_lo:[0,0,1] neg_hi:[0,0,1]
	v_pk_fma_f32 v[4:5], v[12:13], v[146:147], v[4:5] op_sel_hi:[1,0,1]
	s_nop 0
	v_mov_b32_e32 v4, v149
	v_mov_b32_e32 v7, v5
	v_pk_mul_f32 v[4:5], v[14:15], v[4:5] op_sel:[1,0] op_sel_hi:[0,0]
	v_pk_add_f32 v[2:3], v[2:3], v[6:7]
	v_pk_fma_f32 v[6:7], v[14:15], v[148:149], v[4:5] neg_lo:[0,0,1] neg_hi:[0,0,1]
	v_pk_fma_f32 v[4:5], v[14:15], v[148:149], v[4:5] op_sel_hi:[1,0,1]
	s_nop 0
	v_mov_b32_e32 v7, v5
	s_waitcnt vmcnt(0) lgkmcnt(0)
	v_pk_mul_f32 v[4:5], v[16:17], v[150:151] op_sel:[1,1] op_sel_hi:[0,1]
	v_pk_add_f32 v[2:3], v[2:3], v[6:7]
	v_pk_fma_f32 v[6:7], v[16:17], v[150:151], v[4:5] neg_lo:[0,0,1] neg_hi:[0,0,1]
	v_pk_fma_f32 v[4:5], v[16:17], v[150:151], v[4:5] op_sel_hi:[1,0,1]
	s_nop 0
	v_mov_b32_e32 v4, v153
	v_mov_b32_e32 v7, v5
	v_pk_mul_f32 v[4:5], v[18:19], v[4:5] op_sel:[1,0] op_sel_hi:[0,0]
	v_pk_add_f32 v[2:3], v[2:3], v[6:7]
	v_pk_fma_f32 v[6:7], v[18:19], v[152:153], v[4:5] neg_lo:[0,0,1] neg_hi:[0,0,1]
	v_pk_fma_f32 v[4:5], v[18:19], v[152:153], v[4:5] op_sel_hi:[1,0,1]
	s_nop 0
	v_mov_b32_e32 v7, v5
	scratch_load_dwordx2 v[4:5], off, off offset:24
	v_pk_add_f32 v[2:3], v[2:3], v[6:7]
	s_waitcnt vmcnt(0)
	v_pk_add_f32 v[2:3], v[4:5], v[2:3] neg_lo:[0,1] neg_hi:[0,1]
	scratch_store_dwordx2 off, v[2:3], off offset:24
	s_and_saveexec_b64 s[0:1], vcc
	s_cbranch_execz .LBB93_189
; %bb.188:
	scratch_load_dwordx2 v[2:3], off, off offset:16
	v_mov_b32_e32 v4, 0
	v_mov_b32_e32 v5, v4
	scratch_store_dwordx2 off, v[4:5], off offset:16
	s_waitcnt vmcnt(1)
	ds_write_b64 v1, v[2:3]
.LBB93_189:
	s_or_b64 exec, exec, s[0:1]
	s_waitcnt lgkmcnt(0)
	; wave barrier
	scratch_load_dwordx4 v[8:11], off, off offset:24
	scratch_load_dwordx4 v[16:19], off, off offset:40
	;; [unrolled: 1-line block ×10, first 2 shown]
	v_mov_b32_e32 v2, 0
	ds_read2_b64 v[4:7], v2 offset0:33 offset1:34
	ds_read2_b64 v[98:101], v2 offset0:41 offset1:42
	;; [unrolled: 1-line block ×4, first 2 shown]
	v_cmp_lt_u32_e32 vcc, 1, v0
	ds_read2_b64 v[106:109], v2 offset0:43 offset1:44
	ds_read2_b64 v[114:117], v2 offset0:45 offset1:46
	;; [unrolled: 1-line block ×3, first 2 shown]
	s_waitcnt vmcnt(9) lgkmcnt(6)
	v_mul_f32_e32 v3, v4, v9
	v_fmac_f32_e32 v3, v5, v8
	v_mul_f32_e32 v12, v6, v11
	v_add_f32_e32 v3, 0, v3
	v_fmac_f32_e32 v12, v7, v10
	v_add_f32_e32 v3, v3, v12
	ds_read2_b64 v[12:15], v2 offset0:35 offset1:36
	s_waitcnt vmcnt(1) lgkmcnt(5)
	v_mul_f32_e32 v159, v132, v137
	v_fmac_f32_e32 v159, v133, v136
	s_waitcnt vmcnt(0) lgkmcnt(4)
	v_mul_f32_e32 v161, v138, v143
	s_waitcnt lgkmcnt(0)
	v_mul_f32_e32 v20, v12, v17
	v_fmac_f32_e32 v20, v13, v16
	v_add_f32_e32 v3, v3, v20
	v_mul_f32_e32 v20, v14, v19
	v_fmac_f32_e32 v20, v15, v18
	v_add_f32_e32 v3, v3, v20
	ds_read2_b64 v[20:23], v2 offset0:37 offset1:38
	v_fmac_f32_e32 v161, v139, v142
	s_waitcnt lgkmcnt(0)
	v_mul_f32_e32 v28, v20, v25
	v_fmac_f32_e32 v28, v21, v24
	v_add_f32_e32 v3, v3, v28
	v_mul_f32_e32 v28, v22, v27
	v_fmac_f32_e32 v28, v23, v26
	v_add_f32_e32 v3, v3, v28
	ds_read2_b64 v[28:31], v2 offset0:39 offset1:40
	scratch_load_dwordx4 v[146:149], off, off offset:184
	scratch_load_dwordx4 v[150:153], off, off offset:200
	;; [unrolled: 1-line block ×3, first 2 shown]
	scratch_load_dwordx2 v[162:163], off, off offset:232
	s_waitcnt lgkmcnt(0)
	v_mul_f32_e32 v36, v28, v33
	v_fmac_f32_e32 v36, v29, v32
	v_add_f32_e32 v3, v3, v36
	v_mul_f32_e32 v36, v30, v35
	v_fmac_f32_e32 v36, v31, v34
	v_add_f32_e32 v3, v3, v36
	;; [unrolled: 3-line block ×11, first 2 shown]
	v_mul_f32_e32 v3, v5, v9
	v_fma_f32 v3, v4, v8, -v3
	v_mul_f32_e32 v4, v7, v11
	v_add_f32_e32 v3, 0, v3
	v_fma_f32 v4, v6, v10, -v4
	v_add_f32_e32 v3, v3, v4
	v_mul_f32_e32 v4, v13, v17
	v_fma_f32 v4, v12, v16, -v4
	v_add_f32_e32 v3, v3, v4
	v_mul_f32_e32 v4, v15, v19
	;; [unrolled: 3-line block ×16, first 2 shown]
	v_mov_b32_e32 v20, v145
	v_fma_f32 v158, v132, v136, -v3
	v_mul_f32_e32 v3, v139, v143
	ds_read2_b64 v[4:7], v2 offset0:53 offset1:54
	ds_read2_b64 v[8:11], v2 offset0:55 offset1:56
	;; [unrolled: 1-line block ×3, first 2 shown]
	ds_read_b64 v[16:17], v2 offset:472
	v_pk_mul_f32 v[20:21], v[140:141], v[20:21] op_sel:[1,0] op_sel_hi:[0,0]
	v_fma_f32 v160, v138, v142, -v3
	v_pk_add_f32 v[18:19], v[36:37], v[158:159]
	v_pk_fma_f32 v[22:23], v[140:141], v[144:145], v[20:21] neg_lo:[0,0,1] neg_hi:[0,0,1]
	v_pk_fma_f32 v[20:21], v[140:141], v[144:145], v[20:21] op_sel_hi:[1,0,1]
	v_pk_add_f32 v[18:19], v[18:19], v[160:161]
	v_mov_b32_e32 v23, v21
	s_waitcnt vmcnt(3) lgkmcnt(3)
	v_pk_mul_f32 v[20:21], v[4:5], v[146:147] op_sel:[1,1] op_sel_hi:[0,1]
	v_pk_add_f32 v[18:19], v[18:19], v[22:23]
	v_pk_fma_f32 v[22:23], v[4:5], v[146:147], v[20:21] neg_lo:[0,0,1] neg_hi:[0,0,1]
	v_pk_fma_f32 v[4:5], v[4:5], v[146:147], v[20:21] op_sel_hi:[1,0,1]
	s_nop 0
	v_mov_b32_e32 v23, v5
	v_pk_add_f32 v[4:5], v[18:19], v[22:23]
	v_mov_b32_e32 v18, v149
	v_pk_mul_f32 v[18:19], v[6:7], v[18:19] op_sel:[1,0] op_sel_hi:[0,0]
	v_pk_fma_f32 v[20:21], v[6:7], v[148:149], v[18:19] neg_lo:[0,0,1] neg_hi:[0,0,1]
	v_pk_fma_f32 v[6:7], v[6:7], v[148:149], v[18:19] op_sel_hi:[1,0,1]
	s_nop 0
	v_mov_b32_e32 v21, v7
	s_waitcnt vmcnt(2) lgkmcnt(2)
	v_pk_mul_f32 v[6:7], v[8:9], v[150:151] op_sel:[1,1] op_sel_hi:[0,1]
	v_pk_fma_f32 v[18:19], v[8:9], v[150:151], v[6:7] neg_lo:[0,0,1] neg_hi:[0,0,1]
	v_pk_fma_f32 v[6:7], v[8:9], v[150:151], v[6:7] op_sel_hi:[1,0,1]
	v_pk_add_f32 v[4:5], v[4:5], v[20:21]
	v_mov_b32_e32 v6, v153
	v_mov_b32_e32 v19, v7
	v_pk_mul_f32 v[6:7], v[10:11], v[6:7] op_sel:[1,0] op_sel_hi:[0,0]
	v_pk_fma_f32 v[8:9], v[10:11], v[152:153], v[6:7] neg_lo:[0,0,1] neg_hi:[0,0,1]
	v_pk_fma_f32 v[6:7], v[10:11], v[152:153], v[6:7] op_sel_hi:[1,0,1]
	v_pk_add_f32 v[4:5], v[4:5], v[18:19]
	v_mov_b32_e32 v9, v7
	s_waitcnt vmcnt(1) lgkmcnt(1)
	v_pk_mul_f32 v[6:7], v[12:13], v[154:155] op_sel:[1,1] op_sel_hi:[0,1]
	v_pk_add_f32 v[4:5], v[4:5], v[8:9]
	v_pk_fma_f32 v[8:9], v[12:13], v[154:155], v[6:7] neg_lo:[0,0,1] neg_hi:[0,0,1]
	v_pk_fma_f32 v[6:7], v[12:13], v[154:155], v[6:7] op_sel_hi:[1,0,1]
	s_nop 0
	v_mov_b32_e32 v6, v157
	v_mov_b32_e32 v9, v7
	v_pk_mul_f32 v[6:7], v[14:15], v[6:7] op_sel:[1,0] op_sel_hi:[0,0]
	v_pk_add_f32 v[4:5], v[4:5], v[8:9]
	v_pk_fma_f32 v[8:9], v[14:15], v[156:157], v[6:7] neg_lo:[0,0,1] neg_hi:[0,0,1]
	v_pk_fma_f32 v[6:7], v[14:15], v[156:157], v[6:7] op_sel_hi:[1,0,1]
	s_nop 0
	v_mov_b32_e32 v9, v7
	s_waitcnt vmcnt(0) lgkmcnt(0)
	v_pk_mul_f32 v[6:7], v[16:17], v[162:163] op_sel:[1,1] op_sel_hi:[0,1]
	v_pk_add_f32 v[4:5], v[4:5], v[8:9]
	v_pk_fma_f32 v[8:9], v[16:17], v[162:163], v[6:7] neg_lo:[0,0,1] neg_hi:[0,0,1]
	v_pk_fma_f32 v[6:7], v[16:17], v[162:163], v[6:7] op_sel_hi:[1,0,1]
	s_nop 0
	v_mov_b32_e32 v9, v7
	scratch_load_dwordx2 v[6:7], off, off offset:16
	v_pk_add_f32 v[4:5], v[4:5], v[8:9]
	s_waitcnt vmcnt(0)
	v_pk_add_f32 v[4:5], v[6:7], v[4:5] neg_lo:[0,1] neg_hi:[0,1]
	scratch_store_dwordx2 off, v[4:5], off offset:16
	s_and_saveexec_b64 s[0:1], vcc
	s_cbranch_execz .LBB93_191
; %bb.190:
	scratch_load_dwordx2 v[4:5], off, off offset:8
	v_mov_b32_e32 v3, v2
	scratch_store_dwordx2 off, v[2:3], off offset:8
	s_waitcnt vmcnt(1)
	ds_write_b64 v1, v[4:5]
.LBB93_191:
	s_or_b64 exec, exec, s[0:1]
	s_waitcnt lgkmcnt(0)
	; wave barrier
	ds_read_b128 v[4:7], v2 offset:256
	ds_read_b128 v[8:11], v2 offset:272
	;; [unrolled: 1-line block ×4, first 2 shown]
	scratch_load_dwordx4 v[20:23], off, off offset:16
	scratch_load_dwordx4 v[102:105], off, off offset:80
	;; [unrolled: 1-line block ×4, first 2 shown]
	ds_read_b128 v[98:101], v2 offset:320
	ds_read_b128 v[106:109], v2 offset:336
	;; [unrolled: 1-line block ×6, first 2 shown]
	v_cmp_ne_u32_e32 vcc, 0, v0
	scratch_load_dwordx4 v[110:113], off, off offset:96
	scratch_load_dwordx4 v[118:121], off, off offset:112
	;; [unrolled: 1-line block ×3, first 2 shown]
	s_waitcnt vmcnt(6) lgkmcnt(9)
	v_mul_f32_e32 v3, v4, v21
	v_fmac_f32_e32 v3, v5, v20
	v_mul_f32_e32 v24, v6, v23
	v_add_f32_e32 v3, 0, v3
	v_fmac_f32_e32 v24, v7, v22
	v_add_f32_e32 v3, v3, v24
	scratch_load_dwordx4 v[24:27], off, off offset:32
	s_waitcnt vmcnt(4) lgkmcnt(0)
	v_mul_f32_e32 v163, v138, v143
	v_fmac_f32_e32 v163, v139, v142
	v_mul_f32_e32 v165, v140, v145
	v_fmac_f32_e32 v165, v141, v144
	s_waitcnt vmcnt(0)
	v_mul_f32_e32 v28, v8, v25
	v_fmac_f32_e32 v28, v9, v24
	v_add_f32_e32 v3, v3, v28
	v_mul_f32_e32 v28, v10, v27
	v_fmac_f32_e32 v28, v11, v26
	v_add_f32_e32 v3, v3, v28
	scratch_load_dwordx4 v[28:31], off, off offset:48
	s_waitcnt vmcnt(0)
	v_mul_f32_e32 v32, v12, v29
	v_fmac_f32_e32 v32, v13, v28
	v_add_f32_e32 v3, v3, v32
	v_mul_f32_e32 v32, v14, v31
	v_fmac_f32_e32 v32, v15, v30
	v_add_f32_e32 v3, v3, v32
	scratch_load_dwordx4 v[32:35], off, off offset:64
	scratch_load_dwordx4 v[146:149], off, off offset:176
	;; [unrolled: 1-line block ×5, first 2 shown]
	s_waitcnt vmcnt(4)
	v_mul_f32_e32 v36, v16, v33
	v_fmac_f32_e32 v36, v17, v32
	v_add_f32_e32 v3, v3, v36
	v_mul_f32_e32 v36, v18, v35
	v_fmac_f32_e32 v36, v19, v34
	v_add_f32_e32 v3, v3, v36
	v_mul_f32_e32 v36, v98, v103
	v_fmac_f32_e32 v36, v99, v102
	v_add_f32_e32 v3, v3, v36
	v_mul_f32_e32 v36, v100, v105
	v_fmac_f32_e32 v36, v101, v104
	v_add_f32_e32 v3, v3, v36
	v_mul_f32_e32 v36, v106, v111
	v_fmac_f32_e32 v36, v107, v110
	v_add_f32_e32 v3, v3, v36
	v_mul_f32_e32 v36, v108, v113
	v_fmac_f32_e32 v36, v109, v112
	v_add_f32_e32 v3, v3, v36
	v_mul_f32_e32 v36, v114, v119
	v_fmac_f32_e32 v36, v115, v118
	v_add_f32_e32 v3, v3, v36
	v_mul_f32_e32 v36, v116, v121
	v_fmac_f32_e32 v36, v117, v120
	v_add_f32_e32 v3, v3, v36
	v_mul_f32_e32 v36, v122, v127
	v_fmac_f32_e32 v36, v123, v126
	v_add_f32_e32 v3, v3, v36
	v_mul_f32_e32 v36, v124, v129
	v_fmac_f32_e32 v36, v125, v128
	v_add_f32_e32 v3, v3, v36
	v_mul_f32_e32 v36, v130, v135
	v_fmac_f32_e32 v36, v131, v134
	v_add_f32_e32 v3, v3, v36
	v_mul_f32_e32 v36, v132, v137
	v_fmac_f32_e32 v36, v133, v136
	v_add_f32_e32 v37, v3, v36
	v_mul_f32_e32 v3, v5, v21
	v_fma_f32 v3, v4, v20, -v3
	v_mul_f32_e32 v4, v7, v23
	v_add_f32_e32 v3, 0, v3
	v_fma_f32 v4, v6, v22, -v4
	v_add_f32_e32 v3, v3, v4
	v_mul_f32_e32 v4, v9, v25
	v_fma_f32 v4, v8, v24, -v4
	v_add_f32_e32 v3, v3, v4
	v_mul_f32_e32 v4, v11, v27
	v_fma_f32 v4, v10, v26, -v4
	v_add_f32_e32 v3, v3, v4
	v_mul_f32_e32 v4, v13, v29
	v_fma_f32 v4, v12, v28, -v4
	v_add_f32_e32 v3, v3, v4
	v_mul_f32_e32 v4, v15, v31
	v_fma_f32 v4, v14, v30, -v4
	v_add_f32_e32 v3, v3, v4
	v_mul_f32_e32 v4, v17, v33
	v_fma_f32 v4, v16, v32, -v4
	v_add_f32_e32 v3, v3, v4
	v_mul_f32_e32 v4, v19, v35
	v_fma_f32 v4, v18, v34, -v4
	v_add_f32_e32 v3, v3, v4
	v_mul_f32_e32 v4, v99, v103
	v_fma_f32 v4, v98, v102, -v4
	v_add_f32_e32 v3, v3, v4
	v_mul_f32_e32 v4, v101, v105
	v_fma_f32 v4, v100, v104, -v4
	v_add_f32_e32 v3, v3, v4
	v_mul_f32_e32 v4, v107, v111
	v_fma_f32 v4, v106, v110, -v4
	v_add_f32_e32 v3, v3, v4
	v_mul_f32_e32 v4, v109, v113
	v_fma_f32 v4, v108, v112, -v4
	v_add_f32_e32 v3, v3, v4
	v_mul_f32_e32 v4, v115, v119
	v_fma_f32 v4, v114, v118, -v4
	v_add_f32_e32 v3, v3, v4
	v_mul_f32_e32 v4, v117, v121
	v_fma_f32 v4, v116, v120, -v4
	v_add_f32_e32 v3, v3, v4
	v_mul_f32_e32 v4, v123, v127
	v_fma_f32 v4, v122, v126, -v4
	v_add_f32_e32 v3, v3, v4
	v_mul_f32_e32 v4, v125, v129
	v_fma_f32 v4, v124, v128, -v4
	v_add_f32_e32 v3, v3, v4
	v_mul_f32_e32 v4, v131, v135
	v_fma_f32 v4, v130, v134, -v4
	v_add_f32_e32 v3, v3, v4
	v_mul_f32_e32 v4, v133, v137
	v_fma_f32 v4, v132, v136, -v4
	v_add_f32_e32 v36, v3, v4
	ds_read_b128 v[4:7], v2 offset:416
	ds_read_b128 v[8:11], v2 offset:432
	;; [unrolled: 1-line block ×4, first 2 shown]
	v_mul_f32_e32 v3, v139, v143
	s_waitcnt vmcnt(3) lgkmcnt(3)
	v_pk_mul_f32 v[20:21], v[4:5], v[146:147] op_sel:[1,1] op_sel_hi:[0,1]
	v_pk_fma_f32 v[22:23], v[4:5], v[146:147], v[20:21] neg_lo:[0,0,1] neg_hi:[0,0,1]
	v_pk_fma_f32 v[4:5], v[4:5], v[146:147], v[20:21] op_sel_hi:[1,0,1]
	v_fma_f32 v162, v138, v142, -v3
	v_mov_b32_e32 v4, v149
	v_mov_b32_e32 v23, v5
	v_pk_mul_f32 v[4:5], v[6:7], v[4:5] op_sel:[1,0] op_sel_hi:[0,0]
	v_mul_f32_e32 v3, v141, v145
	v_pk_fma_f32 v[20:21], v[6:7], v[148:149], v[4:5] neg_lo:[0,0,1] neg_hi:[0,0,1]
	v_pk_fma_f32 v[4:5], v[6:7], v[148:149], v[4:5] op_sel_hi:[1,0,1]
	v_fma_f32 v164, v140, v144, -v3
	v_pk_add_f32 v[2:3], v[36:37], v[162:163]
	v_mov_b32_e32 v21, v5
	s_waitcnt vmcnt(2) lgkmcnt(2)
	v_pk_mul_f32 v[4:5], v[8:9], v[150:151] op_sel:[1,1] op_sel_hi:[0,1]
	v_pk_add_f32 v[2:3], v[2:3], v[164:165]
	v_pk_fma_f32 v[6:7], v[8:9], v[150:151], v[4:5] neg_lo:[0,0,1] neg_hi:[0,0,1]
	v_pk_fma_f32 v[4:5], v[8:9], v[150:151], v[4:5] op_sel_hi:[1,0,1]
	v_pk_add_f32 v[2:3], v[2:3], v[22:23]
	v_mov_b32_e32 v4, v153
	v_pk_add_f32 v[2:3], v[2:3], v[20:21]
	v_mov_b32_e32 v7, v5
	v_pk_mul_f32 v[4:5], v[10:11], v[4:5] op_sel:[1,0] op_sel_hi:[0,0]
	v_pk_add_f32 v[2:3], v[2:3], v[6:7]
	v_pk_fma_f32 v[6:7], v[10:11], v[152:153], v[4:5] neg_lo:[0,0,1] neg_hi:[0,0,1]
	v_pk_fma_f32 v[4:5], v[10:11], v[152:153], v[4:5] op_sel_hi:[1,0,1]
	s_nop 0
	v_mov_b32_e32 v7, v5
	s_waitcnt vmcnt(1) lgkmcnt(1)
	v_pk_mul_f32 v[4:5], v[12:13], v[154:155] op_sel:[1,1] op_sel_hi:[0,1]
	v_pk_add_f32 v[2:3], v[2:3], v[6:7]
	v_pk_fma_f32 v[6:7], v[12:13], v[154:155], v[4:5] neg_lo:[0,0,1] neg_hi:[0,0,1]
	v_pk_fma_f32 v[4:5], v[12:13], v[154:155], v[4:5] op_sel_hi:[1,0,1]
	s_nop 0
	v_mov_b32_e32 v4, v157
	v_mov_b32_e32 v7, v5
	v_pk_mul_f32 v[4:5], v[14:15], v[4:5] op_sel:[1,0] op_sel_hi:[0,0]
	v_pk_add_f32 v[2:3], v[2:3], v[6:7]
	v_pk_fma_f32 v[6:7], v[14:15], v[156:157], v[4:5] neg_lo:[0,0,1] neg_hi:[0,0,1]
	v_pk_fma_f32 v[4:5], v[14:15], v[156:157], v[4:5] op_sel_hi:[1,0,1]
	s_nop 0
	v_mov_b32_e32 v7, v5
	s_waitcnt vmcnt(0) lgkmcnt(0)
	v_pk_mul_f32 v[4:5], v[16:17], v[158:159] op_sel:[1,1] op_sel_hi:[0,1]
	v_pk_add_f32 v[2:3], v[2:3], v[6:7]
	v_pk_fma_f32 v[6:7], v[16:17], v[158:159], v[4:5] neg_lo:[0,0,1] neg_hi:[0,0,1]
	v_pk_fma_f32 v[4:5], v[16:17], v[158:159], v[4:5] op_sel_hi:[1,0,1]
	s_nop 0
	v_mov_b32_e32 v4, v161
	v_mov_b32_e32 v7, v5
	v_pk_mul_f32 v[4:5], v[18:19], v[4:5] op_sel:[1,0] op_sel_hi:[0,0]
	v_pk_add_f32 v[2:3], v[2:3], v[6:7]
	v_pk_fma_f32 v[6:7], v[18:19], v[160:161], v[4:5] neg_lo:[0,0,1] neg_hi:[0,0,1]
	v_pk_fma_f32 v[4:5], v[18:19], v[160:161], v[4:5] op_sel_hi:[1,0,1]
	s_nop 0
	v_mov_b32_e32 v7, v5
	scratch_load_dwordx2 v[4:5], off, off offset:8
	v_pk_add_f32 v[2:3], v[2:3], v[6:7]
	s_waitcnt vmcnt(0)
	v_pk_add_f32 v[2:3], v[4:5], v[2:3] neg_lo:[0,1] neg_hi:[0,1]
	scratch_store_dwordx2 off, v[2:3], off offset:8
	s_and_saveexec_b64 s[0:1], vcc
	s_cbranch_execz .LBB93_193
; %bb.192:
	scratch_load_dwordx2 v[2:3], off, off
	v_mov_b32_e32 v4, 0
	v_mov_b32_e32 v5, v4
	scratch_store_dwordx2 off, v[4:5], off
	s_waitcnt vmcnt(1)
	ds_write_b64 v1, v[2:3]
.LBB93_193:
	s_or_b64 exec, exec, s[0:1]
	s_waitcnt lgkmcnt(0)
	; wave barrier
	scratch_load_dwordx4 v[8:11], off, off offset:8
	scratch_load_dwordx4 v[16:19], off, off offset:24
	;; [unrolled: 1-line block ×10, first 2 shown]
	v_mov_b32_e32 v2, 0
	scratch_load_dwordx4 v[150:153], off, off offset:168
	ds_read2_b64 v[4:7], v2 offset0:31 offset1:32
	ds_read2_b64 v[12:15], v2 offset0:33 offset1:34
	ds_read2_b64 v[20:23], v2 offset0:35 offset1:36
	ds_read2_b64 v[28:31], v2 offset0:37 offset1:38
	ds_read2_b64 v[98:101], v2 offset0:39 offset1:40
	ds_read2_b64 v[106:109], v2 offset0:41 offset1:42
	ds_read2_b64 v[114:117], v2 offset0:43 offset1:44
	ds_read2_b64 v[122:125], v2 offset0:45 offset1:46
	ds_read2_b64 v[130:133], v2 offset0:47 offset1:48
	ds_read2_b64 v[138:141], v2 offset0:49 offset1:50
	ds_read2_b64 v[146:149], v2 offset0:51 offset1:52
	scratch_load_dwordx4 v[154:157], off, off offset:184
	scratch_load_dwordx4 v[158:161], off, off offset:200
	;; [unrolled: 1-line block ×3, first 2 shown]
	scratch_load_dwordx2 v[168:169], off, off offset:232
	s_and_b64 vcc, exec, s[10:11]
	s_waitcnt vmcnt(14) lgkmcnt(10)
	v_mul_f32_e32 v0, v4, v9
	v_fmac_f32_e32 v0, v5, v8
	v_mul_f32_e32 v1, v6, v11
	v_add_f32_e32 v0, 0, v0
	v_fmac_f32_e32 v1, v7, v10
	v_add_f32_e32 v0, v0, v1
	s_waitcnt vmcnt(13) lgkmcnt(9)
	v_mul_f32_e32 v1, v12, v17
	v_fmac_f32_e32 v1, v13, v16
	v_add_f32_e32 v0, v0, v1
	v_mul_f32_e32 v1, v14, v19
	v_fmac_f32_e32 v1, v15, v18
	v_add_f32_e32 v0, v0, v1
	s_waitcnt vmcnt(12) lgkmcnt(8)
	v_mul_f32_e32 v1, v20, v25
	v_fmac_f32_e32 v1, v21, v24
	v_add_f32_e32 v0, v0, v1
	v_mul_f32_e32 v1, v22, v27
	;; [unrolled: 7-line block ×9, first 2 shown]
	v_fma_f32 v0, v4, v8, -v0
	v_mul_f32_e32 v3, v7, v11
	v_add_f32_e32 v0, 0, v0
	v_fma_f32 v3, v6, v10, -v3
	v_add_f32_e32 v0, v0, v3
	v_mul_f32_e32 v3, v13, v17
	v_fma_f32 v3, v12, v16, -v3
	v_add_f32_e32 v0, v0, v3
	v_mul_f32_e32 v3, v15, v19
	;; [unrolled: 3-line block ×17, first 2 shown]
	v_fma_f32 v3, v138, v142, -v3
	v_mul_f32_e32 v37, v140, v145
	v_add_f32_e32 v0, v0, v3
	v_mul_f32_e32 v3, v141, v145
	s_waitcnt vmcnt(4)
	v_mov_b32_e32 v18, v153
	v_fmac_f32_e32 v37, v141, v144
	s_waitcnt lgkmcnt(0)
	v_mul_f32_e32 v167, v146, v151
	v_fma_f32 v36, v140, v144, -v3
	v_mul_f32_e32 v3, v147, v151
	ds_read2_b64 v[4:7], v2 offset0:53 offset1:54
	ds_read2_b64 v[8:11], v2 offset0:55 offset1:56
	;; [unrolled: 1-line block ×3, first 2 shown]
	ds_read_b64 v[16:17], v2 offset:472
	v_pk_mul_f32 v[18:19], v[148:149], v[18:19] op_sel:[1,0] op_sel_hi:[0,0]
	v_fmac_f32_e32 v167, v147, v150
	v_fma_f32 v166, v146, v150, -v3
	v_pk_add_f32 v[0:1], v[0:1], v[36:37]
	v_pk_fma_f32 v[20:21], v[148:149], v[152:153], v[18:19] neg_lo:[0,0,1] neg_hi:[0,0,1]
	v_pk_fma_f32 v[18:19], v[148:149], v[152:153], v[18:19] op_sel_hi:[1,0,1]
	v_pk_add_f32 v[0:1], v[0:1], v[166:167]
	v_mov_b32_e32 v21, v19
	s_waitcnt vmcnt(3) lgkmcnt(3)
	v_pk_mul_f32 v[18:19], v[4:5], v[154:155] op_sel:[1,1] op_sel_hi:[0,1]
	v_pk_add_f32 v[0:1], v[0:1], v[20:21]
	v_pk_fma_f32 v[20:21], v[4:5], v[154:155], v[18:19] neg_lo:[0,0,1] neg_hi:[0,0,1]
	v_pk_fma_f32 v[4:5], v[4:5], v[154:155], v[18:19] op_sel_hi:[1,0,1]
	s_nop 0
	v_mov_b32_e32 v4, v157
	v_mov_b32_e32 v21, v5
	v_pk_mul_f32 v[4:5], v[6:7], v[4:5] op_sel:[1,0] op_sel_hi:[0,0]
	v_pk_fma_f32 v[18:19], v[6:7], v[156:157], v[4:5] neg_lo:[0,0,1] neg_hi:[0,0,1]
	v_pk_fma_f32 v[4:5], v[6:7], v[156:157], v[4:5] op_sel_hi:[1,0,1]
	v_pk_add_f32 v[0:1], v[0:1], v[20:21]
	v_mov_b32_e32 v19, v5
	s_waitcnt vmcnt(2) lgkmcnt(2)
	v_pk_mul_f32 v[4:5], v[8:9], v[158:159] op_sel:[1,1] op_sel_hi:[0,1]
	v_pk_fma_f32 v[6:7], v[8:9], v[158:159], v[4:5] neg_lo:[0,0,1] neg_hi:[0,0,1]
	v_pk_fma_f32 v[4:5], v[8:9], v[158:159], v[4:5] op_sel_hi:[1,0,1]
	v_pk_add_f32 v[0:1], v[0:1], v[18:19]
	v_mov_b32_e32 v4, v161
	v_mov_b32_e32 v7, v5
	v_pk_mul_f32 v[4:5], v[10:11], v[4:5] op_sel:[1,0] op_sel_hi:[0,0]
	v_pk_add_f32 v[0:1], v[0:1], v[6:7]
	v_pk_fma_f32 v[6:7], v[10:11], v[160:161], v[4:5] neg_lo:[0,0,1] neg_hi:[0,0,1]
	v_pk_fma_f32 v[4:5], v[10:11], v[160:161], v[4:5] op_sel_hi:[1,0,1]
	s_nop 0
	v_mov_b32_e32 v7, v5
	s_waitcnt vmcnt(1) lgkmcnt(1)
	v_pk_mul_f32 v[4:5], v[12:13], v[162:163] op_sel:[1,1] op_sel_hi:[0,1]
	v_pk_add_f32 v[0:1], v[0:1], v[6:7]
	v_pk_fma_f32 v[6:7], v[12:13], v[162:163], v[4:5] neg_lo:[0,0,1] neg_hi:[0,0,1]
	v_pk_fma_f32 v[4:5], v[12:13], v[162:163], v[4:5] op_sel_hi:[1,0,1]
	s_nop 0
	v_mov_b32_e32 v4, v165
	v_mov_b32_e32 v7, v5
	v_pk_mul_f32 v[4:5], v[14:15], v[4:5] op_sel:[1,0] op_sel_hi:[0,0]
	v_pk_add_f32 v[0:1], v[0:1], v[6:7]
	v_pk_fma_f32 v[6:7], v[14:15], v[164:165], v[4:5] neg_lo:[0,0,1] neg_hi:[0,0,1]
	v_pk_fma_f32 v[4:5], v[14:15], v[164:165], v[4:5] op_sel_hi:[1,0,1]
	s_nop 0
	v_mov_b32_e32 v7, v5
	s_waitcnt vmcnt(0) lgkmcnt(0)
	v_pk_mul_f32 v[4:5], v[16:17], v[168:169] op_sel:[1,1] op_sel_hi:[0,1]
	v_pk_add_f32 v[0:1], v[0:1], v[6:7]
	v_pk_fma_f32 v[6:7], v[16:17], v[168:169], v[4:5] neg_lo:[0,0,1] neg_hi:[0,0,1]
	v_pk_fma_f32 v[4:5], v[16:17], v[168:169], v[4:5] op_sel_hi:[1,0,1]
	s_nop 0
	v_mov_b32_e32 v7, v5
	scratch_load_dwordx2 v[4:5], off, off
	v_pk_add_f32 v[0:1], v[0:1], v[6:7]
	s_waitcnt vmcnt(0)
	v_pk_add_f32 v[0:1], v[4:5], v[0:1] neg_lo:[0,1] neg_hi:[0,1]
	scratch_store_dwordx2 off, v[0:1], off
	s_cbranch_vccz .LBB93_252
; %bb.194:
	global_load_dword v0, v2, s[8:9] offset:112
	s_waitcnt vmcnt(0)
	v_readfirstlane_b32 s0, v0
	s_add_i32 s0, s0, -1
	s_cmp_lg_u32 s0, 28
	s_cbranch_scc0 .LBB93_196
; %bb.195:
	s_lshl_b32 s0, s0, 3
	s_nop 0
	scratch_load_dwordx2 v[0:1], off, s0
	scratch_load_dwordx2 v[2:3], off, off offset:224
	s_waitcnt vmcnt(1)
	scratch_store_dwordx2 off, v[0:1], off offset:224
	s_waitcnt vmcnt(1)
	scratch_store_dwordx2 off, v[2:3], s0
.LBB93_196:
	v_mov_b32_e32 v0, 0
	global_load_dword v1, v0, s[8:9] offset:108
	s_waitcnt vmcnt(0)
	v_readfirstlane_b32 s0, v1
	s_add_i32 s0, s0, -1
	s_cmp_eq_u32 s0, 27
	s_cbranch_scc1 .LBB93_198
; %bb.197:
	s_lshl_b32 s0, s0, 3
	s_nop 0
	scratch_load_dwordx2 v[2:3], off, s0
	scratch_load_dwordx2 v[4:5], off, off offset:216
	s_waitcnt vmcnt(1)
	scratch_store_dwordx2 off, v[2:3], off offset:216
	s_waitcnt vmcnt(1)
	scratch_store_dwordx2 off, v[4:5], s0
.LBB93_198:
	global_load_dword v0, v0, s[8:9] offset:104
	s_waitcnt vmcnt(0)
	v_readfirstlane_b32 s0, v0
	s_add_i32 s0, s0, -1
	s_cmp_eq_u32 s0, 26
	s_cbranch_scc1 .LBB93_200
; %bb.199:
	s_lshl_b32 s0, s0, 3
	s_nop 0
	scratch_load_dwordx2 v[0:1], off, s0
	scratch_load_dwordx2 v[2:3], off, off offset:208
	s_waitcnt vmcnt(1)
	scratch_store_dwordx2 off, v[0:1], off offset:208
	s_waitcnt vmcnt(1)
	scratch_store_dwordx2 off, v[2:3], s0
.LBB93_200:
	v_mov_b32_e32 v0, 0
	global_load_dword v1, v0, s[8:9] offset:100
	s_waitcnt vmcnt(0)
	v_readfirstlane_b32 s0, v1
	s_add_i32 s0, s0, -1
	s_cmp_eq_u32 s0, 25
	s_cbranch_scc1 .LBB93_202
; %bb.201:
	s_lshl_b32 s0, s0, 3
	s_nop 0
	scratch_load_dwordx2 v[2:3], off, s0
	scratch_load_dwordx2 v[4:5], off, off offset:200
	s_waitcnt vmcnt(1)
	scratch_store_dwordx2 off, v[2:3], off offset:200
	s_waitcnt vmcnt(1)
	scratch_store_dwordx2 off, v[4:5], s0
.LBB93_202:
	global_load_dword v0, v0, s[8:9] offset:96
	s_waitcnt vmcnt(0)
	v_readfirstlane_b32 s0, v0
	s_add_i32 s0, s0, -1
	s_cmp_eq_u32 s0, 24
	s_cbranch_scc1 .LBB93_204
; %bb.203:
	s_lshl_b32 s0, s0, 3
	s_nop 0
	scratch_load_dwordx2 v[0:1], off, s0
	scratch_load_dwordx2 v[2:3], off, off offset:192
	s_waitcnt vmcnt(1)
	scratch_store_dwordx2 off, v[0:1], off offset:192
	s_waitcnt vmcnt(1)
	scratch_store_dwordx2 off, v[2:3], s0
.LBB93_204:
	;; [unrolled: 33-line block ×13, first 2 shown]
	v_mov_b32_e32 v0, 0
	global_load_dword v1, v0, s[8:9] offset:4
	s_waitcnt vmcnt(0)
	v_readfirstlane_b32 s0, v1
	s_add_i32 s0, s0, -1
	s_cmp_eq_u32 s0, 1
	s_cbranch_scc1 .LBB93_250
; %bb.249:
	s_lshl_b32 s0, s0, 3
	s_nop 0
	scratch_load_dwordx2 v[2:3], off, s0
	scratch_load_dwordx2 v[4:5], off, off offset:8
	s_waitcnt vmcnt(1)
	scratch_store_dwordx2 off, v[2:3], off offset:8
	s_waitcnt vmcnt(1)
	scratch_store_dwordx2 off, v[4:5], s0
.LBB93_250:
	global_load_dword v2, v0, s[8:9]
	s_nop 0
	scratch_load_dwordx2 v[0:1], off, off
	s_waitcnt vmcnt(1)
	v_readfirstlane_b32 s0, v2
	s_add_i32 s0, s0, -1
	s_cmp_eq_u32 s0, 0
	s_cbranch_scc1 .LBB93_252
; %bb.251:
	s_lshl_b32 s0, s0, 3
	s_nop 0
	scratch_load_dwordx2 v[2:3], off, s0
	s_waitcnt vmcnt(0)
	scratch_store_dwordx2 off, v[2:3], off
	scratch_store_dwordx2 off, v[0:1], s0
	scratch_load_dwordx2 v[0:1], off, off
.LBB93_252:
	s_waitcnt vmcnt(0)
	flat_store_dwordx2 v[38:39], v[0:1]
	scratch_load_dwordx2 v[0:1], off, off offset:8
	s_waitcnt vmcnt(0)
	flat_store_dwordx2 v[40:41], v[0:1]
	scratch_load_dwordx2 v[0:1], off, off offset:16
	;; [unrolled: 3-line block ×29, first 2 shown]
	s_waitcnt vmcnt(0)
	flat_store_dwordx2 v[96:97], v[0:1]
	s_endpgm
	.section	.rodata,"a",@progbits
	.p2align	6, 0x0
	.amdhsa_kernel _ZN9rocsolver6v33100L18getri_kernel_smallILi30E19rocblas_complex_numIfEPKPS3_EEvT1_iilPiilS8_bb
		.amdhsa_group_segment_fixed_size 484
		.amdhsa_private_segment_fixed_size 256
		.amdhsa_kernarg_size 60
		.amdhsa_user_sgpr_count 2
		.amdhsa_user_sgpr_dispatch_ptr 0
		.amdhsa_user_sgpr_queue_ptr 0
		.amdhsa_user_sgpr_kernarg_segment_ptr 1
		.amdhsa_user_sgpr_dispatch_id 0
		.amdhsa_user_sgpr_kernarg_preload_length 0
		.amdhsa_user_sgpr_kernarg_preload_offset 0
		.amdhsa_user_sgpr_private_segment_size 0
		.amdhsa_uses_dynamic_stack 0
		.amdhsa_enable_private_segment 1
		.amdhsa_system_sgpr_workgroup_id_x 1
		.amdhsa_system_sgpr_workgroup_id_y 0
		.amdhsa_system_sgpr_workgroup_id_z 0
		.amdhsa_system_sgpr_workgroup_info 0
		.amdhsa_system_vgpr_workitem_id 0
		.amdhsa_next_free_vgpr 170
		.amdhsa_next_free_sgpr 17
		.amdhsa_accum_offset 172
		.amdhsa_reserve_vcc 1
		.amdhsa_float_round_mode_32 0
		.amdhsa_float_round_mode_16_64 0
		.amdhsa_float_denorm_mode_32 3
		.amdhsa_float_denorm_mode_16_64 3
		.amdhsa_dx10_clamp 1
		.amdhsa_ieee_mode 1
		.amdhsa_fp16_overflow 0
		.amdhsa_tg_split 0
		.amdhsa_exception_fp_ieee_invalid_op 0
		.amdhsa_exception_fp_denorm_src 0
		.amdhsa_exception_fp_ieee_div_zero 0
		.amdhsa_exception_fp_ieee_overflow 0
		.amdhsa_exception_fp_ieee_underflow 0
		.amdhsa_exception_fp_ieee_inexact 0
		.amdhsa_exception_int_div_zero 0
	.end_amdhsa_kernel
	.section	.text._ZN9rocsolver6v33100L18getri_kernel_smallILi30E19rocblas_complex_numIfEPKPS3_EEvT1_iilPiilS8_bb,"axG",@progbits,_ZN9rocsolver6v33100L18getri_kernel_smallILi30E19rocblas_complex_numIfEPKPS3_EEvT1_iilPiilS8_bb,comdat
.Lfunc_end93:
	.size	_ZN9rocsolver6v33100L18getri_kernel_smallILi30E19rocblas_complex_numIfEPKPS3_EEvT1_iilPiilS8_bb, .Lfunc_end93-_ZN9rocsolver6v33100L18getri_kernel_smallILi30E19rocblas_complex_numIfEPKPS3_EEvT1_iilPiilS8_bb
                                        ; -- End function
	.set _ZN9rocsolver6v33100L18getri_kernel_smallILi30E19rocblas_complex_numIfEPKPS3_EEvT1_iilPiilS8_bb.num_vgpr, 170
	.set _ZN9rocsolver6v33100L18getri_kernel_smallILi30E19rocblas_complex_numIfEPKPS3_EEvT1_iilPiilS8_bb.num_agpr, 0
	.set _ZN9rocsolver6v33100L18getri_kernel_smallILi30E19rocblas_complex_numIfEPKPS3_EEvT1_iilPiilS8_bb.numbered_sgpr, 17
	.set _ZN9rocsolver6v33100L18getri_kernel_smallILi30E19rocblas_complex_numIfEPKPS3_EEvT1_iilPiilS8_bb.num_named_barrier, 0
	.set _ZN9rocsolver6v33100L18getri_kernel_smallILi30E19rocblas_complex_numIfEPKPS3_EEvT1_iilPiilS8_bb.private_seg_size, 256
	.set _ZN9rocsolver6v33100L18getri_kernel_smallILi30E19rocblas_complex_numIfEPKPS3_EEvT1_iilPiilS8_bb.uses_vcc, 1
	.set _ZN9rocsolver6v33100L18getri_kernel_smallILi30E19rocblas_complex_numIfEPKPS3_EEvT1_iilPiilS8_bb.uses_flat_scratch, 0
	.set _ZN9rocsolver6v33100L18getri_kernel_smallILi30E19rocblas_complex_numIfEPKPS3_EEvT1_iilPiilS8_bb.has_dyn_sized_stack, 0
	.set _ZN9rocsolver6v33100L18getri_kernel_smallILi30E19rocblas_complex_numIfEPKPS3_EEvT1_iilPiilS8_bb.has_recursion, 0
	.set _ZN9rocsolver6v33100L18getri_kernel_smallILi30E19rocblas_complex_numIfEPKPS3_EEvT1_iilPiilS8_bb.has_indirect_call, 0
	.section	.AMDGPU.csdata,"",@progbits
; Kernel info:
; codeLenInByte = 32528
; TotalNumSgprs: 23
; NumVgprs: 170
; NumAgprs: 0
; TotalNumVgprs: 170
; ScratchSize: 256
; MemoryBound: 0
; FloatMode: 240
; IeeeMode: 1
; LDSByteSize: 484 bytes/workgroup (compile time only)
; SGPRBlocks: 2
; VGPRBlocks: 21
; NumSGPRsForWavesPerEU: 23
; NumVGPRsForWavesPerEU: 170
; AccumOffset: 172
; Occupancy: 2
; WaveLimiterHint : 1
; COMPUTE_PGM_RSRC2:SCRATCH_EN: 1
; COMPUTE_PGM_RSRC2:USER_SGPR: 2
; COMPUTE_PGM_RSRC2:TRAP_HANDLER: 0
; COMPUTE_PGM_RSRC2:TGID_X_EN: 1
; COMPUTE_PGM_RSRC2:TGID_Y_EN: 0
; COMPUTE_PGM_RSRC2:TGID_Z_EN: 0
; COMPUTE_PGM_RSRC2:TIDIG_COMP_CNT: 0
; COMPUTE_PGM_RSRC3_GFX90A:ACCUM_OFFSET: 42
; COMPUTE_PGM_RSRC3_GFX90A:TG_SPLIT: 0
	.section	.text._ZN9rocsolver6v33100L18getri_kernel_smallILi31E19rocblas_complex_numIfEPKPS3_EEvT1_iilPiilS8_bb,"axG",@progbits,_ZN9rocsolver6v33100L18getri_kernel_smallILi31E19rocblas_complex_numIfEPKPS3_EEvT1_iilPiilS8_bb,comdat
	.globl	_ZN9rocsolver6v33100L18getri_kernel_smallILi31E19rocblas_complex_numIfEPKPS3_EEvT1_iilPiilS8_bb ; -- Begin function _ZN9rocsolver6v33100L18getri_kernel_smallILi31E19rocblas_complex_numIfEPKPS3_EEvT1_iilPiilS8_bb
	.p2align	8
	.type	_ZN9rocsolver6v33100L18getri_kernel_smallILi31E19rocblas_complex_numIfEPKPS3_EEvT1_iilPiilS8_bb,@function
_ZN9rocsolver6v33100L18getri_kernel_smallILi31E19rocblas_complex_numIfEPKPS3_EEvT1_iilPiilS8_bb: ; @_ZN9rocsolver6v33100L18getri_kernel_smallILi31E19rocblas_complex_numIfEPKPS3_EEvT1_iilPiilS8_bb
; %bb.0:
	v_cmp_gt_u32_e32 vcc, 31, v0
	s_and_saveexec_b64 s[4:5], vcc
	s_cbranch_execz .LBB94_138
; %bb.1:
	s_load_dword s14, s[0:1], 0x38
	s_load_dwordx2 s[8:9], s[0:1], 0x0
	s_load_dwordx4 s[4:7], s[0:1], 0x28
	s_waitcnt lgkmcnt(0)
	s_bitcmp1_b32 s14, 8
	s_cselect_b64 s[10:11], -1, 0
	s_ashr_i32 s3, s2, 31
	s_lshl_b64 s[12:13], s[2:3], 3
	s_add_u32 s8, s8, s12
	s_addc_u32 s9, s9, s13
	s_load_dwordx2 s[12:13], s[8:9], 0x0
	s_bfe_u32 s8, s14, 0x10008
	s_cmp_eq_u32 s8, 0
                                        ; implicit-def: $sgpr8_sgpr9
	s_cbranch_scc1 .LBB94_3
; %bb.2:
	s_load_dword s8, s[0:1], 0x20
	s_load_dwordx2 s[14:15], s[0:1], 0x18
	s_mul_i32 s9, s4, s3
	s_mul_hi_u32 s16, s4, s2
	s_add_i32 s16, s16, s9
	s_mul_i32 s5, s5, s2
	s_add_i32 s5, s16, s5
	s_mul_i32 s4, s4, s2
	s_waitcnt lgkmcnt(0)
	s_ashr_i32 s9, s8, 31
	s_lshl_b64 s[4:5], s[4:5], 2
	s_add_u32 s14, s14, s4
	s_addc_u32 s15, s15, s5
	s_lshl_b64 s[4:5], s[8:9], 2
	s_add_u32 s8, s14, s4
	s_addc_u32 s9, s15, s5
.LBB94_3:
	s_load_dwordx2 s[4:5], s[0:1], 0x8
	s_load_dword s14, s[0:1], 0x38
	v_lshlrev_b32_e32 v2, 3, v0
	v_mov_b32_e32 v3, 0
	s_waitcnt lgkmcnt(0)
	s_ashr_i32 s1, s4, 31
	s_mov_b32 s0, s4
	s_lshl_b64 s[0:1], s[0:1], 3
	s_add_u32 s0, s12, s0
	s_addc_u32 s1, s13, s1
	v_lshl_add_u64 v[100:101], s[0:1], 0, v[2:3]
	flat_load_dwordx2 v[4:5], v[100:101]
	s_mov_b32 s12, s5
	s_ashr_i32 s13, s5, 31
	v_lshl_add_u64 v[102:103], s[12:13], 3, v[100:101]
	s_add_i32 s4, s5, s5
	v_add_u32_e32 v6, s4, v0
	v_ashrrev_i32_e32 v7, 31, v6
	v_lshl_add_u64 v[104:105], v[6:7], 3, s[0:1]
	v_add_u32_e32 v6, s5, v6
	v_ashrrev_i32_e32 v7, 31, v6
	v_lshl_add_u64 v[106:107], v[6:7], 3, s[0:1]
	;; [unrolled: 3-line block ×25, first 2 shown]
	s_waitcnt vmcnt(0) lgkmcnt(0)
	scratch_store_dwordx2 off, v[4:5], off
	flat_load_dwordx2 v[4:5], v[102:103]
	v_add_u32_e32 v6, s5, v6
	v_ashrrev_i32_e32 v7, 31, v6
	v_lshl_add_u64 v[154:155], v[6:7], 3, s[0:1]
	v_add_u32_e32 v6, s5, v6
	v_ashrrev_i32_e32 v7, 31, v6
	v_lshl_add_u64 v[156:157], v[6:7], 3, s[0:1]
	;; [unrolled: 3-line block ×4, first 2 shown]
	s_bitcmp0_b32 s14, 0
	s_mov_b64 s[4:5], -1
	s_waitcnt vmcnt(0) lgkmcnt(0)
	scratch_store_dwordx2 off, v[4:5], off offset:8
	flat_load_dwordx2 v[4:5], v[104:105]
	s_waitcnt vmcnt(0) lgkmcnt(0)
	scratch_store_dwordx2 off, v[4:5], off offset:16
	flat_load_dwordx2 v[4:5], v[106:107]
	;; [unrolled: 3-line block ×29, first 2 shown]
	s_waitcnt vmcnt(0) lgkmcnt(0)
	scratch_store_dwordx2 off, v[4:5], off offset:240
	s_cbranch_scc1 .LBB94_136
; %bb.4:
	v_cmp_eq_u32_e64 s[0:1], 0, v0
	s_and_saveexec_b64 s[4:5], s[0:1]
; %bb.5:
	v_mov_b32_e32 v1, 0
	ds_write_b32 v1, v1 offset:248
; %bb.6:
	s_or_b64 exec, exec, s[4:5]
	s_waitcnt lgkmcnt(0)
	; wave barrier
	scratch_load_dwordx2 v[4:5], v2, off
	s_waitcnt vmcnt(0)
	v_cmp_eq_f32_e32 vcc, 0, v4
	v_cmp_eq_f32_e64 s[4:5], 0, v5
	s_and_b64 s[4:5], vcc, s[4:5]
	s_and_saveexec_b64 s[12:13], s[4:5]
	s_cbranch_execz .LBB94_10
; %bb.7:
	v_mov_b32_e32 v1, 0
	ds_read_b32 v4, v1 offset:248
	v_add_u32_e32 v3, 1, v0
	s_waitcnt lgkmcnt(0)
	v_readfirstlane_b32 s4, v4
	s_cmp_eq_u32 s4, 0
	s_cselect_b64 s[14:15], -1, 0
	v_cmp_gt_i32_e32 vcc, s4, v3
	s_or_b64 s[14:15], s[14:15], vcc
	s_and_b64 exec, exec, s[14:15]
	s_cbranch_execz .LBB94_10
; %bb.8:
	s_mov_b64 s[14:15], 0
	v_mov_b32_e32 v4, s4
.LBB94_9:                               ; =>This Inner Loop Header: Depth=1
	ds_cmpst_rtn_b32 v4, v1, v4, v3 offset:248
	s_waitcnt lgkmcnt(0)
	v_cmp_ne_u32_e32 vcc, 0, v4
	v_cmp_le_i32_e64 s[4:5], v4, v3
	s_and_b64 s[4:5], vcc, s[4:5]
	s_and_b64 s[4:5], exec, s[4:5]
	s_or_b64 s[14:15], s[4:5], s[14:15]
	s_andn2_b64 exec, exec, s[14:15]
	s_cbranch_execnz .LBB94_9
.LBB94_10:
	s_or_b64 exec, exec, s[12:13]
	v_mov_b32_e32 v3, 0
	; wave barrier
	ds_read_b32 v1, v3 offset:248
	s_and_saveexec_b64 s[4:5], s[0:1]
	s_cbranch_execz .LBB94_12
; %bb.11:
	s_lshl_b64 s[12:13], s[2:3], 2
	s_add_u32 s12, s6, s12
	s_addc_u32 s13, s7, s13
	s_waitcnt lgkmcnt(0)
	global_store_dword v3, v1, s[12:13]
.LBB94_12:
	s_or_b64 exec, exec, s[4:5]
	s_waitcnt lgkmcnt(0)
	v_cmp_ne_u32_e32 vcc, 0, v1
	s_mov_b64 s[4:5], 0
	s_cbranch_vccnz .LBB94_136
; %bb.13:
	v_mov_b32_e32 v3, v2
	scratch_load_dwordx2 v[4:5], v3, off
                                        ; implicit-def: $vgpr7
                                        ; implicit-def: $vgpr8
	s_waitcnt vmcnt(0)
	v_cmp_ngt_f32_e64 s[4:5], |v4|, |v5|
	s_and_saveexec_b64 s[12:13], s[4:5]
	s_xor_b64 s[4:5], exec, s[12:13]
	s_cbranch_execz .LBB94_15
; %bb.14:
	v_div_scale_f32 v1, s[12:13], v5, v5, v4
	v_rcp_f32_e32 v6, v1
	v_div_scale_f32 v7, vcc, v4, v5, v4
	v_fma_f32 v8, -v1, v6, 1.0
	v_fmac_f32_e32 v6, v8, v6
	v_mul_f32_e32 v8, v7, v6
	v_fma_f32 v9, -v1, v8, v7
	v_fmac_f32_e32 v8, v9, v6
	v_fma_f32 v1, -v1, v8, v7
	v_div_fmas_f32 v1, v1, v6, v8
	v_div_fixup_f32 v1, v1, v5, v4
	v_fmac_f32_e32 v5, v4, v1
	v_div_scale_f32 v4, s[12:13], v5, v5, -1.0
	v_rcp_f32_e32 v6, v4
	s_nop 0
	v_fma_f32 v7, -v4, v6, 1.0
	v_fmac_f32_e32 v6, v7, v6
	v_div_scale_f32 v7, vcc, -1.0, v5, -1.0
	v_mul_f32_e32 v8, v7, v6
	v_fma_f32 v9, -v4, v8, v7
	v_fmac_f32_e32 v8, v9, v6
	v_fma_f32 v4, -v4, v8, v7
	v_div_fmas_f32 v4, v4, v6, v8
	v_div_fixup_f32 v7, v4, v5, -1.0
	v_mul_f32_e32 v8, v1, v7
	v_xor_b32_e32 v6, 0x80000000, v8
                                        ; implicit-def: $vgpr4_vgpr5
.LBB94_15:
	s_andn2_saveexec_b64 s[4:5], s[4:5]
	s_cbranch_execz .LBB94_17
; %bb.16:
	v_div_scale_f32 v1, s[12:13], v4, v4, v5
	v_rcp_f32_e32 v6, v1
	v_div_scale_f32 v7, vcc, v5, v4, v5
	v_fma_f32 v8, -v1, v6, 1.0
	v_fmac_f32_e32 v6, v8, v6
	v_mul_f32_e32 v8, v7, v6
	v_fma_f32 v9, -v1, v8, v7
	v_fmac_f32_e32 v8, v9, v6
	v_fma_f32 v1, -v1, v8, v7
	v_div_fmas_f32 v1, v1, v6, v8
	v_div_fixup_f32 v1, v1, v4, v5
	v_fmac_f32_e32 v4, v5, v1
	v_div_scale_f32 v5, s[12:13], v4, v4, 1.0
	v_rcp_f32_e32 v6, v5
	s_nop 0
	v_fma_f32 v7, -v5, v6, 1.0
	v_fmac_f32_e32 v6, v7, v6
	v_div_scale_f32 v7, vcc, 1.0, v4, 1.0
	v_mul_f32_e32 v8, v7, v6
	v_fma_f32 v9, -v5, v8, v7
	v_fmac_f32_e32 v8, v9, v6
	v_fma_f32 v5, -v5, v8, v7
	v_div_fmas_f32 v5, v5, v6, v8
	v_div_fixup_f32 v6, v5, v4, 1.0
	v_xor_b32_e32 v8, 0x80000000, v6
	v_mul_f32_e64 v7, v1, -v6
.LBB94_17:
	s_or_b64 exec, exec, s[4:5]
	scratch_store_dwordx2 v3, v[6:7], off
	scratch_load_dwordx2 v[4:5], off, off offset:8
	v_xor_b32_e32 v9, 0x80000000, v7
	v_add_u32_e32 v1, 0x100, v2
	s_waitcnt vmcnt(0)
	ds_write2_b64 v2, v[8:9], v[4:5] offset1:32
	s_waitcnt lgkmcnt(0)
	; wave barrier
	s_and_saveexec_b64 s[4:5], s[0:1]
	s_cbranch_execz .LBB94_19
; %bb.18:
	scratch_load_dwordx2 v[4:5], v3, off
	ds_read_b64 v[6:7], v1
	v_mov_b32_e32 v8, 0
	ds_read_b64 v[8:9], v8 offset:8
	s_waitcnt vmcnt(0) lgkmcnt(1)
	v_pk_mul_f32 v[10:11], v[6:7], v[4:5] op_sel:[1,1] op_sel_hi:[0,1]
	v_pk_fma_f32 v[12:13], v[6:7], v[4:5], v[10:11] neg_lo:[0,0,1] neg_hi:[0,0,1]
	v_pk_fma_f32 v[4:5], v[6:7], v[4:5], v[10:11] op_sel_hi:[1,0,1]
	s_nop 0
	v_mov_b32_e32 v13, v5
	v_pk_add_f32 v[4:5], v[12:13], 0 op_sel_hi:[1,0]
	s_waitcnt lgkmcnt(0)
	v_pk_mul_f32 v[6:7], v[4:5], v[8:9] op_sel:[1,1] op_sel_hi:[0,1]
	v_pk_fma_f32 v[10:11], v[4:5], v[8:9], v[6:7] neg_lo:[0,0,1] neg_hi:[0,0,1]
	v_pk_fma_f32 v[4:5], v[4:5], v[8:9], v[6:7] op_sel_hi:[1,0,1]
	s_nop 0
	v_mov_b32_e32 v11, v5
	scratch_store_dwordx2 off, v[10:11], off offset:8
.LBB94_19:
	s_or_b64 exec, exec, s[4:5]
	; wave barrier
	scratch_load_dwordx2 v[4:5], off, off offset:16
	v_cmp_gt_u32_e32 vcc, 2, v0
	s_waitcnt vmcnt(0)
	ds_write_b64 v1, v[4:5]
	s_waitcnt lgkmcnt(0)
	; wave barrier
	s_and_saveexec_b64 s[4:5], vcc
	s_cbranch_execz .LBB94_23
; %bb.20:
	scratch_load_dwordx2 v[4:5], v3, off
	ds_read_b64 v[6:7], v1
	s_waitcnt vmcnt(0) lgkmcnt(0)
	v_pk_mul_f32 v[8:9], v[6:7], v[4:5] op_sel:[1,1] op_sel_hi:[0,1]
	v_pk_fma_f32 v[10:11], v[6:7], v[4:5], v[8:9] neg_lo:[0,0,1] neg_hi:[0,0,1]
	v_pk_fma_f32 v[4:5], v[6:7], v[4:5], v[8:9] op_sel_hi:[1,0,1]
	s_nop 0
	v_mov_b32_e32 v11, v5
	v_pk_add_f32 v[4:5], v[10:11], 0 op_sel_hi:[1,0]
	s_and_saveexec_b64 s[12:13], s[0:1]
	s_cbranch_execz .LBB94_22
; %bb.21:
	scratch_load_dwordx2 v[6:7], off, off offset:8
	v_mov_b32_e32 v3, 0
	ds_read_b64 v[8:9], v3 offset:264
	s_waitcnt vmcnt(0) lgkmcnt(0)
	v_pk_mul_f32 v[10:11], v[8:9], v[6:7] op_sel:[1,1] op_sel_hi:[0,1]
	v_pk_fma_f32 v[12:13], v[8:9], v[6:7], v[10:11] neg_lo:[0,0,1] neg_hi:[0,0,1]
	v_pk_fma_f32 v[6:7], v[8:9], v[6:7], v[10:11] op_sel_hi:[1,0,1]
	s_nop 0
	v_mov_b32_e32 v13, v7
	v_pk_add_f32 v[4:5], v[4:5], v[12:13]
.LBB94_22:
	s_or_b64 exec, exec, s[12:13]
	v_mov_b32_e32 v3, 0
	ds_read_b64 v[6:7], v3 offset:16
	s_waitcnt lgkmcnt(0)
	v_pk_mul_f32 v[8:9], v[4:5], v[6:7] op_sel:[1,1] op_sel_hi:[0,1]
	v_pk_fma_f32 v[10:11], v[4:5], v[6:7], v[8:9] neg_lo:[0,0,1] neg_hi:[0,0,1]
	v_pk_fma_f32 v[4:5], v[4:5], v[6:7], v[8:9] op_sel_hi:[1,0,1]
	s_nop 0
	v_mov_b32_e32 v11, v5
	scratch_store_dwordx2 off, v[10:11], off offset:16
.LBB94_23:
	s_or_b64 exec, exec, s[4:5]
	; wave barrier
	scratch_load_dwordx2 v[4:5], off, off offset:24
	v_cmp_gt_u32_e32 vcc, 3, v0
	v_add_u32_e32 v6, -1, v0
	s_waitcnt vmcnt(0)
	ds_write_b64 v1, v[4:5]
	s_waitcnt lgkmcnt(0)
	; wave barrier
	s_and_saveexec_b64 s[0:1], vcc
	s_cbranch_execz .LBB94_27
; %bb.24:
	v_mov_b32_e32 v4, 0
	v_add_u32_e32 v3, -1, v0
	v_add_u32_e32 v7, 0x100, v2
	v_mov_b32_e32 v8, v2
	s_mov_b64 s[4:5], 0
	v_mov_b32_e32 v5, v4
.LBB94_25:                              ; =>This Inner Loop Header: Depth=1
	scratch_load_dwordx2 v[10:11], v8, off
	ds_read_b64 v[12:13], v7
	v_add_u32_e32 v3, 1, v3
	v_cmp_lt_u32_e32 vcc, 1, v3
	v_add_u32_e32 v7, 8, v7
	v_add_u32_e32 v8, 8, v8
	s_or_b64 s[4:5], vcc, s[4:5]
	s_waitcnt vmcnt(0) lgkmcnt(0)
	v_pk_mul_f32 v[14:15], v[12:13], v[10:11] op_sel:[1,1] op_sel_hi:[0,1]
	v_pk_fma_f32 v[16:17], v[12:13], v[10:11], v[14:15] neg_lo:[0,0,1] neg_hi:[0,0,1]
	v_pk_fma_f32 v[10:11], v[12:13], v[10:11], v[14:15] op_sel_hi:[1,0,1]
	s_nop 0
	v_mov_b32_e32 v17, v11
	v_pk_add_f32 v[4:5], v[4:5], v[16:17]
	s_andn2_b64 exec, exec, s[4:5]
	s_cbranch_execnz .LBB94_25
; %bb.26:
	s_or_b64 exec, exec, s[4:5]
	v_mov_b32_e32 v3, 0
	ds_read_b64 v[8:9], v3 offset:24
	s_waitcnt lgkmcnt(0)
	v_pk_mul_f32 v[10:11], v[4:5], v[8:9] op_sel:[1,1] op_sel_hi:[0,1]
	v_pk_fma_f32 v[12:13], v[4:5], v[8:9], v[10:11] neg_lo:[0,0,1] neg_hi:[0,0,1]
	v_pk_fma_f32 v[4:5], v[4:5], v[8:9], v[10:11] op_sel_hi:[1,0,1]
	s_nop 0
	v_mov_b32_e32 v13, v5
	scratch_store_dwordx2 off, v[12:13], off offset:24
.LBB94_27:
	s_or_b64 exec, exec, s[0:1]
	; wave barrier
	scratch_load_dwordx2 v[4:5], off, off offset:32
	v_cmp_gt_u32_e32 vcc, 4, v0
	s_waitcnt vmcnt(0)
	ds_write_b64 v1, v[4:5]
	s_waitcnt lgkmcnt(0)
	; wave barrier
	s_and_saveexec_b64 s[0:1], vcc
	s_cbranch_execz .LBB94_31
; %bb.28:
	v_mov_b32_e32 v4, 0
	v_add_u32_e32 v3, -1, v0
	v_add_u32_e32 v7, 0x100, v2
	v_mov_b32_e32 v8, v2
	s_mov_b64 s[4:5], 0
	v_mov_b32_e32 v5, v4
.LBB94_29:                              ; =>This Inner Loop Header: Depth=1
	scratch_load_dwordx2 v[10:11], v8, off
	ds_read_b64 v[12:13], v7
	v_add_u32_e32 v3, 1, v3
	v_cmp_lt_u32_e32 vcc, 2, v3
	v_add_u32_e32 v7, 8, v7
	v_add_u32_e32 v8, 8, v8
	s_or_b64 s[4:5], vcc, s[4:5]
	s_waitcnt vmcnt(0) lgkmcnt(0)
	v_pk_mul_f32 v[14:15], v[12:13], v[10:11] op_sel:[1,1] op_sel_hi:[0,1]
	v_pk_fma_f32 v[16:17], v[12:13], v[10:11], v[14:15] neg_lo:[0,0,1] neg_hi:[0,0,1]
	v_pk_fma_f32 v[10:11], v[12:13], v[10:11], v[14:15] op_sel_hi:[1,0,1]
	s_nop 0
	v_mov_b32_e32 v17, v11
	v_pk_add_f32 v[4:5], v[4:5], v[16:17]
	s_andn2_b64 exec, exec, s[4:5]
	s_cbranch_execnz .LBB94_29
; %bb.30:
	s_or_b64 exec, exec, s[4:5]
	v_mov_b32_e32 v3, 0
	ds_read_b64 v[8:9], v3 offset:32
	s_waitcnt lgkmcnt(0)
	v_pk_mul_f32 v[10:11], v[4:5], v[8:9] op_sel:[1,1] op_sel_hi:[0,1]
	v_pk_fma_f32 v[12:13], v[4:5], v[8:9], v[10:11] neg_lo:[0,0,1] neg_hi:[0,0,1]
	v_pk_fma_f32 v[4:5], v[4:5], v[8:9], v[10:11] op_sel_hi:[1,0,1]
	s_nop 0
	v_mov_b32_e32 v13, v5
	scratch_store_dwordx2 off, v[12:13], off offset:32
.LBB94_31:
	s_or_b64 exec, exec, s[0:1]
	; wave barrier
	scratch_load_dwordx2 v[4:5], off, off offset:40
	v_cmp_gt_u32_e32 vcc, 5, v0
	;; [unrolled: 46-line block ×19, first 2 shown]
	s_waitcnt vmcnt(0)
	ds_write_b64 v1, v[4:5]
	s_waitcnt lgkmcnt(0)
	; wave barrier
	s_and_saveexec_b64 s[0:1], vcc
	s_cbranch_execz .LBB94_103
; %bb.100:
	v_mov_b32_e32 v4, 0
	v_add_u32_e32 v3, -1, v0
	v_add_u32_e32 v7, 0x100, v2
	v_mov_b32_e32 v8, v2
	s_mov_b64 s[4:5], 0
	v_mov_b32_e32 v5, v4
.LBB94_101:                             ; =>This Inner Loop Header: Depth=1
	scratch_load_dwordx2 v[10:11], v8, off
	ds_read_b64 v[12:13], v7
	v_add_u32_e32 v3, 1, v3
	v_cmp_lt_u32_e32 vcc, 20, v3
	v_add_u32_e32 v7, 8, v7
	v_add_u32_e32 v8, 8, v8
	s_or_b64 s[4:5], vcc, s[4:5]
	s_waitcnt vmcnt(0) lgkmcnt(0)
	v_pk_mul_f32 v[14:15], v[12:13], v[10:11] op_sel:[1,1] op_sel_hi:[0,1]
	v_pk_fma_f32 v[16:17], v[12:13], v[10:11], v[14:15] neg_lo:[0,0,1] neg_hi:[0,0,1]
	v_pk_fma_f32 v[10:11], v[12:13], v[10:11], v[14:15] op_sel_hi:[1,0,1]
	s_nop 0
	v_mov_b32_e32 v17, v11
	v_pk_add_f32 v[4:5], v[4:5], v[16:17]
	s_andn2_b64 exec, exec, s[4:5]
	s_cbranch_execnz .LBB94_101
; %bb.102:
	s_or_b64 exec, exec, s[4:5]
	v_mov_b32_e32 v3, 0
	ds_read_b64 v[8:9], v3 offset:176
	s_waitcnt lgkmcnt(0)
	v_pk_mul_f32 v[10:11], v[4:5], v[8:9] op_sel:[1,1] op_sel_hi:[0,1]
	v_pk_fma_f32 v[12:13], v[4:5], v[8:9], v[10:11] neg_lo:[0,0,1] neg_hi:[0,0,1]
	v_pk_fma_f32 v[4:5], v[4:5], v[8:9], v[10:11] op_sel_hi:[1,0,1]
	s_nop 0
	v_mov_b32_e32 v13, v5
	scratch_store_dwordx2 off, v[12:13], off offset:176
.LBB94_103:
	s_or_b64 exec, exec, s[0:1]
	; wave barrier
	scratch_load_dwordx2 v[4:5], off, off offset:184
	v_cmp_gt_u32_e32 vcc, 23, v0
	s_waitcnt vmcnt(0)
	ds_write_b64 v1, v[4:5]
	s_waitcnt lgkmcnt(0)
	; wave barrier
	s_and_saveexec_b64 s[0:1], vcc
	s_cbranch_execz .LBB94_107
; %bb.104:
	v_mov_b32_e32 v4, 0
	v_add_u32_e32 v3, -1, v0
	v_add_u32_e32 v7, 0x100, v2
	v_mov_b32_e32 v8, v2
	s_mov_b64 s[4:5], 0
	v_mov_b32_e32 v5, v4
.LBB94_105:                             ; =>This Inner Loop Header: Depth=1
	scratch_load_dwordx2 v[10:11], v8, off
	ds_read_b64 v[12:13], v7
	v_add_u32_e32 v3, 1, v3
	v_cmp_lt_u32_e32 vcc, 21, v3
	v_add_u32_e32 v7, 8, v7
	v_add_u32_e32 v8, 8, v8
	s_or_b64 s[4:5], vcc, s[4:5]
	s_waitcnt vmcnt(0) lgkmcnt(0)
	v_pk_mul_f32 v[14:15], v[12:13], v[10:11] op_sel:[1,1] op_sel_hi:[0,1]
	v_pk_fma_f32 v[16:17], v[12:13], v[10:11], v[14:15] neg_lo:[0,0,1] neg_hi:[0,0,1]
	v_pk_fma_f32 v[10:11], v[12:13], v[10:11], v[14:15] op_sel_hi:[1,0,1]
	s_nop 0
	v_mov_b32_e32 v17, v11
	v_pk_add_f32 v[4:5], v[4:5], v[16:17]
	s_andn2_b64 exec, exec, s[4:5]
	s_cbranch_execnz .LBB94_105
; %bb.106:
	s_or_b64 exec, exec, s[4:5]
	v_mov_b32_e32 v3, 0
	ds_read_b64 v[8:9], v3 offset:184
	s_waitcnt lgkmcnt(0)
	v_pk_mul_f32 v[10:11], v[4:5], v[8:9] op_sel:[1,1] op_sel_hi:[0,1]
	v_pk_fma_f32 v[12:13], v[4:5], v[8:9], v[10:11] neg_lo:[0,0,1] neg_hi:[0,0,1]
	v_pk_fma_f32 v[4:5], v[4:5], v[8:9], v[10:11] op_sel_hi:[1,0,1]
	s_nop 0
	v_mov_b32_e32 v13, v5
	scratch_store_dwordx2 off, v[12:13], off offset:184
.LBB94_107:
	s_or_b64 exec, exec, s[0:1]
	; wave barrier
	scratch_load_dwordx2 v[4:5], off, off offset:192
	v_cmp_gt_u32_e32 vcc, 24, v0
	;; [unrolled: 46-line block ×7, first 2 shown]
	s_waitcnt vmcnt(0)
	ds_write_b64 v1, v[4:5]
	s_waitcnt lgkmcnt(0)
	; wave barrier
	s_and_saveexec_b64 s[0:1], vcc
	s_cbranch_execz .LBB94_131
; %bb.128:
	v_mov_b32_e32 v4, 0
	v_add_u32_e32 v3, -1, v0
	v_add_u32_e32 v7, 0x100, v2
	v_mov_b32_e32 v8, v2
	s_mov_b64 s[4:5], 0
	v_mov_b32_e32 v5, v4
.LBB94_129:                             ; =>This Inner Loop Header: Depth=1
	scratch_load_dwordx2 v[10:11], v8, off
	ds_read_b64 v[12:13], v7
	v_add_u32_e32 v3, 1, v3
	v_cmp_lt_u32_e32 vcc, 27, v3
	v_add_u32_e32 v7, 8, v7
	v_add_u32_e32 v8, 8, v8
	s_or_b64 s[4:5], vcc, s[4:5]
	s_waitcnt vmcnt(0) lgkmcnt(0)
	v_pk_mul_f32 v[14:15], v[12:13], v[10:11] op_sel:[1,1] op_sel_hi:[0,1]
	v_pk_fma_f32 v[16:17], v[12:13], v[10:11], v[14:15] neg_lo:[0,0,1] neg_hi:[0,0,1]
	v_pk_fma_f32 v[10:11], v[12:13], v[10:11], v[14:15] op_sel_hi:[1,0,1]
	s_nop 0
	v_mov_b32_e32 v17, v11
	v_pk_add_f32 v[4:5], v[4:5], v[16:17]
	s_andn2_b64 exec, exec, s[4:5]
	s_cbranch_execnz .LBB94_129
; %bb.130:
	s_or_b64 exec, exec, s[4:5]
	v_mov_b32_e32 v3, 0
	ds_read_b64 v[8:9], v3 offset:232
	s_waitcnt lgkmcnt(0)
	v_pk_mul_f32 v[10:11], v[4:5], v[8:9] op_sel:[1,1] op_sel_hi:[0,1]
	v_pk_fma_f32 v[12:13], v[4:5], v[8:9], v[10:11] neg_lo:[0,0,1] neg_hi:[0,0,1]
	v_pk_fma_f32 v[4:5], v[4:5], v[8:9], v[10:11] op_sel_hi:[1,0,1]
	s_nop 0
	v_mov_b32_e32 v13, v5
	scratch_store_dwordx2 off, v[12:13], off offset:232
.LBB94_131:
	s_or_b64 exec, exec, s[0:1]
	; wave barrier
	scratch_load_dwordx2 v[4:5], off, off offset:240
	v_cmp_ne_u32_e32 vcc, 30, v0
	s_waitcnt vmcnt(0)
	ds_write_b64 v1, v[4:5]
	s_waitcnt lgkmcnt(0)
	; wave barrier
	s_and_saveexec_b64 s[0:1], vcc
	s_cbranch_execz .LBB94_135
; %bb.132:
	v_add_u32_e32 v1, 0x100, v2
	v_mov_b32_e32 v4, v2
	v_mov_b32_e32 v2, 0
	s_mov_b64 s[4:5], 0
	v_mov_b32_e32 v3, v2
.LBB94_133:                             ; =>This Inner Loop Header: Depth=1
	scratch_load_dwordx2 v[8:9], v4, off
	ds_read_b64 v[10:11], v1
	v_add_u32_e32 v6, 1, v6
	v_cmp_lt_u32_e32 vcc, 28, v6
	v_add_u32_e32 v1, 8, v1
	v_add_u32_e32 v4, 8, v4
	s_or_b64 s[4:5], vcc, s[4:5]
	s_waitcnt vmcnt(0) lgkmcnt(0)
	v_pk_mul_f32 v[12:13], v[10:11], v[8:9] op_sel:[1,1] op_sel_hi:[0,1]
	v_pk_fma_f32 v[14:15], v[10:11], v[8:9], v[12:13] neg_lo:[0,0,1] neg_hi:[0,0,1]
	v_pk_fma_f32 v[8:9], v[10:11], v[8:9], v[12:13] op_sel_hi:[1,0,1]
	s_nop 0
	v_mov_b32_e32 v15, v9
	v_pk_add_f32 v[2:3], v[2:3], v[14:15]
	s_andn2_b64 exec, exec, s[4:5]
	s_cbranch_execnz .LBB94_133
; %bb.134:
	s_or_b64 exec, exec, s[4:5]
	v_mov_b32_e32 v1, 0
	ds_read_b64 v[4:5], v1 offset:240
	s_waitcnt lgkmcnt(0)
	v_pk_mul_f32 v[6:7], v[2:3], v[4:5] op_sel:[1,1] op_sel_hi:[0,1]
	v_pk_fma_f32 v[8:9], v[2:3], v[4:5], v[6:7] neg_lo:[0,0,1] neg_hi:[0,0,1]
	v_pk_fma_f32 v[2:3], v[2:3], v[4:5], v[6:7] op_sel_hi:[1,0,1]
	s_nop 0
	v_mov_b32_e32 v9, v3
	scratch_store_dwordx2 off, v[8:9], off offset:240
.LBB94_135:
	s_or_b64 exec, exec, s[0:1]
	s_mov_b64 s[4:5], -1
	; wave barrier
.LBB94_136:
	s_and_b64 vcc, exec, s[4:5]
	s_cbranch_vccz .LBB94_138
; %bb.137:
	s_lshl_b64 s[0:1], s[2:3], 2
	s_add_u32 s0, s6, s0
	s_addc_u32 s1, s7, s1
	v_mov_b32_e32 v1, 0
	global_load_dword v1, v1, s[0:1]
	s_waitcnt vmcnt(0)
	v_cmp_ne_u32_e32 vcc, 0, v1
	s_cbranch_vccz .LBB94_139
.LBB94_138:
	s_endpgm
.LBB94_139:
	v_mov_b32_e32 v1, 0x100
	v_lshl_add_u32 v1, v0, 3, v1
	v_cmp_eq_u32_e32 vcc, 30, v0
	s_and_saveexec_b64 s[0:1], vcc
	s_cbranch_execz .LBB94_141
; %bb.140:
	scratch_load_dwordx2 v[2:3], off, off offset:232
	v_mov_b32_e32 v4, 0
	v_mov_b32_e32 v5, v4
	scratch_store_dwordx2 off, v[4:5], off offset:232
	s_waitcnt vmcnt(1)
	ds_write_b64 v1, v[2:3]
.LBB94_141:
	s_or_b64 exec, exec, s[0:1]
	s_waitcnt lgkmcnt(0)
	; wave barrier
	scratch_load_dwordx2 v[4:5], off, off offset:240
	scratch_load_dwordx2 v[6:7], off, off offset:232
	v_mov_b32_e32 v2, 0
	ds_read_b64 v[8:9], v2 offset:496
	v_cmp_lt_u32_e32 vcc, 28, v0
	s_waitcnt vmcnt(1) lgkmcnt(0)
	v_pk_mul_f32 v[10:11], v[8:9], v[4:5] op_sel:[1,1] op_sel_hi:[0,1]
	v_pk_fma_f32 v[12:13], v[8:9], v[4:5], v[10:11] neg_lo:[0,0,1] neg_hi:[0,0,1]
	v_pk_fma_f32 v[4:5], v[8:9], v[4:5], v[10:11] op_sel_hi:[1,0,1]
	s_nop 0
	v_mov_b32_e32 v13, v5
	v_pk_add_f32 v[4:5], v[12:13], 0 op_sel_hi:[1,0]
	s_waitcnt vmcnt(0)
	v_pk_add_f32 v[4:5], v[6:7], v[4:5] neg_lo:[0,1] neg_hi:[0,1]
	scratch_store_dwordx2 off, v[4:5], off offset:232
	s_and_saveexec_b64 s[0:1], vcc
	s_cbranch_execz .LBB94_143
; %bb.142:
	scratch_load_dwordx2 v[4:5], off, off offset:224
	v_mov_b32_e32 v3, v2
	scratch_store_dwordx2 off, v[2:3], off offset:224
	s_waitcnt vmcnt(1)
	ds_write_b64 v1, v[4:5]
.LBB94_143:
	s_or_b64 exec, exec, s[0:1]
	s_waitcnt lgkmcnt(0)
	; wave barrier
	scratch_load_dwordx4 v[4:7], off, off offset:232
	scratch_load_dwordx2 v[12:13], off, off offset:224
	ds_read2_b64 v[8:11], v2 offset0:61 offset1:62
	v_cmp_lt_u32_e32 vcc, 27, v0
	s_waitcnt vmcnt(1) lgkmcnt(0)
	v_pk_mul_f32 v[2:3], v[8:9], v[4:5] op_sel:[1,1] op_sel_hi:[0,1]
	v_mov_b32_e32 v14, v7
	v_pk_fma_f32 v[16:17], v[8:9], v[4:5], v[2:3] neg_lo:[0,0,1] neg_hi:[0,0,1]
	v_pk_fma_f32 v[2:3], v[8:9], v[4:5], v[2:3] op_sel_hi:[1,0,1]
	v_pk_mul_f32 v[4:5], v[10:11], v[14:15] op_sel:[1,0] op_sel_hi:[0,0]
	v_mov_b32_e32 v17, v3
	v_pk_fma_f32 v[2:3], v[10:11], v[6:7], v[4:5] neg_lo:[0,0,1] neg_hi:[0,0,1]
	v_pk_fma_f32 v[4:5], v[10:11], v[6:7], v[4:5] op_sel_hi:[1,0,1]
	v_pk_add_f32 v[6:7], v[16:17], 0 op_sel_hi:[1,0]
	v_mov_b32_e32 v3, v5
	v_pk_add_f32 v[2:3], v[6:7], v[2:3]
	s_waitcnt vmcnt(0)
	v_pk_add_f32 v[2:3], v[12:13], v[2:3] neg_lo:[0,1] neg_hi:[0,1]
	scratch_store_dwordx2 off, v[2:3], off offset:224
	s_and_saveexec_b64 s[0:1], vcc
	s_cbranch_execz .LBB94_145
; %bb.144:
	scratch_load_dwordx2 v[2:3], off, off offset:216
	v_mov_b32_e32 v4, 0
	v_mov_b32_e32 v5, v4
	scratch_store_dwordx2 off, v[4:5], off offset:216
	s_waitcnt vmcnt(1)
	ds_write_b64 v1, v[2:3]
.LBB94_145:
	s_or_b64 exec, exec, s[0:1]
	s_waitcnt lgkmcnt(0)
	; wave barrier
	scratch_load_dwordx4 v[4:7], off, off offset:224
	scratch_load_dwordx2 v[12:13], off, off offset:240
	scratch_load_dwordx2 v[14:15], off, off offset:216
	v_mov_b32_e32 v2, 0
	ds_read_b128 v[8:11], v2 offset:480
	ds_read_b64 v[16:17], v2 offset:496
	v_cmp_lt_u32_e32 vcc, 26, v0
	s_waitcnt vmcnt(2) lgkmcnt(1)
	v_pk_mul_f32 v[18:19], v[8:9], v[4:5] op_sel:[1,1] op_sel_hi:[0,1]
	v_mov_b32_e32 v20, v7
	v_pk_fma_f32 v[24:25], v[8:9], v[4:5], v[18:19] neg_lo:[0,0,1] neg_hi:[0,0,1]
	v_pk_fma_f32 v[4:5], v[8:9], v[4:5], v[18:19] op_sel_hi:[1,0,1]
	v_pk_mul_f32 v[8:9], v[10:11], v[20:21] op_sel:[1,0] op_sel_hi:[0,0]
	s_waitcnt vmcnt(1) lgkmcnt(0)
	v_pk_mul_f32 v[22:23], v[16:17], v[12:13] op_sel:[1,1] op_sel_hi:[0,1]
	v_mov_b32_e32 v25, v5
	v_pk_fma_f32 v[4:5], v[10:11], v[6:7], v[8:9] neg_lo:[0,0,1] neg_hi:[0,0,1]
	v_pk_fma_f32 v[6:7], v[10:11], v[6:7], v[8:9] op_sel_hi:[1,0,1]
	v_pk_fma_f32 v[18:19], v[16:17], v[12:13], v[22:23] neg_lo:[0,0,1] neg_hi:[0,0,1]
	v_pk_fma_f32 v[12:13], v[16:17], v[12:13], v[22:23] op_sel_hi:[1,0,1]
	v_pk_add_f32 v[8:9], v[24:25], 0 op_sel_hi:[1,0]
	v_mov_b32_e32 v5, v7
	v_mov_b32_e32 v19, v13
	v_pk_add_f32 v[4:5], v[8:9], v[4:5]
	s_nop 0
	v_pk_add_f32 v[4:5], v[4:5], v[18:19]
	s_waitcnt vmcnt(0)
	v_pk_add_f32 v[4:5], v[14:15], v[4:5] neg_lo:[0,1] neg_hi:[0,1]
	scratch_store_dwordx2 off, v[4:5], off offset:216
	s_and_saveexec_b64 s[0:1], vcc
	s_cbranch_execz .LBB94_147
; %bb.146:
	scratch_load_dwordx2 v[4:5], off, off offset:208
	v_mov_b32_e32 v3, v2
	scratch_store_dwordx2 off, v[2:3], off offset:208
	s_waitcnt vmcnt(1)
	ds_write_b64 v1, v[4:5]
.LBB94_147:
	s_or_b64 exec, exec, s[0:1]
	s_waitcnt lgkmcnt(0)
	; wave barrier
	scratch_load_dwordx4 v[4:7], off, off offset:216
	scratch_load_dwordx4 v[8:11], off, off offset:232
	scratch_load_dwordx2 v[20:21], off, off offset:208
	ds_read2_b64 v[12:15], v2 offset0:59 offset1:60
	ds_read2_b64 v[16:19], v2 offset0:61 offset1:62
	v_cmp_lt_u32_e32 vcc, 25, v0
	s_waitcnt vmcnt(2) lgkmcnt(1)
	v_pk_mul_f32 v[2:3], v[12:13], v[4:5] op_sel:[1,1] op_sel_hi:[0,1]
	v_mov_b32_e32 v22, v7
	s_waitcnt vmcnt(1) lgkmcnt(0)
	v_pk_mul_f32 v[24:25], v[16:17], v[8:9] op_sel:[1,1] op_sel_hi:[0,1]
	v_mov_b32_e32 v26, v11
	v_pk_fma_f32 v[28:29], v[12:13], v[4:5], v[2:3] neg_lo:[0,0,1] neg_hi:[0,0,1]
	v_pk_fma_f32 v[2:3], v[12:13], v[4:5], v[2:3] op_sel_hi:[1,0,1]
	v_pk_mul_f32 v[4:5], v[14:15], v[22:23] op_sel:[1,0] op_sel_hi:[0,0]
	v_pk_fma_f32 v[12:13], v[16:17], v[8:9], v[24:25] neg_lo:[0,0,1] neg_hi:[0,0,1]
	v_pk_fma_f32 v[8:9], v[16:17], v[8:9], v[24:25] op_sel_hi:[1,0,1]
	v_pk_mul_f32 v[16:17], v[18:19], v[26:27] op_sel:[1,0] op_sel_hi:[0,0]
	v_mov_b32_e32 v29, v3
	v_pk_fma_f32 v[2:3], v[14:15], v[6:7], v[4:5] neg_lo:[0,0,1] neg_hi:[0,0,1]
	v_pk_fma_f32 v[4:5], v[14:15], v[6:7], v[4:5] op_sel_hi:[1,0,1]
	v_mov_b32_e32 v13, v9
	v_pk_fma_f32 v[6:7], v[18:19], v[10:11], v[16:17] neg_lo:[0,0,1] neg_hi:[0,0,1]
	v_pk_fma_f32 v[8:9], v[18:19], v[10:11], v[16:17] op_sel_hi:[1,0,1]
	v_pk_add_f32 v[10:11], v[28:29], 0 op_sel_hi:[1,0]
	v_mov_b32_e32 v3, v5
	v_pk_add_f32 v[2:3], v[10:11], v[2:3]
	v_mov_b32_e32 v7, v9
	v_pk_add_f32 v[2:3], v[2:3], v[12:13]
	s_nop 0
	v_pk_add_f32 v[2:3], v[2:3], v[6:7]
	s_waitcnt vmcnt(0)
	v_pk_add_f32 v[2:3], v[20:21], v[2:3] neg_lo:[0,1] neg_hi:[0,1]
	scratch_store_dwordx2 off, v[2:3], off offset:208
	s_and_saveexec_b64 s[0:1], vcc
	s_cbranch_execz .LBB94_149
; %bb.148:
	scratch_load_dwordx2 v[2:3], off, off offset:200
	v_mov_b32_e32 v4, 0
	v_mov_b32_e32 v5, v4
	scratch_store_dwordx2 off, v[4:5], off offset:200
	s_waitcnt vmcnt(1)
	ds_write_b64 v1, v[2:3]
.LBB94_149:
	s_or_b64 exec, exec, s[0:1]
	s_waitcnt lgkmcnt(0)
	; wave barrier
	scratch_load_dwordx4 v[4:7], off, off offset:208
	scratch_load_dwordx4 v[8:11], off, off offset:224
	scratch_load_dwordx2 v[20:21], off, off offset:240
	scratch_load_dwordx2 v[22:23], off, off offset:200
	v_mov_b32_e32 v2, 0
	ds_read_b128 v[12:15], v2 offset:464
	ds_read_b128 v[16:19], v2 offset:480
	ds_read_b64 v[24:25], v2 offset:496
	v_cmp_lt_u32_e32 vcc, 24, v0
	s_waitcnt vmcnt(3) lgkmcnt(2)
	v_pk_mul_f32 v[26:27], v[12:13], v[4:5] op_sel:[1,1] op_sel_hi:[0,1]
	v_mov_b32_e32 v28, v7
	v_pk_fma_f32 v[36:37], v[12:13], v[4:5], v[26:27] neg_lo:[0,0,1] neg_hi:[0,0,1]
	v_pk_fma_f32 v[4:5], v[12:13], v[4:5], v[26:27] op_sel_hi:[1,0,1]
	v_pk_mul_f32 v[12:13], v[14:15], v[28:29] op_sel:[1,0] op_sel_hi:[0,0]
	s_waitcnt vmcnt(2) lgkmcnt(1)
	v_pk_mul_f32 v[30:31], v[16:17], v[8:9] op_sel:[1,1] op_sel_hi:[0,1]
	v_mov_b32_e32 v32, v11
	v_mov_b32_e32 v37, v5
	v_pk_fma_f32 v[4:5], v[14:15], v[6:7], v[12:13] neg_lo:[0,0,1] neg_hi:[0,0,1]
	v_pk_fma_f32 v[6:7], v[14:15], v[6:7], v[12:13] op_sel_hi:[1,0,1]
	v_pk_fma_f32 v[26:27], v[16:17], v[8:9], v[30:31] neg_lo:[0,0,1] neg_hi:[0,0,1]
	v_pk_fma_f32 v[8:9], v[16:17], v[8:9], v[30:31] op_sel_hi:[1,0,1]
	v_pk_mul_f32 v[16:17], v[18:19], v[32:33] op_sel:[1,0] op_sel_hi:[0,0]
	v_pk_add_f32 v[12:13], v[36:37], 0 op_sel_hi:[1,0]
	v_mov_b32_e32 v5, v7
	s_waitcnt vmcnt(1) lgkmcnt(0)
	v_pk_mul_f32 v[34:35], v[24:25], v[20:21] op_sel:[1,1] op_sel_hi:[0,1]
	v_mov_b32_e32 v27, v9
	v_pk_fma_f32 v[8:9], v[18:19], v[10:11], v[16:17] neg_lo:[0,0,1] neg_hi:[0,0,1]
	v_pk_fma_f32 v[10:11], v[18:19], v[10:11], v[16:17] op_sel_hi:[1,0,1]
	v_pk_add_f32 v[4:5], v[12:13], v[4:5]
	v_pk_fma_f32 v[28:29], v[24:25], v[20:21], v[34:35] neg_lo:[0,0,1] neg_hi:[0,0,1]
	v_pk_fma_f32 v[20:21], v[24:25], v[20:21], v[34:35] op_sel_hi:[1,0,1]
	v_mov_b32_e32 v9, v11
	v_pk_add_f32 v[4:5], v[4:5], v[26:27]
	v_mov_b32_e32 v29, v21
	v_pk_add_f32 v[4:5], v[4:5], v[8:9]
	s_nop 0
	v_pk_add_f32 v[4:5], v[4:5], v[28:29]
	s_waitcnt vmcnt(0)
	v_pk_add_f32 v[4:5], v[22:23], v[4:5] neg_lo:[0,1] neg_hi:[0,1]
	scratch_store_dwordx2 off, v[4:5], off offset:200
	s_and_saveexec_b64 s[0:1], vcc
	s_cbranch_execz .LBB94_151
; %bb.150:
	scratch_load_dwordx2 v[4:5], off, off offset:192
	v_mov_b32_e32 v3, v2
	scratch_store_dwordx2 off, v[2:3], off offset:192
	s_waitcnt vmcnt(1)
	ds_write_b64 v1, v[4:5]
.LBB94_151:
	s_or_b64 exec, exec, s[0:1]
	s_waitcnt lgkmcnt(0)
	; wave barrier
	scratch_load_dwordx4 v[4:7], off, off offset:200
	scratch_load_dwordx4 v[8:11], off, off offset:216
	scratch_load_dwordx4 v[12:15], off, off offset:232
	scratch_load_dwordx2 v[28:29], off, off offset:192
	ds_read2_b64 v[16:19], v2 offset0:57 offset1:58
	ds_read2_b64 v[20:23], v2 offset0:59 offset1:60
	;; [unrolled: 1-line block ×3, first 2 shown]
	v_cmp_lt_u32_e32 vcc, 23, v0
	s_waitcnt vmcnt(3) lgkmcnt(2)
	v_pk_mul_f32 v[2:3], v[16:17], v[4:5] op_sel:[1,1] op_sel_hi:[0,1]
	v_mov_b32_e32 v30, v7
	s_waitcnt vmcnt(2) lgkmcnt(1)
	v_pk_mul_f32 v[32:33], v[20:21], v[8:9] op_sel:[1,1] op_sel_hi:[0,1]
	v_mov_b32_e32 v34, v11
	;; [unrolled: 3-line block ×3, first 2 shown]
	v_pk_fma_f32 v[40:41], v[16:17], v[4:5], v[2:3] neg_lo:[0,0,1] neg_hi:[0,0,1]
	v_pk_fma_f32 v[2:3], v[16:17], v[4:5], v[2:3] op_sel_hi:[1,0,1]
	v_pk_mul_f32 v[4:5], v[18:19], v[30:31] op_sel:[1,0] op_sel_hi:[0,0]
	v_pk_fma_f32 v[16:17], v[20:21], v[8:9], v[32:33] neg_lo:[0,0,1] neg_hi:[0,0,1]
	v_pk_fma_f32 v[8:9], v[20:21], v[8:9], v[32:33] op_sel_hi:[1,0,1]
	v_pk_mul_f32 v[20:21], v[22:23], v[34:35] op_sel:[1,0] op_sel_hi:[0,0]
	;; [unrolled: 3-line block ×3, first 2 shown]
	v_mov_b32_e32 v41, v3
	v_pk_fma_f32 v[2:3], v[18:19], v[6:7], v[4:5] neg_lo:[0,0,1] neg_hi:[0,0,1]
	v_pk_fma_f32 v[4:5], v[18:19], v[6:7], v[4:5] op_sel_hi:[1,0,1]
	v_mov_b32_e32 v17, v9
	v_pk_fma_f32 v[6:7], v[22:23], v[10:11], v[20:21] neg_lo:[0,0,1] neg_hi:[0,0,1]
	v_pk_fma_f32 v[8:9], v[22:23], v[10:11], v[20:21] op_sel_hi:[1,0,1]
	;; [unrolled: 3-line block ×3, first 2 shown]
	v_pk_add_f32 v[14:15], v[40:41], 0 op_sel_hi:[1,0]
	v_mov_b32_e32 v3, v5
	v_pk_add_f32 v[2:3], v[14:15], v[2:3]
	v_mov_b32_e32 v7, v9
	v_pk_add_f32 v[2:3], v[2:3], v[16:17]
	;; [unrolled: 2-line block ×3, first 2 shown]
	s_nop 0
	v_pk_add_f32 v[2:3], v[2:3], v[30:31]
	s_nop 0
	v_pk_add_f32 v[2:3], v[2:3], v[10:11]
	s_waitcnt vmcnt(0)
	v_pk_add_f32 v[2:3], v[28:29], v[2:3] neg_lo:[0,1] neg_hi:[0,1]
	scratch_store_dwordx2 off, v[2:3], off offset:192
	s_and_saveexec_b64 s[0:1], vcc
	s_cbranch_execz .LBB94_153
; %bb.152:
	scratch_load_dwordx2 v[2:3], off, off offset:184
	v_mov_b32_e32 v4, 0
	v_mov_b32_e32 v5, v4
	scratch_store_dwordx2 off, v[4:5], off offset:184
	s_waitcnt vmcnt(1)
	ds_write_b64 v1, v[2:3]
.LBB94_153:
	s_or_b64 exec, exec, s[0:1]
	s_waitcnt lgkmcnt(0)
	; wave barrier
	scratch_load_dwordx4 v[4:7], off, off offset:192
	scratch_load_dwordx4 v[8:11], off, off offset:208
	scratch_load_dwordx4 v[12:15], off, off offset:224
	scratch_load_dwordx2 v[28:29], off, off offset:240
	scratch_load_dwordx2 v[30:31], off, off offset:184
	v_mov_b32_e32 v2, 0
	ds_read_b128 v[16:19], v2 offset:448
	ds_read_b128 v[20:23], v2 offset:464
	;; [unrolled: 1-line block ×3, first 2 shown]
	ds_read_b64 v[32:33], v2 offset:496
	v_cmp_lt_u32_e32 vcc, 22, v0
	s_waitcnt vmcnt(4) lgkmcnt(3)
	v_pk_mul_f32 v[34:35], v[16:17], v[4:5] op_sel:[1,1] op_sel_hi:[0,1]
	v_mov_b32_e32 v36, v7
	v_pk_fma_f32 v[48:49], v[16:17], v[4:5], v[34:35] neg_lo:[0,0,1] neg_hi:[0,0,1]
	v_pk_fma_f32 v[4:5], v[16:17], v[4:5], v[34:35] op_sel_hi:[1,0,1]
	v_pk_mul_f32 v[16:17], v[18:19], v[36:37] op_sel:[1,0] op_sel_hi:[0,0]
	s_waitcnt vmcnt(3) lgkmcnt(2)
	v_pk_mul_f32 v[38:39], v[20:21], v[8:9] op_sel:[1,1] op_sel_hi:[0,1]
	v_mov_b32_e32 v40, v11
	v_mov_b32_e32 v49, v5
	v_pk_fma_f32 v[4:5], v[18:19], v[6:7], v[16:17] neg_lo:[0,0,1] neg_hi:[0,0,1]
	v_pk_fma_f32 v[6:7], v[18:19], v[6:7], v[16:17] op_sel_hi:[1,0,1]
	v_pk_fma_f32 v[34:35], v[20:21], v[8:9], v[38:39] neg_lo:[0,0,1] neg_hi:[0,0,1]
	v_pk_fma_f32 v[8:9], v[20:21], v[8:9], v[38:39] op_sel_hi:[1,0,1]
	v_pk_mul_f32 v[20:21], v[22:23], v[40:41] op_sel:[1,0] op_sel_hi:[0,0]
	v_pk_add_f32 v[16:17], v[48:49], 0 op_sel_hi:[1,0]
	v_mov_b32_e32 v5, v7
	s_waitcnt vmcnt(2) lgkmcnt(1)
	v_pk_mul_f32 v[42:43], v[24:25], v[12:13] op_sel:[1,1] op_sel_hi:[0,1]
	v_mov_b32_e32 v44, v15
	v_mov_b32_e32 v35, v9
	v_pk_fma_f32 v[8:9], v[22:23], v[10:11], v[20:21] neg_lo:[0,0,1] neg_hi:[0,0,1]
	v_pk_fma_f32 v[10:11], v[22:23], v[10:11], v[20:21] op_sel_hi:[1,0,1]
	v_pk_add_f32 v[4:5], v[16:17], v[4:5]
	v_pk_fma_f32 v[36:37], v[24:25], v[12:13], v[42:43] neg_lo:[0,0,1] neg_hi:[0,0,1]
	v_pk_fma_f32 v[12:13], v[24:25], v[12:13], v[42:43] op_sel_hi:[1,0,1]
	v_pk_mul_f32 v[24:25], v[26:27], v[44:45] op_sel:[1,0] op_sel_hi:[0,0]
	v_mov_b32_e32 v9, v11
	v_pk_add_f32 v[4:5], v[4:5], v[34:35]
	s_waitcnt vmcnt(1) lgkmcnt(0)
	v_pk_mul_f32 v[46:47], v[32:33], v[28:29] op_sel:[1,1] op_sel_hi:[0,1]
	v_mov_b32_e32 v37, v13
	v_pk_fma_f32 v[12:13], v[26:27], v[14:15], v[24:25] neg_lo:[0,0,1] neg_hi:[0,0,1]
	v_pk_fma_f32 v[14:15], v[26:27], v[14:15], v[24:25] op_sel_hi:[1,0,1]
	v_pk_add_f32 v[4:5], v[4:5], v[8:9]
	v_pk_fma_f32 v[38:39], v[32:33], v[28:29], v[46:47] neg_lo:[0,0,1] neg_hi:[0,0,1]
	v_pk_fma_f32 v[28:29], v[32:33], v[28:29], v[46:47] op_sel_hi:[1,0,1]
	v_mov_b32_e32 v13, v15
	v_pk_add_f32 v[4:5], v[4:5], v[36:37]
	v_mov_b32_e32 v39, v29
	v_pk_add_f32 v[4:5], v[4:5], v[12:13]
	s_nop 0
	v_pk_add_f32 v[4:5], v[4:5], v[38:39]
	s_waitcnt vmcnt(0)
	v_pk_add_f32 v[4:5], v[30:31], v[4:5] neg_lo:[0,1] neg_hi:[0,1]
	scratch_store_dwordx2 off, v[4:5], off offset:184
	s_and_saveexec_b64 s[0:1], vcc
	s_cbranch_execz .LBB94_155
; %bb.154:
	scratch_load_dwordx2 v[4:5], off, off offset:176
	v_mov_b32_e32 v3, v2
	scratch_store_dwordx2 off, v[2:3], off offset:176
	s_waitcnt vmcnt(1)
	ds_write_b64 v1, v[4:5]
.LBB94_155:
	s_or_b64 exec, exec, s[0:1]
	s_waitcnt lgkmcnt(0)
	; wave barrier
	scratch_load_dwordx4 v[4:7], off, off offset:184
	scratch_load_dwordx4 v[8:11], off, off offset:200
	;; [unrolled: 1-line block ×4, first 2 shown]
	scratch_load_dwordx2 v[36:37], off, off offset:176
	ds_read2_b64 v[20:23], v2 offset0:55 offset1:56
	ds_read2_b64 v[24:27], v2 offset0:57 offset1:58
	;; [unrolled: 1-line block ×4, first 2 shown]
	v_cmp_lt_u32_e32 vcc, 21, v0
	s_waitcnt vmcnt(4) lgkmcnt(3)
	v_pk_mul_f32 v[2:3], v[20:21], v[4:5] op_sel:[1,1] op_sel_hi:[0,1]
	v_mov_b32_e32 v38, v7
	s_waitcnt vmcnt(3) lgkmcnt(2)
	v_pk_mul_f32 v[40:41], v[24:25], v[8:9] op_sel:[1,1] op_sel_hi:[0,1]
	v_mov_b32_e32 v42, v11
	;; [unrolled: 3-line block ×4, first 2 shown]
	v_pk_fma_f32 v[52:53], v[20:21], v[4:5], v[2:3] neg_lo:[0,0,1] neg_hi:[0,0,1]
	v_pk_fma_f32 v[2:3], v[20:21], v[4:5], v[2:3] op_sel_hi:[1,0,1]
	v_pk_mul_f32 v[4:5], v[22:23], v[38:39] op_sel:[1,0] op_sel_hi:[0,0]
	v_pk_fma_f32 v[20:21], v[24:25], v[8:9], v[40:41] neg_lo:[0,0,1] neg_hi:[0,0,1]
	v_pk_fma_f32 v[8:9], v[24:25], v[8:9], v[40:41] op_sel_hi:[1,0,1]
	v_pk_mul_f32 v[24:25], v[26:27], v[42:43] op_sel:[1,0] op_sel_hi:[0,0]
	;; [unrolled: 3-line block ×4, first 2 shown]
	v_mov_b32_e32 v53, v3
	v_pk_fma_f32 v[2:3], v[22:23], v[6:7], v[4:5] neg_lo:[0,0,1] neg_hi:[0,0,1]
	v_pk_fma_f32 v[4:5], v[22:23], v[6:7], v[4:5] op_sel_hi:[1,0,1]
	v_mov_b32_e32 v21, v9
	v_pk_fma_f32 v[6:7], v[26:27], v[10:11], v[24:25] neg_lo:[0,0,1] neg_hi:[0,0,1]
	v_pk_fma_f32 v[8:9], v[26:27], v[10:11], v[24:25] op_sel_hi:[1,0,1]
	;; [unrolled: 3-line block ×4, first 2 shown]
	v_pk_add_f32 v[18:19], v[52:53], 0 op_sel_hi:[1,0]
	v_mov_b32_e32 v3, v5
	v_pk_add_f32 v[2:3], v[18:19], v[2:3]
	v_mov_b32_e32 v7, v9
	v_pk_add_f32 v[2:3], v[2:3], v[20:21]
	;; [unrolled: 2-line block ×4, first 2 shown]
	s_nop 0
	v_pk_add_f32 v[2:3], v[2:3], v[10:11]
	s_nop 0
	v_pk_add_f32 v[2:3], v[2:3], v[40:41]
	;; [unrolled: 2-line block ×3, first 2 shown]
	s_waitcnt vmcnt(0)
	v_pk_add_f32 v[2:3], v[36:37], v[2:3] neg_lo:[0,1] neg_hi:[0,1]
	scratch_store_dwordx2 off, v[2:3], off offset:176
	s_and_saveexec_b64 s[0:1], vcc
	s_cbranch_execz .LBB94_157
; %bb.156:
	scratch_load_dwordx2 v[2:3], off, off offset:168
	v_mov_b32_e32 v4, 0
	v_mov_b32_e32 v5, v4
	scratch_store_dwordx2 off, v[4:5], off offset:168
	s_waitcnt vmcnt(1)
	ds_write_b64 v1, v[2:3]
.LBB94_157:
	s_or_b64 exec, exec, s[0:1]
	s_waitcnt lgkmcnt(0)
	; wave barrier
	scratch_load_dwordx4 v[4:7], off, off offset:176
	scratch_load_dwordx4 v[8:11], off, off offset:192
	;; [unrolled: 1-line block ×4, first 2 shown]
	scratch_load_dwordx2 v[36:37], off, off offset:240
	scratch_load_dwordx2 v[38:39], off, off offset:168
	v_mov_b32_e32 v2, 0
	ds_read_b128 v[20:23], v2 offset:432
	ds_read_b128 v[24:27], v2 offset:448
	;; [unrolled: 1-line block ×4, first 2 shown]
	ds_read_b64 v[40:41], v2 offset:496
	v_cmp_lt_u32_e32 vcc, 20, v0
	s_waitcnt vmcnt(5) lgkmcnt(4)
	v_mul_f32_e32 v43, v20, v5
	v_mul_f32_e32 v3, v21, v5
	v_mov_b32_e32 v44, v7
	s_waitcnt vmcnt(4) lgkmcnt(3)
	v_pk_mul_f32 v[46:47], v[24:25], v[8:9] op_sel:[1,1] op_sel_hi:[0,1]
	v_mov_b32_e32 v48, v11
	s_waitcnt vmcnt(1) lgkmcnt(0)
	v_pk_mul_f32 v[58:59], v[40:41], v[36:37] op_sel:[1,1] op_sel_hi:[0,1]
	v_fmac_f32_e32 v43, v21, v4
	v_fma_f32 v42, v20, v4, -v3
	v_pk_mul_f32 v[4:5], v[22:23], v[44:45] op_sel:[1,0] op_sel_hi:[0,0]
	v_pk_fma_f32 v[20:21], v[24:25], v[8:9], v[46:47] neg_lo:[0,0,1] neg_hi:[0,0,1]
	v_pk_fma_f32 v[8:9], v[24:25], v[8:9], v[46:47] op_sel_hi:[1,0,1]
	v_pk_mul_f32 v[24:25], v[26:27], v[48:49] op_sel:[1,0] op_sel_hi:[0,0]
	v_pk_fma_f32 v[48:49], v[40:41], v[36:37], v[58:59] neg_lo:[0,0,1] neg_hi:[0,0,1]
	v_pk_fma_f32 v[36:37], v[40:41], v[36:37], v[58:59] op_sel_hi:[1,0,1]
	v_pk_add_f32 v[40:41], v[42:43], 0 op_sel_hi:[1,0]
	v_pk_fma_f32 v[42:43], v[22:23], v[6:7], v[4:5] neg_lo:[0,0,1] neg_hi:[0,0,1]
	v_pk_fma_f32 v[4:5], v[22:23], v[6:7], v[4:5] op_sel_hi:[1,0,1]
	v_pk_mul_f32 v[50:51], v[28:29], v[12:13] op_sel:[1,1] op_sel_hi:[0,1]
	v_mov_b32_e32 v43, v5
	v_mov_b32_e32 v52, v15
	;; [unrolled: 1-line block ×3, first 2 shown]
	v_pk_fma_f32 v[6:7], v[26:27], v[10:11], v[24:25] neg_lo:[0,0,1] neg_hi:[0,0,1]
	v_pk_fma_f32 v[8:9], v[26:27], v[10:11], v[24:25] op_sel_hi:[1,0,1]
	v_pk_add_f32 v[4:5], v[40:41], v[42:43]
	v_pk_fma_f32 v[44:45], v[28:29], v[12:13], v[50:51] neg_lo:[0,0,1] neg_hi:[0,0,1]
	v_pk_fma_f32 v[12:13], v[28:29], v[12:13], v[50:51] op_sel_hi:[1,0,1]
	v_pk_mul_f32 v[28:29], v[30:31], v[52:53] op_sel:[1,0] op_sel_hi:[0,0]
	v_mov_b32_e32 v7, v9
	v_pk_add_f32 v[4:5], v[4:5], v[20:21]
	v_pk_mul_f32 v[54:55], v[32:33], v[16:17] op_sel:[1,1] op_sel_hi:[0,1]
	v_mov_b32_e32 v56, v19
	v_mov_b32_e32 v45, v13
	v_pk_fma_f32 v[10:11], v[30:31], v[14:15], v[28:29] neg_lo:[0,0,1] neg_hi:[0,0,1]
	v_pk_fma_f32 v[12:13], v[30:31], v[14:15], v[28:29] op_sel_hi:[1,0,1]
	v_pk_add_f32 v[4:5], v[4:5], v[6:7]
	v_pk_fma_f32 v[46:47], v[32:33], v[16:17], v[54:55] neg_lo:[0,0,1] neg_hi:[0,0,1]
	v_pk_fma_f32 v[16:17], v[32:33], v[16:17], v[54:55] op_sel_hi:[1,0,1]
	v_pk_mul_f32 v[32:33], v[34:35], v[56:57] op_sel:[1,0] op_sel_hi:[0,0]
	v_mov_b32_e32 v11, v13
	v_pk_add_f32 v[4:5], v[4:5], v[44:45]
	v_mov_b32_e32 v47, v17
	v_pk_fma_f32 v[14:15], v[34:35], v[18:19], v[32:33] neg_lo:[0,0,1] neg_hi:[0,0,1]
	v_pk_fma_f32 v[16:17], v[34:35], v[18:19], v[32:33] op_sel_hi:[1,0,1]
	v_pk_add_f32 v[4:5], v[4:5], v[10:11]
	v_mov_b32_e32 v15, v17
	v_pk_add_f32 v[4:5], v[4:5], v[46:47]
	v_mov_b32_e32 v49, v37
	v_pk_add_f32 v[4:5], v[4:5], v[14:15]
	s_nop 0
	v_pk_add_f32 v[4:5], v[4:5], v[48:49]
	s_waitcnt vmcnt(0)
	v_pk_add_f32 v[4:5], v[38:39], v[4:5] neg_lo:[0,1] neg_hi:[0,1]
	scratch_store_dwordx2 off, v[4:5], off offset:168
	s_and_saveexec_b64 s[0:1], vcc
	s_cbranch_execz .LBB94_159
; %bb.158:
	scratch_load_dwordx2 v[4:5], off, off offset:160
	v_mov_b32_e32 v3, v2
	scratch_store_dwordx2 off, v[2:3], off offset:160
	s_waitcnt vmcnt(1)
	ds_write_b64 v1, v[4:5]
.LBB94_159:
	s_or_b64 exec, exec, s[0:1]
	s_waitcnt lgkmcnt(0)
	; wave barrier
	scratch_load_dwordx4 v[4:7], off, off offset:168
	scratch_load_dwordx4 v[8:11], off, off offset:184
	;; [unrolled: 1-line block ×5, first 2 shown]
	scratch_load_dwordx2 v[44:45], off, off offset:160
	ds_read2_b64 v[24:27], v2 offset0:53 offset1:54
	ds_read2_b64 v[28:31], v2 offset0:55 offset1:56
	;; [unrolled: 1-line block ×5, first 2 shown]
	v_cmp_lt_u32_e32 vcc, 19, v0
	s_waitcnt vmcnt(5) lgkmcnt(4)
	v_mul_f32_e32 v3, v24, v5
	v_mul_f32_e32 v2, v25, v5
	;; [unrolled: 1-line block ×4, first 2 shown]
	s_waitcnt vmcnt(4) lgkmcnt(3)
	v_pk_mul_f32 v[48:49], v[28:29], v[8:9] op_sel:[1,1] op_sel_hi:[0,1]
	v_mov_b32_e32 v50, v11
	v_fmac_f32_e32 v3, v25, v4
	v_fma_f32 v2, v24, v4, -v2
	v_fmac_f32_e32 v47, v27, v6
	v_fma_f32 v46, v26, v6, -v5
	v_pk_fma_f32 v[4:5], v[28:29], v[8:9], v[48:49] neg_lo:[0,0,1] neg_hi:[0,0,1]
	v_pk_fma_f32 v[6:7], v[28:29], v[8:9], v[48:49] op_sel_hi:[1,0,1]
	v_pk_mul_f32 v[8:9], v[30:31], v[50:51] op_sel:[1,0] op_sel_hi:[0,0]
	v_pk_add_f32 v[2:3], v[2:3], 0 op_sel_hi:[1,0]
	s_waitcnt vmcnt(3) lgkmcnt(2)
	v_pk_mul_f32 v[52:53], v[32:33], v[12:13] op_sel:[1,1] op_sel_hi:[0,1]
	v_mov_b32_e32 v54, v15
	v_mov_b32_e32 v5, v7
	v_pk_fma_f32 v[6:7], v[30:31], v[10:11], v[8:9] neg_lo:[0,0,1] neg_hi:[0,0,1]
	v_pk_fma_f32 v[8:9], v[30:31], v[10:11], v[8:9] op_sel_hi:[1,0,1]
	v_pk_add_f32 v[2:3], v[2:3], v[46:47]
	v_pk_fma_f32 v[24:25], v[32:33], v[12:13], v[52:53] neg_lo:[0,0,1] neg_hi:[0,0,1]
	v_pk_fma_f32 v[12:13], v[32:33], v[12:13], v[52:53] op_sel_hi:[1,0,1]
	v_pk_mul_f32 v[26:27], v[34:35], v[54:55] op_sel:[1,0] op_sel_hi:[0,0]
	v_mov_b32_e32 v7, v9
	v_pk_add_f32 v[2:3], v[2:3], v[4:5]
	s_waitcnt vmcnt(2) lgkmcnt(1)
	v_pk_mul_f32 v[56:57], v[36:37], v[16:17] op_sel:[1,1] op_sel_hi:[0,1]
	v_mov_b32_e32 v58, v19
	v_mov_b32_e32 v25, v13
	v_pk_fma_f32 v[10:11], v[34:35], v[14:15], v[26:27] neg_lo:[0,0,1] neg_hi:[0,0,1]
	v_pk_fma_f32 v[12:13], v[34:35], v[14:15], v[26:27] op_sel_hi:[1,0,1]
	v_pk_add_f32 v[2:3], v[2:3], v[6:7]
	v_pk_fma_f32 v[28:29], v[36:37], v[16:17], v[56:57] neg_lo:[0,0,1] neg_hi:[0,0,1]
	v_pk_fma_f32 v[16:17], v[36:37], v[16:17], v[56:57] op_sel_hi:[1,0,1]
	v_pk_mul_f32 v[32:33], v[38:39], v[58:59] op_sel:[1,0] op_sel_hi:[0,0]
	v_mov_b32_e32 v11, v13
	v_pk_add_f32 v[2:3], v[2:3], v[24:25]
	;; [unrolled: 12-line block ×3, first 2 shown]
	v_mov_b32_e32 v37, v21
	v_pk_fma_f32 v[18:19], v[42:43], v[22:23], v[40:41] neg_lo:[0,0,1] neg_hi:[0,0,1]
	v_pk_fma_f32 v[20:21], v[42:43], v[22:23], v[40:41] op_sel_hi:[1,0,1]
	v_pk_add_f32 v[2:3], v[2:3], v[14:15]
	v_mov_b32_e32 v19, v21
	v_pk_add_f32 v[2:3], v[2:3], v[36:37]
	s_nop 0
	v_pk_add_f32 v[2:3], v[2:3], v[18:19]
	s_waitcnt vmcnt(0)
	v_pk_add_f32 v[2:3], v[44:45], v[2:3] neg_lo:[0,1] neg_hi:[0,1]
	scratch_store_dwordx2 off, v[2:3], off offset:160
	s_and_saveexec_b64 s[0:1], vcc
	s_cbranch_execz .LBB94_161
; %bb.160:
	scratch_load_dwordx2 v[2:3], off, off offset:152
	v_mov_b32_e32 v4, 0
	v_mov_b32_e32 v5, v4
	scratch_store_dwordx2 off, v[4:5], off offset:152
	s_waitcnt vmcnt(1)
	ds_write_b64 v1, v[2:3]
.LBB94_161:
	s_or_b64 exec, exec, s[0:1]
	s_waitcnt lgkmcnt(0)
	; wave barrier
	scratch_load_dwordx4 v[4:7], off, off offset:160
	scratch_load_dwordx4 v[8:11], off, off offset:176
	;; [unrolled: 1-line block ×5, first 2 shown]
	scratch_load_dwordx2 v[44:45], off, off offset:240
	scratch_load_dwordx2 v[46:47], off, off offset:152
	v_mov_b32_e32 v2, 0
	ds_read_b128 v[24:27], v2 offset:416
	ds_read_b128 v[28:31], v2 offset:432
	;; [unrolled: 1-line block ×5, first 2 shown]
	ds_read_b64 v[48:49], v2 offset:496
	v_cmp_lt_u32_e32 vcc, 18, v0
	s_waitcnt vmcnt(6) lgkmcnt(5)
	v_mul_f32_e32 v3, v24, v5
	v_mul_f32_e32 v5, v25, v5
	;; [unrolled: 1-line block ×3, first 2 shown]
	s_waitcnt vmcnt(5) lgkmcnt(4)
	v_mul_f32_e32 v53, v28, v9
	v_mul_f32_e32 v7, v27, v7
	;; [unrolled: 1-line block ×3, first 2 shown]
	v_mov_b32_e32 v54, v11
	s_waitcnt vmcnt(3) lgkmcnt(2)
	v_pk_mul_f32 v[60:61], v[36:37], v[16:17] op_sel:[1,1] op_sel_hi:[0,1]
	s_waitcnt vmcnt(2) lgkmcnt(1)
	v_pk_mul_f32 v[64:65], v[40:41], v[20:21] op_sel:[1,1] op_sel_hi:[0,1]
	;; [unrolled: 2-line block ×3, first 2 shown]
	v_fmac_f32_e32 v3, v25, v4
	v_fma_f32 v55, v24, v4, -v5
	v_fmac_f32_e32 v51, v27, v6
	v_fmac_f32_e32 v53, v29, v8
	v_fma_f32 v50, v26, v6, -v7
	v_fma_f32 v52, v28, v8, -v9
	v_pk_mul_f32 v[4:5], v[30:31], v[54:55] op_sel:[1,0] op_sel_hi:[0,0]
	v_pk_fma_f32 v[24:25], v[36:37], v[16:17], v[60:61] neg_lo:[0,0,1] neg_hi:[0,0,1]
	v_pk_fma_f32 v[16:17], v[36:37], v[16:17], v[60:61] op_sel_hi:[1,0,1]
	v_pk_fma_f32 v[28:29], v[40:41], v[20:21], v[64:65] neg_lo:[0,0,1] neg_hi:[0,0,1]
	v_pk_fma_f32 v[20:21], v[40:41], v[20:21], v[64:65] op_sel_hi:[1,0,1]
	v_pk_fma_f32 v[36:37], v[48:49], v[44:45], v[68:69] neg_lo:[0,0,1] neg_hi:[0,0,1]
	v_pk_fma_f32 v[40:41], v[48:49], v[44:45], v[68:69] op_sel_hi:[1,0,1]
	v_add_f32_e32 v45, 0, v3
	v_add_f32_e32 v44, 0, v55
	v_pk_mul_f32 v[56:57], v[32:33], v[12:13] op_sel:[1,1] op_sel_hi:[0,1]
	v_mov_b32_e32 v58, v15
	v_pk_fma_f32 v[48:49], v[30:31], v[10:11], v[4:5] neg_lo:[0,0,1] neg_hi:[0,0,1]
	v_pk_fma_f32 v[4:5], v[30:31], v[10:11], v[4:5] op_sel_hi:[1,0,1]
	v_mov_b32_e32 v29, v21
	v_pk_add_f32 v[20:21], v[44:45], v[50:51]
	v_pk_fma_f32 v[6:7], v[32:33], v[12:13], v[56:57] neg_lo:[0,0,1] neg_hi:[0,0,1]
	v_pk_fma_f32 v[8:9], v[32:33], v[12:13], v[56:57] op_sel_hi:[1,0,1]
	v_pk_mul_f32 v[12:13], v[34:35], v[58:59] op_sel:[1,0] op_sel_hi:[0,0]
	v_mov_b32_e32 v49, v5
	v_pk_add_f32 v[4:5], v[20:21], v[52:53]
	v_mov_b32_e32 v62, v19
	v_mov_b32_e32 v7, v9
	v_pk_fma_f32 v[8:9], v[34:35], v[14:15], v[12:13] neg_lo:[0,0,1] neg_hi:[0,0,1]
	v_pk_fma_f32 v[10:11], v[34:35], v[14:15], v[12:13] op_sel_hi:[1,0,1]
	v_pk_add_f32 v[4:5], v[4:5], v[48:49]
	v_pk_mul_f32 v[26:27], v[38:39], v[62:63] op_sel:[1,0] op_sel_hi:[0,0]
	v_mov_b32_e32 v9, v11
	v_pk_add_f32 v[4:5], v[4:5], v[6:7]
	v_mov_b32_e32 v66, v23
	v_mov_b32_e32 v25, v17
	v_pk_fma_f32 v[12:13], v[38:39], v[18:19], v[26:27] neg_lo:[0,0,1] neg_hi:[0,0,1]
	v_pk_fma_f32 v[14:15], v[38:39], v[18:19], v[26:27] op_sel_hi:[1,0,1]
	v_pk_add_f32 v[4:5], v[4:5], v[8:9]
	v_pk_mul_f32 v[32:33], v[42:43], v[66:67] op_sel:[1,0] op_sel_hi:[0,0]
	v_mov_b32_e32 v13, v15
	v_pk_add_f32 v[4:5], v[4:5], v[24:25]
	v_pk_fma_f32 v[16:17], v[42:43], v[22:23], v[32:33] neg_lo:[0,0,1] neg_hi:[0,0,1]
	v_pk_fma_f32 v[18:19], v[42:43], v[22:23], v[32:33] op_sel_hi:[1,0,1]
	v_pk_add_f32 v[4:5], v[4:5], v[12:13]
	v_mov_b32_e32 v17, v19
	v_pk_add_f32 v[4:5], v[4:5], v[28:29]
	v_mov_b32_e32 v37, v41
	v_pk_add_f32 v[4:5], v[4:5], v[16:17]
	s_nop 0
	v_pk_add_f32 v[4:5], v[4:5], v[36:37]
	s_waitcnt vmcnt(0)
	v_pk_add_f32 v[4:5], v[46:47], v[4:5] neg_lo:[0,1] neg_hi:[0,1]
	scratch_store_dwordx2 off, v[4:5], off offset:152
	s_and_saveexec_b64 s[0:1], vcc
	s_cbranch_execz .LBB94_163
; %bb.162:
	scratch_load_dwordx2 v[4:5], off, off offset:144
	v_mov_b32_e32 v3, v2
	scratch_store_dwordx2 off, v[2:3], off offset:144
	s_waitcnt vmcnt(1)
	ds_write_b64 v1, v[4:5]
.LBB94_163:
	s_or_b64 exec, exec, s[0:1]
	s_waitcnt lgkmcnt(0)
	; wave barrier
	scratch_load_dwordx4 v[8:11], off, off offset:152
	scratch_load_dwordx4 v[16:19], off, off offset:168
	ds_read2_b64 v[4:7], v2 offset0:51 offset1:52
	v_cmp_lt_u32_e32 vcc, 17, v0
	s_waitcnt vmcnt(1) lgkmcnt(0)
	v_mul_f32_e32 v3, v4, v9
	v_fmac_f32_e32 v3, v5, v8
	v_mul_f32_e32 v12, v6, v11
	v_add_f32_e32 v3, 0, v3
	v_fmac_f32_e32 v12, v7, v10
	v_add_f32_e32 v37, v3, v12
	ds_read2_b64 v[12:15], v2 offset0:53 offset1:54
	scratch_load_dwordx4 v[20:23], off, off offset:184
	scratch_load_dwordx4 v[24:27], off, off offset:200
	;; [unrolled: 1-line block ×4, first 2 shown]
	v_mul_f32_e32 v3, v5, v9
	v_fma_f32 v3, v4, v8, -v3
	v_mul_f32_e32 v4, v7, v11
	v_add_f32_e32 v3, 0, v3
	v_fma_f32 v4, v6, v10, -v4
	v_add_f32_e32 v36, v3, v4
	s_waitcnt vmcnt(4) lgkmcnt(0)
	v_mul_f32_e32 v3, v13, v17
	v_mul_f32_e32 v39, v12, v17
	;; [unrolled: 1-line block ×3, first 2 shown]
	v_fma_f32 v38, v12, v16, -v3
	v_mul_f32_e32 v3, v15, v19
	v_fmac_f32_e32 v39, v13, v16
	v_fmac_f32_e32 v41, v15, v18
	v_fma_f32 v40, v14, v18, -v3
	ds_read2_b64 v[4:7], v2 offset0:55 offset1:56
	ds_read2_b64 v[8:11], v2 offset0:57 offset1:58
	;; [unrolled: 1-line block ×4, first 2 shown]
	v_pk_add_f32 v[2:3], v[36:37], v[38:39]
	s_waitcnt vmcnt(3) lgkmcnt(3)
	v_pk_mul_f32 v[36:37], v[4:5], v[20:21] op_sel:[1,1] op_sel_hi:[0,1]
	v_pk_fma_f32 v[38:39], v[4:5], v[20:21], v[36:37] neg_lo:[0,0,1] neg_hi:[0,0,1]
	v_pk_fma_f32 v[4:5], v[4:5], v[20:21], v[36:37] op_sel_hi:[1,0,1]
	v_pk_add_f32 v[2:3], v[2:3], v[40:41]
	v_mov_b32_e32 v4, v23
	v_mov_b32_e32 v39, v5
	v_pk_mul_f32 v[4:5], v[6:7], v[4:5] op_sel:[1,0] op_sel_hi:[0,0]
	v_pk_fma_f32 v[20:21], v[6:7], v[22:23], v[4:5] neg_lo:[0,0,1] neg_hi:[0,0,1]
	v_pk_fma_f32 v[4:5], v[6:7], v[22:23], v[4:5] op_sel_hi:[1,0,1]
	v_pk_add_f32 v[2:3], v[2:3], v[38:39]
	v_mov_b32_e32 v21, v5
	s_waitcnt vmcnt(2) lgkmcnt(2)
	v_pk_mul_f32 v[4:5], v[8:9], v[24:25] op_sel:[1,1] op_sel_hi:[0,1]
	v_pk_fma_f32 v[6:7], v[8:9], v[24:25], v[4:5] neg_lo:[0,0,1] neg_hi:[0,0,1]
	v_pk_fma_f32 v[4:5], v[8:9], v[24:25], v[4:5] op_sel_hi:[1,0,1]
	v_pk_add_f32 v[2:3], v[2:3], v[20:21]
	v_mov_b32_e32 v4, v27
	v_mov_b32_e32 v7, v5
	v_pk_mul_f32 v[4:5], v[10:11], v[4:5] op_sel:[1,0] op_sel_hi:[0,0]
	v_pk_add_f32 v[2:3], v[2:3], v[6:7]
	v_pk_fma_f32 v[6:7], v[10:11], v[26:27], v[4:5] neg_lo:[0,0,1] neg_hi:[0,0,1]
	v_pk_fma_f32 v[4:5], v[10:11], v[26:27], v[4:5] op_sel_hi:[1,0,1]
	s_nop 0
	v_mov_b32_e32 v7, v5
	s_waitcnt vmcnt(1) lgkmcnt(1)
	v_pk_mul_f32 v[4:5], v[12:13], v[28:29] op_sel:[1,1] op_sel_hi:[0,1]
	v_pk_add_f32 v[2:3], v[2:3], v[6:7]
	v_pk_fma_f32 v[6:7], v[12:13], v[28:29], v[4:5] neg_lo:[0,0,1] neg_hi:[0,0,1]
	v_pk_fma_f32 v[4:5], v[12:13], v[28:29], v[4:5] op_sel_hi:[1,0,1]
	s_nop 0
	v_mov_b32_e32 v4, v31
	v_mov_b32_e32 v7, v5
	v_pk_mul_f32 v[4:5], v[14:15], v[4:5] op_sel:[1,0] op_sel_hi:[0,0]
	v_pk_add_f32 v[2:3], v[2:3], v[6:7]
	v_pk_fma_f32 v[6:7], v[14:15], v[30:31], v[4:5] neg_lo:[0,0,1] neg_hi:[0,0,1]
	v_pk_fma_f32 v[4:5], v[14:15], v[30:31], v[4:5] op_sel_hi:[1,0,1]
	s_nop 0
	v_mov_b32_e32 v7, v5
	s_waitcnt vmcnt(0) lgkmcnt(0)
	v_pk_mul_f32 v[4:5], v[16:17], v[32:33] op_sel:[1,1] op_sel_hi:[0,1]
	v_pk_add_f32 v[2:3], v[2:3], v[6:7]
	v_pk_fma_f32 v[6:7], v[16:17], v[32:33], v[4:5] neg_lo:[0,0,1] neg_hi:[0,0,1]
	v_pk_fma_f32 v[4:5], v[16:17], v[32:33], v[4:5] op_sel_hi:[1,0,1]
	s_nop 0
	v_mov_b32_e32 v4, v35
	v_mov_b32_e32 v7, v5
	v_pk_mul_f32 v[4:5], v[18:19], v[4:5] op_sel:[1,0] op_sel_hi:[0,0]
	v_pk_add_f32 v[2:3], v[2:3], v[6:7]
	v_pk_fma_f32 v[6:7], v[18:19], v[34:35], v[4:5] neg_lo:[0,0,1] neg_hi:[0,0,1]
	v_pk_fma_f32 v[4:5], v[18:19], v[34:35], v[4:5] op_sel_hi:[1,0,1]
	s_nop 0
	v_mov_b32_e32 v7, v5
	scratch_load_dwordx2 v[4:5], off, off offset:144
	v_pk_add_f32 v[2:3], v[2:3], v[6:7]
	s_waitcnt vmcnt(0)
	v_pk_add_f32 v[2:3], v[4:5], v[2:3] neg_lo:[0,1] neg_hi:[0,1]
	scratch_store_dwordx2 off, v[2:3], off offset:144
	s_and_saveexec_b64 s[0:1], vcc
	s_cbranch_execz .LBB94_165
; %bb.164:
	scratch_load_dwordx2 v[2:3], off, off offset:136
	v_mov_b32_e32 v4, 0
	v_mov_b32_e32 v5, v4
	scratch_store_dwordx2 off, v[4:5], off offset:136
	s_waitcnt vmcnt(1)
	ds_write_b64 v1, v[2:3]
.LBB94_165:
	s_or_b64 exec, exec, s[0:1]
	v_mov_b32_e32 v2, 0
	s_waitcnt lgkmcnt(0)
	; wave barrier
	ds_read_b128 v[4:7], v2 offset:400
	ds_read_b128 v[8:11], v2 offset:416
	;; [unrolled: 1-line block ×4, first 2 shown]
	scratch_load_dwordx4 v[20:23], off, off offset:144
	v_cmp_lt_u32_e32 vcc, 16, v0
	s_waitcnt vmcnt(0) lgkmcnt(3)
	v_mul_f32_e32 v3, v4, v21
	v_fmac_f32_e32 v3, v5, v20
	v_mul_f32_e32 v24, v6, v23
	v_add_f32_e32 v3, 0, v3
	v_fmac_f32_e32 v24, v7, v22
	v_add_f32_e32 v3, v3, v24
	scratch_load_dwordx4 v[24:27], off, off offset:160
	s_waitcnt vmcnt(0) lgkmcnt(2)
	v_mul_f32_e32 v28, v8, v25
	v_fmac_f32_e32 v28, v9, v24
	v_add_f32_e32 v45, v3, v28
	scratch_load_dwordx4 v[28:31], off, off offset:176
	scratch_load_dwordx4 v[32:35], off, off offset:192
	;; [unrolled: 1-line block ×4, first 2 shown]
	scratch_load_dwordx2 v[50:51], off, off offset:240
	v_mul_f32_e32 v3, v5, v21
	v_fma_f32 v3, v4, v20, -v3
	v_mul_f32_e32 v4, v7, v23
	v_add_f32_e32 v3, 0, v3
	v_fma_f32 v4, v6, v22, -v4
	v_add_f32_e32 v3, v3, v4
	v_mul_f32_e32 v4, v9, v25
	v_fma_f32 v4, v8, v24, -v4
	v_mul_f32_e32 v47, v10, v27
	v_add_f32_e32 v44, v3, v4
	v_mul_f32_e32 v3, v11, v27
	v_fmac_f32_e32 v47, v11, v26
	v_fma_f32 v46, v10, v26, -v3
	v_pk_add_f32 v[20:21], v[44:45], v[46:47]
	s_waitcnt vmcnt(4)
	v_mov_b32_e32 v22, v31
	s_waitcnt lgkmcnt(1)
	v_mul_f32_e32 v49, v12, v29
	v_mul_f32_e32 v3, v13, v29
	v_pk_mul_f32 v[22:23], v[14:15], v[22:23] op_sel:[1,0] op_sel_hi:[0,0]
	v_fmac_f32_e32 v49, v13, v28
	v_fma_f32 v48, v12, v28, -v3
	v_pk_fma_f32 v[24:25], v[14:15], v[30:31], v[22:23] neg_lo:[0,0,1] neg_hi:[0,0,1]
	v_pk_fma_f32 v[14:15], v[14:15], v[30:31], v[22:23] op_sel_hi:[1,0,1]
	v_pk_add_f32 v[20:21], v[20:21], v[48:49]
	v_mov_b32_e32 v25, v15
	v_pk_add_f32 v[14:15], v[20:21], v[24:25]
	s_waitcnt vmcnt(3) lgkmcnt(0)
	v_pk_mul_f32 v[20:21], v[16:17], v[32:33] op_sel:[1,1] op_sel_hi:[0,1]
	v_pk_fma_f32 v[22:23], v[16:17], v[32:33], v[20:21] neg_lo:[0,0,1] neg_hi:[0,0,1]
	v_pk_fma_f32 v[16:17], v[16:17], v[32:33], v[20:21] op_sel_hi:[1,0,1]
	ds_read_b128 v[4:7], v2 offset:464
	ds_read_b128 v[8:11], v2 offset:480
	ds_read_b64 v[12:13], v2 offset:496
	v_mov_b32_e32 v16, v35
	v_mov_b32_e32 v23, v17
	v_pk_mul_f32 v[16:17], v[18:19], v[16:17] op_sel:[1,0] op_sel_hi:[0,0]
	v_pk_fma_f32 v[20:21], v[18:19], v[34:35], v[16:17] neg_lo:[0,0,1] neg_hi:[0,0,1]
	v_pk_fma_f32 v[16:17], v[18:19], v[34:35], v[16:17] op_sel_hi:[1,0,1]
	v_pk_add_f32 v[14:15], v[14:15], v[22:23]
	v_mov_b32_e32 v21, v17
	s_waitcnt vmcnt(2) lgkmcnt(2)
	v_pk_mul_f32 v[16:17], v[4:5], v[36:37] op_sel:[1,1] op_sel_hi:[0,1]
	v_pk_fma_f32 v[18:19], v[4:5], v[36:37], v[16:17] neg_lo:[0,0,1] neg_hi:[0,0,1]
	v_pk_fma_f32 v[4:5], v[4:5], v[36:37], v[16:17] op_sel_hi:[1,0,1]
	v_pk_add_f32 v[14:15], v[14:15], v[20:21]
	v_mov_b32_e32 v19, v5
	v_pk_add_f32 v[4:5], v[14:15], v[18:19]
	v_mov_b32_e32 v14, v39
	v_pk_mul_f32 v[14:15], v[6:7], v[14:15] op_sel:[1,0] op_sel_hi:[0,0]
	v_pk_fma_f32 v[16:17], v[6:7], v[38:39], v[14:15] neg_lo:[0,0,1] neg_hi:[0,0,1]
	v_pk_fma_f32 v[6:7], v[6:7], v[38:39], v[14:15] op_sel_hi:[1,0,1]
	s_nop 0
	v_mov_b32_e32 v17, v7
	s_waitcnt vmcnt(1) lgkmcnt(1)
	v_pk_mul_f32 v[6:7], v[8:9], v[40:41] op_sel:[1,1] op_sel_hi:[0,1]
	v_pk_fma_f32 v[14:15], v[8:9], v[40:41], v[6:7] neg_lo:[0,0,1] neg_hi:[0,0,1]
	v_pk_fma_f32 v[6:7], v[8:9], v[40:41], v[6:7] op_sel_hi:[1,0,1]
	v_pk_add_f32 v[4:5], v[4:5], v[16:17]
	v_mov_b32_e32 v6, v43
	v_mov_b32_e32 v15, v7
	v_pk_mul_f32 v[6:7], v[10:11], v[6:7] op_sel:[1,0] op_sel_hi:[0,0]
	v_pk_fma_f32 v[8:9], v[10:11], v[42:43], v[6:7] neg_lo:[0,0,1] neg_hi:[0,0,1]
	v_pk_fma_f32 v[6:7], v[10:11], v[42:43], v[6:7] op_sel_hi:[1,0,1]
	v_pk_add_f32 v[4:5], v[4:5], v[14:15]
	v_mov_b32_e32 v9, v7
	s_waitcnt vmcnt(0) lgkmcnt(0)
	v_pk_mul_f32 v[6:7], v[12:13], v[50:51] op_sel:[1,1] op_sel_hi:[0,1]
	v_pk_add_f32 v[4:5], v[4:5], v[8:9]
	v_pk_fma_f32 v[8:9], v[12:13], v[50:51], v[6:7] neg_lo:[0,0,1] neg_hi:[0,0,1]
	v_pk_fma_f32 v[6:7], v[12:13], v[50:51], v[6:7] op_sel_hi:[1,0,1]
	s_nop 0
	v_mov_b32_e32 v9, v7
	scratch_load_dwordx2 v[6:7], off, off offset:136
	v_pk_add_f32 v[4:5], v[4:5], v[8:9]
	s_waitcnt vmcnt(0)
	v_pk_add_f32 v[4:5], v[6:7], v[4:5] neg_lo:[0,1] neg_hi:[0,1]
	scratch_store_dwordx2 off, v[4:5], off offset:136
	s_and_saveexec_b64 s[0:1], vcc
	s_cbranch_execz .LBB94_167
; %bb.166:
	scratch_load_dwordx2 v[4:5], off, off offset:128
	v_mov_b32_e32 v3, v2
	scratch_store_dwordx2 off, v[2:3], off offset:128
	s_waitcnt vmcnt(1)
	ds_write_b64 v1, v[4:5]
.LBB94_167:
	s_or_b64 exec, exec, s[0:1]
	s_waitcnt lgkmcnt(0)
	; wave barrier
	scratch_load_dwordx4 v[8:11], off, off offset:136
	scratch_load_dwordx4 v[16:19], off, off offset:152
	ds_read2_b64 v[4:7], v2 offset0:49 offset1:50
	scratch_load_dwordx4 v[24:27], off, off offset:168
	v_cmp_lt_u32_e32 vcc, 15, v0
	s_waitcnt vmcnt(2) lgkmcnt(0)
	v_mul_f32_e32 v3, v4, v9
	v_fmac_f32_e32 v3, v5, v8
	v_mul_f32_e32 v12, v6, v11
	v_add_f32_e32 v3, 0, v3
	v_fmac_f32_e32 v12, v7, v10
	v_add_f32_e32 v3, v3, v12
	ds_read2_b64 v[12:15], v2 offset0:51 offset1:52
	s_waitcnt vmcnt(1) lgkmcnt(0)
	v_mul_f32_e32 v20, v12, v17
	v_fmac_f32_e32 v20, v13, v16
	v_add_f32_e32 v3, v3, v20
	v_mul_f32_e32 v20, v14, v19
	v_fmac_f32_e32 v20, v15, v18
	v_add_f32_e32 v45, v3, v20
	ds_read2_b64 v[20:23], v2 offset0:53 offset1:54
	scratch_load_dwordx4 v[28:31], off, off offset:184
	scratch_load_dwordx4 v[32:35], off, off offset:200
	;; [unrolled: 1-line block ×4, first 2 shown]
	v_mul_f32_e32 v3, v5, v9
	v_fma_f32 v3, v4, v8, -v3
	v_mul_f32_e32 v4, v7, v11
	v_add_f32_e32 v3, 0, v3
	v_fma_f32 v4, v6, v10, -v4
	v_add_f32_e32 v3, v3, v4
	v_mul_f32_e32 v4, v13, v17
	v_fma_f32 v4, v12, v16, -v4
	v_add_f32_e32 v3, v3, v4
	v_mul_f32_e32 v4, v15, v19
	v_fma_f32 v4, v14, v18, -v4
	v_add_f32_e32 v44, v3, v4
	ds_read2_b64 v[4:7], v2 offset0:55 offset1:56
	ds_read2_b64 v[8:11], v2 offset0:57 offset1:58
	;; [unrolled: 1-line block ×4, first 2 shown]
	s_waitcnt vmcnt(4) lgkmcnt(4)
	v_mul_f32_e32 v47, v20, v25
	v_mul_f32_e32 v3, v21, v25
	v_fmac_f32_e32 v47, v21, v24
	v_mul_f32_e32 v49, v22, v27
	v_fma_f32 v46, v20, v24, -v3
	v_mul_f32_e32 v3, v23, v27
	v_fmac_f32_e32 v49, v23, v26
	v_fma_f32 v48, v22, v26, -v3
	v_pk_add_f32 v[2:3], v[44:45], v[46:47]
	s_waitcnt vmcnt(3) lgkmcnt(3)
	v_pk_mul_f32 v[20:21], v[4:5], v[28:29] op_sel:[1,1] op_sel_hi:[0,1]
	v_pk_fma_f32 v[22:23], v[4:5], v[28:29], v[20:21] neg_lo:[0,0,1] neg_hi:[0,0,1]
	v_pk_fma_f32 v[4:5], v[4:5], v[28:29], v[20:21] op_sel_hi:[1,0,1]
	v_pk_add_f32 v[2:3], v[2:3], v[48:49]
	v_mov_b32_e32 v4, v31
	v_mov_b32_e32 v23, v5
	v_pk_mul_f32 v[4:5], v[6:7], v[4:5] op_sel:[1,0] op_sel_hi:[0,0]
	v_pk_fma_f32 v[20:21], v[6:7], v[30:31], v[4:5] neg_lo:[0,0,1] neg_hi:[0,0,1]
	v_pk_fma_f32 v[4:5], v[6:7], v[30:31], v[4:5] op_sel_hi:[1,0,1]
	v_pk_add_f32 v[2:3], v[2:3], v[22:23]
	v_mov_b32_e32 v21, v5
	s_waitcnt vmcnt(2) lgkmcnt(2)
	v_pk_mul_f32 v[4:5], v[8:9], v[32:33] op_sel:[1,1] op_sel_hi:[0,1]
	v_pk_fma_f32 v[6:7], v[8:9], v[32:33], v[4:5] neg_lo:[0,0,1] neg_hi:[0,0,1]
	v_pk_fma_f32 v[4:5], v[8:9], v[32:33], v[4:5] op_sel_hi:[1,0,1]
	v_pk_add_f32 v[2:3], v[2:3], v[20:21]
	v_mov_b32_e32 v4, v35
	v_mov_b32_e32 v7, v5
	v_pk_mul_f32 v[4:5], v[10:11], v[4:5] op_sel:[1,0] op_sel_hi:[0,0]
	v_pk_add_f32 v[2:3], v[2:3], v[6:7]
	v_pk_fma_f32 v[6:7], v[10:11], v[34:35], v[4:5] neg_lo:[0,0,1] neg_hi:[0,0,1]
	v_pk_fma_f32 v[4:5], v[10:11], v[34:35], v[4:5] op_sel_hi:[1,0,1]
	s_nop 0
	v_mov_b32_e32 v7, v5
	s_waitcnt vmcnt(1) lgkmcnt(1)
	v_pk_mul_f32 v[4:5], v[12:13], v[36:37] op_sel:[1,1] op_sel_hi:[0,1]
	v_pk_add_f32 v[2:3], v[2:3], v[6:7]
	v_pk_fma_f32 v[6:7], v[12:13], v[36:37], v[4:5] neg_lo:[0,0,1] neg_hi:[0,0,1]
	v_pk_fma_f32 v[4:5], v[12:13], v[36:37], v[4:5] op_sel_hi:[1,0,1]
	s_nop 0
	v_mov_b32_e32 v4, v39
	v_mov_b32_e32 v7, v5
	v_pk_mul_f32 v[4:5], v[14:15], v[4:5] op_sel:[1,0] op_sel_hi:[0,0]
	v_pk_add_f32 v[2:3], v[2:3], v[6:7]
	v_pk_fma_f32 v[6:7], v[14:15], v[38:39], v[4:5] neg_lo:[0,0,1] neg_hi:[0,0,1]
	v_pk_fma_f32 v[4:5], v[14:15], v[38:39], v[4:5] op_sel_hi:[1,0,1]
	s_nop 0
	v_mov_b32_e32 v7, v5
	s_waitcnt vmcnt(0) lgkmcnt(0)
	v_pk_mul_f32 v[4:5], v[16:17], v[40:41] op_sel:[1,1] op_sel_hi:[0,1]
	v_pk_add_f32 v[2:3], v[2:3], v[6:7]
	v_pk_fma_f32 v[6:7], v[16:17], v[40:41], v[4:5] neg_lo:[0,0,1] neg_hi:[0,0,1]
	v_pk_fma_f32 v[4:5], v[16:17], v[40:41], v[4:5] op_sel_hi:[1,0,1]
	s_nop 0
	v_mov_b32_e32 v4, v43
	v_mov_b32_e32 v7, v5
	v_pk_mul_f32 v[4:5], v[18:19], v[4:5] op_sel:[1,0] op_sel_hi:[0,0]
	v_pk_add_f32 v[2:3], v[2:3], v[6:7]
	v_pk_fma_f32 v[6:7], v[18:19], v[42:43], v[4:5] neg_lo:[0,0,1] neg_hi:[0,0,1]
	v_pk_fma_f32 v[4:5], v[18:19], v[42:43], v[4:5] op_sel_hi:[1,0,1]
	s_nop 0
	v_mov_b32_e32 v7, v5
	scratch_load_dwordx2 v[4:5], off, off offset:128
	v_pk_add_f32 v[2:3], v[2:3], v[6:7]
	s_waitcnt vmcnt(0)
	v_pk_add_f32 v[2:3], v[4:5], v[2:3] neg_lo:[0,1] neg_hi:[0,1]
	scratch_store_dwordx2 off, v[2:3], off offset:128
	s_and_saveexec_b64 s[0:1], vcc
	s_cbranch_execz .LBB94_169
; %bb.168:
	scratch_load_dwordx2 v[2:3], off, off offset:120
	v_mov_b32_e32 v4, 0
	v_mov_b32_e32 v5, v4
	scratch_store_dwordx2 off, v[4:5], off offset:120
	s_waitcnt vmcnt(1)
	ds_write_b64 v1, v[2:3]
.LBB94_169:
	s_or_b64 exec, exec, s[0:1]
	v_mov_b32_e32 v2, 0
	s_waitcnt lgkmcnt(0)
	; wave barrier
	ds_read_b128 v[4:7], v2 offset:384
	ds_read_b128 v[8:11], v2 offset:400
	;; [unrolled: 1-line block ×4, first 2 shown]
	scratch_load_dwordx4 v[20:23], off, off offset:128
	v_cmp_lt_u32_e32 vcc, 14, v0
	s_waitcnt vmcnt(0) lgkmcnt(3)
	v_mul_f32_e32 v3, v4, v21
	v_fmac_f32_e32 v3, v5, v20
	v_mul_f32_e32 v24, v6, v23
	v_add_f32_e32 v3, 0, v3
	v_fmac_f32_e32 v24, v7, v22
	v_add_f32_e32 v3, v3, v24
	scratch_load_dwordx4 v[24:27], off, off offset:144
	s_waitcnt vmcnt(0) lgkmcnt(2)
	v_mul_f32_e32 v28, v8, v25
	v_fmac_f32_e32 v28, v9, v24
	v_add_f32_e32 v3, v3, v28
	v_mul_f32_e32 v28, v10, v27
	v_fmac_f32_e32 v28, v11, v26
	v_add_f32_e32 v3, v3, v28
	scratch_load_dwordx4 v[28:31], off, off offset:160
	s_waitcnt vmcnt(0) lgkmcnt(1)
	v_mul_f32_e32 v32, v12, v29
	v_fmac_f32_e32 v32, v13, v28
	v_add_f32_e32 v49, v3, v32
	scratch_load_dwordx4 v[32:35], off, off offset:176
	scratch_load_dwordx4 v[36:39], off, off offset:192
	;; [unrolled: 1-line block ×4, first 2 shown]
	scratch_load_dwordx2 v[54:55], off, off offset:240
	v_mul_f32_e32 v3, v5, v21
	v_fma_f32 v3, v4, v20, -v3
	v_mul_f32_e32 v4, v7, v23
	v_add_f32_e32 v3, 0, v3
	v_fma_f32 v4, v6, v22, -v4
	v_add_f32_e32 v3, v3, v4
	v_mul_f32_e32 v4, v9, v25
	v_fma_f32 v4, v8, v24, -v4
	v_add_f32_e32 v3, v3, v4
	v_mul_f32_e32 v4, v11, v27
	;; [unrolled: 3-line block ×3, first 2 shown]
	v_fma_f32 v4, v12, v28, -v4
	v_mul_f32_e32 v51, v14, v31
	v_add_f32_e32 v48, v3, v4
	v_mul_f32_e32 v3, v15, v31
	v_fmac_f32_e32 v51, v15, v30
	v_fma_f32 v50, v14, v30, -v3
	v_pk_add_f32 v[20:21], v[48:49], v[50:51]
	s_waitcnt vmcnt(4)
	v_mov_b32_e32 v22, v35
	s_waitcnt lgkmcnt(0)
	v_mul_f32_e32 v53, v16, v33
	v_mul_f32_e32 v3, v17, v33
	v_pk_mul_f32 v[22:23], v[18:19], v[22:23] op_sel:[1,0] op_sel_hi:[0,0]
	v_fmac_f32_e32 v53, v17, v32
	v_fma_f32 v52, v16, v32, -v3
	ds_read_b128 v[4:7], v2 offset:448
	ds_read_b128 v[8:11], v2 offset:464
	;; [unrolled: 1-line block ×3, first 2 shown]
	ds_read_b64 v[16:17], v2 offset:496
	v_pk_fma_f32 v[24:25], v[18:19], v[34:35], v[22:23] neg_lo:[0,0,1] neg_hi:[0,0,1]
	v_pk_fma_f32 v[18:19], v[18:19], v[34:35], v[22:23] op_sel_hi:[1,0,1]
	v_pk_add_f32 v[20:21], v[20:21], v[52:53]
	v_mov_b32_e32 v25, v19
	v_pk_add_f32 v[18:19], v[20:21], v[24:25]
	s_waitcnt vmcnt(3) lgkmcnt(3)
	v_pk_mul_f32 v[20:21], v[4:5], v[36:37] op_sel:[1,1] op_sel_hi:[0,1]
	v_pk_fma_f32 v[22:23], v[4:5], v[36:37], v[20:21] neg_lo:[0,0,1] neg_hi:[0,0,1]
	v_pk_fma_f32 v[4:5], v[4:5], v[36:37], v[20:21] op_sel_hi:[1,0,1]
	s_nop 0
	v_mov_b32_e32 v23, v5
	v_pk_add_f32 v[4:5], v[18:19], v[22:23]
	v_mov_b32_e32 v18, v39
	v_pk_mul_f32 v[18:19], v[6:7], v[18:19] op_sel:[1,0] op_sel_hi:[0,0]
	v_pk_fma_f32 v[20:21], v[6:7], v[38:39], v[18:19] neg_lo:[0,0,1] neg_hi:[0,0,1]
	v_pk_fma_f32 v[6:7], v[6:7], v[38:39], v[18:19] op_sel_hi:[1,0,1]
	s_nop 0
	v_mov_b32_e32 v21, v7
	s_waitcnt vmcnt(2) lgkmcnt(2)
	v_pk_mul_f32 v[6:7], v[8:9], v[40:41] op_sel:[1,1] op_sel_hi:[0,1]
	v_pk_fma_f32 v[18:19], v[8:9], v[40:41], v[6:7] neg_lo:[0,0,1] neg_hi:[0,0,1]
	v_pk_fma_f32 v[6:7], v[8:9], v[40:41], v[6:7] op_sel_hi:[1,0,1]
	v_pk_add_f32 v[4:5], v[4:5], v[20:21]
	v_mov_b32_e32 v6, v43
	v_mov_b32_e32 v19, v7
	v_pk_mul_f32 v[6:7], v[10:11], v[6:7] op_sel:[1,0] op_sel_hi:[0,0]
	v_pk_fma_f32 v[8:9], v[10:11], v[42:43], v[6:7] neg_lo:[0,0,1] neg_hi:[0,0,1]
	v_pk_fma_f32 v[6:7], v[10:11], v[42:43], v[6:7] op_sel_hi:[1,0,1]
	v_pk_add_f32 v[4:5], v[4:5], v[18:19]
	v_mov_b32_e32 v9, v7
	s_waitcnt vmcnt(1) lgkmcnt(1)
	v_pk_mul_f32 v[6:7], v[12:13], v[44:45] op_sel:[1,1] op_sel_hi:[0,1]
	v_pk_add_f32 v[4:5], v[4:5], v[8:9]
	v_pk_fma_f32 v[8:9], v[12:13], v[44:45], v[6:7] neg_lo:[0,0,1] neg_hi:[0,0,1]
	v_pk_fma_f32 v[6:7], v[12:13], v[44:45], v[6:7] op_sel_hi:[1,0,1]
	s_nop 0
	v_mov_b32_e32 v6, v47
	v_mov_b32_e32 v9, v7
	v_pk_mul_f32 v[6:7], v[14:15], v[6:7] op_sel:[1,0] op_sel_hi:[0,0]
	v_pk_add_f32 v[4:5], v[4:5], v[8:9]
	v_pk_fma_f32 v[8:9], v[14:15], v[46:47], v[6:7] neg_lo:[0,0,1] neg_hi:[0,0,1]
	v_pk_fma_f32 v[6:7], v[14:15], v[46:47], v[6:7] op_sel_hi:[1,0,1]
	s_nop 0
	v_mov_b32_e32 v9, v7
	s_waitcnt vmcnt(0) lgkmcnt(0)
	v_pk_mul_f32 v[6:7], v[16:17], v[54:55] op_sel:[1,1] op_sel_hi:[0,1]
	v_pk_add_f32 v[4:5], v[4:5], v[8:9]
	v_pk_fma_f32 v[8:9], v[16:17], v[54:55], v[6:7] neg_lo:[0,0,1] neg_hi:[0,0,1]
	v_pk_fma_f32 v[6:7], v[16:17], v[54:55], v[6:7] op_sel_hi:[1,0,1]
	s_nop 0
	v_mov_b32_e32 v9, v7
	scratch_load_dwordx2 v[6:7], off, off offset:120
	v_pk_add_f32 v[4:5], v[4:5], v[8:9]
	s_waitcnt vmcnt(0)
	v_pk_add_f32 v[4:5], v[6:7], v[4:5] neg_lo:[0,1] neg_hi:[0,1]
	scratch_store_dwordx2 off, v[4:5], off offset:120
	s_and_saveexec_b64 s[0:1], vcc
	s_cbranch_execz .LBB94_171
; %bb.170:
	scratch_load_dwordx2 v[4:5], off, off offset:112
	v_mov_b32_e32 v3, v2
	scratch_store_dwordx2 off, v[2:3], off offset:112
	s_waitcnt vmcnt(1)
	ds_write_b64 v1, v[4:5]
.LBB94_171:
	s_or_b64 exec, exec, s[0:1]
	s_waitcnt lgkmcnt(0)
	; wave barrier
	scratch_load_dwordx4 v[8:11], off, off offset:120
	scratch_load_dwordx4 v[16:19], off, off offset:136
	;; [unrolled: 1-line block ×4, first 2 shown]
	ds_read2_b64 v[4:7], v2 offset0:47 offset1:48
	v_cmp_lt_u32_e32 vcc, 13, v0
	s_waitcnt vmcnt(3) lgkmcnt(0)
	v_mul_f32_e32 v3, v4, v9
	v_fmac_f32_e32 v3, v5, v8
	v_mul_f32_e32 v12, v6, v11
	v_add_f32_e32 v3, 0, v3
	v_fmac_f32_e32 v12, v7, v10
	v_add_f32_e32 v3, v3, v12
	ds_read2_b64 v[12:15], v2 offset0:49 offset1:50
	s_waitcnt vmcnt(2) lgkmcnt(0)
	v_mul_f32_e32 v20, v12, v17
	v_fmac_f32_e32 v20, v13, v16
	v_add_f32_e32 v3, v3, v20
	v_mul_f32_e32 v20, v14, v19
	v_fmac_f32_e32 v20, v15, v18
	v_add_f32_e32 v3, v3, v20
	ds_read2_b64 v[20:23], v2 offset0:51 offset1:52
	s_waitcnt vmcnt(1) lgkmcnt(0)
	v_mul_f32_e32 v28, v20, v25
	v_fmac_f32_e32 v28, v21, v24
	v_add_f32_e32 v3, v3, v28
	v_mul_f32_e32 v28, v22, v27
	v_fmac_f32_e32 v28, v23, v26
	v_add_f32_e32 v53, v3, v28
	ds_read2_b64 v[28:31], v2 offset0:53 offset1:54
	scratch_load_dwordx4 v[36:39], off, off offset:184
	scratch_load_dwordx4 v[40:43], off, off offset:200
	;; [unrolled: 1-line block ×4, first 2 shown]
	v_mul_f32_e32 v3, v5, v9
	v_fma_f32 v3, v4, v8, -v3
	v_mul_f32_e32 v4, v7, v11
	v_add_f32_e32 v3, 0, v3
	v_fma_f32 v4, v6, v10, -v4
	v_add_f32_e32 v3, v3, v4
	v_mul_f32_e32 v4, v13, v17
	v_fma_f32 v4, v12, v16, -v4
	v_add_f32_e32 v3, v3, v4
	v_mul_f32_e32 v4, v15, v19
	;; [unrolled: 3-line block ×4, first 2 shown]
	v_fma_f32 v4, v22, v26, -v4
	v_add_f32_e32 v52, v3, v4
	ds_read2_b64 v[4:7], v2 offset0:55 offset1:56
	ds_read2_b64 v[8:11], v2 offset0:57 offset1:58
	;; [unrolled: 1-line block ×4, first 2 shown]
	s_waitcnt vmcnt(4) lgkmcnt(4)
	v_mul_f32_e32 v55, v28, v33
	v_mul_f32_e32 v3, v29, v33
	v_fmac_f32_e32 v55, v29, v32
	v_mul_f32_e32 v57, v30, v35
	v_fma_f32 v54, v28, v32, -v3
	v_mul_f32_e32 v3, v31, v35
	v_fmac_f32_e32 v57, v31, v34
	v_fma_f32 v56, v30, v34, -v3
	v_pk_add_f32 v[2:3], v[52:53], v[54:55]
	s_waitcnt vmcnt(3) lgkmcnt(3)
	v_pk_mul_f32 v[20:21], v[4:5], v[36:37] op_sel:[1,1] op_sel_hi:[0,1]
	v_pk_fma_f32 v[22:23], v[4:5], v[36:37], v[20:21] neg_lo:[0,0,1] neg_hi:[0,0,1]
	v_pk_fma_f32 v[4:5], v[4:5], v[36:37], v[20:21] op_sel_hi:[1,0,1]
	v_pk_add_f32 v[2:3], v[2:3], v[56:57]
	v_mov_b32_e32 v4, v39
	v_mov_b32_e32 v23, v5
	v_pk_mul_f32 v[4:5], v[6:7], v[4:5] op_sel:[1,0] op_sel_hi:[0,0]
	v_pk_fma_f32 v[20:21], v[6:7], v[38:39], v[4:5] neg_lo:[0,0,1] neg_hi:[0,0,1]
	v_pk_fma_f32 v[4:5], v[6:7], v[38:39], v[4:5] op_sel_hi:[1,0,1]
	v_pk_add_f32 v[2:3], v[2:3], v[22:23]
	v_mov_b32_e32 v21, v5
	s_waitcnt vmcnt(2) lgkmcnt(2)
	v_pk_mul_f32 v[4:5], v[8:9], v[40:41] op_sel:[1,1] op_sel_hi:[0,1]
	v_pk_fma_f32 v[6:7], v[8:9], v[40:41], v[4:5] neg_lo:[0,0,1] neg_hi:[0,0,1]
	v_pk_fma_f32 v[4:5], v[8:9], v[40:41], v[4:5] op_sel_hi:[1,0,1]
	v_pk_add_f32 v[2:3], v[2:3], v[20:21]
	v_mov_b32_e32 v4, v43
	v_mov_b32_e32 v7, v5
	v_pk_mul_f32 v[4:5], v[10:11], v[4:5] op_sel:[1,0] op_sel_hi:[0,0]
	v_pk_add_f32 v[2:3], v[2:3], v[6:7]
	v_pk_fma_f32 v[6:7], v[10:11], v[42:43], v[4:5] neg_lo:[0,0,1] neg_hi:[0,0,1]
	v_pk_fma_f32 v[4:5], v[10:11], v[42:43], v[4:5] op_sel_hi:[1,0,1]
	s_nop 0
	v_mov_b32_e32 v7, v5
	s_waitcnt vmcnt(1) lgkmcnt(1)
	v_pk_mul_f32 v[4:5], v[12:13], v[44:45] op_sel:[1,1] op_sel_hi:[0,1]
	v_pk_add_f32 v[2:3], v[2:3], v[6:7]
	v_pk_fma_f32 v[6:7], v[12:13], v[44:45], v[4:5] neg_lo:[0,0,1] neg_hi:[0,0,1]
	v_pk_fma_f32 v[4:5], v[12:13], v[44:45], v[4:5] op_sel_hi:[1,0,1]
	s_nop 0
	v_mov_b32_e32 v4, v47
	v_mov_b32_e32 v7, v5
	v_pk_mul_f32 v[4:5], v[14:15], v[4:5] op_sel:[1,0] op_sel_hi:[0,0]
	v_pk_add_f32 v[2:3], v[2:3], v[6:7]
	v_pk_fma_f32 v[6:7], v[14:15], v[46:47], v[4:5] neg_lo:[0,0,1] neg_hi:[0,0,1]
	v_pk_fma_f32 v[4:5], v[14:15], v[46:47], v[4:5] op_sel_hi:[1,0,1]
	s_nop 0
	v_mov_b32_e32 v7, v5
	s_waitcnt vmcnt(0) lgkmcnt(0)
	v_pk_mul_f32 v[4:5], v[16:17], v[48:49] op_sel:[1,1] op_sel_hi:[0,1]
	v_pk_add_f32 v[2:3], v[2:3], v[6:7]
	v_pk_fma_f32 v[6:7], v[16:17], v[48:49], v[4:5] neg_lo:[0,0,1] neg_hi:[0,0,1]
	v_pk_fma_f32 v[4:5], v[16:17], v[48:49], v[4:5] op_sel_hi:[1,0,1]
	s_nop 0
	v_mov_b32_e32 v4, v51
	v_mov_b32_e32 v7, v5
	v_pk_mul_f32 v[4:5], v[18:19], v[4:5] op_sel:[1,0] op_sel_hi:[0,0]
	v_pk_add_f32 v[2:3], v[2:3], v[6:7]
	v_pk_fma_f32 v[6:7], v[18:19], v[50:51], v[4:5] neg_lo:[0,0,1] neg_hi:[0,0,1]
	v_pk_fma_f32 v[4:5], v[18:19], v[50:51], v[4:5] op_sel_hi:[1,0,1]
	s_nop 0
	v_mov_b32_e32 v7, v5
	scratch_load_dwordx2 v[4:5], off, off offset:112
	v_pk_add_f32 v[2:3], v[2:3], v[6:7]
	s_waitcnt vmcnt(0)
	v_pk_add_f32 v[2:3], v[4:5], v[2:3] neg_lo:[0,1] neg_hi:[0,1]
	scratch_store_dwordx2 off, v[2:3], off offset:112
	s_and_saveexec_b64 s[0:1], vcc
	s_cbranch_execz .LBB94_173
; %bb.172:
	scratch_load_dwordx2 v[2:3], off, off offset:104
	v_mov_b32_e32 v4, 0
	v_mov_b32_e32 v5, v4
	scratch_store_dwordx2 off, v[4:5], off offset:104
	s_waitcnt vmcnt(1)
	ds_write_b64 v1, v[2:3]
.LBB94_173:
	s_or_b64 exec, exec, s[0:1]
	v_mov_b32_e32 v2, 0
	s_waitcnt lgkmcnt(0)
	; wave barrier
	ds_read_b128 v[4:7], v2 offset:368
	ds_read_b128 v[8:11], v2 offset:384
	;; [unrolled: 1-line block ×4, first 2 shown]
	scratch_load_dwordx4 v[20:23], off, off offset:112
	scratch_load_dwordx4 v[40:43], off, off offset:176
	v_cmp_lt_u32_e32 vcc, 12, v0
	s_waitcnt vmcnt(1) lgkmcnt(3)
	v_mul_f32_e32 v3, v4, v21
	v_fmac_f32_e32 v3, v5, v20
	v_mul_f32_e32 v24, v6, v23
	v_add_f32_e32 v3, 0, v3
	v_fmac_f32_e32 v24, v7, v22
	v_add_f32_e32 v3, v3, v24
	scratch_load_dwordx4 v[24:27], off, off offset:128
	s_waitcnt vmcnt(0) lgkmcnt(2)
	v_mul_f32_e32 v28, v8, v25
	v_fmac_f32_e32 v28, v9, v24
	v_add_f32_e32 v3, v3, v28
	v_mul_f32_e32 v28, v10, v27
	v_fmac_f32_e32 v28, v11, v26
	v_add_f32_e32 v3, v3, v28
	scratch_load_dwordx4 v[28:31], off, off offset:144
	s_waitcnt vmcnt(0) lgkmcnt(1)
	v_mul_f32_e32 v32, v12, v29
	v_fmac_f32_e32 v32, v13, v28
	v_add_f32_e32 v3, v3, v32
	v_mul_f32_e32 v32, v14, v31
	v_fmac_f32_e32 v32, v15, v30
	v_add_f32_e32 v3, v3, v32
	scratch_load_dwordx4 v[32:35], off, off offset:160
	s_waitcnt vmcnt(0) lgkmcnt(0)
	v_mul_f32_e32 v36, v16, v33
	v_fmac_f32_e32 v36, v17, v32
	v_add_f32_e32 v57, v3, v36
	ds_read_b128 v[36:39], v2 offset:432
	scratch_load_dwordx4 v[44:47], off, off offset:192
	scratch_load_dwordx4 v[48:51], off, off offset:208
	;; [unrolled: 1-line block ×3, first 2 shown]
	scratch_load_dwordx2 v[62:63], off, off offset:240
	v_mul_f32_e32 v3, v5, v21
	v_fma_f32 v3, v4, v20, -v3
	v_mul_f32_e32 v4, v7, v23
	v_add_f32_e32 v3, 0, v3
	v_fma_f32 v4, v6, v22, -v4
	v_add_f32_e32 v3, v3, v4
	v_mul_f32_e32 v4, v9, v25
	v_fma_f32 v4, v8, v24, -v4
	v_add_f32_e32 v3, v3, v4
	v_mul_f32_e32 v4, v11, v27
	;; [unrolled: 3-line block ×5, first 2 shown]
	v_fma_f32 v4, v16, v32, -v4
	v_mul_f32_e32 v59, v18, v35
	v_add_f32_e32 v56, v3, v4
	v_mul_f32_e32 v3, v19, v35
	v_mov_b32_e32 v20, v43
	v_fmac_f32_e32 v59, v19, v34
	s_waitcnt lgkmcnt(0)
	v_mul_f32_e32 v61, v36, v41
	v_fma_f32 v58, v18, v34, -v3
	v_mul_f32_e32 v3, v37, v41
	ds_read_b128 v[4:7], v2 offset:448
	ds_read_b128 v[8:11], v2 offset:464
	;; [unrolled: 1-line block ×3, first 2 shown]
	ds_read_b64 v[16:17], v2 offset:496
	v_pk_mul_f32 v[20:21], v[38:39], v[20:21] op_sel:[1,0] op_sel_hi:[0,0]
	v_fmac_f32_e32 v61, v37, v40
	v_fma_f32 v60, v36, v40, -v3
	v_pk_add_f32 v[18:19], v[56:57], v[58:59]
	v_pk_fma_f32 v[22:23], v[38:39], v[42:43], v[20:21] neg_lo:[0,0,1] neg_hi:[0,0,1]
	v_pk_fma_f32 v[20:21], v[38:39], v[42:43], v[20:21] op_sel_hi:[1,0,1]
	v_pk_add_f32 v[18:19], v[18:19], v[60:61]
	v_mov_b32_e32 v23, v21
	v_pk_add_f32 v[18:19], v[18:19], v[22:23]
	s_waitcnt vmcnt(3) lgkmcnt(3)
	v_pk_mul_f32 v[20:21], v[4:5], v[44:45] op_sel:[1,1] op_sel_hi:[0,1]
	v_pk_fma_f32 v[22:23], v[4:5], v[44:45], v[20:21] neg_lo:[0,0,1] neg_hi:[0,0,1]
	v_pk_fma_f32 v[4:5], v[4:5], v[44:45], v[20:21] op_sel_hi:[1,0,1]
	s_nop 0
	v_mov_b32_e32 v23, v5
	v_pk_add_f32 v[4:5], v[18:19], v[22:23]
	v_mov_b32_e32 v18, v47
	v_pk_mul_f32 v[18:19], v[6:7], v[18:19] op_sel:[1,0] op_sel_hi:[0,0]
	v_pk_fma_f32 v[20:21], v[6:7], v[46:47], v[18:19] neg_lo:[0,0,1] neg_hi:[0,0,1]
	v_pk_fma_f32 v[6:7], v[6:7], v[46:47], v[18:19] op_sel_hi:[1,0,1]
	s_nop 0
	v_mov_b32_e32 v21, v7
	s_waitcnt vmcnt(2) lgkmcnt(2)
	v_pk_mul_f32 v[6:7], v[8:9], v[48:49] op_sel:[1,1] op_sel_hi:[0,1]
	v_pk_fma_f32 v[18:19], v[8:9], v[48:49], v[6:7] neg_lo:[0,0,1] neg_hi:[0,0,1]
	v_pk_fma_f32 v[6:7], v[8:9], v[48:49], v[6:7] op_sel_hi:[1,0,1]
	v_pk_add_f32 v[4:5], v[4:5], v[20:21]
	v_mov_b32_e32 v6, v51
	v_mov_b32_e32 v19, v7
	v_pk_mul_f32 v[6:7], v[10:11], v[6:7] op_sel:[1,0] op_sel_hi:[0,0]
	v_pk_fma_f32 v[8:9], v[10:11], v[50:51], v[6:7] neg_lo:[0,0,1] neg_hi:[0,0,1]
	v_pk_fma_f32 v[6:7], v[10:11], v[50:51], v[6:7] op_sel_hi:[1,0,1]
	v_pk_add_f32 v[4:5], v[4:5], v[18:19]
	v_mov_b32_e32 v9, v7
	s_waitcnt vmcnt(1) lgkmcnt(1)
	v_pk_mul_f32 v[6:7], v[12:13], v[52:53] op_sel:[1,1] op_sel_hi:[0,1]
	v_pk_add_f32 v[4:5], v[4:5], v[8:9]
	v_pk_fma_f32 v[8:9], v[12:13], v[52:53], v[6:7] neg_lo:[0,0,1] neg_hi:[0,0,1]
	v_pk_fma_f32 v[6:7], v[12:13], v[52:53], v[6:7] op_sel_hi:[1,0,1]
	s_nop 0
	v_mov_b32_e32 v6, v55
	v_mov_b32_e32 v9, v7
	v_pk_mul_f32 v[6:7], v[14:15], v[6:7] op_sel:[1,0] op_sel_hi:[0,0]
	v_pk_add_f32 v[4:5], v[4:5], v[8:9]
	v_pk_fma_f32 v[8:9], v[14:15], v[54:55], v[6:7] neg_lo:[0,0,1] neg_hi:[0,0,1]
	v_pk_fma_f32 v[6:7], v[14:15], v[54:55], v[6:7] op_sel_hi:[1,0,1]
	s_nop 0
	v_mov_b32_e32 v9, v7
	s_waitcnt vmcnt(0) lgkmcnt(0)
	v_pk_mul_f32 v[6:7], v[16:17], v[62:63] op_sel:[1,1] op_sel_hi:[0,1]
	v_pk_add_f32 v[4:5], v[4:5], v[8:9]
	v_pk_fma_f32 v[8:9], v[16:17], v[62:63], v[6:7] neg_lo:[0,0,1] neg_hi:[0,0,1]
	v_pk_fma_f32 v[6:7], v[16:17], v[62:63], v[6:7] op_sel_hi:[1,0,1]
	s_nop 0
	v_mov_b32_e32 v9, v7
	scratch_load_dwordx2 v[6:7], off, off offset:104
	v_pk_add_f32 v[4:5], v[4:5], v[8:9]
	s_waitcnt vmcnt(0)
	v_pk_add_f32 v[4:5], v[6:7], v[4:5] neg_lo:[0,1] neg_hi:[0,1]
	scratch_store_dwordx2 off, v[4:5], off offset:104
	s_and_saveexec_b64 s[0:1], vcc
	s_cbranch_execz .LBB94_175
; %bb.174:
	scratch_load_dwordx2 v[4:5], off, off offset:96
	v_mov_b32_e32 v3, v2
	scratch_store_dwordx2 off, v[2:3], off offset:96
	s_waitcnt vmcnt(1)
	ds_write_b64 v1, v[4:5]
.LBB94_175:
	s_or_b64 exec, exec, s[0:1]
	s_waitcnt lgkmcnt(0)
	; wave barrier
	scratch_load_dwordx4 v[8:11], off, off offset:104
	scratch_load_dwordx4 v[16:19], off, off offset:120
	;; [unrolled: 1-line block ×4, first 2 shown]
	ds_read2_b64 v[4:7], v2 offset0:45 offset1:46
	scratch_load_dwordx4 v[40:43], off, off offset:168
	v_cmp_lt_u32_e32 vcc, 11, v0
	s_waitcnt vmcnt(4) lgkmcnt(0)
	v_mul_f32_e32 v3, v4, v9
	v_fmac_f32_e32 v3, v5, v8
	v_mul_f32_e32 v12, v6, v11
	v_add_f32_e32 v3, 0, v3
	v_fmac_f32_e32 v12, v7, v10
	v_add_f32_e32 v3, v3, v12
	ds_read2_b64 v[12:15], v2 offset0:47 offset1:48
	s_waitcnt vmcnt(3) lgkmcnt(0)
	v_mul_f32_e32 v20, v12, v17
	v_fmac_f32_e32 v20, v13, v16
	v_add_f32_e32 v3, v3, v20
	v_mul_f32_e32 v20, v14, v19
	v_fmac_f32_e32 v20, v15, v18
	v_add_f32_e32 v3, v3, v20
	ds_read2_b64 v[20:23], v2 offset0:49 offset1:50
	s_waitcnt vmcnt(2) lgkmcnt(0)
	v_mul_f32_e32 v28, v20, v25
	v_fmac_f32_e32 v28, v21, v24
	v_add_f32_e32 v3, v3, v28
	v_mul_f32_e32 v28, v22, v27
	;; [unrolled: 8-line block ×3, first 2 shown]
	v_fmac_f32_e32 v36, v31, v34
	v_add_f32_e32 v61, v3, v36
	ds_read2_b64 v[36:39], v2 offset0:53 offset1:54
	scratch_load_dwordx4 v[44:47], off, off offset:184
	scratch_load_dwordx4 v[48:51], off, off offset:200
	;; [unrolled: 1-line block ×4, first 2 shown]
	v_mul_f32_e32 v3, v5, v9
	v_fma_f32 v3, v4, v8, -v3
	v_mul_f32_e32 v4, v7, v11
	v_add_f32_e32 v3, 0, v3
	v_fma_f32 v4, v6, v10, -v4
	v_add_f32_e32 v3, v3, v4
	v_mul_f32_e32 v4, v13, v17
	v_fma_f32 v4, v12, v16, -v4
	v_add_f32_e32 v3, v3, v4
	v_mul_f32_e32 v4, v15, v19
	;; [unrolled: 3-line block ×6, first 2 shown]
	v_fma_f32 v4, v30, v34, -v4
	v_add_f32_e32 v60, v3, v4
	ds_read2_b64 v[4:7], v2 offset0:55 offset1:56
	ds_read2_b64 v[8:11], v2 offset0:57 offset1:58
	;; [unrolled: 1-line block ×4, first 2 shown]
	s_waitcnt vmcnt(4) lgkmcnt(4)
	v_mul_f32_e32 v63, v36, v41
	v_mul_f32_e32 v3, v37, v41
	v_fmac_f32_e32 v63, v37, v40
	v_mul_f32_e32 v65, v38, v43
	v_fma_f32 v62, v36, v40, -v3
	v_mul_f32_e32 v3, v39, v43
	v_fmac_f32_e32 v65, v39, v42
	v_fma_f32 v64, v38, v42, -v3
	v_pk_add_f32 v[2:3], v[60:61], v[62:63]
	s_waitcnt vmcnt(3) lgkmcnt(3)
	v_pk_mul_f32 v[20:21], v[4:5], v[44:45] op_sel:[1,1] op_sel_hi:[0,1]
	v_pk_fma_f32 v[22:23], v[4:5], v[44:45], v[20:21] neg_lo:[0,0,1] neg_hi:[0,0,1]
	v_pk_fma_f32 v[4:5], v[4:5], v[44:45], v[20:21] op_sel_hi:[1,0,1]
	v_pk_add_f32 v[2:3], v[2:3], v[64:65]
	v_mov_b32_e32 v4, v47
	v_mov_b32_e32 v23, v5
	v_pk_mul_f32 v[4:5], v[6:7], v[4:5] op_sel:[1,0] op_sel_hi:[0,0]
	v_pk_fma_f32 v[20:21], v[6:7], v[46:47], v[4:5] neg_lo:[0,0,1] neg_hi:[0,0,1]
	v_pk_fma_f32 v[4:5], v[6:7], v[46:47], v[4:5] op_sel_hi:[1,0,1]
	v_pk_add_f32 v[2:3], v[2:3], v[22:23]
	v_mov_b32_e32 v21, v5
	s_waitcnt vmcnt(2) lgkmcnt(2)
	v_pk_mul_f32 v[4:5], v[8:9], v[48:49] op_sel:[1,1] op_sel_hi:[0,1]
	v_pk_fma_f32 v[6:7], v[8:9], v[48:49], v[4:5] neg_lo:[0,0,1] neg_hi:[0,0,1]
	v_pk_fma_f32 v[4:5], v[8:9], v[48:49], v[4:5] op_sel_hi:[1,0,1]
	v_pk_add_f32 v[2:3], v[2:3], v[20:21]
	v_mov_b32_e32 v4, v51
	v_mov_b32_e32 v7, v5
	v_pk_mul_f32 v[4:5], v[10:11], v[4:5] op_sel:[1,0] op_sel_hi:[0,0]
	v_pk_add_f32 v[2:3], v[2:3], v[6:7]
	v_pk_fma_f32 v[6:7], v[10:11], v[50:51], v[4:5] neg_lo:[0,0,1] neg_hi:[0,0,1]
	v_pk_fma_f32 v[4:5], v[10:11], v[50:51], v[4:5] op_sel_hi:[1,0,1]
	s_nop 0
	v_mov_b32_e32 v7, v5
	s_waitcnt vmcnt(1) lgkmcnt(1)
	v_pk_mul_f32 v[4:5], v[12:13], v[52:53] op_sel:[1,1] op_sel_hi:[0,1]
	v_pk_add_f32 v[2:3], v[2:3], v[6:7]
	v_pk_fma_f32 v[6:7], v[12:13], v[52:53], v[4:5] neg_lo:[0,0,1] neg_hi:[0,0,1]
	v_pk_fma_f32 v[4:5], v[12:13], v[52:53], v[4:5] op_sel_hi:[1,0,1]
	s_nop 0
	v_mov_b32_e32 v4, v55
	v_mov_b32_e32 v7, v5
	v_pk_mul_f32 v[4:5], v[14:15], v[4:5] op_sel:[1,0] op_sel_hi:[0,0]
	v_pk_add_f32 v[2:3], v[2:3], v[6:7]
	v_pk_fma_f32 v[6:7], v[14:15], v[54:55], v[4:5] neg_lo:[0,0,1] neg_hi:[0,0,1]
	v_pk_fma_f32 v[4:5], v[14:15], v[54:55], v[4:5] op_sel_hi:[1,0,1]
	s_nop 0
	v_mov_b32_e32 v7, v5
	s_waitcnt vmcnt(0) lgkmcnt(0)
	v_pk_mul_f32 v[4:5], v[16:17], v[56:57] op_sel:[1,1] op_sel_hi:[0,1]
	v_pk_add_f32 v[2:3], v[2:3], v[6:7]
	v_pk_fma_f32 v[6:7], v[16:17], v[56:57], v[4:5] neg_lo:[0,0,1] neg_hi:[0,0,1]
	v_pk_fma_f32 v[4:5], v[16:17], v[56:57], v[4:5] op_sel_hi:[1,0,1]
	s_nop 0
	v_mov_b32_e32 v4, v59
	v_mov_b32_e32 v7, v5
	v_pk_mul_f32 v[4:5], v[18:19], v[4:5] op_sel:[1,0] op_sel_hi:[0,0]
	v_pk_add_f32 v[2:3], v[2:3], v[6:7]
	v_pk_fma_f32 v[6:7], v[18:19], v[58:59], v[4:5] neg_lo:[0,0,1] neg_hi:[0,0,1]
	v_pk_fma_f32 v[4:5], v[18:19], v[58:59], v[4:5] op_sel_hi:[1,0,1]
	s_nop 0
	v_mov_b32_e32 v7, v5
	scratch_load_dwordx2 v[4:5], off, off offset:96
	v_pk_add_f32 v[2:3], v[2:3], v[6:7]
	s_waitcnt vmcnt(0)
	v_pk_add_f32 v[2:3], v[4:5], v[2:3] neg_lo:[0,1] neg_hi:[0,1]
	scratch_store_dwordx2 off, v[2:3], off offset:96
	s_and_saveexec_b64 s[0:1], vcc
	s_cbranch_execz .LBB94_177
; %bb.176:
	scratch_load_dwordx2 v[2:3], off, off offset:88
	v_mov_b32_e32 v4, 0
	v_mov_b32_e32 v5, v4
	scratch_store_dwordx2 off, v[4:5], off offset:88
	s_waitcnt vmcnt(1)
	ds_write_b64 v1, v[2:3]
.LBB94_177:
	s_or_b64 exec, exec, s[0:1]
	s_waitcnt lgkmcnt(0)
	; wave barrier
	scratch_load_dwordx4 v[4:7], off, off offset:96
	scratch_load_dwordx4 v[8:11], off, off offset:112
	;; [unrolled: 1-line block ×9, first 2 shown]
	scratch_load_dwordx2 v[76:77], off, off offset:240
	scratch_load_dwordx2 v[78:79], off, off offset:88
	v_mov_b32_e32 v2, 0
	ds_read_b128 v[40:43], v2 offset:352
	ds_read_b128 v[44:47], v2 offset:368
	;; [unrolled: 1-line block ×9, first 2 shown]
	ds_read_b64 v[80:81], v2 offset:496
	v_cmp_lt_u32_e32 vcc, 10, v0
	s_waitcnt vmcnt(10) lgkmcnt(9)
	v_mul_f32_e32 v87, v42, v7
	v_mul_f32_e32 v3, v40, v5
	v_mul_f32_e32 v5, v41, v5
	v_fmac_f32_e32 v87, v43, v6
	s_waitcnt vmcnt(9) lgkmcnt(8)
	v_mul_f32_e32 v88, v44, v9
	s_waitcnt vmcnt(5)
	v_mov_b32_e32 v86, v27
	v_mul_f32_e32 v89, v46, v11
	s_waitcnt lgkmcnt(7)
	v_mul_f32_e32 v91, v50, v15
	v_mul_f32_e32 v7, v43, v7
	;; [unrolled: 1-line block ×5, first 2 shown]
	v_fmac_f32_e32 v3, v41, v4
	v_fma_f32 v40, v40, v4, -v5
	s_waitcnt lgkmcnt(4)
	v_pk_mul_f32 v[4:5], v[62:63], v[86:87] op_sel:[1,0] op_sel_hi:[0,0]
	v_fmac_f32_e32 v88, v45, v8
	v_fma_f32 v41, v42, v6, -v7
	v_fma_f32 v8, v44, v8, -v9
	;; [unrolled: 1-line block ×4, first 2 shown]
	v_add_f32_e32 v3, 0, v3
	v_add_f32_e32 v15, 0, v40
	v_pk_fma_f32 v[6:7], v[62:63], v[26:27], v[4:5] neg_lo:[0,0,1] neg_hi:[0,0,1]
	v_pk_fma_f32 v[4:5], v[62:63], v[26:27], v[4:5] op_sel_hi:[1,0,1]
	v_add_f32_e32 v3, v3, v87
	v_add_f32_e32 v4, v15, v41
	v_mul_f32_e32 v90, v48, v13
	v_mul_f32_e32 v13, v49, v13
	v_fmac_f32_e32 v89, v47, v10
	v_add_f32_e32 v3, v3, v88
	v_add_f32_e32 v4, v4, v8
	v_fmac_f32_e32 v90, v49, v12
	v_fma_f32 v10, v48, v12, -v13
	v_add_f32_e32 v3, v3, v89
	v_add_f32_e32 v4, v4, v9
	v_mul_f32_e32 v92, v52, v17
	v_mul_f32_e32 v17, v53, v17
	v_fmac_f32_e32 v91, v51, v14
	v_add_f32_e32 v3, v3, v90
	v_add_f32_e32 v4, v4, v10
	v_mul_f32_e32 v93, v54, v19
	v_mul_f32_e32 v19, v55, v19
	v_fmac_f32_e32 v92, v53, v16
	v_fma_f32 v12, v52, v16, -v17
	v_add_f32_e32 v3, v3, v91
	v_add_f32_e32 v4, v4, v11
	v_mul_f32_e32 v94, v56, v21
	v_mul_f32_e32 v21, v57, v21
	v_fmac_f32_e32 v93, v55, v18
	v_fma_f32 v13, v54, v18, -v19
	;; [unrolled: 6-line block ×4, first 2 shown]
	v_mov_b32_e32 v7, v5
	v_add_f32_e32 v5, v3, v94
	v_add_f32_e32 v4, v4, v14
	v_fmac_f32_e32 v85, v61, v24
	v_fma_f32 v84, v60, v24, -v25
	v_pk_add_f32 v[4:5], v[4:5], v[82:83]
	s_nop 0
	v_pk_add_f32 v[4:5], v[4:5], v[84:85]
	s_nop 0
	v_pk_add_f32 v[4:5], v[4:5], v[6:7]
	s_waitcnt vmcnt(4) lgkmcnt(3)
	v_pk_mul_f32 v[6:7], v[64:65], v[28:29] op_sel:[1,1] op_sel_hi:[0,1]
	v_pk_fma_f32 v[8:9], v[64:65], v[28:29], v[6:7] neg_lo:[0,0,1] neg_hi:[0,0,1]
	v_pk_fma_f32 v[6:7], v[64:65], v[28:29], v[6:7] op_sel_hi:[1,0,1]
	s_nop 0
	v_mov_b32_e32 v6, v31
	v_mov_b32_e32 v9, v7
	v_pk_mul_f32 v[6:7], v[66:67], v[6:7] op_sel:[1,0] op_sel_hi:[0,0]
	v_pk_add_f32 v[4:5], v[4:5], v[8:9]
	v_pk_fma_f32 v[8:9], v[66:67], v[30:31], v[6:7] neg_lo:[0,0,1] neg_hi:[0,0,1]
	v_pk_fma_f32 v[6:7], v[66:67], v[30:31], v[6:7] op_sel_hi:[1,0,1]
	s_nop 0
	v_mov_b32_e32 v9, v7
	s_waitcnt vmcnt(3) lgkmcnt(2)
	v_pk_mul_f32 v[6:7], v[68:69], v[32:33] op_sel:[1,1] op_sel_hi:[0,1]
	v_pk_add_f32 v[4:5], v[4:5], v[8:9]
	v_pk_fma_f32 v[8:9], v[68:69], v[32:33], v[6:7] neg_lo:[0,0,1] neg_hi:[0,0,1]
	v_pk_fma_f32 v[6:7], v[68:69], v[32:33], v[6:7] op_sel_hi:[1,0,1]
	s_nop 0
	v_mov_b32_e32 v6, v35
	v_mov_b32_e32 v9, v7
	v_pk_mul_f32 v[6:7], v[70:71], v[6:7] op_sel:[1,0] op_sel_hi:[0,0]
	v_pk_add_f32 v[4:5], v[4:5], v[8:9]
	v_pk_fma_f32 v[8:9], v[70:71], v[34:35], v[6:7] neg_lo:[0,0,1] neg_hi:[0,0,1]
	v_pk_fma_f32 v[6:7], v[70:71], v[34:35], v[6:7] op_sel_hi:[1,0,1]
	s_nop 0
	v_mov_b32_e32 v9, v7
	s_waitcnt vmcnt(2) lgkmcnt(1)
	v_pk_mul_f32 v[6:7], v[72:73], v[36:37] op_sel:[1,1] op_sel_hi:[0,1]
	v_pk_add_f32 v[4:5], v[4:5], v[8:9]
	;; [unrolled: 14-line block ×3, first 2 shown]
	v_pk_fma_f32 v[8:9], v[80:81], v[76:77], v[6:7] neg_lo:[0,0,1] neg_hi:[0,0,1]
	v_pk_fma_f32 v[6:7], v[80:81], v[76:77], v[6:7] op_sel_hi:[1,0,1]
	s_nop 0
	v_mov_b32_e32 v9, v7
	v_pk_add_f32 v[4:5], v[4:5], v[8:9]
	s_waitcnt vmcnt(0)
	v_pk_add_f32 v[4:5], v[78:79], v[4:5] neg_lo:[0,1] neg_hi:[0,1]
	scratch_store_dwordx2 off, v[4:5], off offset:88
	s_and_saveexec_b64 s[0:1], vcc
	s_cbranch_execz .LBB94_179
; %bb.178:
	scratch_load_dwordx2 v[4:5], off, off offset:80
	v_mov_b32_e32 v3, v2
	scratch_store_dwordx2 off, v[2:3], off offset:80
	s_waitcnt vmcnt(1)
	ds_write_b64 v1, v[4:5]
.LBB94_179:
	s_or_b64 exec, exec, s[0:1]
	s_waitcnt lgkmcnt(0)
	; wave barrier
	scratch_load_dwordx4 v[4:7], off, off offset:88
	scratch_load_dwordx4 v[8:11], off, off offset:104
	;; [unrolled: 1-line block ×7, first 2 shown]
	ds_read2_b64 v[32:35], v2 offset0:43 offset1:44
	ds_read2_b64 v[36:39], v2 offset0:45 offset1:46
	;; [unrolled: 1-line block ×6, first 2 shown]
	scratch_load_dwordx4 v[56:59], off, off offset:200
	scratch_load_dwordx4 v[60:63], off, off offset:216
	;; [unrolled: 1-line block ×3, first 2 shown]
	ds_read2_b64 v[68:71], v2 offset0:55 offset1:56
	ds_read2_b64 v[72:75], v2 offset0:57 offset1:58
	;; [unrolled: 1-line block ×4, first 2 shown]
	scratch_load_dwordx2 v[2:3], off, off offset:80
	v_cmp_lt_u32_e32 vcc, 9, v0
	s_waitcnt vmcnt(10) lgkmcnt(9)
	v_mul_f32_e32 v90, v32, v5
	v_mul_f32_e32 v5, v33, v5
	;; [unrolled: 1-line block ×3, first 2 shown]
	s_waitcnt vmcnt(9) lgkmcnt(8)
	v_mul_f32_e32 v92, v36, v9
	s_waitcnt vmcnt(8) lgkmcnt(7)
	v_mul_f32_e32 v95, v42, v15
	v_mul_f32_e32 v7, v35, v7
	;; [unrolled: 1-line block ×4, first 2 shown]
	v_fmac_f32_e32 v90, v33, v4
	v_fma_f32 v4, v32, v4, -v5
	v_fmac_f32_e32 v91, v35, v6
	v_fmac_f32_e32 v95, v43, v14
	v_fma_f32 v5, v34, v6, -v7
	v_fma_f32 v6, v36, v8, -v9
	;; [unrolled: 1-line block ×3, first 2 shown]
	v_add_f32_e32 v14, 0, v90
	v_add_f32_e32 v4, 0, v4
	v_mul_f32_e32 v93, v38, v11
	v_mul_f32_e32 v11, v39, v11
	v_fmac_f32_e32 v92, v37, v8
	v_add_f32_e32 v14, v14, v91
	v_add_f32_e32 v4, v4, v5
	v_mul_f32_e32 v94, v40, v13
	v_mul_f32_e32 v13, v41, v13
	v_fmac_f32_e32 v93, v39, v10
	v_fma_f32 v7, v38, v10, -v11
	v_add_f32_e32 v5, v14, v92
	v_add_f32_e32 v4, v4, v6
	v_fmac_f32_e32 v94, v41, v12
	v_fma_f32 v8, v40, v12, -v13
	v_add_f32_e32 v5, v5, v93
	v_add_f32_e32 v4, v4, v7
	s_waitcnt vmcnt(7) lgkmcnt(6)
	v_mul_f32_e32 v96, v44, v17
	v_mul_f32_e32 v17, v45, v17
	v_add_f32_e32 v5, v5, v94
	v_add_f32_e32 v4, v4, v8
	v_mul_f32_e32 v97, v46, v19
	v_mul_f32_e32 v19, v47, v19
	v_fmac_f32_e32 v96, v45, v16
	v_fma_f32 v10, v44, v16, -v17
	v_add_f32_e32 v5, v5, v95
	v_add_f32_e32 v4, v4, v9
	s_waitcnt vmcnt(6) lgkmcnt(5)
	v_mul_f32_e32 v98, v48, v21
	v_mul_f32_e32 v21, v49, v21
	v_fmac_f32_e32 v97, v47, v18
	v_fma_f32 v11, v46, v18, -v19
	v_add_f32_e32 v5, v5, v96
	v_add_f32_e32 v4, v4, v10
	v_mul_f32_e32 v99, v50, v23
	v_mul_f32_e32 v23, v51, v23
	v_fmac_f32_e32 v98, v49, v20
	v_fma_f32 v12, v48, v20, -v21
	v_add_f32_e32 v5, v5, v97
	v_add_f32_e32 v4, v4, v11
	s_waitcnt vmcnt(5) lgkmcnt(4)
	v_mul_f32_e32 v85, v52, v25
	v_mul_f32_e32 v25, v53, v25
	v_fmac_f32_e32 v99, v51, v22
	v_fma_f32 v13, v50, v22, -v23
	v_add_f32_e32 v5, v5, v98
	v_add_f32_e32 v4, v4, v12
	v_mul_f32_e32 v87, v54, v27
	v_mul_f32_e32 v27, v55, v27
	s_waitcnt vmcnt(4) lgkmcnt(3)
	v_pk_mul_f32 v[88:89], v[68:69], v[28:29] op_sel:[1,1] op_sel_hi:[0,1]
	v_fmac_f32_e32 v85, v53, v24
	v_fma_f32 v84, v52, v24, -v25
	v_add_f32_e32 v5, v5, v99
	v_add_f32_e32 v4, v4, v13
	v_fmac_f32_e32 v87, v55, v26
	v_fma_f32 v86, v54, v26, -v27
	v_pk_add_f32 v[4:5], v[4:5], v[84:85]
	v_pk_fma_f32 v[6:7], v[68:69], v[28:29], v[88:89] neg_lo:[0,0,1] neg_hi:[0,0,1]
	v_pk_fma_f32 v[8:9], v[68:69], v[28:29], v[88:89] op_sel_hi:[1,0,1]
	v_pk_add_f32 v[4:5], v[4:5], v[86:87]
	v_mov_b32_e32 v7, v9
	v_pk_add_f32 v[4:5], v[4:5], v[6:7]
	v_mov_b32_e32 v6, v31
	v_pk_mul_f32 v[6:7], v[70:71], v[6:7] op_sel:[1,0] op_sel_hi:[0,0]
	v_pk_fma_f32 v[8:9], v[70:71], v[30:31], v[6:7] neg_lo:[0,0,1] neg_hi:[0,0,1]
	v_pk_fma_f32 v[6:7], v[70:71], v[30:31], v[6:7] op_sel_hi:[1,0,1]
	s_nop 0
	v_mov_b32_e32 v9, v7
	s_waitcnt vmcnt(3) lgkmcnt(2)
	v_pk_mul_f32 v[6:7], v[72:73], v[56:57] op_sel:[1,1] op_sel_hi:[0,1]
	v_pk_add_f32 v[4:5], v[4:5], v[8:9]
	v_pk_fma_f32 v[8:9], v[72:73], v[56:57], v[6:7] neg_lo:[0,0,1] neg_hi:[0,0,1]
	v_pk_fma_f32 v[6:7], v[72:73], v[56:57], v[6:7] op_sel_hi:[1,0,1]
	s_nop 0
	v_mov_b32_e32 v6, v59
	v_mov_b32_e32 v9, v7
	v_pk_mul_f32 v[6:7], v[74:75], v[6:7] op_sel:[1,0] op_sel_hi:[0,0]
	v_pk_add_f32 v[4:5], v[4:5], v[8:9]
	v_pk_fma_f32 v[8:9], v[74:75], v[58:59], v[6:7] neg_lo:[0,0,1] neg_hi:[0,0,1]
	v_pk_fma_f32 v[6:7], v[74:75], v[58:59], v[6:7] op_sel_hi:[1,0,1]
	s_nop 0
	v_mov_b32_e32 v9, v7
	s_waitcnt vmcnt(2) lgkmcnt(1)
	v_pk_mul_f32 v[6:7], v[76:77], v[60:61] op_sel:[1,1] op_sel_hi:[0,1]
	v_pk_add_f32 v[4:5], v[4:5], v[8:9]
	v_pk_fma_f32 v[8:9], v[76:77], v[60:61], v[6:7] neg_lo:[0,0,1] neg_hi:[0,0,1]
	v_pk_fma_f32 v[6:7], v[76:77], v[60:61], v[6:7] op_sel_hi:[1,0,1]
	s_nop 0
	v_mov_b32_e32 v6, v63
	v_mov_b32_e32 v9, v7
	v_pk_mul_f32 v[6:7], v[78:79], v[6:7] op_sel:[1,0] op_sel_hi:[0,0]
	v_pk_add_f32 v[4:5], v[4:5], v[8:9]
	;; [unrolled: 14-line block ×3, first 2 shown]
	v_pk_fma_f32 v[8:9], v[82:83], v[66:67], v[6:7] neg_lo:[0,0,1] neg_hi:[0,0,1]
	v_pk_fma_f32 v[6:7], v[82:83], v[66:67], v[6:7] op_sel_hi:[1,0,1]
	s_nop 0
	v_mov_b32_e32 v9, v7
	v_pk_add_f32 v[4:5], v[4:5], v[8:9]
	s_waitcnt vmcnt(0)
	v_pk_add_f32 v[2:3], v[2:3], v[4:5] neg_lo:[0,1] neg_hi:[0,1]
	scratch_store_dwordx2 off, v[2:3], off offset:80
	s_and_saveexec_b64 s[0:1], vcc
	s_cbranch_execz .LBB94_181
; %bb.180:
	scratch_load_dwordx2 v[2:3], off, off offset:72
	v_mov_b32_e32 v4, 0
	v_mov_b32_e32 v5, v4
	scratch_store_dwordx2 off, v[4:5], off offset:72
	s_waitcnt vmcnt(1)
	ds_write_b64 v1, v[2:3]
.LBB94_181:
	s_or_b64 exec, exec, s[0:1]
	s_waitcnt lgkmcnt(0)
	; wave barrier
	scratch_load_dwordx4 v[2:5], off, off offset:80
	scratch_load_dwordx4 v[6:9], off, off offset:96
	;; [unrolled: 1-line block ×10, first 2 shown]
	scratch_load_dwordx2 v[76:77], off, off offset:240
	scratch_load_dwordx2 v[78:79], off, off offset:72
	v_mov_b32_e32 v10, 0
	ds_read_b128 v[44:47], v10 offset:336
	ds_read_b128 v[48:51], v10 offset:352
	;; [unrolled: 1-line block ×8, first 2 shown]
	v_cmp_lt_u32_e32 vcc, 8, v0
	s_waitcnt vmcnt(11) lgkmcnt(7)
	v_mul_f32_e32 v11, v44, v3
	v_mul_f32_e32 v3, v45, v3
	;; [unrolled: 1-line block ×4, first 2 shown]
	v_fmac_f32_e32 v11, v45, v2
	v_fma_f32 v2, v44, v2, -v3
	s_waitcnt vmcnt(10) lgkmcnt(6)
	v_mul_f32_e32 v82, v48, v7
	v_mul_f32_e32 v7, v49, v7
	v_fma_f32 v3, v46, v4, -v5
	v_add_f32_e32 v2, 0, v2
	v_mul_f32_e32 v84, v50, v9
	v_mul_f32_e32 v9, v51, v9
	v_fmac_f32_e32 v80, v47, v4
	v_fma_f32 v4, v48, v6, -v7
	v_add_f32_e32 v11, 0, v11
	v_add_f32_e32 v2, v2, v3
	s_waitcnt vmcnt(9) lgkmcnt(5)
	v_mul_f32_e32 v85, v52, v13
	v_mul_f32_e32 v13, v53, v13
	v_fmac_f32_e32 v82, v49, v6
	v_fma_f32 v5, v50, v8, -v9
	v_add_f32_e32 v11, v11, v80
	v_add_f32_e32 v2, v2, v4
	v_mul_f32_e32 v86, v54, v15
	v_mul_f32_e32 v15, v55, v15
	v_fmac_f32_e32 v84, v51, v8
	v_fma_f32 v6, v52, v12, -v13
	v_add_f32_e32 v3, v11, v82
	v_add_f32_e32 v2, v2, v5
	s_waitcnt vmcnt(8) lgkmcnt(4)
	v_mul_f32_e32 v87, v56, v17
	v_mul_f32_e32 v17, v57, v17
	v_fmac_f32_e32 v85, v53, v12
	v_fma_f32 v7, v54, v14, -v15
	v_add_f32_e32 v3, v3, v84
	;; [unrolled: 13-line block ×4, first 2 shown]
	v_add_f32_e32 v2, v2, v12
	v_fmac_f32_e32 v90, v63, v22
	v_fma_f32 v14, v64, v24, -v25
	v_add_f32_e32 v3, v3, v89
	v_add_f32_e32 v2, v2, v13
	v_mul_f32_e32 v81, v66, v27
	v_fmac_f32_e32 v91, v65, v24
	v_add_f32_e32 v3, v3, v90
	v_add_f32_e32 v12, v2, v14
	v_mul_f32_e32 v2, v67, v27
	s_waitcnt vmcnt(5)
	v_mov_b32_e32 v16, v31
	s_waitcnt lgkmcnt(1)
	v_mul_f32_e32 v83, v68, v29
	v_fmac_f32_e32 v81, v67, v26
	v_add_f32_e32 v13, v3, v91
	v_fma_f32 v80, v66, v26, -v2
	v_mul_f32_e32 v2, v69, v29
	v_pk_mul_f32 v[16:17], v[70:71], v[16:17] op_sel:[1,0] op_sel_hi:[0,0]
	v_fmac_f32_e32 v83, v69, v28
	v_fma_f32 v82, v68, v28, -v2
	v_pk_add_f32 v[12:13], v[12:13], v[80:81]
	v_pk_fma_f32 v[18:19], v[70:71], v[30:31], v[16:17] neg_lo:[0,0,1] neg_hi:[0,0,1]
	v_pk_fma_f32 v[16:17], v[70:71], v[30:31], v[16:17] op_sel_hi:[1,0,1]
	v_pk_add_f32 v[12:13], v[12:13], v[82:83]
	v_mov_b32_e32 v19, v17
	s_waitcnt vmcnt(4) lgkmcnt(0)
	v_pk_mul_f32 v[16:17], v[72:73], v[32:33] op_sel:[1,1] op_sel_hi:[0,1]
	v_pk_add_f32 v[12:13], v[12:13], v[18:19]
	v_pk_fma_f32 v[18:19], v[72:73], v[32:33], v[16:17] neg_lo:[0,0,1] neg_hi:[0,0,1]
	v_pk_fma_f32 v[16:17], v[72:73], v[32:33], v[16:17] op_sel_hi:[1,0,1]
	ds_read_b128 v[2:5], v10 offset:464
	ds_read_b128 v[6:9], v10 offset:480
	ds_read_b64 v[14:15], v10 offset:496
	v_mov_b32_e32 v16, v35
	v_mov_b32_e32 v19, v17
	v_pk_mul_f32 v[16:17], v[74:75], v[16:17] op_sel:[1,0] op_sel_hi:[0,0]
	v_pk_add_f32 v[12:13], v[12:13], v[18:19]
	v_pk_fma_f32 v[18:19], v[74:75], v[34:35], v[16:17] neg_lo:[0,0,1] neg_hi:[0,0,1]
	v_pk_fma_f32 v[16:17], v[74:75], v[34:35], v[16:17] op_sel_hi:[1,0,1]
	s_nop 0
	v_mov_b32_e32 v19, v17
	s_waitcnt vmcnt(3) lgkmcnt(2)
	v_pk_mul_f32 v[16:17], v[2:3], v[36:37] op_sel:[1,1] op_sel_hi:[0,1]
	v_pk_add_f32 v[12:13], v[12:13], v[18:19]
	v_pk_fma_f32 v[18:19], v[2:3], v[36:37], v[16:17] neg_lo:[0,0,1] neg_hi:[0,0,1]
	v_pk_fma_f32 v[2:3], v[2:3], v[36:37], v[16:17] op_sel_hi:[1,0,1]
	s_nop 0
	v_mov_b32_e32 v19, v3
	v_pk_add_f32 v[2:3], v[12:13], v[18:19]
	v_mov_b32_e32 v12, v39
	v_pk_mul_f32 v[12:13], v[4:5], v[12:13] op_sel:[1,0] op_sel_hi:[0,0]
	v_pk_fma_f32 v[16:17], v[4:5], v[38:39], v[12:13] neg_lo:[0,0,1] neg_hi:[0,0,1]
	v_pk_fma_f32 v[4:5], v[4:5], v[38:39], v[12:13] op_sel_hi:[1,0,1]
	s_nop 0
	v_mov_b32_e32 v17, v5
	s_waitcnt vmcnt(2) lgkmcnt(1)
	v_pk_mul_f32 v[4:5], v[6:7], v[40:41] op_sel:[1,1] op_sel_hi:[0,1]
	v_pk_fma_f32 v[12:13], v[6:7], v[40:41], v[4:5] neg_lo:[0,0,1] neg_hi:[0,0,1]
	v_pk_fma_f32 v[4:5], v[6:7], v[40:41], v[4:5] op_sel_hi:[1,0,1]
	v_pk_add_f32 v[2:3], v[2:3], v[16:17]
	v_mov_b32_e32 v4, v43
	v_mov_b32_e32 v13, v5
	v_pk_mul_f32 v[4:5], v[8:9], v[4:5] op_sel:[1,0] op_sel_hi:[0,0]
	v_pk_fma_f32 v[6:7], v[8:9], v[42:43], v[4:5] neg_lo:[0,0,1] neg_hi:[0,0,1]
	v_pk_fma_f32 v[4:5], v[8:9], v[42:43], v[4:5] op_sel_hi:[1,0,1]
	v_pk_add_f32 v[2:3], v[2:3], v[12:13]
	v_mov_b32_e32 v7, v5
	s_waitcnt vmcnt(1) lgkmcnt(0)
	v_pk_mul_f32 v[4:5], v[14:15], v[76:77] op_sel:[1,1] op_sel_hi:[0,1]
	v_pk_add_f32 v[2:3], v[2:3], v[6:7]
	v_pk_fma_f32 v[6:7], v[14:15], v[76:77], v[4:5] neg_lo:[0,0,1] neg_hi:[0,0,1]
	v_pk_fma_f32 v[4:5], v[14:15], v[76:77], v[4:5] op_sel_hi:[1,0,1]
	s_nop 0
	v_mov_b32_e32 v7, v5
	v_pk_add_f32 v[2:3], v[2:3], v[6:7]
	s_waitcnt vmcnt(0)
	v_pk_add_f32 v[2:3], v[78:79], v[2:3] neg_lo:[0,1] neg_hi:[0,1]
	scratch_store_dwordx2 off, v[2:3], off offset:72
	s_and_saveexec_b64 s[0:1], vcc
	s_cbranch_execz .LBB94_183
; %bb.182:
	scratch_load_dwordx2 v[2:3], off, off offset:64
	v_mov_b32_e32 v11, v10
	scratch_store_dwordx2 off, v[10:11], off offset:64
	s_waitcnt vmcnt(1)
	ds_write_b64 v1, v[2:3]
.LBB94_183:
	s_or_b64 exec, exec, s[0:1]
	s_waitcnt lgkmcnt(0)
	; wave barrier
	scratch_load_dwordx4 v[6:9], off, off offset:72
	scratch_load_dwordx4 v[12:15], off, off offset:88
	scratch_load_dwordx4 v[16:19], off, off offset:104
	scratch_load_dwordx4 v[20:23], off, off offset:120
	scratch_load_dwordx4 v[24:27], off, off offset:136
	scratch_load_dwordx4 v[28:31], off, off offset:152
	scratch_load_dwordx4 v[32:35], off, off offset:168
	ds_read2_b64 v[36:39], v10 offset0:41 offset1:42
	ds_read2_b64 v[40:43], v10 offset0:43 offset1:44
	;; [unrolled: 1-line block ×6, first 2 shown]
	scratch_load_dwordx4 v[60:63], off, off offset:184
	scratch_load_dwordx4 v[64:67], off, off offset:200
	;; [unrolled: 1-line block ×4, first 2 shown]
	ds_read2_b64 v[72:75], v10 offset0:53 offset1:54
	ds_read2_b64 v[76:79], v10 offset0:55 offset1:56
	scratch_load_dwordx2 v[80:81], off, off offset:64
	v_cmp_lt_u32_e32 vcc, 7, v0
	s_waitcnt vmcnt(11) lgkmcnt(7)
	v_mul_f32_e32 v11, v36, v7
	v_mul_f32_e32 v82, v38, v9
	;; [unrolled: 1-line block ×3, first 2 shown]
	v_fmac_f32_e32 v11, v37, v6
	s_waitcnt vmcnt(10) lgkmcnt(6)
	v_mul_f32_e32 v84, v40, v13
	v_mul_f32_e32 v9, v39, v9
	v_fmac_f32_e32 v82, v39, v8
	v_fma_f32 v6, v36, v6, -v7
	v_add_f32_e32 v11, 0, v11
	v_mul_f32_e32 v86, v42, v15
	v_fmac_f32_e32 v84, v41, v12
	v_fma_f32 v7, v38, v8, -v9
	v_add_f32_e32 v6, 0, v6
	v_add_f32_e32 v11, v11, v82
	s_waitcnt vmcnt(9) lgkmcnt(5)
	v_mul_f32_e32 v87, v44, v17
	v_mul_f32_e32 v13, v41, v13
	v_fmac_f32_e32 v86, v43, v14
	v_add_f32_e32 v6, v6, v7
	v_add_f32_e32 v7, v11, v84
	v_mul_f32_e32 v88, v46, v19
	v_mul_f32_e32 v15, v43, v15
	v_fmac_f32_e32 v87, v45, v16
	v_fma_f32 v8, v40, v12, -v13
	v_add_f32_e32 v7, v7, v86
	s_waitcnt vmcnt(8) lgkmcnt(4)
	v_mul_f32_e32 v89, v48, v21
	v_mul_f32_e32 v17, v45, v17
	v_fmac_f32_e32 v88, v47, v18
	v_fma_f32 v9, v42, v14, -v15
	v_add_f32_e32 v6, v6, v8
	v_add_f32_e32 v7, v7, v87
	v_mul_f32_e32 v90, v50, v23
	v_mul_f32_e32 v19, v47, v19
	v_fmac_f32_e32 v89, v49, v20
	v_fma_f32 v12, v44, v16, -v17
	v_add_f32_e32 v6, v6, v9
	v_add_f32_e32 v7, v7, v88
	s_waitcnt vmcnt(7) lgkmcnt(3)
	v_mul_f32_e32 v91, v52, v25
	v_mul_f32_e32 v21, v49, v21
	v_fmac_f32_e32 v90, v51, v22
	v_fma_f32 v13, v46, v18, -v19
	v_add_f32_e32 v6, v6, v12
	v_add_f32_e32 v7, v7, v89
	v_mul_f32_e32 v92, v54, v27
	v_mul_f32_e32 v23, v51, v23
	v_fmac_f32_e32 v91, v53, v24
	v_fma_f32 v14, v48, v20, -v21
	v_add_f32_e32 v6, v6, v13
	;; [unrolled: 13-line block ×3, first 2 shown]
	v_add_f32_e32 v7, v7, v92
	v_mul_f32_e32 v29, v57, v29
	v_fmac_f32_e32 v94, v59, v30
	v_fma_f32 v17, v54, v26, -v27
	v_add_f32_e32 v6, v6, v16
	v_add_f32_e32 v7, v7, v93
	v_fma_f32 v18, v56, v28, -v29
	v_add_f32_e32 v6, v6, v17
	v_add_f32_e32 v21, v7, v94
	v_mul_f32_e32 v7, v59, v31
	v_add_f32_e32 v6, v6, v18
	v_fma_f32 v7, v58, v30, -v7
	s_waitcnt vmcnt(5) lgkmcnt(1)
	v_mul_f32_e32 v83, v72, v33
	v_add_f32_e32 v20, v6, v7
	v_mul_f32_e32 v6, v73, v33
	v_fmac_f32_e32 v83, v73, v32
	v_fma_f32 v82, v72, v32, -v6
	v_mul_f32_e32 v6, v75, v35
	v_fma_f32 v84, v74, v34, -v6
	ds_read2_b64 v[6:9], v10 offset0:57 offset1:58
	ds_read2_b64 v[12:15], v10 offset0:59 offset1:60
	;; [unrolled: 1-line block ×3, first 2 shown]
	v_pk_add_f32 v[10:11], v[20:21], v[82:83]
	s_waitcnt vmcnt(4) lgkmcnt(3)
	v_pk_mul_f32 v[20:21], v[76:77], v[60:61] op_sel:[1,1] op_sel_hi:[0,1]
	v_mul_f32_e32 v85, v74, v35
	v_pk_fma_f32 v[22:23], v[76:77], v[60:61], v[20:21] neg_lo:[0,0,1] neg_hi:[0,0,1]
	v_pk_fma_f32 v[20:21], v[76:77], v[60:61], v[20:21] op_sel_hi:[1,0,1]
	v_fmac_f32_e32 v85, v75, v34
	v_mov_b32_e32 v20, v63
	v_pk_add_f32 v[10:11], v[10:11], v[84:85]
	v_mov_b32_e32 v23, v21
	v_pk_mul_f32 v[20:21], v[78:79], v[20:21] op_sel:[1,0] op_sel_hi:[0,0]
	v_pk_add_f32 v[10:11], v[10:11], v[22:23]
	v_pk_fma_f32 v[22:23], v[78:79], v[62:63], v[20:21] neg_lo:[0,0,1] neg_hi:[0,0,1]
	v_pk_fma_f32 v[20:21], v[78:79], v[62:63], v[20:21] op_sel_hi:[1,0,1]
	s_nop 0
	v_mov_b32_e32 v23, v21
	s_waitcnt vmcnt(3) lgkmcnt(2)
	v_pk_mul_f32 v[20:21], v[6:7], v[64:65] op_sel:[1,1] op_sel_hi:[0,1]
	v_pk_add_f32 v[10:11], v[10:11], v[22:23]
	v_pk_fma_f32 v[22:23], v[6:7], v[64:65], v[20:21] neg_lo:[0,0,1] neg_hi:[0,0,1]
	v_pk_fma_f32 v[6:7], v[6:7], v[64:65], v[20:21] op_sel_hi:[1,0,1]
	s_nop 0
	v_mov_b32_e32 v23, v7
	v_pk_add_f32 v[6:7], v[10:11], v[22:23]
	v_mov_b32_e32 v10, v67
	v_pk_mul_f32 v[10:11], v[8:9], v[10:11] op_sel:[1,0] op_sel_hi:[0,0]
	v_pk_fma_f32 v[20:21], v[8:9], v[66:67], v[10:11] neg_lo:[0,0,1] neg_hi:[0,0,1]
	v_pk_fma_f32 v[8:9], v[8:9], v[66:67], v[10:11] op_sel_hi:[1,0,1]
	s_nop 0
	v_mov_b32_e32 v21, v9
	s_waitcnt vmcnt(2) lgkmcnt(1)
	v_pk_mul_f32 v[8:9], v[12:13], v[68:69] op_sel:[1,1] op_sel_hi:[0,1]
	v_pk_fma_f32 v[10:11], v[12:13], v[68:69], v[8:9] neg_lo:[0,0,1] neg_hi:[0,0,1]
	v_pk_fma_f32 v[8:9], v[12:13], v[68:69], v[8:9] op_sel_hi:[1,0,1]
	v_pk_add_f32 v[6:7], v[6:7], v[20:21]
	v_mov_b32_e32 v8, v71
	v_mov_b32_e32 v11, v9
	v_pk_mul_f32 v[8:9], v[14:15], v[8:9] op_sel:[1,0] op_sel_hi:[0,0]
	v_pk_add_f32 v[6:7], v[6:7], v[10:11]
	v_pk_fma_f32 v[10:11], v[14:15], v[70:71], v[8:9] neg_lo:[0,0,1] neg_hi:[0,0,1]
	v_pk_fma_f32 v[8:9], v[14:15], v[70:71], v[8:9] op_sel_hi:[1,0,1]
	s_nop 0
	v_mov_b32_e32 v11, v9
	s_waitcnt vmcnt(1) lgkmcnt(0)
	v_pk_mul_f32 v[8:9], v[16:17], v[2:3] op_sel:[1,1] op_sel_hi:[0,1]
	v_pk_add_f32 v[6:7], v[6:7], v[10:11]
	v_pk_fma_f32 v[10:11], v[16:17], v[2:3], v[8:9] neg_lo:[0,0,1] neg_hi:[0,0,1]
	v_pk_fma_f32 v[2:3], v[16:17], v[2:3], v[8:9] op_sel_hi:[1,0,1]
	s_nop 0
	v_mov_b32_e32 v11, v3
	v_pk_add_f32 v[2:3], v[6:7], v[10:11]
	v_mov_b32_e32 v6, v5
	v_pk_mul_f32 v[6:7], v[18:19], v[6:7] op_sel:[1,0] op_sel_hi:[0,0]
	v_pk_fma_f32 v[8:9], v[18:19], v[4:5], v[6:7] neg_lo:[0,0,1] neg_hi:[0,0,1]
	v_pk_fma_f32 v[4:5], v[18:19], v[4:5], v[6:7] op_sel_hi:[1,0,1]
	s_nop 0
	v_mov_b32_e32 v9, v5
	v_pk_add_f32 v[2:3], v[2:3], v[8:9]
	s_waitcnt vmcnt(0)
	v_pk_add_f32 v[2:3], v[80:81], v[2:3] neg_lo:[0,1] neg_hi:[0,1]
	scratch_store_dwordx2 off, v[2:3], off offset:64
	s_and_saveexec_b64 s[0:1], vcc
	s_cbranch_execz .LBB94_185
; %bb.184:
	scratch_load_dwordx2 v[2:3], off, off offset:56
	v_mov_b32_e32 v4, 0
	v_mov_b32_e32 v5, v4
	scratch_store_dwordx2 off, v[4:5], off offset:56
	s_waitcnt vmcnt(1)
	ds_write_b64 v1, v[2:3]
.LBB94_185:
	s_or_b64 exec, exec, s[0:1]
	s_waitcnt lgkmcnt(0)
	; wave barrier
	scratch_load_dwordx4 v[6:9], off, off offset:64
	scratch_load_dwordx4 v[14:17], off, off offset:80
	scratch_load_dwordx4 v[24:27], off, off offset:96
	scratch_load_dwordx4 v[28:31], off, off offset:112
	scratch_load_dwordx4 v[18:21], off, off offset:128
	scratch_load_dwordx4 v[32:35], off, off offset:144
	scratch_load_dwordx4 v[40:43], off, off offset:160
	scratch_load_dwordx4 v[44:47], off, off offset:176
	scratch_load_dwordx4 v[48:51], off, off offset:192
	scratch_load_dwordx4 v[10:13], off, off offset:208
	scratch_load_dwordx4 v[2:5], off, off offset:224
	scratch_load_dwordx2 v[22:23], off, off offset:240
	scratch_load_dwordx2 v[36:37], off, off offset:56
	v_mov_b32_e32 v38, 0
	ds_read_b128 v[52:55], v38 offset:320
	ds_read_b128 v[56:59], v38 offset:336
	;; [unrolled: 1-line block ×8, first 2 shown]
	v_cmp_lt_u32_e32 vcc, 6, v0
	s_waitcnt vmcnt(12) lgkmcnt(7)
	v_mul_f32_e32 v39, v52, v7
	v_mul_f32_e32 v84, v54, v9
	;; [unrolled: 1-line block ×3, first 2 shown]
	v_fmac_f32_e32 v39, v53, v6
	s_waitcnt vmcnt(8) lgkmcnt(3)
	v_mul_f32_e32 v93, v68, v19
	v_mul_f32_e32 v19, v69, v19
	;; [unrolled: 1-line block ×4, first 2 shown]
	v_fmac_f32_e32 v84, v55, v8
	v_fmac_f32_e32 v93, v69, v18
	v_fma_f32 v6, v52, v6, -v7
	v_fma_f32 v18, v68, v18, -v19
	v_add_f32_e32 v19, 0, v39
	v_mul_f32_e32 v88, v58, v17
	v_fmac_f32_e32 v86, v57, v14
	v_fma_f32 v7, v54, v8, -v9
	v_add_f32_e32 v6, 0, v6
	v_add_f32_e32 v19, v19, v84
	v_mul_f32_e32 v89, v60, v25
	v_fmac_f32_e32 v88, v59, v16
	v_add_f32_e32 v6, v6, v7
	v_add_f32_e32 v7, v19, v86
	v_mul_f32_e32 v90, v62, v27
	v_fmac_f32_e32 v89, v61, v24
	v_add_f32_e32 v7, v7, v88
	v_mul_f32_e32 v91, v64, v29
	v_mul_f32_e32 v15, v57, v15
	v_fmac_f32_e32 v90, v63, v26
	v_add_f32_e32 v7, v7, v89
	v_mul_f32_e32 v92, v66, v31
	v_mul_f32_e32 v17, v59, v17
	v_fmac_f32_e32 v91, v65, v28
	v_fma_f32 v8, v56, v14, -v15
	v_add_f32_e32 v7, v7, v90
	v_mul_f32_e32 v25, v61, v25
	v_fmac_f32_e32 v92, v67, v30
	v_fma_f32 v9, v58, v16, -v17
	v_add_f32_e32 v6, v6, v8
	v_add_f32_e32 v7, v7, v91
	v_mul_f32_e32 v94, v70, v21
	v_mul_f32_e32 v27, v63, v27
	v_fma_f32 v14, v60, v24, -v25
	v_add_f32_e32 v6, v6, v9
	v_add_f32_e32 v7, v7, v92
	s_waitcnt vmcnt(7) lgkmcnt(2)
	v_mul_f32_e32 v95, v72, v33
	v_mul_f32_e32 v29, v65, v29
	v_fmac_f32_e32 v94, v71, v20
	v_fma_f32 v15, v62, v26, -v27
	v_add_f32_e32 v6, v6, v14
	v_add_f32_e32 v7, v7, v93
	v_mul_f32_e32 v96, v74, v35
	v_mul_f32_e32 v31, v67, v31
	v_fmac_f32_e32 v95, v73, v32
	v_fma_f32 v16, v64, v28, -v29
	v_add_f32_e32 v6, v6, v15
	v_add_f32_e32 v7, v7, v94
	s_waitcnt vmcnt(6) lgkmcnt(1)
	v_mul_f32_e32 v97, v76, v41
	v_fmac_f32_e32 v96, v75, v34
	v_fma_f32 v17, v66, v30, -v31
	v_add_f32_e32 v6, v6, v16
	v_add_f32_e32 v7, v7, v95
	v_mul_f32_e32 v21, v71, v21
	v_fmac_f32_e32 v97, v77, v40
	v_add_f32_e32 v6, v6, v17
	v_add_f32_e32 v7, v7, v96
	;; [unrolled: 1-line block ×4, first 2 shown]
	v_fma_f32 v7, v70, v20, -v21
	v_add_f32_e32 v6, v6, v7
	v_mul_f32_e32 v7, v73, v33
	v_fma_f32 v7, v72, v32, -v7
	v_add_f32_e32 v6, v6, v7
	v_mul_f32_e32 v7, v75, v35
	;; [unrolled: 3-line block ×4, first 2 shown]
	v_mul_f32_e32 v85, v78, v43
	v_fma_f32 v84, v78, v42, -v6
	s_waitcnt vmcnt(5) lgkmcnt(0)
	v_mul_f32_e32 v6, v81, v45
	v_mov_b32_e32 v28, v47
	v_mul_f32_e32 v87, v80, v45
	v_fmac_f32_e32 v85, v79, v42
	v_fma_f32 v86, v80, v44, -v6
	ds_read_b128 v[6:9], v38 offset:448
	ds_read_b128 v[14:17], v38 offset:464
	;; [unrolled: 1-line block ×3, first 2 shown]
	ds_read_b64 v[26:27], v38 offset:496
	v_pk_mul_f32 v[28:29], v[82:83], v[28:29] op_sel:[1,0] op_sel_hi:[0,0]
	v_fmac_f32_e32 v87, v81, v44
	v_pk_add_f32 v[24:25], v[24:25], v[84:85]
	v_pk_fma_f32 v[30:31], v[82:83], v[46:47], v[28:29] neg_lo:[0,0,1] neg_hi:[0,0,1]
	v_pk_fma_f32 v[28:29], v[82:83], v[46:47], v[28:29] op_sel_hi:[1,0,1]
	v_pk_add_f32 v[24:25], v[24:25], v[86:87]
	v_mov_b32_e32 v31, v29
	s_waitcnt vmcnt(4) lgkmcnt(3)
	v_pk_mul_f32 v[28:29], v[6:7], v[48:49] op_sel:[1,1] op_sel_hi:[0,1]
	v_pk_add_f32 v[24:25], v[24:25], v[30:31]
	v_pk_fma_f32 v[30:31], v[6:7], v[48:49], v[28:29] neg_lo:[0,0,1] neg_hi:[0,0,1]
	v_pk_fma_f32 v[6:7], v[6:7], v[48:49], v[28:29] op_sel_hi:[1,0,1]
	s_nop 0
	v_mov_b32_e32 v31, v7
	v_pk_add_f32 v[6:7], v[24:25], v[30:31]
	v_mov_b32_e32 v24, v51
	v_pk_mul_f32 v[24:25], v[8:9], v[24:25] op_sel:[1,0] op_sel_hi:[0,0]
	v_pk_fma_f32 v[28:29], v[8:9], v[50:51], v[24:25] neg_lo:[0,0,1] neg_hi:[0,0,1]
	v_pk_fma_f32 v[8:9], v[8:9], v[50:51], v[24:25] op_sel_hi:[1,0,1]
	s_nop 0
	v_mov_b32_e32 v29, v9
	s_waitcnt vmcnt(3) lgkmcnt(2)
	v_pk_mul_f32 v[8:9], v[14:15], v[10:11] op_sel:[1,1] op_sel_hi:[0,1]
	v_pk_fma_f32 v[24:25], v[14:15], v[10:11], v[8:9] neg_lo:[0,0,1] neg_hi:[0,0,1]
	v_pk_fma_f32 v[8:9], v[14:15], v[10:11], v[8:9] op_sel_hi:[1,0,1]
	v_pk_add_f32 v[6:7], v[6:7], v[28:29]
	v_mov_b32_e32 v8, v13
	v_mov_b32_e32 v25, v9
	v_pk_mul_f32 v[8:9], v[16:17], v[8:9] op_sel:[1,0] op_sel_hi:[0,0]
	v_pk_fma_f32 v[10:11], v[16:17], v[12:13], v[8:9] neg_lo:[0,0,1] neg_hi:[0,0,1]
	v_pk_fma_f32 v[8:9], v[16:17], v[12:13], v[8:9] op_sel_hi:[1,0,1]
	v_pk_add_f32 v[6:7], v[6:7], v[24:25]
	v_mov_b32_e32 v11, v9
	s_waitcnt vmcnt(2) lgkmcnt(1)
	v_pk_mul_f32 v[8:9], v[18:19], v[2:3] op_sel:[1,1] op_sel_hi:[0,1]
	v_pk_add_f32 v[6:7], v[6:7], v[10:11]
	v_pk_fma_f32 v[10:11], v[18:19], v[2:3], v[8:9] neg_lo:[0,0,1] neg_hi:[0,0,1]
	v_pk_fma_f32 v[2:3], v[18:19], v[2:3], v[8:9] op_sel_hi:[1,0,1]
	s_nop 0
	v_mov_b32_e32 v11, v3
	v_pk_add_f32 v[2:3], v[6:7], v[10:11]
	v_mov_b32_e32 v6, v5
	v_pk_mul_f32 v[6:7], v[20:21], v[6:7] op_sel:[1,0] op_sel_hi:[0,0]
	v_pk_fma_f32 v[8:9], v[20:21], v[4:5], v[6:7] neg_lo:[0,0,1] neg_hi:[0,0,1]
	v_pk_fma_f32 v[4:5], v[20:21], v[4:5], v[6:7] op_sel_hi:[1,0,1]
	s_nop 0
	v_mov_b32_e32 v9, v5
	s_waitcnt vmcnt(1) lgkmcnt(0)
	v_pk_mul_f32 v[4:5], v[26:27], v[22:23] op_sel:[1,1] op_sel_hi:[0,1]
	v_pk_fma_f32 v[6:7], v[26:27], v[22:23], v[4:5] neg_lo:[0,0,1] neg_hi:[0,0,1]
	v_pk_fma_f32 v[4:5], v[26:27], v[22:23], v[4:5] op_sel_hi:[1,0,1]
	v_pk_add_f32 v[2:3], v[2:3], v[8:9]
	v_mov_b32_e32 v7, v5
	v_pk_add_f32 v[2:3], v[2:3], v[6:7]
	s_waitcnt vmcnt(0)
	v_pk_add_f32 v[2:3], v[36:37], v[2:3] neg_lo:[0,1] neg_hi:[0,1]
	scratch_store_dwordx2 off, v[2:3], off offset:56
	s_and_saveexec_b64 s[0:1], vcc
	s_cbranch_execz .LBB94_187
; %bb.186:
	scratch_load_dwordx2 v[2:3], off, off offset:48
	v_mov_b32_e32 v39, v38
	scratch_store_dwordx2 off, v[38:39], off offset:48
	s_waitcnt vmcnt(1)
	ds_write_b64 v1, v[2:3]
.LBB94_187:
	s_or_b64 exec, exec, s[0:1]
	s_waitcnt lgkmcnt(0)
	; wave barrier
	scratch_load_dwordx4 v[2:5], off, off offset:56
	scratch_load_dwordx4 v[14:17], off, off offset:72
	;; [unrolled: 1-line block ×8, first 2 shown]
	ds_read2_b64 v[48:51], v38 offset0:39 offset1:40
	ds_read2_b64 v[52:55], v38 offset0:41 offset1:42
	;; [unrolled: 1-line block ×8, first 2 shown]
	scratch_load_dwordx4 v[80:83], off, off offset:184
	scratch_load_dwordx4 v[26:29], off, off offset:200
	;; [unrolled: 1-line block ×4, first 2 shown]
	scratch_load_dwordx2 v[84:85], off, off offset:48
	v_cmp_lt_u32_e32 vcc, 5, v0
	s_waitcnt vmcnt(12) lgkmcnt(7)
	v_mul_f32_e32 v39, v48, v3
	v_mul_f32_e32 v86, v50, v5
	;; [unrolled: 1-line block ×3, first 2 shown]
	v_fmac_f32_e32 v39, v49, v2
	s_waitcnt vmcnt(8) lgkmcnt(3)
	v_mul_f32_e32 v95, v64, v19
	v_mul_f32_e32 v19, v65, v19
	;; [unrolled: 1-line block ×4, first 2 shown]
	v_fmac_f32_e32 v86, v51, v4
	v_fmac_f32_e32 v95, v65, v18
	v_fma_f32 v2, v48, v2, -v3
	v_fma_f32 v18, v64, v18, -v19
	v_add_f32_e32 v19, 0, v39
	v_mul_f32_e32 v90, v54, v17
	v_fmac_f32_e32 v88, v53, v14
	v_fma_f32 v3, v50, v4, -v5
	v_add_f32_e32 v2, 0, v2
	v_add_f32_e32 v19, v19, v86
	v_mul_f32_e32 v91, v56, v31
	v_fmac_f32_e32 v90, v55, v16
	v_add_f32_e32 v2, v2, v3
	v_add_f32_e32 v3, v19, v88
	v_mul_f32_e32 v92, v58, v33
	v_fmac_f32_e32 v91, v57, v30
	v_add_f32_e32 v3, v3, v90
	v_mul_f32_e32 v93, v60, v41
	v_fmac_f32_e32 v92, v59, v32
	;; [unrolled: 3-line block ×4, first 2 shown]
	v_add_f32_e32 v3, v3, v93
	v_mul_f32_e32 v96, v66, v21
	v_mul_f32_e32 v17, v55, v17
	v_fma_f32 v4, v52, v14, -v15
	v_add_f32_e32 v3, v3, v94
	s_waitcnt vmcnt(7) lgkmcnt(2)
	v_mul_f32_e32 v97, v68, v23
	v_mul_f32_e32 v31, v57, v31
	v_fmac_f32_e32 v96, v67, v20
	v_fma_f32 v5, v54, v16, -v17
	v_add_f32_e32 v2, v2, v4
	v_add_f32_e32 v3, v3, v95
	v_mul_f32_e32 v98, v70, v25
	v_mul_f32_e32 v33, v59, v33
	v_fmac_f32_e32 v97, v69, v22
	v_fma_f32 v14, v56, v30, -v31
	v_add_f32_e32 v2, v2, v5
	v_add_f32_e32 v3, v3, v96
	s_waitcnt vmcnt(6) lgkmcnt(1)
	v_mul_f32_e32 v99, v72, v35
	v_mul_f32_e32 v41, v61, v41
	v_fmac_f32_e32 v98, v71, v24
	v_fma_f32 v15, v58, v32, -v33
	v_add_f32_e32 v2, v2, v14
	v_add_f32_e32 v3, v3, v97
	v_mul_f32_e32 v162, v74, v37
	v_mul_f32_e32 v43, v63, v43
	v_fmac_f32_e32 v99, v73, v34
	v_fma_f32 v16, v60, v40, -v41
	v_add_f32_e32 v2, v2, v15
	v_add_f32_e32 v3, v3, v98
	v_fmac_f32_e32 v162, v75, v36
	v_fma_f32 v17, v62, v42, -v43
	v_add_f32_e32 v2, v2, v16
	v_add_f32_e32 v3, v3, v99
	;; [unrolled: 1-line block ×4, first 2 shown]
	v_mul_f32_e32 v3, v67, v21
	v_add_f32_e32 v2, v2, v18
	v_fma_f32 v3, v66, v20, -v3
	v_add_f32_e32 v2, v2, v3
	v_mul_f32_e32 v3, v69, v23
	v_fma_f32 v3, v68, v22, -v3
	v_add_f32_e32 v2, v2, v3
	v_mul_f32_e32 v3, v71, v25
	v_fma_f32 v3, v70, v24, -v3
	v_add_f32_e32 v2, v2, v3
	v_mul_f32_e32 v3, v73, v35
	v_fma_f32 v3, v72, v34, -v3
	v_add_f32_e32 v2, v2, v3
	v_mul_f32_e32 v3, v75, v37
	v_fma_f32 v3, v74, v36, -v3
	v_add_f32_e32 v30, v2, v3
	s_waitcnt vmcnt(5) lgkmcnt(0)
	v_mul_f32_e32 v2, v77, v45
	v_fma_f32 v86, v76, v44, -v2
	v_mul_f32_e32 v2, v79, v47
	v_fma_f32 v88, v78, v46, -v2
	ds_read2_b64 v[2:5], v38 offset0:55 offset1:56
	ds_read2_b64 v[14:17], v38 offset0:57 offset1:58
	;; [unrolled: 1-line block ×4, first 2 shown]
	v_mul_f32_e32 v87, v76, v45
	v_mul_f32_e32 v89, v78, v47
	v_fmac_f32_e32 v87, v77, v44
	s_waitcnt vmcnt(4) lgkmcnt(3)
	v_pk_mul_f32 v[32:33], v[2:3], v[80:81] op_sel:[1,1] op_sel_hi:[0,1]
	v_fmac_f32_e32 v89, v79, v46
	v_pk_add_f32 v[30:31], v[30:31], v[86:87]
	v_pk_fma_f32 v[34:35], v[2:3], v[80:81], v[32:33] neg_lo:[0,0,1] neg_hi:[0,0,1]
	v_pk_fma_f32 v[2:3], v[2:3], v[80:81], v[32:33] op_sel_hi:[1,0,1]
	v_pk_add_f32 v[30:31], v[30:31], v[88:89]
	v_mov_b32_e32 v35, v3
	v_pk_add_f32 v[2:3], v[30:31], v[34:35]
	v_mov_b32_e32 v30, v83
	v_pk_mul_f32 v[30:31], v[4:5], v[30:31] op_sel:[1,0] op_sel_hi:[0,0]
	v_pk_fma_f32 v[32:33], v[4:5], v[82:83], v[30:31] neg_lo:[0,0,1] neg_hi:[0,0,1]
	v_pk_fma_f32 v[4:5], v[4:5], v[82:83], v[30:31] op_sel_hi:[1,0,1]
	s_nop 0
	v_mov_b32_e32 v33, v5
	s_waitcnt vmcnt(3) lgkmcnt(2)
	v_pk_mul_f32 v[4:5], v[14:15], v[26:27] op_sel:[1,1] op_sel_hi:[0,1]
	v_pk_fma_f32 v[30:31], v[14:15], v[26:27], v[4:5] neg_lo:[0,0,1] neg_hi:[0,0,1]
	v_pk_fma_f32 v[4:5], v[14:15], v[26:27], v[4:5] op_sel_hi:[1,0,1]
	v_pk_add_f32 v[2:3], v[2:3], v[32:33]
	v_mov_b32_e32 v4, v29
	v_mov_b32_e32 v31, v5
	v_pk_mul_f32 v[4:5], v[16:17], v[4:5] op_sel:[1,0] op_sel_hi:[0,0]
	v_pk_fma_f32 v[14:15], v[16:17], v[28:29], v[4:5] neg_lo:[0,0,1] neg_hi:[0,0,1]
	v_pk_fma_f32 v[4:5], v[16:17], v[28:29], v[4:5] op_sel_hi:[1,0,1]
	v_pk_add_f32 v[2:3], v[2:3], v[30:31]
	v_mov_b32_e32 v15, v5
	s_waitcnt vmcnt(2) lgkmcnt(1)
	v_pk_mul_f32 v[4:5], v[18:19], v[10:11] op_sel:[1,1] op_sel_hi:[0,1]
	v_pk_add_f32 v[2:3], v[2:3], v[14:15]
	v_pk_fma_f32 v[14:15], v[18:19], v[10:11], v[4:5] neg_lo:[0,0,1] neg_hi:[0,0,1]
	v_pk_fma_f32 v[4:5], v[18:19], v[10:11], v[4:5] op_sel_hi:[1,0,1]
	s_nop 0
	v_mov_b32_e32 v4, v13
	v_mov_b32_e32 v15, v5
	v_pk_mul_f32 v[4:5], v[20:21], v[4:5] op_sel:[1,0] op_sel_hi:[0,0]
	v_pk_fma_f32 v[10:11], v[20:21], v[12:13], v[4:5] neg_lo:[0,0,1] neg_hi:[0,0,1]
	v_pk_fma_f32 v[4:5], v[20:21], v[12:13], v[4:5] op_sel_hi:[1,0,1]
	v_pk_add_f32 v[2:3], v[2:3], v[14:15]
	v_mov_b32_e32 v11, v5
	s_waitcnt vmcnt(1) lgkmcnt(0)
	v_pk_mul_f32 v[4:5], v[22:23], v[6:7] op_sel:[1,1] op_sel_hi:[0,1]
	v_pk_add_f32 v[2:3], v[2:3], v[10:11]
	v_pk_fma_f32 v[10:11], v[22:23], v[6:7], v[4:5] neg_lo:[0,0,1] neg_hi:[0,0,1]
	v_pk_fma_f32 v[4:5], v[22:23], v[6:7], v[4:5] op_sel_hi:[1,0,1]
	s_nop 0
	v_mov_b32_e32 v4, v9
	v_mov_b32_e32 v11, v5
	v_pk_mul_f32 v[4:5], v[24:25], v[4:5] op_sel:[1,0] op_sel_hi:[0,0]
	v_pk_fma_f32 v[6:7], v[24:25], v[8:9], v[4:5] neg_lo:[0,0,1] neg_hi:[0,0,1]
	v_pk_fma_f32 v[4:5], v[24:25], v[8:9], v[4:5] op_sel_hi:[1,0,1]
	v_pk_add_f32 v[2:3], v[2:3], v[10:11]
	v_mov_b32_e32 v7, v5
	v_pk_add_f32 v[2:3], v[2:3], v[6:7]
	s_waitcnt vmcnt(0)
	v_pk_add_f32 v[2:3], v[84:85], v[2:3] neg_lo:[0,1] neg_hi:[0,1]
	scratch_store_dwordx2 off, v[2:3], off offset:48
	s_and_saveexec_b64 s[0:1], vcc
	s_cbranch_execz .LBB94_189
; %bb.188:
	scratch_load_dwordx2 v[2:3], off, off offset:40
	v_mov_b32_e32 v4, 0
	v_mov_b32_e32 v5, v4
	scratch_store_dwordx2 off, v[4:5], off offset:40
	s_waitcnt vmcnt(1)
	ds_write_b64 v1, v[2:3]
.LBB94_189:
	s_or_b64 exec, exec, s[0:1]
	v_mov_b32_e32 v2, 0
	s_waitcnt lgkmcnt(0)
	; wave barrier
	ds_read_b128 v[4:7], v2 offset:304
	ds_read_b128 v[8:11], v2 offset:320
	;; [unrolled: 1-line block ×4, first 2 shown]
	scratch_load_dwordx4 v[20:23], off, off offset:48
	scratch_load_dwordx4 v[40:43], off, off offset:112
	;; [unrolled: 1-line block ×3, first 2 shown]
	v_cmp_lt_u32_e32 vcc, 4, v0
	scratch_load_dwordx4 v[48:51], off, off offset:128
	scratch_load_dwordx4 v[56:59], off, off offset:144
	;; [unrolled: 1-line block ×3, first 2 shown]
	s_waitcnt vmcnt(5) lgkmcnt(3)
	v_mul_f32_e32 v3, v4, v21
	v_fmac_f32_e32 v3, v5, v20
	v_mul_f32_e32 v24, v6, v23
	v_add_f32_e32 v3, 0, v3
	v_fmac_f32_e32 v24, v7, v22
	v_add_f32_e32 v3, v3, v24
	scratch_load_dwordx4 v[24:27], off, off offset:64
	s_waitcnt vmcnt(0) lgkmcnt(2)
	v_mul_f32_e32 v28, v8, v25
	v_fmac_f32_e32 v28, v9, v24
	v_add_f32_e32 v3, v3, v28
	v_mul_f32_e32 v28, v10, v27
	v_fmac_f32_e32 v28, v11, v26
	v_add_f32_e32 v3, v3, v28
	scratch_load_dwordx4 v[28:31], off, off offset:80
	s_waitcnt vmcnt(0) lgkmcnt(1)
	v_mul_f32_e32 v32, v12, v29
	v_fmac_f32_e32 v32, v13, v28
	v_add_f32_e32 v3, v3, v32
	v_mul_f32_e32 v32, v14, v31
	;; [unrolled: 8-line block ×3, first 2 shown]
	v_fmac_f32_e32 v36, v19, v34
	v_add_f32_e32 v3, v3, v36
	ds_read_b128 v[36:39], v2 offset:368
	s_waitcnt lgkmcnt(0)
	v_mul_f32_e32 v44, v36, v41
	v_fmac_f32_e32 v44, v37, v40
	v_add_f32_e32 v3, v3, v44
	v_mul_f32_e32 v44, v38, v43
	v_fmac_f32_e32 v44, v39, v42
	v_add_f32_e32 v3, v3, v44
	ds_read_b128 v[44:47], v2 offset:384
	s_waitcnt lgkmcnt(0)
	v_mul_f32_e32 v52, v44, v49
	v_fmac_f32_e32 v52, v45, v48
	v_add_f32_e32 v3, v3, v52
	v_mul_f32_e32 v52, v46, v51
	;; [unrolled: 8-line block ×3, first 2 shown]
	v_fmac_f32_e32 v60, v55, v58
	v_add_f32_e32 v3, v3, v60
	ds_read_b128 v[60:63], v2 offset:416
	s_waitcnt lgkmcnt(0)
	v_mul_f32_e32 v68, v60, v65
	v_fmac_f32_e32 v68, v61, v64
	v_add_f32_e32 v89, v3, v68
	ds_read_b128 v[68:71], v2 offset:432
	scratch_load_dwordx4 v[76:79], off, off offset:192
	scratch_load_dwordx4 v[80:83], off, off offset:208
	;; [unrolled: 1-line block ×3, first 2 shown]
	scratch_load_dwordx2 v[94:95], off, off offset:240
	v_mul_f32_e32 v3, v5, v21
	v_fma_f32 v3, v4, v20, -v3
	v_mul_f32_e32 v4, v7, v23
	v_add_f32_e32 v3, 0, v3
	v_fma_f32 v4, v6, v22, -v4
	v_add_f32_e32 v3, v3, v4
	v_mul_f32_e32 v4, v9, v25
	v_fma_f32 v4, v8, v24, -v4
	v_add_f32_e32 v3, v3, v4
	v_mul_f32_e32 v4, v11, v27
	;; [unrolled: 3-line block ×13, first 2 shown]
	v_fma_f32 v4, v60, v64, -v4
	v_mul_f32_e32 v91, v62, v67
	v_add_f32_e32 v88, v3, v4
	v_mul_f32_e32 v3, v63, v67
	v_mov_b32_e32 v20, v75
	v_fmac_f32_e32 v91, v63, v66
	s_waitcnt lgkmcnt(0)
	v_mul_f32_e32 v93, v68, v73
	v_fma_f32 v90, v62, v66, -v3
	v_mul_f32_e32 v3, v69, v73
	ds_read_b128 v[4:7], v2 offset:448
	ds_read_b128 v[8:11], v2 offset:464
	;; [unrolled: 1-line block ×3, first 2 shown]
	ds_read_b64 v[16:17], v2 offset:496
	v_pk_mul_f32 v[20:21], v[70:71], v[20:21] op_sel:[1,0] op_sel_hi:[0,0]
	v_fmac_f32_e32 v93, v69, v72
	v_fma_f32 v92, v68, v72, -v3
	v_pk_add_f32 v[18:19], v[88:89], v[90:91]
	v_pk_fma_f32 v[22:23], v[70:71], v[74:75], v[20:21] neg_lo:[0,0,1] neg_hi:[0,0,1]
	v_pk_fma_f32 v[20:21], v[70:71], v[74:75], v[20:21] op_sel_hi:[1,0,1]
	v_pk_add_f32 v[18:19], v[18:19], v[92:93]
	v_mov_b32_e32 v23, v21
	v_pk_add_f32 v[18:19], v[18:19], v[22:23]
	s_waitcnt vmcnt(3) lgkmcnt(3)
	v_pk_mul_f32 v[20:21], v[4:5], v[76:77] op_sel:[1,1] op_sel_hi:[0,1]
	v_pk_fma_f32 v[22:23], v[4:5], v[76:77], v[20:21] neg_lo:[0,0,1] neg_hi:[0,0,1]
	v_pk_fma_f32 v[4:5], v[4:5], v[76:77], v[20:21] op_sel_hi:[1,0,1]
	s_nop 0
	v_mov_b32_e32 v23, v5
	v_pk_add_f32 v[4:5], v[18:19], v[22:23]
	v_mov_b32_e32 v18, v79
	v_pk_mul_f32 v[18:19], v[6:7], v[18:19] op_sel:[1,0] op_sel_hi:[0,0]
	v_pk_fma_f32 v[20:21], v[6:7], v[78:79], v[18:19] neg_lo:[0,0,1] neg_hi:[0,0,1]
	v_pk_fma_f32 v[6:7], v[6:7], v[78:79], v[18:19] op_sel_hi:[1,0,1]
	s_nop 0
	v_mov_b32_e32 v21, v7
	s_waitcnt vmcnt(2) lgkmcnt(2)
	v_pk_mul_f32 v[6:7], v[8:9], v[80:81] op_sel:[1,1] op_sel_hi:[0,1]
	v_pk_fma_f32 v[18:19], v[8:9], v[80:81], v[6:7] neg_lo:[0,0,1] neg_hi:[0,0,1]
	v_pk_fma_f32 v[6:7], v[8:9], v[80:81], v[6:7] op_sel_hi:[1,0,1]
	v_pk_add_f32 v[4:5], v[4:5], v[20:21]
	v_mov_b32_e32 v6, v83
	v_mov_b32_e32 v19, v7
	v_pk_mul_f32 v[6:7], v[10:11], v[6:7] op_sel:[1,0] op_sel_hi:[0,0]
	v_pk_fma_f32 v[8:9], v[10:11], v[82:83], v[6:7] neg_lo:[0,0,1] neg_hi:[0,0,1]
	v_pk_fma_f32 v[6:7], v[10:11], v[82:83], v[6:7] op_sel_hi:[1,0,1]
	v_pk_add_f32 v[4:5], v[4:5], v[18:19]
	v_mov_b32_e32 v9, v7
	s_waitcnt vmcnt(1) lgkmcnt(1)
	v_pk_mul_f32 v[6:7], v[12:13], v[84:85] op_sel:[1,1] op_sel_hi:[0,1]
	v_pk_add_f32 v[4:5], v[4:5], v[8:9]
	v_pk_fma_f32 v[8:9], v[12:13], v[84:85], v[6:7] neg_lo:[0,0,1] neg_hi:[0,0,1]
	v_pk_fma_f32 v[6:7], v[12:13], v[84:85], v[6:7] op_sel_hi:[1,0,1]
	s_nop 0
	v_mov_b32_e32 v6, v87
	v_mov_b32_e32 v9, v7
	v_pk_mul_f32 v[6:7], v[14:15], v[6:7] op_sel:[1,0] op_sel_hi:[0,0]
	v_pk_add_f32 v[4:5], v[4:5], v[8:9]
	v_pk_fma_f32 v[8:9], v[14:15], v[86:87], v[6:7] neg_lo:[0,0,1] neg_hi:[0,0,1]
	v_pk_fma_f32 v[6:7], v[14:15], v[86:87], v[6:7] op_sel_hi:[1,0,1]
	s_nop 0
	v_mov_b32_e32 v9, v7
	s_waitcnt vmcnt(0) lgkmcnt(0)
	v_pk_mul_f32 v[6:7], v[16:17], v[94:95] op_sel:[1,1] op_sel_hi:[0,1]
	v_pk_add_f32 v[4:5], v[4:5], v[8:9]
	v_pk_fma_f32 v[8:9], v[16:17], v[94:95], v[6:7] neg_lo:[0,0,1] neg_hi:[0,0,1]
	v_pk_fma_f32 v[6:7], v[16:17], v[94:95], v[6:7] op_sel_hi:[1,0,1]
	s_nop 0
	v_mov_b32_e32 v9, v7
	scratch_load_dwordx2 v[6:7], off, off offset:40
	v_pk_add_f32 v[4:5], v[4:5], v[8:9]
	s_waitcnt vmcnt(0)
	v_pk_add_f32 v[4:5], v[6:7], v[4:5] neg_lo:[0,1] neg_hi:[0,1]
	scratch_store_dwordx2 off, v[4:5], off offset:40
	s_and_saveexec_b64 s[0:1], vcc
	s_cbranch_execz .LBB94_191
; %bb.190:
	scratch_load_dwordx2 v[4:5], off, off offset:32
	v_mov_b32_e32 v3, v2
	scratch_store_dwordx2 off, v[2:3], off offset:32
	s_waitcnt vmcnt(1)
	ds_write_b64 v1, v[4:5]
.LBB94_191:
	s_or_b64 exec, exec, s[0:1]
	s_waitcnt lgkmcnt(0)
	; wave barrier
	scratch_load_dwordx4 v[8:11], off, off offset:40
	scratch_load_dwordx4 v[16:19], off, off offset:56
	;; [unrolled: 1-line block ×8, first 2 shown]
	ds_read2_b64 v[4:7], v2 offset0:37 offset1:38
	scratch_load_dwordx4 v[72:75], off, off offset:168
	v_cmp_lt_u32_e32 vcc, 3, v0
	s_waitcnt vmcnt(8) lgkmcnt(0)
	v_mul_f32_e32 v3, v4, v9
	v_fmac_f32_e32 v3, v5, v8
	v_mul_f32_e32 v12, v6, v11
	v_add_f32_e32 v3, 0, v3
	v_fmac_f32_e32 v12, v7, v10
	v_add_f32_e32 v3, v3, v12
	ds_read2_b64 v[12:15], v2 offset0:39 offset1:40
	s_waitcnt vmcnt(7) lgkmcnt(0)
	v_mul_f32_e32 v20, v12, v17
	v_fmac_f32_e32 v20, v13, v16
	v_add_f32_e32 v3, v3, v20
	v_mul_f32_e32 v20, v14, v19
	v_fmac_f32_e32 v20, v15, v18
	v_add_f32_e32 v3, v3, v20
	ds_read2_b64 v[20:23], v2 offset0:41 offset1:42
	s_waitcnt vmcnt(6) lgkmcnt(0)
	v_mul_f32_e32 v28, v20, v25
	v_fmac_f32_e32 v28, v21, v24
	v_add_f32_e32 v3, v3, v28
	v_mul_f32_e32 v28, v22, v27
	;; [unrolled: 8-line block ×7, first 2 shown]
	v_fmac_f32_e32 v68, v63, v66
	v_add_f32_e32 v93, v3, v68
	ds_read2_b64 v[68:71], v2 offset0:53 offset1:54
	scratch_load_dwordx4 v[76:79], off, off offset:184
	scratch_load_dwordx4 v[80:83], off, off offset:200
	;; [unrolled: 1-line block ×4, first 2 shown]
	v_mul_f32_e32 v3, v5, v9
	v_fma_f32 v3, v4, v8, -v3
	v_mul_f32_e32 v4, v7, v11
	v_add_f32_e32 v3, 0, v3
	v_fma_f32 v4, v6, v10, -v4
	v_add_f32_e32 v3, v3, v4
	v_mul_f32_e32 v4, v13, v17
	v_fma_f32 v4, v12, v16, -v4
	v_add_f32_e32 v3, v3, v4
	v_mul_f32_e32 v4, v15, v19
	;; [unrolled: 3-line block ×14, first 2 shown]
	v_fma_f32 v4, v62, v66, -v4
	v_add_f32_e32 v92, v3, v4
	ds_read2_b64 v[4:7], v2 offset0:55 offset1:56
	ds_read2_b64 v[8:11], v2 offset0:57 offset1:58
	;; [unrolled: 1-line block ×4, first 2 shown]
	s_waitcnt vmcnt(4) lgkmcnt(4)
	v_mul_f32_e32 v95, v68, v73
	v_mul_f32_e32 v3, v69, v73
	v_fmac_f32_e32 v95, v69, v72
	v_mul_f32_e32 v97, v70, v75
	v_fma_f32 v94, v68, v72, -v3
	v_mul_f32_e32 v3, v71, v75
	v_fmac_f32_e32 v97, v71, v74
	v_fma_f32 v96, v70, v74, -v3
	v_pk_add_f32 v[2:3], v[92:93], v[94:95]
	s_waitcnt vmcnt(3) lgkmcnt(3)
	v_pk_mul_f32 v[20:21], v[4:5], v[76:77] op_sel:[1,1] op_sel_hi:[0,1]
	v_pk_fma_f32 v[22:23], v[4:5], v[76:77], v[20:21] neg_lo:[0,0,1] neg_hi:[0,0,1]
	v_pk_fma_f32 v[4:5], v[4:5], v[76:77], v[20:21] op_sel_hi:[1,0,1]
	v_pk_add_f32 v[2:3], v[2:3], v[96:97]
	v_mov_b32_e32 v4, v79
	v_mov_b32_e32 v23, v5
	v_pk_mul_f32 v[4:5], v[6:7], v[4:5] op_sel:[1,0] op_sel_hi:[0,0]
	v_pk_fma_f32 v[20:21], v[6:7], v[78:79], v[4:5] neg_lo:[0,0,1] neg_hi:[0,0,1]
	v_pk_fma_f32 v[4:5], v[6:7], v[78:79], v[4:5] op_sel_hi:[1,0,1]
	v_pk_add_f32 v[2:3], v[2:3], v[22:23]
	v_mov_b32_e32 v21, v5
	s_waitcnt vmcnt(2) lgkmcnt(2)
	v_pk_mul_f32 v[4:5], v[8:9], v[80:81] op_sel:[1,1] op_sel_hi:[0,1]
	v_pk_fma_f32 v[6:7], v[8:9], v[80:81], v[4:5] neg_lo:[0,0,1] neg_hi:[0,0,1]
	v_pk_fma_f32 v[4:5], v[8:9], v[80:81], v[4:5] op_sel_hi:[1,0,1]
	v_pk_add_f32 v[2:3], v[2:3], v[20:21]
	v_mov_b32_e32 v4, v83
	v_mov_b32_e32 v7, v5
	v_pk_mul_f32 v[4:5], v[10:11], v[4:5] op_sel:[1,0] op_sel_hi:[0,0]
	v_pk_add_f32 v[2:3], v[2:3], v[6:7]
	v_pk_fma_f32 v[6:7], v[10:11], v[82:83], v[4:5] neg_lo:[0,0,1] neg_hi:[0,0,1]
	v_pk_fma_f32 v[4:5], v[10:11], v[82:83], v[4:5] op_sel_hi:[1,0,1]
	s_nop 0
	v_mov_b32_e32 v7, v5
	s_waitcnt vmcnt(1) lgkmcnt(1)
	v_pk_mul_f32 v[4:5], v[12:13], v[84:85] op_sel:[1,1] op_sel_hi:[0,1]
	v_pk_add_f32 v[2:3], v[2:3], v[6:7]
	v_pk_fma_f32 v[6:7], v[12:13], v[84:85], v[4:5] neg_lo:[0,0,1] neg_hi:[0,0,1]
	v_pk_fma_f32 v[4:5], v[12:13], v[84:85], v[4:5] op_sel_hi:[1,0,1]
	s_nop 0
	v_mov_b32_e32 v4, v87
	v_mov_b32_e32 v7, v5
	v_pk_mul_f32 v[4:5], v[14:15], v[4:5] op_sel:[1,0] op_sel_hi:[0,0]
	v_pk_add_f32 v[2:3], v[2:3], v[6:7]
	v_pk_fma_f32 v[6:7], v[14:15], v[86:87], v[4:5] neg_lo:[0,0,1] neg_hi:[0,0,1]
	v_pk_fma_f32 v[4:5], v[14:15], v[86:87], v[4:5] op_sel_hi:[1,0,1]
	s_nop 0
	v_mov_b32_e32 v7, v5
	s_waitcnt vmcnt(0) lgkmcnt(0)
	v_pk_mul_f32 v[4:5], v[16:17], v[88:89] op_sel:[1,1] op_sel_hi:[0,1]
	v_pk_add_f32 v[2:3], v[2:3], v[6:7]
	v_pk_fma_f32 v[6:7], v[16:17], v[88:89], v[4:5] neg_lo:[0,0,1] neg_hi:[0,0,1]
	v_pk_fma_f32 v[4:5], v[16:17], v[88:89], v[4:5] op_sel_hi:[1,0,1]
	s_nop 0
	v_mov_b32_e32 v4, v91
	v_mov_b32_e32 v7, v5
	v_pk_mul_f32 v[4:5], v[18:19], v[4:5] op_sel:[1,0] op_sel_hi:[0,0]
	v_pk_add_f32 v[2:3], v[2:3], v[6:7]
	v_pk_fma_f32 v[6:7], v[18:19], v[90:91], v[4:5] neg_lo:[0,0,1] neg_hi:[0,0,1]
	v_pk_fma_f32 v[4:5], v[18:19], v[90:91], v[4:5] op_sel_hi:[1,0,1]
	s_nop 0
	v_mov_b32_e32 v7, v5
	scratch_load_dwordx2 v[4:5], off, off offset:32
	v_pk_add_f32 v[2:3], v[2:3], v[6:7]
	s_waitcnt vmcnt(0)
	v_pk_add_f32 v[2:3], v[4:5], v[2:3] neg_lo:[0,1] neg_hi:[0,1]
	scratch_store_dwordx2 off, v[2:3], off offset:32
	s_and_saveexec_b64 s[0:1], vcc
	s_cbranch_execz .LBB94_193
; %bb.192:
	scratch_load_dwordx2 v[2:3], off, off offset:24
	v_mov_b32_e32 v4, 0
	v_mov_b32_e32 v5, v4
	scratch_store_dwordx2 off, v[4:5], off offset:24
	s_waitcnt vmcnt(1)
	ds_write_b64 v1, v[2:3]
.LBB94_193:
	s_or_b64 exec, exec, s[0:1]
	v_mov_b32_e32 v2, 0
	s_waitcnt lgkmcnt(0)
	; wave barrier
	ds_read_b128 v[4:7], v2 offset:288
	ds_read_b128 v[8:11], v2 offset:304
	;; [unrolled: 1-line block ×4, first 2 shown]
	scratch_load_dwordx4 v[20:23], off, off offset:32
	scratch_load_dwordx4 v[40:43], off, off offset:96
	;; [unrolled: 1-line block ×4, first 2 shown]
	v_cmp_lt_u32_e32 vcc, 2, v0
	scratch_load_dwordx4 v[48:51], off, off offset:112
	scratch_load_dwordx4 v[56:59], off, off offset:128
	scratch_load_dwordx4 v[64:67], off, off offset:144
	s_waitcnt vmcnt(6) lgkmcnt(3)
	v_mul_f32_e32 v3, v4, v21
	v_fmac_f32_e32 v3, v5, v20
	v_mul_f32_e32 v24, v6, v23
	v_add_f32_e32 v3, 0, v3
	v_fmac_f32_e32 v24, v7, v22
	v_add_f32_e32 v3, v3, v24
	scratch_load_dwordx4 v[24:27], off, off offset:48
	s_waitcnt vmcnt(0) lgkmcnt(2)
	v_mul_f32_e32 v28, v8, v25
	v_fmac_f32_e32 v28, v9, v24
	v_add_f32_e32 v3, v3, v28
	v_mul_f32_e32 v28, v10, v27
	v_fmac_f32_e32 v28, v11, v26
	v_add_f32_e32 v3, v3, v28
	scratch_load_dwordx4 v[28:31], off, off offset:64
	s_waitcnt vmcnt(0) lgkmcnt(1)
	v_mul_f32_e32 v32, v12, v29
	v_fmac_f32_e32 v32, v13, v28
	v_add_f32_e32 v3, v3, v32
	v_mul_f32_e32 v32, v14, v31
	;; [unrolled: 8-line block ×3, first 2 shown]
	v_fmac_f32_e32 v36, v19, v34
	v_add_f32_e32 v3, v3, v36
	ds_read_b128 v[36:39], v2 offset:352
	s_waitcnt lgkmcnt(0)
	v_mul_f32_e32 v44, v36, v41
	v_fmac_f32_e32 v44, v37, v40
	v_add_f32_e32 v3, v3, v44
	v_mul_f32_e32 v44, v38, v43
	v_fmac_f32_e32 v44, v39, v42
	v_add_f32_e32 v3, v3, v44
	ds_read_b128 v[44:47], v2 offset:368
	s_waitcnt lgkmcnt(0)
	v_mul_f32_e32 v52, v44, v49
	v_fmac_f32_e32 v52, v45, v48
	v_add_f32_e32 v3, v3, v52
	v_mul_f32_e32 v52, v46, v51
	;; [unrolled: 8-line block ×4, first 2 shown]
	v_fmac_f32_e32 v68, v63, v66
	v_add_f32_e32 v3, v3, v68
	ds_read_b128 v[68:71], v2 offset:416
	s_waitcnt lgkmcnt(0)
	v_mul_f32_e32 v76, v68, v73
	v_fmac_f32_e32 v76, v69, v72
	v_add_f32_e32 v97, v3, v76
	ds_read_b128 v[76:79], v2 offset:432
	scratch_load_dwordx4 v[84:87], off, off offset:192
	scratch_load_dwordx4 v[88:91], off, off offset:208
	;; [unrolled: 1-line block ×3, first 2 shown]
	scratch_load_dwordx2 v[164:165], off, off offset:240
	v_mul_f32_e32 v3, v5, v21
	v_fma_f32 v3, v4, v20, -v3
	v_mul_f32_e32 v4, v7, v23
	v_add_f32_e32 v3, 0, v3
	v_fma_f32 v4, v6, v22, -v4
	v_add_f32_e32 v3, v3, v4
	v_mul_f32_e32 v4, v9, v25
	v_fma_f32 v4, v8, v24, -v4
	v_add_f32_e32 v3, v3, v4
	v_mul_f32_e32 v4, v11, v27
	;; [unrolled: 3-line block ×15, first 2 shown]
	v_fma_f32 v4, v68, v72, -v4
	v_mul_f32_e32 v99, v70, v75
	v_add_f32_e32 v96, v3, v4
	v_mul_f32_e32 v3, v71, v75
	v_mov_b32_e32 v20, v83
	v_fmac_f32_e32 v99, v71, v74
	s_waitcnt lgkmcnt(0)
	v_mul_f32_e32 v163, v76, v81
	v_fma_f32 v98, v70, v74, -v3
	v_mul_f32_e32 v3, v77, v81
	ds_read_b128 v[4:7], v2 offset:448
	ds_read_b128 v[8:11], v2 offset:464
	ds_read_b128 v[12:15], v2 offset:480
	ds_read_b64 v[16:17], v2 offset:496
	v_pk_mul_f32 v[20:21], v[78:79], v[20:21] op_sel:[1,0] op_sel_hi:[0,0]
	v_fmac_f32_e32 v163, v77, v80
	v_fma_f32 v162, v76, v80, -v3
	v_pk_add_f32 v[18:19], v[96:97], v[98:99]
	v_pk_fma_f32 v[22:23], v[78:79], v[82:83], v[20:21] neg_lo:[0,0,1] neg_hi:[0,0,1]
	v_pk_fma_f32 v[20:21], v[78:79], v[82:83], v[20:21] op_sel_hi:[1,0,1]
	v_pk_add_f32 v[18:19], v[18:19], v[162:163]
	v_mov_b32_e32 v23, v21
	v_pk_add_f32 v[18:19], v[18:19], v[22:23]
	s_waitcnt vmcnt(3) lgkmcnt(3)
	v_pk_mul_f32 v[20:21], v[4:5], v[84:85] op_sel:[1,1] op_sel_hi:[0,1]
	v_pk_fma_f32 v[22:23], v[4:5], v[84:85], v[20:21] neg_lo:[0,0,1] neg_hi:[0,0,1]
	v_pk_fma_f32 v[4:5], v[4:5], v[84:85], v[20:21] op_sel_hi:[1,0,1]
	s_nop 0
	v_mov_b32_e32 v23, v5
	v_pk_add_f32 v[4:5], v[18:19], v[22:23]
	v_mov_b32_e32 v18, v87
	v_pk_mul_f32 v[18:19], v[6:7], v[18:19] op_sel:[1,0] op_sel_hi:[0,0]
	v_pk_fma_f32 v[20:21], v[6:7], v[86:87], v[18:19] neg_lo:[0,0,1] neg_hi:[0,0,1]
	v_pk_fma_f32 v[6:7], v[6:7], v[86:87], v[18:19] op_sel_hi:[1,0,1]
	s_nop 0
	v_mov_b32_e32 v21, v7
	s_waitcnt vmcnt(2) lgkmcnt(2)
	v_pk_mul_f32 v[6:7], v[8:9], v[88:89] op_sel:[1,1] op_sel_hi:[0,1]
	v_pk_fma_f32 v[18:19], v[8:9], v[88:89], v[6:7] neg_lo:[0,0,1] neg_hi:[0,0,1]
	v_pk_fma_f32 v[6:7], v[8:9], v[88:89], v[6:7] op_sel_hi:[1,0,1]
	v_pk_add_f32 v[4:5], v[4:5], v[20:21]
	v_mov_b32_e32 v6, v91
	v_mov_b32_e32 v19, v7
	v_pk_mul_f32 v[6:7], v[10:11], v[6:7] op_sel:[1,0] op_sel_hi:[0,0]
	v_pk_fma_f32 v[8:9], v[10:11], v[90:91], v[6:7] neg_lo:[0,0,1] neg_hi:[0,0,1]
	v_pk_fma_f32 v[6:7], v[10:11], v[90:91], v[6:7] op_sel_hi:[1,0,1]
	v_pk_add_f32 v[4:5], v[4:5], v[18:19]
	v_mov_b32_e32 v9, v7
	s_waitcnt vmcnt(1) lgkmcnt(1)
	v_pk_mul_f32 v[6:7], v[12:13], v[92:93] op_sel:[1,1] op_sel_hi:[0,1]
	v_pk_add_f32 v[4:5], v[4:5], v[8:9]
	v_pk_fma_f32 v[8:9], v[12:13], v[92:93], v[6:7] neg_lo:[0,0,1] neg_hi:[0,0,1]
	v_pk_fma_f32 v[6:7], v[12:13], v[92:93], v[6:7] op_sel_hi:[1,0,1]
	s_nop 0
	v_mov_b32_e32 v6, v95
	v_mov_b32_e32 v9, v7
	v_pk_mul_f32 v[6:7], v[14:15], v[6:7] op_sel:[1,0] op_sel_hi:[0,0]
	v_pk_add_f32 v[4:5], v[4:5], v[8:9]
	v_pk_fma_f32 v[8:9], v[14:15], v[94:95], v[6:7] neg_lo:[0,0,1] neg_hi:[0,0,1]
	v_pk_fma_f32 v[6:7], v[14:15], v[94:95], v[6:7] op_sel_hi:[1,0,1]
	s_nop 0
	v_mov_b32_e32 v9, v7
	s_waitcnt vmcnt(0) lgkmcnt(0)
	v_pk_mul_f32 v[6:7], v[16:17], v[164:165] op_sel:[1,1] op_sel_hi:[0,1]
	v_pk_add_f32 v[4:5], v[4:5], v[8:9]
	v_pk_fma_f32 v[8:9], v[16:17], v[164:165], v[6:7] neg_lo:[0,0,1] neg_hi:[0,0,1]
	v_pk_fma_f32 v[6:7], v[16:17], v[164:165], v[6:7] op_sel_hi:[1,0,1]
	s_nop 0
	v_mov_b32_e32 v9, v7
	scratch_load_dwordx2 v[6:7], off, off offset:24
	v_pk_add_f32 v[4:5], v[4:5], v[8:9]
	s_waitcnt vmcnt(0)
	v_pk_add_f32 v[4:5], v[6:7], v[4:5] neg_lo:[0,1] neg_hi:[0,1]
	scratch_store_dwordx2 off, v[4:5], off offset:24
	s_and_saveexec_b64 s[0:1], vcc
	s_cbranch_execz .LBB94_195
; %bb.194:
	scratch_load_dwordx2 v[4:5], off, off offset:16
	v_mov_b32_e32 v3, v2
	scratch_store_dwordx2 off, v[2:3], off offset:16
	s_waitcnt vmcnt(1)
	ds_write_b64 v1, v[4:5]
.LBB94_195:
	s_or_b64 exec, exec, s[0:1]
	s_waitcnt lgkmcnt(0)
	; wave barrier
	scratch_load_dwordx4 v[8:11], off, off offset:24
	scratch_load_dwordx4 v[16:19], off, off offset:40
	;; [unrolled: 1-line block ×10, first 2 shown]
	ds_read2_b64 v[4:7], v2 offset0:35 offset1:36
	v_cmp_lt_u32_e32 vcc, 1, v0
	s_waitcnt vmcnt(9) lgkmcnt(0)
	v_mul_f32_e32 v3, v4, v9
	v_fmac_f32_e32 v3, v5, v8
	v_mul_f32_e32 v12, v6, v11
	v_add_f32_e32 v3, 0, v3
	v_fmac_f32_e32 v12, v7, v10
	v_add_f32_e32 v3, v3, v12
	ds_read2_b64 v[12:15], v2 offset0:37 offset1:38
	s_waitcnt vmcnt(8) lgkmcnt(0)
	v_mul_f32_e32 v20, v12, v17
	v_fmac_f32_e32 v20, v13, v16
	v_add_f32_e32 v3, v3, v20
	v_mul_f32_e32 v20, v14, v19
	v_fmac_f32_e32 v20, v15, v18
	v_add_f32_e32 v3, v3, v20
	ds_read2_b64 v[20:23], v2 offset0:39 offset1:40
	s_waitcnt vmcnt(7) lgkmcnt(0)
	v_mul_f32_e32 v28, v20, v25
	v_fmac_f32_e32 v28, v21, v24
	v_add_f32_e32 v3, v3, v28
	v_mul_f32_e32 v28, v22, v27
	;; [unrolled: 8-line block ×8, first 2 shown]
	v_fmac_f32_e32 v76, v71, v74
	v_add_f32_e32 v163, v3, v76
	ds_read2_b64 v[76:79], v2 offset0:53 offset1:54
	scratch_load_dwordx4 v[84:87], off, off offset:184
	scratch_load_dwordx4 v[88:91], off, off offset:200
	;; [unrolled: 1-line block ×4, first 2 shown]
	v_mul_f32_e32 v3, v5, v9
	v_fma_f32 v3, v4, v8, -v3
	v_mul_f32_e32 v4, v7, v11
	v_add_f32_e32 v3, 0, v3
	v_fma_f32 v4, v6, v10, -v4
	v_add_f32_e32 v3, v3, v4
	v_mul_f32_e32 v4, v13, v17
	v_fma_f32 v4, v12, v16, -v4
	v_add_f32_e32 v3, v3, v4
	v_mul_f32_e32 v4, v15, v19
	;; [unrolled: 3-line block ×16, first 2 shown]
	v_fma_f32 v4, v70, v74, -v4
	v_add_f32_e32 v162, v3, v4
	ds_read2_b64 v[4:7], v2 offset0:55 offset1:56
	ds_read2_b64 v[8:11], v2 offset0:57 offset1:58
	ds_read2_b64 v[12:15], v2 offset0:59 offset1:60
	ds_read2_b64 v[16:19], v2 offset0:61 offset1:62
	s_waitcnt vmcnt(4) lgkmcnt(4)
	v_mul_f32_e32 v165, v76, v81
	v_mul_f32_e32 v3, v77, v81
	v_fmac_f32_e32 v165, v77, v80
	v_mul_f32_e32 v167, v78, v83
	v_fma_f32 v164, v76, v80, -v3
	v_mul_f32_e32 v3, v79, v83
	v_fmac_f32_e32 v167, v79, v82
	v_fma_f32 v166, v78, v82, -v3
	v_pk_add_f32 v[2:3], v[162:163], v[164:165]
	s_waitcnt vmcnt(3) lgkmcnt(3)
	v_pk_mul_f32 v[20:21], v[4:5], v[84:85] op_sel:[1,1] op_sel_hi:[0,1]
	v_pk_fma_f32 v[22:23], v[4:5], v[84:85], v[20:21] neg_lo:[0,0,1] neg_hi:[0,0,1]
	v_pk_fma_f32 v[4:5], v[4:5], v[84:85], v[20:21] op_sel_hi:[1,0,1]
	v_pk_add_f32 v[2:3], v[2:3], v[166:167]
	v_mov_b32_e32 v4, v87
	v_mov_b32_e32 v23, v5
	v_pk_mul_f32 v[4:5], v[6:7], v[4:5] op_sel:[1,0] op_sel_hi:[0,0]
	v_pk_fma_f32 v[20:21], v[6:7], v[86:87], v[4:5] neg_lo:[0,0,1] neg_hi:[0,0,1]
	v_pk_fma_f32 v[4:5], v[6:7], v[86:87], v[4:5] op_sel_hi:[1,0,1]
	v_pk_add_f32 v[2:3], v[2:3], v[22:23]
	v_mov_b32_e32 v21, v5
	s_waitcnt vmcnt(2) lgkmcnt(2)
	v_pk_mul_f32 v[4:5], v[8:9], v[88:89] op_sel:[1,1] op_sel_hi:[0,1]
	v_pk_fma_f32 v[6:7], v[8:9], v[88:89], v[4:5] neg_lo:[0,0,1] neg_hi:[0,0,1]
	v_pk_fma_f32 v[4:5], v[8:9], v[88:89], v[4:5] op_sel_hi:[1,0,1]
	v_pk_add_f32 v[2:3], v[2:3], v[20:21]
	v_mov_b32_e32 v4, v91
	v_mov_b32_e32 v7, v5
	v_pk_mul_f32 v[4:5], v[10:11], v[4:5] op_sel:[1,0] op_sel_hi:[0,0]
	v_pk_add_f32 v[2:3], v[2:3], v[6:7]
	v_pk_fma_f32 v[6:7], v[10:11], v[90:91], v[4:5] neg_lo:[0,0,1] neg_hi:[0,0,1]
	v_pk_fma_f32 v[4:5], v[10:11], v[90:91], v[4:5] op_sel_hi:[1,0,1]
	s_nop 0
	v_mov_b32_e32 v7, v5
	s_waitcnt vmcnt(1) lgkmcnt(1)
	v_pk_mul_f32 v[4:5], v[12:13], v[92:93] op_sel:[1,1] op_sel_hi:[0,1]
	v_pk_add_f32 v[2:3], v[2:3], v[6:7]
	v_pk_fma_f32 v[6:7], v[12:13], v[92:93], v[4:5] neg_lo:[0,0,1] neg_hi:[0,0,1]
	v_pk_fma_f32 v[4:5], v[12:13], v[92:93], v[4:5] op_sel_hi:[1,0,1]
	s_nop 0
	v_mov_b32_e32 v4, v95
	v_mov_b32_e32 v7, v5
	v_pk_mul_f32 v[4:5], v[14:15], v[4:5] op_sel:[1,0] op_sel_hi:[0,0]
	v_pk_add_f32 v[2:3], v[2:3], v[6:7]
	v_pk_fma_f32 v[6:7], v[14:15], v[94:95], v[4:5] neg_lo:[0,0,1] neg_hi:[0,0,1]
	v_pk_fma_f32 v[4:5], v[14:15], v[94:95], v[4:5] op_sel_hi:[1,0,1]
	s_nop 0
	v_mov_b32_e32 v7, v5
	s_waitcnt vmcnt(0) lgkmcnt(0)
	v_pk_mul_f32 v[4:5], v[16:17], v[96:97] op_sel:[1,1] op_sel_hi:[0,1]
	v_pk_add_f32 v[2:3], v[2:3], v[6:7]
	v_pk_fma_f32 v[6:7], v[16:17], v[96:97], v[4:5] neg_lo:[0,0,1] neg_hi:[0,0,1]
	v_pk_fma_f32 v[4:5], v[16:17], v[96:97], v[4:5] op_sel_hi:[1,0,1]
	s_nop 0
	v_mov_b32_e32 v4, v99
	v_mov_b32_e32 v7, v5
	v_pk_mul_f32 v[4:5], v[18:19], v[4:5] op_sel:[1,0] op_sel_hi:[0,0]
	v_pk_add_f32 v[2:3], v[2:3], v[6:7]
	v_pk_fma_f32 v[6:7], v[18:19], v[98:99], v[4:5] neg_lo:[0,0,1] neg_hi:[0,0,1]
	v_pk_fma_f32 v[4:5], v[18:19], v[98:99], v[4:5] op_sel_hi:[1,0,1]
	s_nop 0
	v_mov_b32_e32 v7, v5
	scratch_load_dwordx2 v[4:5], off, off offset:16
	v_pk_add_f32 v[2:3], v[2:3], v[6:7]
	s_waitcnt vmcnt(0)
	v_pk_add_f32 v[2:3], v[4:5], v[2:3] neg_lo:[0,1] neg_hi:[0,1]
	scratch_store_dwordx2 off, v[2:3], off offset:16
	s_and_saveexec_b64 s[0:1], vcc
	s_cbranch_execz .LBB94_197
; %bb.196:
	scratch_load_dwordx2 v[2:3], off, off offset:8
	v_mov_b32_e32 v4, 0
	v_mov_b32_e32 v5, v4
	scratch_store_dwordx2 off, v[4:5], off offset:8
	s_waitcnt vmcnt(1)
	ds_write_b64 v1, v[2:3]
.LBB94_197:
	s_or_b64 exec, exec, s[0:1]
	s_waitcnt lgkmcnt(0)
	; wave barrier
	scratch_load_dwordx4 v[26:29], off, off offset:16
	scratch_load_dwordx4 v[2:5], off, off offset:32
	;; [unrolled: 1-line block ×14, first 2 shown]
	scratch_load_dwordx2 v[58:59], off, off offset:240
	scratch_load_dwordx2 v[172:173], off, off offset:8
	v_mov_b32_e32 v162, 0
	ds_read_b128 v[60:63], v162 offset:272
	ds_read_b128 v[64:67], v162 offset:288
	;; [unrolled: 1-line block ×12, first 2 shown]
	v_cmp_ne_u32_e32 vcc, 0, v0
	s_waitcnt vmcnt(15) lgkmcnt(11)
	v_mul_f32_e32 v163, v60, v27
	v_mul_f32_e32 v174, v62, v29
	s_waitcnt vmcnt(14) lgkmcnt(10)
	v_mul_f32_e32 v176, v64, v3
	v_mul_f32_e32 v3, v65, v3
	v_fmac_f32_e32 v163, v61, v26
	v_fmac_f32_e32 v174, v63, v28
	;; [unrolled: 1-line block ×3, first 2 shown]
	v_fma_f32 v2, v64, v2, -v3
	v_add_f32_e32 v3, 0, v163
	v_mul_f32_e32 v178, v66, v5
	v_add_f32_e32 v3, v3, v174
	s_waitcnt vmcnt(13) lgkmcnt(9)
	v_mul_f32_e32 v179, v68, v7
	v_fmac_f32_e32 v178, v67, v4
	v_add_f32_e32 v3, v3, v176
	v_mul_f32_e32 v180, v70, v9
	v_fmac_f32_e32 v179, v69, v6
	v_add_f32_e32 v3, v3, v178
	s_waitcnt vmcnt(12) lgkmcnt(8)
	v_mul_f32_e32 v181, v72, v11
	v_fmac_f32_e32 v180, v71, v8
	v_add_f32_e32 v3, v3, v179
	v_mul_f32_e32 v182, v74, v13
	v_fmac_f32_e32 v181, v73, v10
	;; [unrolled: 7-line block ×6, first 2 shown]
	v_add_f32_e32 v3, v3, v188
	s_waitcnt vmcnt(7) lgkmcnt(3)
	v_mul_f32_e32 v191, v92, v43
	v_fmac_f32_e32 v190, v91, v40
	v_add_f32_e32 v3, v3, v189
	v_mul_f32_e32 v192, v94, v45
	v_mul_f32_e32 v27, v61, v27
	v_fmac_f32_e32 v191, v93, v42
	v_add_f32_e32 v3, v3, v190
	s_waitcnt vmcnt(6) lgkmcnt(2)
	v_mul_f32_e32 v193, v96, v51
	v_mul_f32_e32 v29, v63, v29
	v_fmac_f32_e32 v192, v95, v44
	v_fma_f32 v26, v60, v26, -v27
	v_add_f32_e32 v3, v3, v191
	v_fmac_f32_e32 v193, v97, v50
	v_fma_f32 v27, v62, v28, -v29
	v_add_f32_e32 v26, 0, v26
	v_add_f32_e32 v3, v3, v192
	;; [unrolled: 1-line block ×4, first 2 shown]
	v_mul_f32_e32 v3, v67, v5
	v_add_f32_e32 v2, v26, v2
	v_fma_f32 v3, v66, v4, -v3
	v_add_f32_e32 v2, v2, v3
	v_mul_f32_e32 v3, v69, v7
	v_fma_f32 v3, v68, v6, -v3
	v_add_f32_e32 v2, v2, v3
	v_mul_f32_e32 v3, v71, v9
	;; [unrolled: 3-line block ×15, first 2 shown]
	v_fma_f32 v3, v96, v50, -v3
	v_mul_f32_e32 v175, v98, v53
	v_add_f32_e32 v26, v2, v3
	v_mul_f32_e32 v2, v99, v53
	s_waitcnt vmcnt(5)
	v_mov_b32_e32 v14, v57
	s_waitcnt lgkmcnt(1)
	v_mul_f32_e32 v177, v164, v55
	v_fmac_f32_e32 v175, v99, v52
	v_fma_f32 v174, v98, v52, -v2
	v_mul_f32_e32 v2, v165, v55
	v_pk_mul_f32 v[14:15], v[166:167], v[14:15] op_sel:[1,0] op_sel_hi:[0,0]
	v_fmac_f32_e32 v177, v165, v54
	v_fma_f32 v176, v164, v54, -v2
	v_pk_add_f32 v[12:13], v[26:27], v[174:175]
	v_pk_fma_f32 v[16:17], v[166:167], v[56:57], v[14:15] neg_lo:[0,0,1] neg_hi:[0,0,1]
	v_pk_fma_f32 v[14:15], v[166:167], v[56:57], v[14:15] op_sel_hi:[1,0,1]
	v_pk_add_f32 v[12:13], v[12:13], v[176:177]
	v_mov_b32_e32 v17, v15
	s_waitcnt vmcnt(4) lgkmcnt(0)
	v_pk_mul_f32 v[14:15], v[168:169], v[46:47] op_sel:[1,1] op_sel_hi:[0,1]
	v_pk_add_f32 v[12:13], v[12:13], v[16:17]
	v_pk_fma_f32 v[16:17], v[168:169], v[46:47], v[14:15] neg_lo:[0,0,1] neg_hi:[0,0,1]
	v_pk_fma_f32 v[14:15], v[168:169], v[46:47], v[14:15] op_sel_hi:[1,0,1]
	ds_read_b128 v[2:5], v162 offset:464
	ds_read_b128 v[6:9], v162 offset:480
	ds_read_b64 v[10:11], v162 offset:496
	v_mov_b32_e32 v14, v49
	v_mov_b32_e32 v17, v15
	v_pk_mul_f32 v[14:15], v[170:171], v[14:15] op_sel:[1,0] op_sel_hi:[0,0]
	v_pk_add_f32 v[12:13], v[12:13], v[16:17]
	v_pk_fma_f32 v[16:17], v[170:171], v[48:49], v[14:15] neg_lo:[0,0,1] neg_hi:[0,0,1]
	v_pk_fma_f32 v[14:15], v[170:171], v[48:49], v[14:15] op_sel_hi:[1,0,1]
	s_nop 0
	v_mov_b32_e32 v17, v15
	s_waitcnt vmcnt(3) lgkmcnt(2)
	v_pk_mul_f32 v[14:15], v[2:3], v[34:35] op_sel:[1,1] op_sel_hi:[0,1]
	v_pk_add_f32 v[12:13], v[12:13], v[16:17]
	v_pk_fma_f32 v[16:17], v[2:3], v[34:35], v[14:15] neg_lo:[0,0,1] neg_hi:[0,0,1]
	v_pk_fma_f32 v[2:3], v[2:3], v[34:35], v[14:15] op_sel_hi:[1,0,1]
	s_nop 0
	v_mov_b32_e32 v17, v3
	v_pk_add_f32 v[2:3], v[12:13], v[16:17]
	v_mov_b32_e32 v12, v37
	v_pk_mul_f32 v[12:13], v[4:5], v[12:13] op_sel:[1,0] op_sel_hi:[0,0]
	v_pk_fma_f32 v[14:15], v[4:5], v[36:37], v[12:13] neg_lo:[0,0,1] neg_hi:[0,0,1]
	v_pk_fma_f32 v[4:5], v[4:5], v[36:37], v[12:13] op_sel_hi:[1,0,1]
	s_nop 0
	v_mov_b32_e32 v15, v5
	s_waitcnt vmcnt(2) lgkmcnt(1)
	v_pk_mul_f32 v[4:5], v[6:7], v[18:19] op_sel:[1,1] op_sel_hi:[0,1]
	v_pk_fma_f32 v[12:13], v[6:7], v[18:19], v[4:5] neg_lo:[0,0,1] neg_hi:[0,0,1]
	v_pk_fma_f32 v[4:5], v[6:7], v[18:19], v[4:5] op_sel_hi:[1,0,1]
	v_pk_add_f32 v[2:3], v[2:3], v[14:15]
	v_mov_b32_e32 v4, v21
	v_mov_b32_e32 v13, v5
	v_pk_mul_f32 v[4:5], v[8:9], v[4:5] op_sel:[1,0] op_sel_hi:[0,0]
	v_pk_fma_f32 v[6:7], v[8:9], v[20:21], v[4:5] neg_lo:[0,0,1] neg_hi:[0,0,1]
	v_pk_fma_f32 v[4:5], v[8:9], v[20:21], v[4:5] op_sel_hi:[1,0,1]
	v_pk_add_f32 v[2:3], v[2:3], v[12:13]
	v_mov_b32_e32 v7, v5
	s_waitcnt vmcnt(1) lgkmcnt(0)
	v_pk_mul_f32 v[4:5], v[10:11], v[58:59] op_sel:[1,1] op_sel_hi:[0,1]
	v_pk_add_f32 v[2:3], v[2:3], v[6:7]
	v_pk_fma_f32 v[6:7], v[10:11], v[58:59], v[4:5] neg_lo:[0,0,1] neg_hi:[0,0,1]
	v_pk_fma_f32 v[4:5], v[10:11], v[58:59], v[4:5] op_sel_hi:[1,0,1]
	s_nop 0
	v_mov_b32_e32 v7, v5
	v_pk_add_f32 v[2:3], v[2:3], v[6:7]
	s_waitcnt vmcnt(0)
	v_pk_add_f32 v[2:3], v[172:173], v[2:3] neg_lo:[0,1] neg_hi:[0,1]
	scratch_store_dwordx2 off, v[2:3], off offset:8
	s_and_saveexec_b64 s[0:1], vcc
	s_cbranch_execz .LBB94_199
; %bb.198:
	scratch_load_dwordx2 v[2:3], off, off
	v_mov_b32_e32 v163, v162
	scratch_store_dwordx2 off, v[162:163], off
	s_waitcnt vmcnt(1)
	ds_write_b64 v1, v[2:3]
.LBB94_199:
	s_or_b64 exec, exec, s[0:1]
	s_waitcnt lgkmcnt(0)
	; wave barrier
	scratch_load_dwordx4 v[16:19], off, off offset:8
	scratch_load_dwordx4 v[0:3], off, off offset:24
	;; [unrolled: 1-line block ×11, first 2 shown]
	ds_read2_b64 v[164:167], v162 offset0:33 offset1:34
	ds_read2_b64 v[96:99], v162 offset0:35 offset1:36
	;; [unrolled: 1-line block ×10, first 2 shown]
	scratch_load_dwordx4 v[56:59], off, off offset:184
	scratch_load_dwordx4 v[48:51], off, off offset:200
	scratch_load_dwordx4 v[36:39], off, off offset:216
	scratch_load_dwordx4 v[24:27], off, off offset:232
	ds_read2_b64 v[76:79], v162 offset0:53 offset1:54
	ds_read2_b64 v[168:171], v162 offset0:55 offset1:56
	scratch_load_dwordx2 v[172:173], off, off
	s_and_b64 vcc, exec, s[10:11]
	s_waitcnt vmcnt(15) lgkmcnt(11)
	v_mul_f32_e32 v163, v164, v17
	v_mul_f32_e32 v174, v166, v19
	s_waitcnt vmcnt(14) lgkmcnt(10)
	v_mul_f32_e32 v176, v96, v1
	v_mul_f32_e32 v1, v97, v1
	v_fmac_f32_e32 v163, v165, v16
	v_fmac_f32_e32 v174, v167, v18
	v_fmac_f32_e32 v176, v97, v0
	v_fma_f32 v0, v96, v0, -v1
	v_add_f32_e32 v1, 0, v163
	v_mul_f32_e32 v178, v98, v3
	v_add_f32_e32 v1, v1, v174
	s_waitcnt vmcnt(13) lgkmcnt(9)
	v_mul_f32_e32 v179, v92, v5
	v_fmac_f32_e32 v178, v99, v2
	v_add_f32_e32 v1, v1, v176
	v_mul_f32_e32 v180, v94, v7
	v_fmac_f32_e32 v179, v93, v4
	v_add_f32_e32 v1, v1, v178
	s_waitcnt vmcnt(12) lgkmcnt(8)
	v_mul_f32_e32 v181, v88, v9
	v_fmac_f32_e32 v180, v95, v6
	v_add_f32_e32 v1, v1, v179
	v_mul_f32_e32 v182, v90, v11
	v_fmac_f32_e32 v181, v89, v8
	v_add_f32_e32 v1, v1, v180
	s_waitcnt vmcnt(11) lgkmcnt(7)
	v_mul_f32_e32 v183, v84, v13
	v_fmac_f32_e32 v182, v91, v10
	v_add_f32_e32 v1, v1, v181
	v_mul_f32_e32 v184, v86, v15
	v_fmac_f32_e32 v183, v85, v12
	v_add_f32_e32 v1, v1, v182
	s_waitcnt vmcnt(10) lgkmcnt(6)
	v_mul_f32_e32 v185, v80, v21
	v_fmac_f32_e32 v184, v87, v14
	v_add_f32_e32 v1, v1, v183
	v_mul_f32_e32 v186, v82, v23
	v_fmac_f32_e32 v185, v81, v20
	v_add_f32_e32 v1, v1, v184
	s_waitcnt vmcnt(9) lgkmcnt(5)
	v_mul_f32_e32 v187, v72, v29
	v_fmac_f32_e32 v186, v83, v22
	v_add_f32_e32 v1, v1, v185
	v_mul_f32_e32 v188, v74, v31
	v_fmac_f32_e32 v187, v73, v28
	v_add_f32_e32 v1, v1, v186
	s_waitcnt vmcnt(8) lgkmcnt(4)
	v_mul_f32_e32 v189, v68, v33
	v_fmac_f32_e32 v188, v75, v30
	v_add_f32_e32 v1, v1, v187
	v_mul_f32_e32 v190, v70, v35
	v_fmac_f32_e32 v189, v69, v32
	v_add_f32_e32 v1, v1, v188
	s_waitcnt vmcnt(7) lgkmcnt(3)
	v_mul_f32_e32 v191, v64, v41
	v_fmac_f32_e32 v190, v71, v34
	v_add_f32_e32 v1, v1, v189
	v_mul_f32_e32 v192, v66, v43
	v_fmac_f32_e32 v191, v65, v40
	v_add_f32_e32 v1, v1, v190
	s_waitcnt vmcnt(6) lgkmcnt(2)
	v_mul_f32_e32 v193, v60, v45
	v_mul_f32_e32 v17, v165, v17
	v_fmac_f32_e32 v192, v67, v42
	v_add_f32_e32 v1, v1, v191
	v_mul_f32_e32 v194, v62, v47
	v_mul_f32_e32 v19, v167, v19
	v_fmac_f32_e32 v193, v61, v44
	v_fma_f32 v16, v164, v16, -v17
	v_add_f32_e32 v1, v1, v192
	v_fmac_f32_e32 v194, v63, v46
	v_fma_f32 v17, v166, v18, -v19
	v_add_f32_e32 v16, 0, v16
	v_add_f32_e32 v1, v1, v193
	v_add_f32_e32 v16, v16, v17
	v_add_f32_e32 v17, v1, v194
	v_mul_f32_e32 v1, v99, v3
	v_add_f32_e32 v0, v16, v0
	v_fma_f32 v1, v98, v2, -v1
	v_add_f32_e32 v0, v0, v1
	v_mul_f32_e32 v1, v93, v5
	v_fma_f32 v1, v92, v4, -v1
	v_add_f32_e32 v0, v0, v1
	v_mul_f32_e32 v1, v95, v7
	;; [unrolled: 3-line block ×16, first 2 shown]
	v_fma_f32 v1, v62, v46, -v1
	s_waitcnt vmcnt(5) lgkmcnt(1)
	v_mul_f32_e32 v175, v76, v53
	v_add_f32_e32 v16, v0, v1
	v_mul_f32_e32 v0, v77, v53
	v_fmac_f32_e32 v175, v77, v52
	v_fma_f32 v174, v76, v52, -v0
	s_waitcnt vmcnt(4) lgkmcnt(0)
	v_pk_mul_f32 v[14:15], v[168:169], v[56:57] op_sel:[1,1] op_sel_hi:[0,1]
	v_mul_f32_e32 v177, v78, v55
	v_mul_f32_e32 v0, v79, v55
	v_pk_add_f32 v[12:13], v[16:17], v[174:175]
	v_pk_fma_f32 v[16:17], v[168:169], v[56:57], v[14:15] neg_lo:[0,0,1] neg_hi:[0,0,1]
	v_pk_fma_f32 v[14:15], v[168:169], v[56:57], v[14:15] op_sel_hi:[1,0,1]
	v_fmac_f32_e32 v177, v79, v54
	v_fma_f32 v176, v78, v54, -v0
	ds_read2_b64 v[0:3], v162 offset0:57 offset1:58
	ds_read2_b64 v[4:7], v162 offset0:59 offset1:60
	;; [unrolled: 1-line block ×3, first 2 shown]
	v_mov_b32_e32 v14, v59
	v_pk_add_f32 v[12:13], v[12:13], v[176:177]
	v_mov_b32_e32 v17, v15
	v_pk_mul_f32 v[14:15], v[170:171], v[14:15] op_sel:[1,0] op_sel_hi:[0,0]
	v_pk_add_f32 v[12:13], v[12:13], v[16:17]
	v_pk_fma_f32 v[16:17], v[170:171], v[58:59], v[14:15] neg_lo:[0,0,1] neg_hi:[0,0,1]
	v_pk_fma_f32 v[14:15], v[170:171], v[58:59], v[14:15] op_sel_hi:[1,0,1]
	s_nop 0
	v_mov_b32_e32 v17, v15
	s_waitcnt vmcnt(3) lgkmcnt(2)
	v_pk_mul_f32 v[14:15], v[0:1], v[48:49] op_sel:[1,1] op_sel_hi:[0,1]
	v_pk_add_f32 v[12:13], v[12:13], v[16:17]
	v_pk_fma_f32 v[16:17], v[0:1], v[48:49], v[14:15] neg_lo:[0,0,1] neg_hi:[0,0,1]
	v_pk_fma_f32 v[0:1], v[0:1], v[48:49], v[14:15] op_sel_hi:[1,0,1]
	s_nop 0
	v_mov_b32_e32 v17, v1
	v_pk_add_f32 v[0:1], v[12:13], v[16:17]
	v_mov_b32_e32 v12, v51
	v_pk_mul_f32 v[12:13], v[2:3], v[12:13] op_sel:[1,0] op_sel_hi:[0,0]
	v_pk_fma_f32 v[14:15], v[2:3], v[50:51], v[12:13] neg_lo:[0,0,1] neg_hi:[0,0,1]
	v_pk_fma_f32 v[2:3], v[2:3], v[50:51], v[12:13] op_sel_hi:[1,0,1]
	s_nop 0
	v_mov_b32_e32 v15, v3
	s_waitcnt vmcnt(2) lgkmcnt(1)
	v_pk_mul_f32 v[2:3], v[4:5], v[36:37] op_sel:[1,1] op_sel_hi:[0,1]
	v_pk_fma_f32 v[12:13], v[4:5], v[36:37], v[2:3] neg_lo:[0,0,1] neg_hi:[0,0,1]
	v_pk_fma_f32 v[2:3], v[4:5], v[36:37], v[2:3] op_sel_hi:[1,0,1]
	v_pk_add_f32 v[0:1], v[0:1], v[14:15]
	v_mov_b32_e32 v2, v39
	v_mov_b32_e32 v13, v3
	v_pk_mul_f32 v[2:3], v[6:7], v[2:3] op_sel:[1,0] op_sel_hi:[0,0]
	v_pk_fma_f32 v[4:5], v[6:7], v[38:39], v[2:3] neg_lo:[0,0,1] neg_hi:[0,0,1]
	v_pk_fma_f32 v[2:3], v[6:7], v[38:39], v[2:3] op_sel_hi:[1,0,1]
	v_pk_add_f32 v[0:1], v[0:1], v[12:13]
	v_mov_b32_e32 v5, v3
	s_waitcnt vmcnt(1) lgkmcnt(0)
	v_pk_mul_f32 v[2:3], v[8:9], v[24:25] op_sel:[1,1] op_sel_hi:[0,1]
	v_pk_add_f32 v[0:1], v[0:1], v[4:5]
	v_pk_fma_f32 v[4:5], v[8:9], v[24:25], v[2:3] neg_lo:[0,0,1] neg_hi:[0,0,1]
	v_pk_fma_f32 v[2:3], v[8:9], v[24:25], v[2:3] op_sel_hi:[1,0,1]
	s_nop 0
	v_mov_b32_e32 v2, v27
	v_mov_b32_e32 v5, v3
	v_pk_mul_f32 v[2:3], v[10:11], v[2:3] op_sel:[1,0] op_sel_hi:[0,0]
	v_pk_add_f32 v[0:1], v[0:1], v[4:5]
	v_pk_fma_f32 v[4:5], v[10:11], v[26:27], v[2:3] neg_lo:[0,0,1] neg_hi:[0,0,1]
	v_pk_fma_f32 v[2:3], v[10:11], v[26:27], v[2:3] op_sel_hi:[1,0,1]
	s_nop 0
	v_mov_b32_e32 v5, v3
	v_pk_add_f32 v[0:1], v[0:1], v[4:5]
	s_waitcnt vmcnt(0)
	v_pk_add_f32 v[0:1], v[172:173], v[0:1] neg_lo:[0,1] neg_hi:[0,1]
	scratch_store_dwordx2 off, v[0:1], off
	s_cbranch_vccz .LBB94_260
; %bb.200:
	v_mov_b32_e32 v0, 0
	global_load_dword v1, v0, s[8:9] offset:116
	s_waitcnt vmcnt(0)
	v_readfirstlane_b32 s0, v1
	s_add_i32 s0, s0, -1
	s_cmp_lg_u32 s0, 29
	s_cbranch_scc0 .LBB94_202
; %bb.201:
	s_lshl_b32 s0, s0, 3
	s_nop 0
	scratch_load_dwordx2 v[2:3], off, s0
	scratch_load_dwordx2 v[4:5], off, off offset:232
	s_waitcnt vmcnt(1)
	scratch_store_dwordx2 off, v[2:3], off offset:232
	s_waitcnt vmcnt(1)
	scratch_store_dwordx2 off, v[4:5], s0
.LBB94_202:
	global_load_dword v0, v0, s[8:9] offset:112
	s_waitcnt vmcnt(0)
	v_readfirstlane_b32 s0, v0
	s_add_i32 s0, s0, -1
	s_cmp_eq_u32 s0, 28
	s_cbranch_scc1 .LBB94_204
; %bb.203:
	s_lshl_b32 s0, s0, 3
	s_nop 0
	scratch_load_dwordx2 v[0:1], off, s0
	scratch_load_dwordx2 v[2:3], off, off offset:224
	s_waitcnt vmcnt(1)
	scratch_store_dwordx2 off, v[0:1], off offset:224
	s_waitcnt vmcnt(1)
	scratch_store_dwordx2 off, v[2:3], s0
.LBB94_204:
	v_mov_b32_e32 v0, 0
	global_load_dword v1, v0, s[8:9] offset:108
	s_waitcnt vmcnt(0)
	v_readfirstlane_b32 s0, v1
	s_add_i32 s0, s0, -1
	s_cmp_eq_u32 s0, 27
	s_cbranch_scc1 .LBB94_206
; %bb.205:
	s_lshl_b32 s0, s0, 3
	s_nop 0
	scratch_load_dwordx2 v[2:3], off, s0
	scratch_load_dwordx2 v[4:5], off, off offset:216
	s_waitcnt vmcnt(1)
	scratch_store_dwordx2 off, v[2:3], off offset:216
	s_waitcnt vmcnt(1)
	scratch_store_dwordx2 off, v[4:5], s0
.LBB94_206:
	global_load_dword v0, v0, s[8:9] offset:104
	s_waitcnt vmcnt(0)
	v_readfirstlane_b32 s0, v0
	s_add_i32 s0, s0, -1
	s_cmp_eq_u32 s0, 26
	s_cbranch_scc1 .LBB94_208
; %bb.207:
	s_lshl_b32 s0, s0, 3
	s_nop 0
	scratch_load_dwordx2 v[0:1], off, s0
	scratch_load_dwordx2 v[2:3], off, off offset:208
	s_waitcnt vmcnt(1)
	scratch_store_dwordx2 off, v[0:1], off offset:208
	s_waitcnt vmcnt(1)
	scratch_store_dwordx2 off, v[2:3], s0
.LBB94_208:
	v_mov_b32_e32 v0, 0
	global_load_dword v1, v0, s[8:9] offset:100
	s_waitcnt vmcnt(0)
	v_readfirstlane_b32 s0, v1
	s_add_i32 s0, s0, -1
	s_cmp_eq_u32 s0, 25
	s_cbranch_scc1 .LBB94_210
; %bb.209:
	s_lshl_b32 s0, s0, 3
	s_nop 0
	scratch_load_dwordx2 v[2:3], off, s0
	scratch_load_dwordx2 v[4:5], off, off offset:200
	s_waitcnt vmcnt(1)
	scratch_store_dwordx2 off, v[2:3], off offset:200
	s_waitcnt vmcnt(1)
	scratch_store_dwordx2 off, v[4:5], s0
.LBB94_210:
	;; [unrolled: 33-line block ×14, first 2 shown]
	global_load_dword v2, v0, s[8:9]
	s_nop 0
	scratch_load_dwordx2 v[0:1], off, off
	s_waitcnt vmcnt(1)
	v_readfirstlane_b32 s0, v2
	s_add_i32 s0, s0, -1
	s_cmp_eq_u32 s0, 0
	s_cbranch_scc1 .LBB94_260
; %bb.259:
	s_lshl_b32 s0, s0, 3
	s_nop 0
	scratch_load_dwordx2 v[2:3], off, s0
	s_waitcnt vmcnt(0)
	scratch_store_dwordx2 off, v[2:3], off
	scratch_store_dwordx2 off, v[0:1], s0
	scratch_load_dwordx2 v[0:1], off, off
.LBB94_260:
	s_waitcnt vmcnt(0)
	flat_store_dwordx2 v[100:101], v[0:1]
	scratch_load_dwordx2 v[0:1], off, off offset:8
	s_waitcnt vmcnt(0)
	flat_store_dwordx2 v[102:103], v[0:1]
	scratch_load_dwordx2 v[0:1], off, off offset:16
	;; [unrolled: 3-line block ×30, first 2 shown]
	s_waitcnt vmcnt(0)
	flat_store_dwordx2 v[160:161], v[0:1]
	s_endpgm
	.section	.rodata,"a",@progbits
	.p2align	6, 0x0
	.amdhsa_kernel _ZN9rocsolver6v33100L18getri_kernel_smallILi31E19rocblas_complex_numIfEPKPS3_EEvT1_iilPiilS8_bb
		.amdhsa_group_segment_fixed_size 504
		.amdhsa_private_segment_fixed_size 256
		.amdhsa_kernarg_size 60
		.amdhsa_user_sgpr_count 2
		.amdhsa_user_sgpr_dispatch_ptr 0
		.amdhsa_user_sgpr_queue_ptr 0
		.amdhsa_user_sgpr_kernarg_segment_ptr 1
		.amdhsa_user_sgpr_dispatch_id 0
		.amdhsa_user_sgpr_kernarg_preload_length 0
		.amdhsa_user_sgpr_kernarg_preload_offset 0
		.amdhsa_user_sgpr_private_segment_size 0
		.amdhsa_uses_dynamic_stack 0
		.amdhsa_enable_private_segment 1
		.amdhsa_system_sgpr_workgroup_id_x 1
		.amdhsa_system_sgpr_workgroup_id_y 0
		.amdhsa_system_sgpr_workgroup_id_z 0
		.amdhsa_system_sgpr_workgroup_info 0
		.amdhsa_system_vgpr_workitem_id 0
		.amdhsa_next_free_vgpr 195
		.amdhsa_next_free_sgpr 17
		.amdhsa_accum_offset 196
		.amdhsa_reserve_vcc 1
		.amdhsa_float_round_mode_32 0
		.amdhsa_float_round_mode_16_64 0
		.amdhsa_float_denorm_mode_32 3
		.amdhsa_float_denorm_mode_16_64 3
		.amdhsa_dx10_clamp 1
		.amdhsa_ieee_mode 1
		.amdhsa_fp16_overflow 0
		.amdhsa_tg_split 0
		.amdhsa_exception_fp_ieee_invalid_op 0
		.amdhsa_exception_fp_denorm_src 0
		.amdhsa_exception_fp_ieee_div_zero 0
		.amdhsa_exception_fp_ieee_overflow 0
		.amdhsa_exception_fp_ieee_underflow 0
		.amdhsa_exception_fp_ieee_inexact 0
		.amdhsa_exception_int_div_zero 0
	.end_amdhsa_kernel
	.section	.text._ZN9rocsolver6v33100L18getri_kernel_smallILi31E19rocblas_complex_numIfEPKPS3_EEvT1_iilPiilS8_bb,"axG",@progbits,_ZN9rocsolver6v33100L18getri_kernel_smallILi31E19rocblas_complex_numIfEPKPS3_EEvT1_iilPiilS8_bb,comdat
.Lfunc_end94:
	.size	_ZN9rocsolver6v33100L18getri_kernel_smallILi31E19rocblas_complex_numIfEPKPS3_EEvT1_iilPiilS8_bb, .Lfunc_end94-_ZN9rocsolver6v33100L18getri_kernel_smallILi31E19rocblas_complex_numIfEPKPS3_EEvT1_iilPiilS8_bb
                                        ; -- End function
	.set _ZN9rocsolver6v33100L18getri_kernel_smallILi31E19rocblas_complex_numIfEPKPS3_EEvT1_iilPiilS8_bb.num_vgpr, 195
	.set _ZN9rocsolver6v33100L18getri_kernel_smallILi31E19rocblas_complex_numIfEPKPS3_EEvT1_iilPiilS8_bb.num_agpr, 0
	.set _ZN9rocsolver6v33100L18getri_kernel_smallILi31E19rocblas_complex_numIfEPKPS3_EEvT1_iilPiilS8_bb.numbered_sgpr, 17
	.set _ZN9rocsolver6v33100L18getri_kernel_smallILi31E19rocblas_complex_numIfEPKPS3_EEvT1_iilPiilS8_bb.num_named_barrier, 0
	.set _ZN9rocsolver6v33100L18getri_kernel_smallILi31E19rocblas_complex_numIfEPKPS3_EEvT1_iilPiilS8_bb.private_seg_size, 256
	.set _ZN9rocsolver6v33100L18getri_kernel_smallILi31E19rocblas_complex_numIfEPKPS3_EEvT1_iilPiilS8_bb.uses_vcc, 1
	.set _ZN9rocsolver6v33100L18getri_kernel_smallILi31E19rocblas_complex_numIfEPKPS3_EEvT1_iilPiilS8_bb.uses_flat_scratch, 0
	.set _ZN9rocsolver6v33100L18getri_kernel_smallILi31E19rocblas_complex_numIfEPKPS3_EEvT1_iilPiilS8_bb.has_dyn_sized_stack, 0
	.set _ZN9rocsolver6v33100L18getri_kernel_smallILi31E19rocblas_complex_numIfEPKPS3_EEvT1_iilPiilS8_bb.has_recursion, 0
	.set _ZN9rocsolver6v33100L18getri_kernel_smallILi31E19rocblas_complex_numIfEPKPS3_EEvT1_iilPiilS8_bb.has_indirect_call, 0
	.section	.AMDGPU.csdata,"",@progbits
; Kernel info:
; codeLenInByte = 34300
; TotalNumSgprs: 23
; NumVgprs: 195
; NumAgprs: 0
; TotalNumVgprs: 195
; ScratchSize: 256
; MemoryBound: 0
; FloatMode: 240
; IeeeMode: 1
; LDSByteSize: 504 bytes/workgroup (compile time only)
; SGPRBlocks: 2
; VGPRBlocks: 24
; NumSGPRsForWavesPerEU: 23
; NumVGPRsForWavesPerEU: 195
; AccumOffset: 196
; Occupancy: 2
; WaveLimiterHint : 1
; COMPUTE_PGM_RSRC2:SCRATCH_EN: 1
; COMPUTE_PGM_RSRC2:USER_SGPR: 2
; COMPUTE_PGM_RSRC2:TRAP_HANDLER: 0
; COMPUTE_PGM_RSRC2:TGID_X_EN: 1
; COMPUTE_PGM_RSRC2:TGID_Y_EN: 0
; COMPUTE_PGM_RSRC2:TGID_Z_EN: 0
; COMPUTE_PGM_RSRC2:TIDIG_COMP_CNT: 0
; COMPUTE_PGM_RSRC3_GFX90A:ACCUM_OFFSET: 48
; COMPUTE_PGM_RSRC3_GFX90A:TG_SPLIT: 0
	.section	.text._ZN9rocsolver6v33100L18getri_kernel_smallILi32E19rocblas_complex_numIfEPKPS3_EEvT1_iilPiilS8_bb,"axG",@progbits,_ZN9rocsolver6v33100L18getri_kernel_smallILi32E19rocblas_complex_numIfEPKPS3_EEvT1_iilPiilS8_bb,comdat
	.globl	_ZN9rocsolver6v33100L18getri_kernel_smallILi32E19rocblas_complex_numIfEPKPS3_EEvT1_iilPiilS8_bb ; -- Begin function _ZN9rocsolver6v33100L18getri_kernel_smallILi32E19rocblas_complex_numIfEPKPS3_EEvT1_iilPiilS8_bb
	.p2align	8
	.type	_ZN9rocsolver6v33100L18getri_kernel_smallILi32E19rocblas_complex_numIfEPKPS3_EEvT1_iilPiilS8_bb,@function
_ZN9rocsolver6v33100L18getri_kernel_smallILi32E19rocblas_complex_numIfEPKPS3_EEvT1_iilPiilS8_bb: ; @_ZN9rocsolver6v33100L18getri_kernel_smallILi32E19rocblas_complex_numIfEPKPS3_EEvT1_iilPiilS8_bb
; %bb.0:
	v_cmp_gt_u32_e32 vcc, 32, v0
	s_and_saveexec_b64 s[4:5], vcc
	s_cbranch_execz .LBB95_142
; %bb.1:
	s_load_dword s14, s[0:1], 0x38
	s_load_dwordx2 s[8:9], s[0:1], 0x0
	s_load_dwordx4 s[4:7], s[0:1], 0x28
	s_waitcnt lgkmcnt(0)
	s_bitcmp1_b32 s14, 8
	s_cselect_b64 s[10:11], -1, 0
	s_ashr_i32 s3, s2, 31
	s_lshl_b64 s[12:13], s[2:3], 3
	s_add_u32 s8, s8, s12
	s_addc_u32 s9, s9, s13
	s_load_dwordx2 s[12:13], s[8:9], 0x0
	s_bfe_u32 s8, s14, 0x10008
	s_cmp_eq_u32 s8, 0
                                        ; implicit-def: $sgpr8_sgpr9
	s_cbranch_scc1 .LBB95_3
; %bb.2:
	s_load_dword s8, s[0:1], 0x20
	s_load_dwordx2 s[14:15], s[0:1], 0x18
	s_mul_i32 s9, s4, s3
	s_mul_hi_u32 s16, s4, s2
	s_add_i32 s16, s16, s9
	s_mul_i32 s5, s5, s2
	s_add_i32 s5, s16, s5
	s_mul_i32 s4, s4, s2
	s_waitcnt lgkmcnt(0)
	s_ashr_i32 s9, s8, 31
	s_lshl_b64 s[4:5], s[4:5], 2
	s_add_u32 s14, s14, s4
	s_addc_u32 s15, s15, s5
	s_lshl_b64 s[4:5], s[8:9], 2
	s_add_u32 s8, s14, s4
	s_addc_u32 s9, s15, s5
.LBB95_3:
	s_load_dwordx2 s[4:5], s[0:1], 0x8
	s_load_dword s14, s[0:1], 0x38
	v_lshlrev_b32_e32 v2, 3, v0
	v_mov_b32_e32 v3, 0
	s_waitcnt lgkmcnt(0)
	s_ashr_i32 s1, s4, 31
	s_mov_b32 s0, s4
	s_lshl_b64 s[0:1], s[0:1], 3
	s_add_u32 s0, s12, s0
	s_addc_u32 s1, s13, s1
	v_lshl_add_u64 v[102:103], s[0:1], 0, v[2:3]
	flat_load_dwordx2 v[4:5], v[102:103]
	s_mov_b32 s12, s5
	s_ashr_i32 s13, s5, 31
	v_lshl_add_u64 v[104:105], s[12:13], 3, v[102:103]
	s_add_i32 s4, s5, s5
	v_add_u32_e32 v6, s4, v0
	v_ashrrev_i32_e32 v7, 31, v6
	v_lshl_add_u64 v[106:107], v[6:7], 3, s[0:1]
	v_add_u32_e32 v6, s5, v6
	v_ashrrev_i32_e32 v7, 31, v6
	v_lshl_add_u64 v[108:109], v[6:7], 3, s[0:1]
	;; [unrolled: 3-line block ×25, first 2 shown]
	s_waitcnt vmcnt(0) lgkmcnt(0)
	scratch_store_dwordx2 off, v[4:5], off
	flat_load_dwordx2 v[4:5], v[104:105]
	v_add_u32_e32 v6, s5, v6
	v_ashrrev_i32_e32 v7, 31, v6
	v_lshl_add_u64 v[156:157], v[6:7], 3, s[0:1]
	v_add_u32_e32 v6, s5, v6
	v_ashrrev_i32_e32 v7, 31, v6
	v_lshl_add_u64 v[158:159], v[6:7], 3, s[0:1]
	;; [unrolled: 3-line block ×5, first 2 shown]
	s_bitcmp0_b32 s14, 0
	s_mov_b64 s[4:5], -1
	s_waitcnt vmcnt(0) lgkmcnt(0)
	scratch_store_dwordx2 off, v[4:5], off offset:8
	flat_load_dwordx2 v[4:5], v[106:107]
	s_waitcnt vmcnt(0) lgkmcnt(0)
	scratch_store_dwordx2 off, v[4:5], off offset:16
	flat_load_dwordx2 v[4:5], v[108:109]
	;; [unrolled: 3-line block ×30, first 2 shown]
	s_waitcnt vmcnt(0) lgkmcnt(0)
	scratch_store_dwordx2 off, v[4:5], off offset:248
	s_cbranch_scc1 .LBB95_140
; %bb.4:
	v_cmp_eq_u32_e64 s[0:1], 0, v0
	s_and_saveexec_b64 s[4:5], s[0:1]
; %bb.5:
	v_mov_b32_e32 v1, 0
	ds_write_b32 v1, v1 offset:512
; %bb.6:
	s_or_b64 exec, exec, s[4:5]
	s_waitcnt lgkmcnt(0)
	; wave barrier
	scratch_load_dwordx2 v[4:5], v2, off
	s_waitcnt vmcnt(0)
	v_cmp_eq_f32_e32 vcc, 0, v4
	v_cmp_eq_f32_e64 s[4:5], 0, v5
	s_and_b64 s[4:5], vcc, s[4:5]
	s_and_saveexec_b64 s[12:13], s[4:5]
	s_cbranch_execz .LBB95_10
; %bb.7:
	v_mov_b32_e32 v1, 0
	ds_read_b32 v4, v1 offset:512
	v_add_u32_e32 v3, 1, v0
	s_waitcnt lgkmcnt(0)
	v_readfirstlane_b32 s4, v4
	s_cmp_eq_u32 s4, 0
	s_cselect_b64 s[14:15], -1, 0
	v_cmp_gt_i32_e32 vcc, s4, v3
	s_or_b64 s[14:15], s[14:15], vcc
	s_and_b64 exec, exec, s[14:15]
	s_cbranch_execz .LBB95_10
; %bb.8:
	s_mov_b64 s[14:15], 0
	v_mov_b32_e32 v4, s4
.LBB95_9:                               ; =>This Inner Loop Header: Depth=1
	ds_cmpst_rtn_b32 v4, v1, v4, v3 offset:512
	s_waitcnt lgkmcnt(0)
	v_cmp_ne_u32_e32 vcc, 0, v4
	v_cmp_le_i32_e64 s[4:5], v4, v3
	s_and_b64 s[4:5], vcc, s[4:5]
	s_and_b64 s[4:5], exec, s[4:5]
	s_or_b64 s[14:15], s[4:5], s[14:15]
	s_andn2_b64 exec, exec, s[14:15]
	s_cbranch_execnz .LBB95_9
.LBB95_10:
	s_or_b64 exec, exec, s[12:13]
	v_mov_b32_e32 v3, 0
	; wave barrier
	ds_read_b32 v1, v3 offset:512
	s_and_saveexec_b64 s[4:5], s[0:1]
	s_cbranch_execz .LBB95_12
; %bb.11:
	s_lshl_b64 s[12:13], s[2:3], 2
	s_add_u32 s12, s6, s12
	s_addc_u32 s13, s7, s13
	s_waitcnt lgkmcnt(0)
	global_store_dword v3, v1, s[12:13]
.LBB95_12:
	s_or_b64 exec, exec, s[4:5]
	s_waitcnt lgkmcnt(0)
	v_cmp_ne_u32_e32 vcc, 0, v1
	s_mov_b64 s[4:5], 0
	s_cbranch_vccnz .LBB95_140
; %bb.13:
	v_mov_b32_e32 v3, v2
	scratch_load_dwordx2 v[4:5], v3, off
                                        ; implicit-def: $vgpr7
                                        ; implicit-def: $vgpr8
	s_waitcnt vmcnt(0)
	v_cmp_ngt_f32_e64 s[4:5], |v4|, |v5|
	s_and_saveexec_b64 s[12:13], s[4:5]
	s_xor_b64 s[4:5], exec, s[12:13]
	s_cbranch_execz .LBB95_15
; %bb.14:
	v_div_scale_f32 v1, s[12:13], v5, v5, v4
	v_rcp_f32_e32 v6, v1
	v_div_scale_f32 v7, vcc, v4, v5, v4
	v_fma_f32 v8, -v1, v6, 1.0
	v_fmac_f32_e32 v6, v8, v6
	v_mul_f32_e32 v8, v7, v6
	v_fma_f32 v9, -v1, v8, v7
	v_fmac_f32_e32 v8, v9, v6
	v_fma_f32 v1, -v1, v8, v7
	v_div_fmas_f32 v1, v1, v6, v8
	v_div_fixup_f32 v1, v1, v5, v4
	v_fmac_f32_e32 v5, v4, v1
	v_div_scale_f32 v4, s[12:13], v5, v5, -1.0
	v_rcp_f32_e32 v6, v4
	s_nop 0
	v_fma_f32 v7, -v4, v6, 1.0
	v_fmac_f32_e32 v6, v7, v6
	v_div_scale_f32 v7, vcc, -1.0, v5, -1.0
	v_mul_f32_e32 v8, v7, v6
	v_fma_f32 v9, -v4, v8, v7
	v_fmac_f32_e32 v8, v9, v6
	v_fma_f32 v4, -v4, v8, v7
	v_div_fmas_f32 v4, v4, v6, v8
	v_div_fixup_f32 v7, v4, v5, -1.0
	v_mul_f32_e32 v8, v1, v7
	v_xor_b32_e32 v6, 0x80000000, v8
                                        ; implicit-def: $vgpr4_vgpr5
.LBB95_15:
	s_andn2_saveexec_b64 s[4:5], s[4:5]
	s_cbranch_execz .LBB95_17
; %bb.16:
	v_div_scale_f32 v1, s[12:13], v4, v4, v5
	v_rcp_f32_e32 v6, v1
	v_div_scale_f32 v7, vcc, v5, v4, v5
	v_fma_f32 v8, -v1, v6, 1.0
	v_fmac_f32_e32 v6, v8, v6
	v_mul_f32_e32 v8, v7, v6
	v_fma_f32 v9, -v1, v8, v7
	v_fmac_f32_e32 v8, v9, v6
	v_fma_f32 v1, -v1, v8, v7
	v_div_fmas_f32 v1, v1, v6, v8
	v_div_fixup_f32 v1, v1, v4, v5
	v_fmac_f32_e32 v4, v5, v1
	v_div_scale_f32 v5, s[12:13], v4, v4, 1.0
	v_rcp_f32_e32 v6, v5
	s_nop 0
	v_fma_f32 v7, -v5, v6, 1.0
	v_fmac_f32_e32 v6, v7, v6
	v_div_scale_f32 v7, vcc, 1.0, v4, 1.0
	v_mul_f32_e32 v8, v7, v6
	v_fma_f32 v9, -v5, v8, v7
	v_fmac_f32_e32 v8, v9, v6
	v_fma_f32 v5, -v5, v8, v7
	v_div_fmas_f32 v5, v5, v6, v8
	v_div_fixup_f32 v6, v5, v4, 1.0
	v_xor_b32_e32 v8, 0x80000000, v6
	v_mul_f32_e64 v7, v1, -v6
.LBB95_17:
	s_or_b64 exec, exec, s[4:5]
	scratch_store_dwordx2 v3, v[6:7], off
	scratch_load_dwordx2 v[4:5], off, off offset:8
	v_xor_b32_e32 v9, 0x80000000, v7
	v_add_u32_e32 v1, 0x100, v2
	s_waitcnt vmcnt(0)
	ds_write2_b64 v2, v[8:9], v[4:5] offset1:32
	s_waitcnt lgkmcnt(0)
	; wave barrier
	s_and_saveexec_b64 s[4:5], s[0:1]
	s_cbranch_execz .LBB95_19
; %bb.18:
	scratch_load_dwordx2 v[4:5], v3, off
	ds_read_b64 v[6:7], v1
	v_mov_b32_e32 v8, 0
	ds_read_b64 v[8:9], v8 offset:8
	s_waitcnt vmcnt(0) lgkmcnt(1)
	v_pk_mul_f32 v[10:11], v[6:7], v[4:5] op_sel:[1,1] op_sel_hi:[0,1]
	v_pk_fma_f32 v[12:13], v[6:7], v[4:5], v[10:11] neg_lo:[0,0,1] neg_hi:[0,0,1]
	v_pk_fma_f32 v[4:5], v[6:7], v[4:5], v[10:11] op_sel_hi:[1,0,1]
	s_nop 0
	v_mov_b32_e32 v13, v5
	v_pk_add_f32 v[4:5], v[12:13], 0 op_sel_hi:[1,0]
	s_waitcnt lgkmcnt(0)
	v_pk_mul_f32 v[6:7], v[4:5], v[8:9] op_sel:[1,1] op_sel_hi:[0,1]
	v_pk_fma_f32 v[10:11], v[4:5], v[8:9], v[6:7] neg_lo:[0,0,1] neg_hi:[0,0,1]
	v_pk_fma_f32 v[4:5], v[4:5], v[8:9], v[6:7] op_sel_hi:[1,0,1]
	s_nop 0
	v_mov_b32_e32 v11, v5
	scratch_store_dwordx2 off, v[10:11], off offset:8
.LBB95_19:
	s_or_b64 exec, exec, s[4:5]
	; wave barrier
	scratch_load_dwordx2 v[4:5], off, off offset:16
	v_cmp_gt_u32_e32 vcc, 2, v0
	s_waitcnt vmcnt(0)
	ds_write_b64 v1, v[4:5]
	s_waitcnt lgkmcnt(0)
	; wave barrier
	s_and_saveexec_b64 s[4:5], vcc
	s_cbranch_execz .LBB95_23
; %bb.20:
	scratch_load_dwordx2 v[4:5], v3, off
	ds_read_b64 v[6:7], v1
	s_waitcnt vmcnt(0) lgkmcnt(0)
	v_pk_mul_f32 v[8:9], v[6:7], v[4:5] op_sel:[1,1] op_sel_hi:[0,1]
	v_pk_fma_f32 v[10:11], v[6:7], v[4:5], v[8:9] neg_lo:[0,0,1] neg_hi:[0,0,1]
	v_pk_fma_f32 v[4:5], v[6:7], v[4:5], v[8:9] op_sel_hi:[1,0,1]
	s_nop 0
	v_mov_b32_e32 v11, v5
	v_pk_add_f32 v[4:5], v[10:11], 0 op_sel_hi:[1,0]
	s_and_saveexec_b64 s[12:13], s[0:1]
	s_cbranch_execz .LBB95_22
; %bb.21:
	scratch_load_dwordx2 v[6:7], off, off offset:8
	v_mov_b32_e32 v3, 0
	ds_read_b64 v[8:9], v3 offset:264
	s_waitcnt vmcnt(0) lgkmcnt(0)
	v_pk_mul_f32 v[10:11], v[8:9], v[6:7] op_sel:[1,1] op_sel_hi:[0,1]
	v_pk_fma_f32 v[12:13], v[8:9], v[6:7], v[10:11] neg_lo:[0,0,1] neg_hi:[0,0,1]
	v_pk_fma_f32 v[6:7], v[8:9], v[6:7], v[10:11] op_sel_hi:[1,0,1]
	s_nop 0
	v_mov_b32_e32 v13, v7
	v_pk_add_f32 v[4:5], v[4:5], v[12:13]
.LBB95_22:
	s_or_b64 exec, exec, s[12:13]
	v_mov_b32_e32 v3, 0
	ds_read_b64 v[6:7], v3 offset:16
	s_waitcnt lgkmcnt(0)
	v_pk_mul_f32 v[8:9], v[4:5], v[6:7] op_sel:[1,1] op_sel_hi:[0,1]
	v_pk_fma_f32 v[10:11], v[4:5], v[6:7], v[8:9] neg_lo:[0,0,1] neg_hi:[0,0,1]
	v_pk_fma_f32 v[4:5], v[4:5], v[6:7], v[8:9] op_sel_hi:[1,0,1]
	s_nop 0
	v_mov_b32_e32 v11, v5
	scratch_store_dwordx2 off, v[10:11], off offset:16
.LBB95_23:
	s_or_b64 exec, exec, s[4:5]
	; wave barrier
	scratch_load_dwordx2 v[4:5], off, off offset:24
	v_cmp_gt_u32_e32 vcc, 3, v0
	v_add_u32_e32 v6, -1, v0
	s_waitcnt vmcnt(0)
	ds_write_b64 v1, v[4:5]
	s_waitcnt lgkmcnt(0)
	; wave barrier
	s_and_saveexec_b64 s[0:1], vcc
	s_cbranch_execz .LBB95_27
; %bb.24:
	v_mov_b32_e32 v4, 0
	v_add_u32_e32 v3, -1, v0
	v_add_u32_e32 v7, 0x100, v2
	v_mov_b32_e32 v8, v2
	s_mov_b64 s[4:5], 0
	v_mov_b32_e32 v5, v4
.LBB95_25:                              ; =>This Inner Loop Header: Depth=1
	scratch_load_dwordx2 v[10:11], v8, off
	ds_read_b64 v[12:13], v7
	v_add_u32_e32 v3, 1, v3
	v_cmp_lt_u32_e32 vcc, 1, v3
	v_add_u32_e32 v7, 8, v7
	v_add_u32_e32 v8, 8, v8
	s_or_b64 s[4:5], vcc, s[4:5]
	s_waitcnt vmcnt(0) lgkmcnt(0)
	v_pk_mul_f32 v[14:15], v[12:13], v[10:11] op_sel:[1,1] op_sel_hi:[0,1]
	v_pk_fma_f32 v[16:17], v[12:13], v[10:11], v[14:15] neg_lo:[0,0,1] neg_hi:[0,0,1]
	v_pk_fma_f32 v[10:11], v[12:13], v[10:11], v[14:15] op_sel_hi:[1,0,1]
	s_nop 0
	v_mov_b32_e32 v17, v11
	v_pk_add_f32 v[4:5], v[4:5], v[16:17]
	s_andn2_b64 exec, exec, s[4:5]
	s_cbranch_execnz .LBB95_25
; %bb.26:
	s_or_b64 exec, exec, s[4:5]
	v_mov_b32_e32 v3, 0
	ds_read_b64 v[8:9], v3 offset:24
	s_waitcnt lgkmcnt(0)
	v_pk_mul_f32 v[10:11], v[4:5], v[8:9] op_sel:[1,1] op_sel_hi:[0,1]
	v_pk_fma_f32 v[12:13], v[4:5], v[8:9], v[10:11] neg_lo:[0,0,1] neg_hi:[0,0,1]
	v_pk_fma_f32 v[4:5], v[4:5], v[8:9], v[10:11] op_sel_hi:[1,0,1]
	s_nop 0
	v_mov_b32_e32 v13, v5
	scratch_store_dwordx2 off, v[12:13], off offset:24
.LBB95_27:
	s_or_b64 exec, exec, s[0:1]
	; wave barrier
	scratch_load_dwordx2 v[4:5], off, off offset:32
	v_cmp_gt_u32_e32 vcc, 4, v0
	s_waitcnt vmcnt(0)
	ds_write_b64 v1, v[4:5]
	s_waitcnt lgkmcnt(0)
	; wave barrier
	s_and_saveexec_b64 s[0:1], vcc
	s_cbranch_execz .LBB95_31
; %bb.28:
	v_mov_b32_e32 v4, 0
	v_add_u32_e32 v3, -1, v0
	v_add_u32_e32 v7, 0x100, v2
	v_mov_b32_e32 v8, v2
	s_mov_b64 s[4:5], 0
	v_mov_b32_e32 v5, v4
.LBB95_29:                              ; =>This Inner Loop Header: Depth=1
	scratch_load_dwordx2 v[10:11], v8, off
	ds_read_b64 v[12:13], v7
	v_add_u32_e32 v3, 1, v3
	v_cmp_lt_u32_e32 vcc, 2, v3
	v_add_u32_e32 v7, 8, v7
	v_add_u32_e32 v8, 8, v8
	s_or_b64 s[4:5], vcc, s[4:5]
	s_waitcnt vmcnt(0) lgkmcnt(0)
	v_pk_mul_f32 v[14:15], v[12:13], v[10:11] op_sel:[1,1] op_sel_hi:[0,1]
	v_pk_fma_f32 v[16:17], v[12:13], v[10:11], v[14:15] neg_lo:[0,0,1] neg_hi:[0,0,1]
	v_pk_fma_f32 v[10:11], v[12:13], v[10:11], v[14:15] op_sel_hi:[1,0,1]
	s_nop 0
	v_mov_b32_e32 v17, v11
	v_pk_add_f32 v[4:5], v[4:5], v[16:17]
	s_andn2_b64 exec, exec, s[4:5]
	s_cbranch_execnz .LBB95_29
; %bb.30:
	s_or_b64 exec, exec, s[4:5]
	v_mov_b32_e32 v3, 0
	ds_read_b64 v[8:9], v3 offset:32
	s_waitcnt lgkmcnt(0)
	v_pk_mul_f32 v[10:11], v[4:5], v[8:9] op_sel:[1,1] op_sel_hi:[0,1]
	v_pk_fma_f32 v[12:13], v[4:5], v[8:9], v[10:11] neg_lo:[0,0,1] neg_hi:[0,0,1]
	v_pk_fma_f32 v[4:5], v[4:5], v[8:9], v[10:11] op_sel_hi:[1,0,1]
	s_nop 0
	v_mov_b32_e32 v13, v5
	scratch_store_dwordx2 off, v[12:13], off offset:32
.LBB95_31:
	s_or_b64 exec, exec, s[0:1]
	; wave barrier
	scratch_load_dwordx2 v[4:5], off, off offset:40
	v_cmp_gt_u32_e32 vcc, 5, v0
	;; [unrolled: 46-line block ×19, first 2 shown]
	s_waitcnt vmcnt(0)
	ds_write_b64 v1, v[4:5]
	s_waitcnt lgkmcnt(0)
	; wave barrier
	s_and_saveexec_b64 s[0:1], vcc
	s_cbranch_execz .LBB95_103
; %bb.100:
	v_mov_b32_e32 v4, 0
	v_add_u32_e32 v3, -1, v0
	v_add_u32_e32 v7, 0x100, v2
	v_mov_b32_e32 v8, v2
	s_mov_b64 s[4:5], 0
	v_mov_b32_e32 v5, v4
.LBB95_101:                             ; =>This Inner Loop Header: Depth=1
	scratch_load_dwordx2 v[10:11], v8, off
	ds_read_b64 v[12:13], v7
	v_add_u32_e32 v3, 1, v3
	v_cmp_lt_u32_e32 vcc, 20, v3
	v_add_u32_e32 v7, 8, v7
	v_add_u32_e32 v8, 8, v8
	s_or_b64 s[4:5], vcc, s[4:5]
	s_waitcnt vmcnt(0) lgkmcnt(0)
	v_pk_mul_f32 v[14:15], v[12:13], v[10:11] op_sel:[1,1] op_sel_hi:[0,1]
	v_pk_fma_f32 v[16:17], v[12:13], v[10:11], v[14:15] neg_lo:[0,0,1] neg_hi:[0,0,1]
	v_pk_fma_f32 v[10:11], v[12:13], v[10:11], v[14:15] op_sel_hi:[1,0,1]
	s_nop 0
	v_mov_b32_e32 v17, v11
	v_pk_add_f32 v[4:5], v[4:5], v[16:17]
	s_andn2_b64 exec, exec, s[4:5]
	s_cbranch_execnz .LBB95_101
; %bb.102:
	s_or_b64 exec, exec, s[4:5]
	v_mov_b32_e32 v3, 0
	ds_read_b64 v[8:9], v3 offset:176
	s_waitcnt lgkmcnt(0)
	v_pk_mul_f32 v[10:11], v[4:5], v[8:9] op_sel:[1,1] op_sel_hi:[0,1]
	v_pk_fma_f32 v[12:13], v[4:5], v[8:9], v[10:11] neg_lo:[0,0,1] neg_hi:[0,0,1]
	v_pk_fma_f32 v[4:5], v[4:5], v[8:9], v[10:11] op_sel_hi:[1,0,1]
	s_nop 0
	v_mov_b32_e32 v13, v5
	scratch_store_dwordx2 off, v[12:13], off offset:176
.LBB95_103:
	s_or_b64 exec, exec, s[0:1]
	; wave barrier
	scratch_load_dwordx2 v[4:5], off, off offset:184
	v_cmp_gt_u32_e32 vcc, 23, v0
	s_waitcnt vmcnt(0)
	ds_write_b64 v1, v[4:5]
	s_waitcnt lgkmcnt(0)
	; wave barrier
	s_and_saveexec_b64 s[0:1], vcc
	s_cbranch_execz .LBB95_107
; %bb.104:
	v_mov_b32_e32 v4, 0
	v_add_u32_e32 v3, -1, v0
	v_add_u32_e32 v7, 0x100, v2
	v_mov_b32_e32 v8, v2
	s_mov_b64 s[4:5], 0
	v_mov_b32_e32 v5, v4
.LBB95_105:                             ; =>This Inner Loop Header: Depth=1
	scratch_load_dwordx2 v[10:11], v8, off
	ds_read_b64 v[12:13], v7
	v_add_u32_e32 v3, 1, v3
	v_cmp_lt_u32_e32 vcc, 21, v3
	v_add_u32_e32 v7, 8, v7
	v_add_u32_e32 v8, 8, v8
	s_or_b64 s[4:5], vcc, s[4:5]
	s_waitcnt vmcnt(0) lgkmcnt(0)
	v_pk_mul_f32 v[14:15], v[12:13], v[10:11] op_sel:[1,1] op_sel_hi:[0,1]
	v_pk_fma_f32 v[16:17], v[12:13], v[10:11], v[14:15] neg_lo:[0,0,1] neg_hi:[0,0,1]
	v_pk_fma_f32 v[10:11], v[12:13], v[10:11], v[14:15] op_sel_hi:[1,0,1]
	s_nop 0
	v_mov_b32_e32 v17, v11
	v_pk_add_f32 v[4:5], v[4:5], v[16:17]
	s_andn2_b64 exec, exec, s[4:5]
	s_cbranch_execnz .LBB95_105
; %bb.106:
	s_or_b64 exec, exec, s[4:5]
	v_mov_b32_e32 v3, 0
	ds_read_b64 v[8:9], v3 offset:184
	s_waitcnt lgkmcnt(0)
	v_pk_mul_f32 v[10:11], v[4:5], v[8:9] op_sel:[1,1] op_sel_hi:[0,1]
	v_pk_fma_f32 v[12:13], v[4:5], v[8:9], v[10:11] neg_lo:[0,0,1] neg_hi:[0,0,1]
	v_pk_fma_f32 v[4:5], v[4:5], v[8:9], v[10:11] op_sel_hi:[1,0,1]
	s_nop 0
	v_mov_b32_e32 v13, v5
	scratch_store_dwordx2 off, v[12:13], off offset:184
.LBB95_107:
	s_or_b64 exec, exec, s[0:1]
	; wave barrier
	scratch_load_dwordx2 v[4:5], off, off offset:192
	v_cmp_gt_u32_e32 vcc, 24, v0
	s_waitcnt vmcnt(0)
	ds_write_b64 v1, v[4:5]
	s_waitcnt lgkmcnt(0)
	; wave barrier
	s_and_saveexec_b64 s[0:1], vcc
	s_cbranch_execz .LBB95_111
; %bb.108:
	v_mov_b32_e32 v4, 0
	v_add_u32_e32 v3, -1, v0
	v_add_u32_e32 v7, 0x100, v2
	v_mov_b32_e32 v8, v2
	s_mov_b64 s[4:5], 0
	v_mov_b32_e32 v5, v4
.LBB95_109:                             ; =>This Inner Loop Header: Depth=1
	scratch_load_dwordx2 v[10:11], v8, off
	ds_read_b64 v[12:13], v7
	v_add_u32_e32 v3, 1, v3
	v_cmp_lt_u32_e32 vcc, 22, v3
	v_add_u32_e32 v7, 8, v7
	v_add_u32_e32 v8, 8, v8
	s_or_b64 s[4:5], vcc, s[4:5]
	s_waitcnt vmcnt(0) lgkmcnt(0)
	v_pk_mul_f32 v[14:15], v[12:13], v[10:11] op_sel:[1,1] op_sel_hi:[0,1]
	v_pk_fma_f32 v[16:17], v[12:13], v[10:11], v[14:15] neg_lo:[0,0,1] neg_hi:[0,0,1]
	v_pk_fma_f32 v[10:11], v[12:13], v[10:11], v[14:15] op_sel_hi:[1,0,1]
	s_nop 0
	v_mov_b32_e32 v17, v11
	v_pk_add_f32 v[4:5], v[4:5], v[16:17]
	s_andn2_b64 exec, exec, s[4:5]
	s_cbranch_execnz .LBB95_109
; %bb.110:
	s_or_b64 exec, exec, s[4:5]
	v_mov_b32_e32 v3, 0
	ds_read_b64 v[8:9], v3 offset:192
	s_waitcnt lgkmcnt(0)
	v_pk_mul_f32 v[10:11], v[4:5], v[8:9] op_sel:[1,1] op_sel_hi:[0,1]
	v_pk_fma_f32 v[12:13], v[4:5], v[8:9], v[10:11] neg_lo:[0,0,1] neg_hi:[0,0,1]
	v_pk_fma_f32 v[4:5], v[4:5], v[8:9], v[10:11] op_sel_hi:[1,0,1]
	s_nop 0
	v_mov_b32_e32 v13, v5
	scratch_store_dwordx2 off, v[12:13], off offset:192
.LBB95_111:
	s_or_b64 exec, exec, s[0:1]
	; wave barrier
	scratch_load_dwordx2 v[4:5], off, off offset:200
	v_cmp_gt_u32_e32 vcc, 25, v0
	s_waitcnt vmcnt(0)
	ds_write_b64 v1, v[4:5]
	s_waitcnt lgkmcnt(0)
	; wave barrier
	s_and_saveexec_b64 s[0:1], vcc
	s_cbranch_execz .LBB95_115
; %bb.112:
	v_mov_b32_e32 v4, 0
	v_add_u32_e32 v3, -1, v0
	v_add_u32_e32 v7, 0x100, v2
	v_mov_b32_e32 v8, v2
	s_mov_b64 s[4:5], 0
	v_mov_b32_e32 v5, v4
.LBB95_113:                             ; =>This Inner Loop Header: Depth=1
	scratch_load_dwordx2 v[10:11], v8, off
	ds_read_b64 v[12:13], v7
	v_add_u32_e32 v3, 1, v3
	v_cmp_lt_u32_e32 vcc, 23, v3
	v_add_u32_e32 v7, 8, v7
	v_add_u32_e32 v8, 8, v8
	s_or_b64 s[4:5], vcc, s[4:5]
	s_waitcnt vmcnt(0) lgkmcnt(0)
	v_pk_mul_f32 v[14:15], v[12:13], v[10:11] op_sel:[1,1] op_sel_hi:[0,1]
	v_pk_fma_f32 v[16:17], v[12:13], v[10:11], v[14:15] neg_lo:[0,0,1] neg_hi:[0,0,1]
	v_pk_fma_f32 v[10:11], v[12:13], v[10:11], v[14:15] op_sel_hi:[1,0,1]
	s_nop 0
	v_mov_b32_e32 v17, v11
	v_pk_add_f32 v[4:5], v[4:5], v[16:17]
	s_andn2_b64 exec, exec, s[4:5]
	s_cbranch_execnz .LBB95_113
; %bb.114:
	s_or_b64 exec, exec, s[4:5]
	v_mov_b32_e32 v3, 0
	ds_read_b64 v[8:9], v3 offset:200
	s_waitcnt lgkmcnt(0)
	v_pk_mul_f32 v[10:11], v[4:5], v[8:9] op_sel:[1,1] op_sel_hi:[0,1]
	v_pk_fma_f32 v[12:13], v[4:5], v[8:9], v[10:11] neg_lo:[0,0,1] neg_hi:[0,0,1]
	v_pk_fma_f32 v[4:5], v[4:5], v[8:9], v[10:11] op_sel_hi:[1,0,1]
	s_nop 0
	v_mov_b32_e32 v13, v5
	scratch_store_dwordx2 off, v[12:13], off offset:200
.LBB95_115:
	s_or_b64 exec, exec, s[0:1]
	; wave barrier
	scratch_load_dwordx2 v[4:5], off, off offset:208
	v_cmp_gt_u32_e32 vcc, 26, v0
	s_waitcnt vmcnt(0)
	ds_write_b64 v1, v[4:5]
	s_waitcnt lgkmcnt(0)
	; wave barrier
	s_and_saveexec_b64 s[0:1], vcc
	s_cbranch_execz .LBB95_119
; %bb.116:
	v_mov_b32_e32 v4, 0
	v_add_u32_e32 v3, -1, v0
	v_add_u32_e32 v7, 0x100, v2
	v_mov_b32_e32 v8, v2
	s_mov_b64 s[4:5], 0
	v_mov_b32_e32 v5, v4
.LBB95_117:                             ; =>This Inner Loop Header: Depth=1
	scratch_load_dwordx2 v[10:11], v8, off
	ds_read_b64 v[12:13], v7
	v_add_u32_e32 v3, 1, v3
	v_cmp_lt_u32_e32 vcc, 24, v3
	v_add_u32_e32 v7, 8, v7
	v_add_u32_e32 v8, 8, v8
	s_or_b64 s[4:5], vcc, s[4:5]
	s_waitcnt vmcnt(0) lgkmcnt(0)
	v_pk_mul_f32 v[14:15], v[12:13], v[10:11] op_sel:[1,1] op_sel_hi:[0,1]
	v_pk_fma_f32 v[16:17], v[12:13], v[10:11], v[14:15] neg_lo:[0,0,1] neg_hi:[0,0,1]
	v_pk_fma_f32 v[10:11], v[12:13], v[10:11], v[14:15] op_sel_hi:[1,0,1]
	s_nop 0
	v_mov_b32_e32 v17, v11
	v_pk_add_f32 v[4:5], v[4:5], v[16:17]
	s_andn2_b64 exec, exec, s[4:5]
	s_cbranch_execnz .LBB95_117
; %bb.118:
	s_or_b64 exec, exec, s[4:5]
	v_mov_b32_e32 v3, 0
	ds_read_b64 v[8:9], v3 offset:208
	s_waitcnt lgkmcnt(0)
	v_pk_mul_f32 v[10:11], v[4:5], v[8:9] op_sel:[1,1] op_sel_hi:[0,1]
	v_pk_fma_f32 v[12:13], v[4:5], v[8:9], v[10:11] neg_lo:[0,0,1] neg_hi:[0,0,1]
	v_pk_fma_f32 v[4:5], v[4:5], v[8:9], v[10:11] op_sel_hi:[1,0,1]
	s_nop 0
	v_mov_b32_e32 v13, v5
	scratch_store_dwordx2 off, v[12:13], off offset:208
.LBB95_119:
	s_or_b64 exec, exec, s[0:1]
	; wave barrier
	scratch_load_dwordx2 v[4:5], off, off offset:216
	v_cmp_gt_u32_e32 vcc, 27, v0
	s_waitcnt vmcnt(0)
	ds_write_b64 v1, v[4:5]
	s_waitcnt lgkmcnt(0)
	; wave barrier
	s_and_saveexec_b64 s[0:1], vcc
	s_cbranch_execz .LBB95_123
; %bb.120:
	v_mov_b32_e32 v4, 0
	v_add_u32_e32 v3, -1, v0
	v_add_u32_e32 v7, 0x100, v2
	v_mov_b32_e32 v8, v2
	s_mov_b64 s[4:5], 0
	v_mov_b32_e32 v5, v4
.LBB95_121:                             ; =>This Inner Loop Header: Depth=1
	scratch_load_dwordx2 v[10:11], v8, off
	ds_read_b64 v[12:13], v7
	v_add_u32_e32 v3, 1, v3
	v_cmp_lt_u32_e32 vcc, 25, v3
	v_add_u32_e32 v7, 8, v7
	v_add_u32_e32 v8, 8, v8
	s_or_b64 s[4:5], vcc, s[4:5]
	s_waitcnt vmcnt(0) lgkmcnt(0)
	v_pk_mul_f32 v[14:15], v[12:13], v[10:11] op_sel:[1,1] op_sel_hi:[0,1]
	v_pk_fma_f32 v[16:17], v[12:13], v[10:11], v[14:15] neg_lo:[0,0,1] neg_hi:[0,0,1]
	v_pk_fma_f32 v[10:11], v[12:13], v[10:11], v[14:15] op_sel_hi:[1,0,1]
	s_nop 0
	v_mov_b32_e32 v17, v11
	v_pk_add_f32 v[4:5], v[4:5], v[16:17]
	s_andn2_b64 exec, exec, s[4:5]
	s_cbranch_execnz .LBB95_121
; %bb.122:
	s_or_b64 exec, exec, s[4:5]
	v_mov_b32_e32 v3, 0
	ds_read_b64 v[8:9], v3 offset:216
	s_waitcnt lgkmcnt(0)
	v_pk_mul_f32 v[10:11], v[4:5], v[8:9] op_sel:[1,1] op_sel_hi:[0,1]
	v_pk_fma_f32 v[12:13], v[4:5], v[8:9], v[10:11] neg_lo:[0,0,1] neg_hi:[0,0,1]
	v_pk_fma_f32 v[4:5], v[4:5], v[8:9], v[10:11] op_sel_hi:[1,0,1]
	s_nop 0
	v_mov_b32_e32 v13, v5
	scratch_store_dwordx2 off, v[12:13], off offset:216
.LBB95_123:
	s_or_b64 exec, exec, s[0:1]
	; wave barrier
	scratch_load_dwordx2 v[4:5], off, off offset:224
	v_cmp_gt_u32_e32 vcc, 28, v0
	s_waitcnt vmcnt(0)
	ds_write_b64 v1, v[4:5]
	s_waitcnt lgkmcnt(0)
	; wave barrier
	s_and_saveexec_b64 s[0:1], vcc
	s_cbranch_execz .LBB95_127
; %bb.124:
	v_mov_b32_e32 v4, 0
	v_add_u32_e32 v3, -1, v0
	v_add_u32_e32 v7, 0x100, v2
	v_mov_b32_e32 v8, v2
	s_mov_b64 s[4:5], 0
	v_mov_b32_e32 v5, v4
.LBB95_125:                             ; =>This Inner Loop Header: Depth=1
	scratch_load_dwordx2 v[10:11], v8, off
	ds_read_b64 v[12:13], v7
	v_add_u32_e32 v3, 1, v3
	v_cmp_lt_u32_e32 vcc, 26, v3
	v_add_u32_e32 v7, 8, v7
	v_add_u32_e32 v8, 8, v8
	s_or_b64 s[4:5], vcc, s[4:5]
	s_waitcnt vmcnt(0) lgkmcnt(0)
	v_pk_mul_f32 v[14:15], v[12:13], v[10:11] op_sel:[1,1] op_sel_hi:[0,1]
	v_pk_fma_f32 v[16:17], v[12:13], v[10:11], v[14:15] neg_lo:[0,0,1] neg_hi:[0,0,1]
	v_pk_fma_f32 v[10:11], v[12:13], v[10:11], v[14:15] op_sel_hi:[1,0,1]
	s_nop 0
	v_mov_b32_e32 v17, v11
	v_pk_add_f32 v[4:5], v[4:5], v[16:17]
	s_andn2_b64 exec, exec, s[4:5]
	s_cbranch_execnz .LBB95_125
; %bb.126:
	s_or_b64 exec, exec, s[4:5]
	v_mov_b32_e32 v3, 0
	ds_read_b64 v[8:9], v3 offset:224
	s_waitcnt lgkmcnt(0)
	v_pk_mul_f32 v[10:11], v[4:5], v[8:9] op_sel:[1,1] op_sel_hi:[0,1]
	v_pk_fma_f32 v[12:13], v[4:5], v[8:9], v[10:11] neg_lo:[0,0,1] neg_hi:[0,0,1]
	v_pk_fma_f32 v[4:5], v[4:5], v[8:9], v[10:11] op_sel_hi:[1,0,1]
	s_nop 0
	v_mov_b32_e32 v13, v5
	scratch_store_dwordx2 off, v[12:13], off offset:224
.LBB95_127:
	s_or_b64 exec, exec, s[0:1]
	; wave barrier
	scratch_load_dwordx2 v[4:5], off, off offset:232
	v_cmp_gt_u32_e32 vcc, 29, v0
	s_waitcnt vmcnt(0)
	ds_write_b64 v1, v[4:5]
	s_waitcnt lgkmcnt(0)
	; wave barrier
	s_and_saveexec_b64 s[0:1], vcc
	s_cbranch_execz .LBB95_131
; %bb.128:
	v_mov_b32_e32 v4, 0
	v_add_u32_e32 v3, -1, v0
	v_add_u32_e32 v7, 0x100, v2
	v_mov_b32_e32 v8, v2
	s_mov_b64 s[4:5], 0
	v_mov_b32_e32 v5, v4
.LBB95_129:                             ; =>This Inner Loop Header: Depth=1
	scratch_load_dwordx2 v[10:11], v8, off
	ds_read_b64 v[12:13], v7
	v_add_u32_e32 v3, 1, v3
	v_cmp_lt_u32_e32 vcc, 27, v3
	v_add_u32_e32 v7, 8, v7
	v_add_u32_e32 v8, 8, v8
	s_or_b64 s[4:5], vcc, s[4:5]
	s_waitcnt vmcnt(0) lgkmcnt(0)
	v_pk_mul_f32 v[14:15], v[12:13], v[10:11] op_sel:[1,1] op_sel_hi:[0,1]
	v_pk_fma_f32 v[16:17], v[12:13], v[10:11], v[14:15] neg_lo:[0,0,1] neg_hi:[0,0,1]
	v_pk_fma_f32 v[10:11], v[12:13], v[10:11], v[14:15] op_sel_hi:[1,0,1]
	s_nop 0
	v_mov_b32_e32 v17, v11
	v_pk_add_f32 v[4:5], v[4:5], v[16:17]
	s_andn2_b64 exec, exec, s[4:5]
	s_cbranch_execnz .LBB95_129
; %bb.130:
	s_or_b64 exec, exec, s[4:5]
	v_mov_b32_e32 v3, 0
	ds_read_b64 v[8:9], v3 offset:232
	s_waitcnt lgkmcnt(0)
	v_pk_mul_f32 v[10:11], v[4:5], v[8:9] op_sel:[1,1] op_sel_hi:[0,1]
	v_pk_fma_f32 v[12:13], v[4:5], v[8:9], v[10:11] neg_lo:[0,0,1] neg_hi:[0,0,1]
	v_pk_fma_f32 v[4:5], v[4:5], v[8:9], v[10:11] op_sel_hi:[1,0,1]
	s_nop 0
	v_mov_b32_e32 v13, v5
	scratch_store_dwordx2 off, v[12:13], off offset:232
.LBB95_131:
	s_or_b64 exec, exec, s[0:1]
	; wave barrier
	scratch_load_dwordx2 v[4:5], off, off offset:240
	v_cmp_gt_u32_e32 vcc, 30, v0
	s_waitcnt vmcnt(0)
	ds_write_b64 v1, v[4:5]
	s_waitcnt lgkmcnt(0)
	; wave barrier
	s_and_saveexec_b64 s[0:1], vcc
	s_cbranch_execz .LBB95_135
; %bb.132:
	v_mov_b32_e32 v4, 0
	v_add_u32_e32 v3, -1, v0
	v_add_u32_e32 v7, 0x100, v2
	v_mov_b32_e32 v8, v2
	s_mov_b64 s[4:5], 0
	v_mov_b32_e32 v5, v4
.LBB95_133:                             ; =>This Inner Loop Header: Depth=1
	scratch_load_dwordx2 v[10:11], v8, off
	ds_read_b64 v[12:13], v7
	v_add_u32_e32 v3, 1, v3
	v_cmp_lt_u32_e32 vcc, 28, v3
	v_add_u32_e32 v7, 8, v7
	v_add_u32_e32 v8, 8, v8
	s_or_b64 s[4:5], vcc, s[4:5]
	s_waitcnt vmcnt(0) lgkmcnt(0)
	v_pk_mul_f32 v[14:15], v[12:13], v[10:11] op_sel:[1,1] op_sel_hi:[0,1]
	v_pk_fma_f32 v[16:17], v[12:13], v[10:11], v[14:15] neg_lo:[0,0,1] neg_hi:[0,0,1]
	v_pk_fma_f32 v[10:11], v[12:13], v[10:11], v[14:15] op_sel_hi:[1,0,1]
	s_nop 0
	v_mov_b32_e32 v17, v11
	v_pk_add_f32 v[4:5], v[4:5], v[16:17]
	s_andn2_b64 exec, exec, s[4:5]
	s_cbranch_execnz .LBB95_133
; %bb.134:
	s_or_b64 exec, exec, s[4:5]
	v_mov_b32_e32 v3, 0
	ds_read_b64 v[8:9], v3 offset:240
	s_waitcnt lgkmcnt(0)
	v_pk_mul_f32 v[10:11], v[4:5], v[8:9] op_sel:[1,1] op_sel_hi:[0,1]
	v_pk_fma_f32 v[12:13], v[4:5], v[8:9], v[10:11] neg_lo:[0,0,1] neg_hi:[0,0,1]
	v_pk_fma_f32 v[4:5], v[4:5], v[8:9], v[10:11] op_sel_hi:[1,0,1]
	s_nop 0
	v_mov_b32_e32 v13, v5
	scratch_store_dwordx2 off, v[12:13], off offset:240
.LBB95_135:
	s_or_b64 exec, exec, s[0:1]
	; wave barrier
	scratch_load_dwordx2 v[4:5], off, off offset:248
	v_cmp_ne_u32_e32 vcc, 31, v0
	s_waitcnt vmcnt(0)
	ds_write_b64 v1, v[4:5]
	s_waitcnt lgkmcnt(0)
	; wave barrier
	s_and_saveexec_b64 s[0:1], vcc
	s_cbranch_execz .LBB95_139
; %bb.136:
	v_add_u32_e32 v1, 0x100, v2
	v_mov_b32_e32 v4, v2
	v_mov_b32_e32 v2, 0
	s_mov_b64 s[4:5], 0
	v_mov_b32_e32 v3, v2
.LBB95_137:                             ; =>This Inner Loop Header: Depth=1
	scratch_load_dwordx2 v[8:9], v4, off
	ds_read_b64 v[10:11], v1
	v_add_u32_e32 v6, 1, v6
	v_cmp_lt_u32_e32 vcc, 29, v6
	v_add_u32_e32 v1, 8, v1
	v_add_u32_e32 v4, 8, v4
	s_or_b64 s[4:5], vcc, s[4:5]
	s_waitcnt vmcnt(0) lgkmcnt(0)
	v_pk_mul_f32 v[12:13], v[10:11], v[8:9] op_sel:[1,1] op_sel_hi:[0,1]
	v_pk_fma_f32 v[14:15], v[10:11], v[8:9], v[12:13] neg_lo:[0,0,1] neg_hi:[0,0,1]
	v_pk_fma_f32 v[8:9], v[10:11], v[8:9], v[12:13] op_sel_hi:[1,0,1]
	s_nop 0
	v_mov_b32_e32 v15, v9
	v_pk_add_f32 v[2:3], v[2:3], v[14:15]
	s_andn2_b64 exec, exec, s[4:5]
	s_cbranch_execnz .LBB95_137
; %bb.138:
	s_or_b64 exec, exec, s[4:5]
	v_mov_b32_e32 v1, 0
	ds_read_b64 v[4:5], v1 offset:248
	s_waitcnt lgkmcnt(0)
	v_pk_mul_f32 v[6:7], v[2:3], v[4:5] op_sel:[1,1] op_sel_hi:[0,1]
	v_pk_fma_f32 v[8:9], v[2:3], v[4:5], v[6:7] neg_lo:[0,0,1] neg_hi:[0,0,1]
	v_pk_fma_f32 v[2:3], v[2:3], v[4:5], v[6:7] op_sel_hi:[1,0,1]
	s_nop 0
	v_mov_b32_e32 v9, v3
	scratch_store_dwordx2 off, v[8:9], off offset:248
.LBB95_139:
	s_or_b64 exec, exec, s[0:1]
	s_mov_b64 s[4:5], -1
	; wave barrier
.LBB95_140:
	s_and_b64 vcc, exec, s[4:5]
	s_cbranch_vccz .LBB95_142
; %bb.141:
	s_lshl_b64 s[0:1], s[2:3], 2
	s_add_u32 s0, s6, s0
	s_addc_u32 s1, s7, s1
	v_mov_b32_e32 v1, 0
	global_load_dword v1, v1, s[0:1]
	s_waitcnt vmcnt(0)
	v_cmp_ne_u32_e32 vcc, 0, v1
	s_cbranch_vccz .LBB95_143
.LBB95_142:
	s_endpgm
.LBB95_143:
	v_mov_b32_e32 v1, 0x100
	v_lshl_add_u32 v1, v0, 3, v1
	v_cmp_eq_u32_e32 vcc, 31, v0
	s_and_saveexec_b64 s[0:1], vcc
	s_cbranch_execz .LBB95_145
; %bb.144:
	scratch_load_dwordx2 v[2:3], off, off offset:240
	v_mov_b32_e32 v4, 0
	v_mov_b32_e32 v5, v4
	scratch_store_dwordx2 off, v[4:5], off offset:240
	s_waitcnt vmcnt(1)
	ds_write_b64 v1, v[2:3]
.LBB95_145:
	s_or_b64 exec, exec, s[0:1]
	s_waitcnt lgkmcnt(0)
	; wave barrier
	scratch_load_dwordx2 v[4:5], off, off offset:248
	scratch_load_dwordx2 v[6:7], off, off offset:240
	v_mov_b32_e32 v2, 0
	ds_read_b64 v[8:9], v2 offset:504
	v_cmp_lt_u32_e32 vcc, 29, v0
	s_waitcnt vmcnt(1) lgkmcnt(0)
	v_pk_mul_f32 v[10:11], v[8:9], v[4:5] op_sel:[1,1] op_sel_hi:[0,1]
	v_pk_fma_f32 v[12:13], v[8:9], v[4:5], v[10:11] neg_lo:[0,0,1] neg_hi:[0,0,1]
	v_pk_fma_f32 v[4:5], v[8:9], v[4:5], v[10:11] op_sel_hi:[1,0,1]
	s_nop 0
	v_mov_b32_e32 v13, v5
	v_pk_add_f32 v[4:5], v[12:13], 0 op_sel_hi:[1,0]
	s_waitcnt vmcnt(0)
	v_pk_add_f32 v[4:5], v[6:7], v[4:5] neg_lo:[0,1] neg_hi:[0,1]
	scratch_store_dwordx2 off, v[4:5], off offset:240
	s_and_saveexec_b64 s[0:1], vcc
	s_cbranch_execz .LBB95_147
; %bb.146:
	scratch_load_dwordx2 v[4:5], off, off offset:232
	v_mov_b32_e32 v3, v2
	scratch_store_dwordx2 off, v[2:3], off offset:232
	s_waitcnt vmcnt(1)
	ds_write_b64 v1, v[4:5]
.LBB95_147:
	s_or_b64 exec, exec, s[0:1]
	s_waitcnt lgkmcnt(0)
	; wave barrier
	scratch_load_dwordx4 v[4:7], off, off offset:240
	scratch_load_dwordx2 v[12:13], off, off offset:232
	ds_read_b128 v[8:11], v2 offset:496
	v_cmp_lt_u32_e32 vcc, 28, v0
	s_waitcnt vmcnt(1) lgkmcnt(0)
	v_pk_mul_f32 v[2:3], v[8:9], v[4:5] op_sel:[1,1] op_sel_hi:[0,1]
	v_mov_b32_e32 v14, v7
	v_pk_fma_f32 v[16:17], v[8:9], v[4:5], v[2:3] neg_lo:[0,0,1] neg_hi:[0,0,1]
	v_pk_fma_f32 v[2:3], v[8:9], v[4:5], v[2:3] op_sel_hi:[1,0,1]
	v_pk_mul_f32 v[4:5], v[10:11], v[14:15] op_sel:[1,0] op_sel_hi:[0,0]
	v_mov_b32_e32 v17, v3
	v_pk_fma_f32 v[2:3], v[10:11], v[6:7], v[4:5] neg_lo:[0,0,1] neg_hi:[0,0,1]
	v_pk_fma_f32 v[4:5], v[10:11], v[6:7], v[4:5] op_sel_hi:[1,0,1]
	v_pk_add_f32 v[6:7], v[16:17], 0 op_sel_hi:[1,0]
	v_mov_b32_e32 v3, v5
	v_pk_add_f32 v[2:3], v[6:7], v[2:3]
	s_waitcnt vmcnt(0)
	v_pk_add_f32 v[2:3], v[12:13], v[2:3] neg_lo:[0,1] neg_hi:[0,1]
	scratch_store_dwordx2 off, v[2:3], off offset:232
	s_and_saveexec_b64 s[0:1], vcc
	s_cbranch_execz .LBB95_149
; %bb.148:
	scratch_load_dwordx2 v[2:3], off, off offset:224
	v_mov_b32_e32 v4, 0
	v_mov_b32_e32 v5, v4
	scratch_store_dwordx2 off, v[4:5], off offset:224
	s_waitcnt vmcnt(1)
	ds_write_b64 v1, v[2:3]
.LBB95_149:
	s_or_b64 exec, exec, s[0:1]
	s_waitcnt lgkmcnt(0)
	; wave barrier
	scratch_load_dwordx4 v[4:7], off, off offset:232
	scratch_load_dwordx2 v[12:13], off, off offset:248
	scratch_load_dwordx2 v[14:15], off, off offset:224
	v_mov_b32_e32 v2, 0
	ds_read2_b64 v[8:11], v2 offset0:61 offset1:62
	ds_read_b64 v[16:17], v2 offset:504
	v_cmp_lt_u32_e32 vcc, 27, v0
	s_waitcnt vmcnt(2) lgkmcnt(1)
	v_pk_mul_f32 v[18:19], v[8:9], v[4:5] op_sel:[1,1] op_sel_hi:[0,1]
	v_mov_b32_e32 v20, v7
	v_pk_fma_f32 v[24:25], v[8:9], v[4:5], v[18:19] neg_lo:[0,0,1] neg_hi:[0,0,1]
	v_pk_fma_f32 v[4:5], v[8:9], v[4:5], v[18:19] op_sel_hi:[1,0,1]
	v_pk_mul_f32 v[8:9], v[10:11], v[20:21] op_sel:[1,0] op_sel_hi:[0,0]
	s_waitcnt vmcnt(1) lgkmcnt(0)
	v_pk_mul_f32 v[22:23], v[16:17], v[12:13] op_sel:[1,1] op_sel_hi:[0,1]
	v_mov_b32_e32 v25, v5
	v_pk_fma_f32 v[4:5], v[10:11], v[6:7], v[8:9] neg_lo:[0,0,1] neg_hi:[0,0,1]
	v_pk_fma_f32 v[6:7], v[10:11], v[6:7], v[8:9] op_sel_hi:[1,0,1]
	v_pk_fma_f32 v[18:19], v[16:17], v[12:13], v[22:23] neg_lo:[0,0,1] neg_hi:[0,0,1]
	v_pk_fma_f32 v[12:13], v[16:17], v[12:13], v[22:23] op_sel_hi:[1,0,1]
	v_pk_add_f32 v[8:9], v[24:25], 0 op_sel_hi:[1,0]
	v_mov_b32_e32 v5, v7
	v_mov_b32_e32 v19, v13
	v_pk_add_f32 v[4:5], v[8:9], v[4:5]
	s_nop 0
	v_pk_add_f32 v[4:5], v[4:5], v[18:19]
	s_waitcnt vmcnt(0)
	v_pk_add_f32 v[4:5], v[14:15], v[4:5] neg_lo:[0,1] neg_hi:[0,1]
	scratch_store_dwordx2 off, v[4:5], off offset:224
	s_and_saveexec_b64 s[0:1], vcc
	s_cbranch_execz .LBB95_151
; %bb.150:
	scratch_load_dwordx2 v[4:5], off, off offset:216
	v_mov_b32_e32 v3, v2
	scratch_store_dwordx2 off, v[2:3], off offset:216
	s_waitcnt vmcnt(1)
	ds_write_b64 v1, v[4:5]
.LBB95_151:
	s_or_b64 exec, exec, s[0:1]
	s_waitcnt lgkmcnt(0)
	; wave barrier
	scratch_load_dwordx4 v[4:7], off, off offset:224
	scratch_load_dwordx4 v[8:11], off, off offset:240
	scratch_load_dwordx2 v[20:21], off, off offset:216
	ds_read_b128 v[12:15], v2 offset:480
	ds_read_b128 v[16:19], v2 offset:496
	v_cmp_lt_u32_e32 vcc, 26, v0
	s_waitcnt vmcnt(2) lgkmcnt(1)
	v_pk_mul_f32 v[2:3], v[12:13], v[4:5] op_sel:[1,1] op_sel_hi:[0,1]
	v_mov_b32_e32 v22, v7
	s_waitcnt vmcnt(1) lgkmcnt(0)
	v_pk_mul_f32 v[24:25], v[16:17], v[8:9] op_sel:[1,1] op_sel_hi:[0,1]
	v_mov_b32_e32 v26, v11
	v_pk_fma_f32 v[28:29], v[12:13], v[4:5], v[2:3] neg_lo:[0,0,1] neg_hi:[0,0,1]
	v_pk_fma_f32 v[2:3], v[12:13], v[4:5], v[2:3] op_sel_hi:[1,0,1]
	v_pk_mul_f32 v[4:5], v[14:15], v[22:23] op_sel:[1,0] op_sel_hi:[0,0]
	v_pk_fma_f32 v[12:13], v[16:17], v[8:9], v[24:25] neg_lo:[0,0,1] neg_hi:[0,0,1]
	v_pk_fma_f32 v[8:9], v[16:17], v[8:9], v[24:25] op_sel_hi:[1,0,1]
	v_pk_mul_f32 v[16:17], v[18:19], v[26:27] op_sel:[1,0] op_sel_hi:[0,0]
	v_mov_b32_e32 v29, v3
	v_pk_fma_f32 v[2:3], v[14:15], v[6:7], v[4:5] neg_lo:[0,0,1] neg_hi:[0,0,1]
	v_pk_fma_f32 v[4:5], v[14:15], v[6:7], v[4:5] op_sel_hi:[1,0,1]
	v_mov_b32_e32 v13, v9
	v_pk_fma_f32 v[6:7], v[18:19], v[10:11], v[16:17] neg_lo:[0,0,1] neg_hi:[0,0,1]
	v_pk_fma_f32 v[8:9], v[18:19], v[10:11], v[16:17] op_sel_hi:[1,0,1]
	v_pk_add_f32 v[10:11], v[28:29], 0 op_sel_hi:[1,0]
	v_mov_b32_e32 v3, v5
	v_pk_add_f32 v[2:3], v[10:11], v[2:3]
	v_mov_b32_e32 v7, v9
	v_pk_add_f32 v[2:3], v[2:3], v[12:13]
	s_nop 0
	v_pk_add_f32 v[2:3], v[2:3], v[6:7]
	s_waitcnt vmcnt(0)
	v_pk_add_f32 v[2:3], v[20:21], v[2:3] neg_lo:[0,1] neg_hi:[0,1]
	scratch_store_dwordx2 off, v[2:3], off offset:216
	s_and_saveexec_b64 s[0:1], vcc
	s_cbranch_execz .LBB95_153
; %bb.152:
	scratch_load_dwordx2 v[2:3], off, off offset:208
	v_mov_b32_e32 v4, 0
	v_mov_b32_e32 v5, v4
	scratch_store_dwordx2 off, v[4:5], off offset:208
	s_waitcnt vmcnt(1)
	ds_write_b64 v1, v[2:3]
.LBB95_153:
	s_or_b64 exec, exec, s[0:1]
	s_waitcnt lgkmcnt(0)
	; wave barrier
	scratch_load_dwordx4 v[4:7], off, off offset:216
	scratch_load_dwordx4 v[8:11], off, off offset:232
	scratch_load_dwordx2 v[20:21], off, off offset:248
	scratch_load_dwordx2 v[22:23], off, off offset:208
	v_mov_b32_e32 v2, 0
	ds_read2_b64 v[12:15], v2 offset0:59 offset1:60
	ds_read2_b64 v[16:19], v2 offset0:61 offset1:62
	ds_read_b64 v[24:25], v2 offset:504
	v_cmp_lt_u32_e32 vcc, 25, v0
	s_waitcnt vmcnt(3) lgkmcnt(2)
	v_pk_mul_f32 v[26:27], v[12:13], v[4:5] op_sel:[1,1] op_sel_hi:[0,1]
	v_mov_b32_e32 v28, v7
	v_pk_fma_f32 v[36:37], v[12:13], v[4:5], v[26:27] neg_lo:[0,0,1] neg_hi:[0,0,1]
	v_pk_fma_f32 v[4:5], v[12:13], v[4:5], v[26:27] op_sel_hi:[1,0,1]
	v_pk_mul_f32 v[12:13], v[14:15], v[28:29] op_sel:[1,0] op_sel_hi:[0,0]
	s_waitcnt vmcnt(2) lgkmcnt(1)
	v_pk_mul_f32 v[30:31], v[16:17], v[8:9] op_sel:[1,1] op_sel_hi:[0,1]
	v_mov_b32_e32 v32, v11
	v_mov_b32_e32 v37, v5
	v_pk_fma_f32 v[4:5], v[14:15], v[6:7], v[12:13] neg_lo:[0,0,1] neg_hi:[0,0,1]
	v_pk_fma_f32 v[6:7], v[14:15], v[6:7], v[12:13] op_sel_hi:[1,0,1]
	v_pk_fma_f32 v[26:27], v[16:17], v[8:9], v[30:31] neg_lo:[0,0,1] neg_hi:[0,0,1]
	v_pk_fma_f32 v[8:9], v[16:17], v[8:9], v[30:31] op_sel_hi:[1,0,1]
	v_pk_mul_f32 v[16:17], v[18:19], v[32:33] op_sel:[1,0] op_sel_hi:[0,0]
	v_pk_add_f32 v[12:13], v[36:37], 0 op_sel_hi:[1,0]
	v_mov_b32_e32 v5, v7
	s_waitcnt vmcnt(1) lgkmcnt(0)
	v_pk_mul_f32 v[34:35], v[24:25], v[20:21] op_sel:[1,1] op_sel_hi:[0,1]
	v_mov_b32_e32 v27, v9
	v_pk_fma_f32 v[8:9], v[18:19], v[10:11], v[16:17] neg_lo:[0,0,1] neg_hi:[0,0,1]
	v_pk_fma_f32 v[10:11], v[18:19], v[10:11], v[16:17] op_sel_hi:[1,0,1]
	v_pk_add_f32 v[4:5], v[12:13], v[4:5]
	v_pk_fma_f32 v[28:29], v[24:25], v[20:21], v[34:35] neg_lo:[0,0,1] neg_hi:[0,0,1]
	v_pk_fma_f32 v[20:21], v[24:25], v[20:21], v[34:35] op_sel_hi:[1,0,1]
	v_mov_b32_e32 v9, v11
	v_pk_add_f32 v[4:5], v[4:5], v[26:27]
	v_mov_b32_e32 v29, v21
	v_pk_add_f32 v[4:5], v[4:5], v[8:9]
	s_nop 0
	v_pk_add_f32 v[4:5], v[4:5], v[28:29]
	s_waitcnt vmcnt(0)
	v_pk_add_f32 v[4:5], v[22:23], v[4:5] neg_lo:[0,1] neg_hi:[0,1]
	scratch_store_dwordx2 off, v[4:5], off offset:208
	s_and_saveexec_b64 s[0:1], vcc
	s_cbranch_execz .LBB95_155
; %bb.154:
	scratch_load_dwordx2 v[4:5], off, off offset:200
	v_mov_b32_e32 v3, v2
	scratch_store_dwordx2 off, v[2:3], off offset:200
	s_waitcnt vmcnt(1)
	ds_write_b64 v1, v[4:5]
.LBB95_155:
	s_or_b64 exec, exec, s[0:1]
	s_waitcnt lgkmcnt(0)
	; wave barrier
	scratch_load_dwordx4 v[4:7], off, off offset:208
	scratch_load_dwordx4 v[8:11], off, off offset:224
	;; [unrolled: 1-line block ×3, first 2 shown]
	scratch_load_dwordx2 v[28:29], off, off offset:200
	ds_read_b128 v[16:19], v2 offset:464
	ds_read_b128 v[20:23], v2 offset:480
	;; [unrolled: 1-line block ×3, first 2 shown]
	v_cmp_lt_u32_e32 vcc, 24, v0
	s_waitcnt vmcnt(3) lgkmcnt(2)
	v_pk_mul_f32 v[2:3], v[16:17], v[4:5] op_sel:[1,1] op_sel_hi:[0,1]
	v_mov_b32_e32 v30, v7
	s_waitcnt vmcnt(2) lgkmcnt(1)
	v_pk_mul_f32 v[32:33], v[20:21], v[8:9] op_sel:[1,1] op_sel_hi:[0,1]
	v_mov_b32_e32 v34, v11
	;; [unrolled: 3-line block ×3, first 2 shown]
	v_pk_fma_f32 v[40:41], v[16:17], v[4:5], v[2:3] neg_lo:[0,0,1] neg_hi:[0,0,1]
	v_pk_fma_f32 v[2:3], v[16:17], v[4:5], v[2:3] op_sel_hi:[1,0,1]
	v_pk_mul_f32 v[4:5], v[18:19], v[30:31] op_sel:[1,0] op_sel_hi:[0,0]
	v_pk_fma_f32 v[16:17], v[20:21], v[8:9], v[32:33] neg_lo:[0,0,1] neg_hi:[0,0,1]
	v_pk_fma_f32 v[8:9], v[20:21], v[8:9], v[32:33] op_sel_hi:[1,0,1]
	v_pk_mul_f32 v[20:21], v[22:23], v[34:35] op_sel:[1,0] op_sel_hi:[0,0]
	;; [unrolled: 3-line block ×3, first 2 shown]
	v_mov_b32_e32 v41, v3
	v_pk_fma_f32 v[2:3], v[18:19], v[6:7], v[4:5] neg_lo:[0,0,1] neg_hi:[0,0,1]
	v_pk_fma_f32 v[4:5], v[18:19], v[6:7], v[4:5] op_sel_hi:[1,0,1]
	v_mov_b32_e32 v17, v9
	v_pk_fma_f32 v[6:7], v[22:23], v[10:11], v[20:21] neg_lo:[0,0,1] neg_hi:[0,0,1]
	v_pk_fma_f32 v[8:9], v[22:23], v[10:11], v[20:21] op_sel_hi:[1,0,1]
	;; [unrolled: 3-line block ×3, first 2 shown]
	v_pk_add_f32 v[14:15], v[40:41], 0 op_sel_hi:[1,0]
	v_mov_b32_e32 v3, v5
	v_pk_add_f32 v[2:3], v[14:15], v[2:3]
	v_mov_b32_e32 v7, v9
	v_pk_add_f32 v[2:3], v[2:3], v[16:17]
	;; [unrolled: 2-line block ×3, first 2 shown]
	s_nop 0
	v_pk_add_f32 v[2:3], v[2:3], v[30:31]
	s_nop 0
	v_pk_add_f32 v[2:3], v[2:3], v[10:11]
	s_waitcnt vmcnt(0)
	v_pk_add_f32 v[2:3], v[28:29], v[2:3] neg_lo:[0,1] neg_hi:[0,1]
	scratch_store_dwordx2 off, v[2:3], off offset:200
	s_and_saveexec_b64 s[0:1], vcc
	s_cbranch_execz .LBB95_157
; %bb.156:
	scratch_load_dwordx2 v[2:3], off, off offset:192
	v_mov_b32_e32 v4, 0
	v_mov_b32_e32 v5, v4
	scratch_store_dwordx2 off, v[4:5], off offset:192
	s_waitcnt vmcnt(1)
	ds_write_b64 v1, v[2:3]
.LBB95_157:
	s_or_b64 exec, exec, s[0:1]
	s_waitcnt lgkmcnt(0)
	; wave barrier
	scratch_load_dwordx4 v[4:7], off, off offset:200
	scratch_load_dwordx4 v[8:11], off, off offset:216
	scratch_load_dwordx4 v[12:15], off, off offset:232
	scratch_load_dwordx2 v[28:29], off, off offset:248
	scratch_load_dwordx2 v[30:31], off, off offset:192
	v_mov_b32_e32 v2, 0
	ds_read2_b64 v[16:19], v2 offset0:57 offset1:58
	ds_read2_b64 v[20:23], v2 offset0:59 offset1:60
	;; [unrolled: 1-line block ×3, first 2 shown]
	ds_read_b64 v[32:33], v2 offset:504
	v_cmp_lt_u32_e32 vcc, 23, v0
	s_waitcnt vmcnt(4) lgkmcnt(3)
	v_pk_mul_f32 v[34:35], v[16:17], v[4:5] op_sel:[1,1] op_sel_hi:[0,1]
	v_mov_b32_e32 v36, v7
	v_pk_fma_f32 v[48:49], v[16:17], v[4:5], v[34:35] neg_lo:[0,0,1] neg_hi:[0,0,1]
	v_pk_fma_f32 v[4:5], v[16:17], v[4:5], v[34:35] op_sel_hi:[1,0,1]
	v_pk_mul_f32 v[16:17], v[18:19], v[36:37] op_sel:[1,0] op_sel_hi:[0,0]
	s_waitcnt vmcnt(3) lgkmcnt(2)
	v_pk_mul_f32 v[38:39], v[20:21], v[8:9] op_sel:[1,1] op_sel_hi:[0,1]
	v_mov_b32_e32 v40, v11
	v_mov_b32_e32 v49, v5
	v_pk_fma_f32 v[4:5], v[18:19], v[6:7], v[16:17] neg_lo:[0,0,1] neg_hi:[0,0,1]
	v_pk_fma_f32 v[6:7], v[18:19], v[6:7], v[16:17] op_sel_hi:[1,0,1]
	v_pk_fma_f32 v[34:35], v[20:21], v[8:9], v[38:39] neg_lo:[0,0,1] neg_hi:[0,0,1]
	v_pk_fma_f32 v[8:9], v[20:21], v[8:9], v[38:39] op_sel_hi:[1,0,1]
	v_pk_mul_f32 v[20:21], v[22:23], v[40:41] op_sel:[1,0] op_sel_hi:[0,0]
	v_pk_add_f32 v[16:17], v[48:49], 0 op_sel_hi:[1,0]
	v_mov_b32_e32 v5, v7
	s_waitcnt vmcnt(2) lgkmcnt(1)
	v_pk_mul_f32 v[42:43], v[24:25], v[12:13] op_sel:[1,1] op_sel_hi:[0,1]
	v_mov_b32_e32 v44, v15
	v_mov_b32_e32 v35, v9
	v_pk_fma_f32 v[8:9], v[22:23], v[10:11], v[20:21] neg_lo:[0,0,1] neg_hi:[0,0,1]
	v_pk_fma_f32 v[10:11], v[22:23], v[10:11], v[20:21] op_sel_hi:[1,0,1]
	v_pk_add_f32 v[4:5], v[16:17], v[4:5]
	v_pk_fma_f32 v[36:37], v[24:25], v[12:13], v[42:43] neg_lo:[0,0,1] neg_hi:[0,0,1]
	v_pk_fma_f32 v[12:13], v[24:25], v[12:13], v[42:43] op_sel_hi:[1,0,1]
	v_pk_mul_f32 v[24:25], v[26:27], v[44:45] op_sel:[1,0] op_sel_hi:[0,0]
	v_mov_b32_e32 v9, v11
	v_pk_add_f32 v[4:5], v[4:5], v[34:35]
	s_waitcnt vmcnt(1) lgkmcnt(0)
	v_pk_mul_f32 v[46:47], v[32:33], v[28:29] op_sel:[1,1] op_sel_hi:[0,1]
	v_mov_b32_e32 v37, v13
	v_pk_fma_f32 v[12:13], v[26:27], v[14:15], v[24:25] neg_lo:[0,0,1] neg_hi:[0,0,1]
	v_pk_fma_f32 v[14:15], v[26:27], v[14:15], v[24:25] op_sel_hi:[1,0,1]
	v_pk_add_f32 v[4:5], v[4:5], v[8:9]
	v_pk_fma_f32 v[38:39], v[32:33], v[28:29], v[46:47] neg_lo:[0,0,1] neg_hi:[0,0,1]
	v_pk_fma_f32 v[28:29], v[32:33], v[28:29], v[46:47] op_sel_hi:[1,0,1]
	v_mov_b32_e32 v13, v15
	v_pk_add_f32 v[4:5], v[4:5], v[36:37]
	v_mov_b32_e32 v39, v29
	v_pk_add_f32 v[4:5], v[4:5], v[12:13]
	s_nop 0
	v_pk_add_f32 v[4:5], v[4:5], v[38:39]
	s_waitcnt vmcnt(0)
	v_pk_add_f32 v[4:5], v[30:31], v[4:5] neg_lo:[0,1] neg_hi:[0,1]
	scratch_store_dwordx2 off, v[4:5], off offset:192
	s_and_saveexec_b64 s[0:1], vcc
	s_cbranch_execz .LBB95_159
; %bb.158:
	scratch_load_dwordx2 v[4:5], off, off offset:184
	v_mov_b32_e32 v3, v2
	scratch_store_dwordx2 off, v[2:3], off offset:184
	s_waitcnt vmcnt(1)
	ds_write_b64 v1, v[4:5]
.LBB95_159:
	s_or_b64 exec, exec, s[0:1]
	s_waitcnt lgkmcnt(0)
	; wave barrier
	scratch_load_dwordx4 v[4:7], off, off offset:192
	scratch_load_dwordx4 v[8:11], off, off offset:208
	;; [unrolled: 1-line block ×4, first 2 shown]
	scratch_load_dwordx2 v[36:37], off, off offset:184
	ds_read_b128 v[20:23], v2 offset:448
	ds_read_b128 v[24:27], v2 offset:464
	;; [unrolled: 1-line block ×4, first 2 shown]
	v_cmp_lt_u32_e32 vcc, 22, v0
	s_waitcnt vmcnt(4) lgkmcnt(3)
	v_pk_mul_f32 v[2:3], v[20:21], v[4:5] op_sel:[1,1] op_sel_hi:[0,1]
	v_mov_b32_e32 v38, v7
	s_waitcnt vmcnt(3) lgkmcnt(2)
	v_pk_mul_f32 v[40:41], v[24:25], v[8:9] op_sel:[1,1] op_sel_hi:[0,1]
	v_mov_b32_e32 v42, v11
	;; [unrolled: 3-line block ×4, first 2 shown]
	v_pk_fma_f32 v[52:53], v[20:21], v[4:5], v[2:3] neg_lo:[0,0,1] neg_hi:[0,0,1]
	v_pk_fma_f32 v[2:3], v[20:21], v[4:5], v[2:3] op_sel_hi:[1,0,1]
	v_pk_mul_f32 v[4:5], v[22:23], v[38:39] op_sel:[1,0] op_sel_hi:[0,0]
	v_pk_fma_f32 v[20:21], v[24:25], v[8:9], v[40:41] neg_lo:[0,0,1] neg_hi:[0,0,1]
	v_pk_fma_f32 v[8:9], v[24:25], v[8:9], v[40:41] op_sel_hi:[1,0,1]
	v_pk_mul_f32 v[24:25], v[26:27], v[42:43] op_sel:[1,0] op_sel_hi:[0,0]
	;; [unrolled: 3-line block ×4, first 2 shown]
	v_mov_b32_e32 v53, v3
	v_pk_fma_f32 v[2:3], v[22:23], v[6:7], v[4:5] neg_lo:[0,0,1] neg_hi:[0,0,1]
	v_pk_fma_f32 v[4:5], v[22:23], v[6:7], v[4:5] op_sel_hi:[1,0,1]
	v_mov_b32_e32 v21, v9
	v_pk_fma_f32 v[6:7], v[26:27], v[10:11], v[24:25] neg_lo:[0,0,1] neg_hi:[0,0,1]
	v_pk_fma_f32 v[8:9], v[26:27], v[10:11], v[24:25] op_sel_hi:[1,0,1]
	;; [unrolled: 3-line block ×4, first 2 shown]
	v_pk_add_f32 v[18:19], v[52:53], 0 op_sel_hi:[1,0]
	v_mov_b32_e32 v3, v5
	v_pk_add_f32 v[2:3], v[18:19], v[2:3]
	v_mov_b32_e32 v7, v9
	v_pk_add_f32 v[2:3], v[2:3], v[20:21]
	;; [unrolled: 2-line block ×4, first 2 shown]
	s_nop 0
	v_pk_add_f32 v[2:3], v[2:3], v[10:11]
	s_nop 0
	v_pk_add_f32 v[2:3], v[2:3], v[40:41]
	;; [unrolled: 2-line block ×3, first 2 shown]
	s_waitcnt vmcnt(0)
	v_pk_add_f32 v[2:3], v[36:37], v[2:3] neg_lo:[0,1] neg_hi:[0,1]
	scratch_store_dwordx2 off, v[2:3], off offset:184
	s_and_saveexec_b64 s[0:1], vcc
	s_cbranch_execz .LBB95_161
; %bb.160:
	scratch_load_dwordx2 v[2:3], off, off offset:176
	v_mov_b32_e32 v4, 0
	v_mov_b32_e32 v5, v4
	scratch_store_dwordx2 off, v[4:5], off offset:176
	s_waitcnt vmcnt(1)
	ds_write_b64 v1, v[2:3]
.LBB95_161:
	s_or_b64 exec, exec, s[0:1]
	s_waitcnt lgkmcnt(0)
	; wave barrier
	scratch_load_dwordx4 v[4:7], off, off offset:184
	scratch_load_dwordx4 v[8:11], off, off offset:200
	;; [unrolled: 1-line block ×4, first 2 shown]
	scratch_load_dwordx2 v[36:37], off, off offset:248
	scratch_load_dwordx2 v[38:39], off, off offset:176
	v_mov_b32_e32 v2, 0
	ds_read2_b64 v[20:23], v2 offset0:55 offset1:56
	ds_read2_b64 v[24:27], v2 offset0:57 offset1:58
	;; [unrolled: 1-line block ×4, first 2 shown]
	ds_read_b64 v[40:41], v2 offset:504
	v_cmp_lt_u32_e32 vcc, 21, v0
	s_waitcnt vmcnt(5) lgkmcnt(4)
	v_mul_f32_e32 v43, v20, v5
	v_mul_f32_e32 v3, v21, v5
	v_mov_b32_e32 v44, v7
	s_waitcnt vmcnt(4) lgkmcnt(3)
	v_pk_mul_f32 v[46:47], v[24:25], v[8:9] op_sel:[1,1] op_sel_hi:[0,1]
	v_mov_b32_e32 v48, v11
	s_waitcnt vmcnt(1) lgkmcnt(0)
	v_pk_mul_f32 v[58:59], v[40:41], v[36:37] op_sel:[1,1] op_sel_hi:[0,1]
	v_fmac_f32_e32 v43, v21, v4
	v_fma_f32 v42, v20, v4, -v3
	v_pk_mul_f32 v[4:5], v[22:23], v[44:45] op_sel:[1,0] op_sel_hi:[0,0]
	v_pk_fma_f32 v[20:21], v[24:25], v[8:9], v[46:47] neg_lo:[0,0,1] neg_hi:[0,0,1]
	v_pk_fma_f32 v[8:9], v[24:25], v[8:9], v[46:47] op_sel_hi:[1,0,1]
	v_pk_mul_f32 v[24:25], v[26:27], v[48:49] op_sel:[1,0] op_sel_hi:[0,0]
	v_pk_fma_f32 v[48:49], v[40:41], v[36:37], v[58:59] neg_lo:[0,0,1] neg_hi:[0,0,1]
	v_pk_fma_f32 v[36:37], v[40:41], v[36:37], v[58:59] op_sel_hi:[1,0,1]
	v_pk_add_f32 v[40:41], v[42:43], 0 op_sel_hi:[1,0]
	v_pk_fma_f32 v[42:43], v[22:23], v[6:7], v[4:5] neg_lo:[0,0,1] neg_hi:[0,0,1]
	v_pk_fma_f32 v[4:5], v[22:23], v[6:7], v[4:5] op_sel_hi:[1,0,1]
	v_pk_mul_f32 v[50:51], v[28:29], v[12:13] op_sel:[1,1] op_sel_hi:[0,1]
	v_mov_b32_e32 v43, v5
	v_mov_b32_e32 v52, v15
	;; [unrolled: 1-line block ×3, first 2 shown]
	v_pk_fma_f32 v[6:7], v[26:27], v[10:11], v[24:25] neg_lo:[0,0,1] neg_hi:[0,0,1]
	v_pk_fma_f32 v[8:9], v[26:27], v[10:11], v[24:25] op_sel_hi:[1,0,1]
	v_pk_add_f32 v[4:5], v[40:41], v[42:43]
	v_pk_fma_f32 v[44:45], v[28:29], v[12:13], v[50:51] neg_lo:[0,0,1] neg_hi:[0,0,1]
	v_pk_fma_f32 v[12:13], v[28:29], v[12:13], v[50:51] op_sel_hi:[1,0,1]
	v_pk_mul_f32 v[28:29], v[30:31], v[52:53] op_sel:[1,0] op_sel_hi:[0,0]
	v_mov_b32_e32 v7, v9
	v_pk_add_f32 v[4:5], v[4:5], v[20:21]
	v_pk_mul_f32 v[54:55], v[32:33], v[16:17] op_sel:[1,1] op_sel_hi:[0,1]
	v_mov_b32_e32 v56, v19
	v_mov_b32_e32 v45, v13
	v_pk_fma_f32 v[10:11], v[30:31], v[14:15], v[28:29] neg_lo:[0,0,1] neg_hi:[0,0,1]
	v_pk_fma_f32 v[12:13], v[30:31], v[14:15], v[28:29] op_sel_hi:[1,0,1]
	v_pk_add_f32 v[4:5], v[4:5], v[6:7]
	v_pk_fma_f32 v[46:47], v[32:33], v[16:17], v[54:55] neg_lo:[0,0,1] neg_hi:[0,0,1]
	v_pk_fma_f32 v[16:17], v[32:33], v[16:17], v[54:55] op_sel_hi:[1,0,1]
	v_pk_mul_f32 v[32:33], v[34:35], v[56:57] op_sel:[1,0] op_sel_hi:[0,0]
	v_mov_b32_e32 v11, v13
	v_pk_add_f32 v[4:5], v[4:5], v[44:45]
	v_mov_b32_e32 v47, v17
	v_pk_fma_f32 v[14:15], v[34:35], v[18:19], v[32:33] neg_lo:[0,0,1] neg_hi:[0,0,1]
	v_pk_fma_f32 v[16:17], v[34:35], v[18:19], v[32:33] op_sel_hi:[1,0,1]
	v_pk_add_f32 v[4:5], v[4:5], v[10:11]
	v_mov_b32_e32 v15, v17
	v_pk_add_f32 v[4:5], v[4:5], v[46:47]
	v_mov_b32_e32 v49, v37
	v_pk_add_f32 v[4:5], v[4:5], v[14:15]
	s_nop 0
	v_pk_add_f32 v[4:5], v[4:5], v[48:49]
	s_waitcnt vmcnt(0)
	v_pk_add_f32 v[4:5], v[38:39], v[4:5] neg_lo:[0,1] neg_hi:[0,1]
	scratch_store_dwordx2 off, v[4:5], off offset:176
	s_and_saveexec_b64 s[0:1], vcc
	s_cbranch_execz .LBB95_163
; %bb.162:
	scratch_load_dwordx2 v[4:5], off, off offset:168
	v_mov_b32_e32 v3, v2
	scratch_store_dwordx2 off, v[2:3], off offset:168
	s_waitcnt vmcnt(1)
	ds_write_b64 v1, v[4:5]
.LBB95_163:
	s_or_b64 exec, exec, s[0:1]
	s_waitcnt lgkmcnt(0)
	; wave barrier
	scratch_load_dwordx4 v[4:7], off, off offset:176
	scratch_load_dwordx4 v[8:11], off, off offset:192
	;; [unrolled: 1-line block ×5, first 2 shown]
	scratch_load_dwordx2 v[44:45], off, off offset:168
	ds_read_b128 v[24:27], v2 offset:432
	ds_read_b128 v[28:31], v2 offset:448
	;; [unrolled: 1-line block ×5, first 2 shown]
	v_cmp_lt_u32_e32 vcc, 20, v0
	s_waitcnt vmcnt(5) lgkmcnt(4)
	v_mul_f32_e32 v3, v24, v5
	v_mul_f32_e32 v2, v25, v5
	;; [unrolled: 1-line block ×4, first 2 shown]
	s_waitcnt vmcnt(4) lgkmcnt(3)
	v_pk_mul_f32 v[48:49], v[28:29], v[8:9] op_sel:[1,1] op_sel_hi:[0,1]
	v_mov_b32_e32 v50, v11
	v_fmac_f32_e32 v3, v25, v4
	v_fma_f32 v2, v24, v4, -v2
	v_fmac_f32_e32 v47, v27, v6
	v_fma_f32 v46, v26, v6, -v5
	v_pk_fma_f32 v[4:5], v[28:29], v[8:9], v[48:49] neg_lo:[0,0,1] neg_hi:[0,0,1]
	v_pk_fma_f32 v[6:7], v[28:29], v[8:9], v[48:49] op_sel_hi:[1,0,1]
	v_pk_mul_f32 v[8:9], v[30:31], v[50:51] op_sel:[1,0] op_sel_hi:[0,0]
	v_pk_add_f32 v[2:3], v[2:3], 0 op_sel_hi:[1,0]
	s_waitcnt vmcnt(3) lgkmcnt(2)
	v_pk_mul_f32 v[52:53], v[32:33], v[12:13] op_sel:[1,1] op_sel_hi:[0,1]
	v_mov_b32_e32 v54, v15
	v_mov_b32_e32 v5, v7
	v_pk_fma_f32 v[6:7], v[30:31], v[10:11], v[8:9] neg_lo:[0,0,1] neg_hi:[0,0,1]
	v_pk_fma_f32 v[8:9], v[30:31], v[10:11], v[8:9] op_sel_hi:[1,0,1]
	v_pk_add_f32 v[2:3], v[2:3], v[46:47]
	v_pk_fma_f32 v[24:25], v[32:33], v[12:13], v[52:53] neg_lo:[0,0,1] neg_hi:[0,0,1]
	v_pk_fma_f32 v[12:13], v[32:33], v[12:13], v[52:53] op_sel_hi:[1,0,1]
	v_pk_mul_f32 v[26:27], v[34:35], v[54:55] op_sel:[1,0] op_sel_hi:[0,0]
	v_mov_b32_e32 v7, v9
	v_pk_add_f32 v[2:3], v[2:3], v[4:5]
	s_waitcnt vmcnt(2) lgkmcnt(1)
	v_pk_mul_f32 v[56:57], v[36:37], v[16:17] op_sel:[1,1] op_sel_hi:[0,1]
	v_mov_b32_e32 v58, v19
	v_mov_b32_e32 v25, v13
	v_pk_fma_f32 v[10:11], v[34:35], v[14:15], v[26:27] neg_lo:[0,0,1] neg_hi:[0,0,1]
	v_pk_fma_f32 v[12:13], v[34:35], v[14:15], v[26:27] op_sel_hi:[1,0,1]
	v_pk_add_f32 v[2:3], v[2:3], v[6:7]
	v_pk_fma_f32 v[28:29], v[36:37], v[16:17], v[56:57] neg_lo:[0,0,1] neg_hi:[0,0,1]
	v_pk_fma_f32 v[16:17], v[36:37], v[16:17], v[56:57] op_sel_hi:[1,0,1]
	v_pk_mul_f32 v[32:33], v[38:39], v[58:59] op_sel:[1,0] op_sel_hi:[0,0]
	v_mov_b32_e32 v11, v13
	v_pk_add_f32 v[2:3], v[2:3], v[24:25]
	;; [unrolled: 12-line block ×3, first 2 shown]
	v_mov_b32_e32 v37, v21
	v_pk_fma_f32 v[18:19], v[42:43], v[22:23], v[40:41] neg_lo:[0,0,1] neg_hi:[0,0,1]
	v_pk_fma_f32 v[20:21], v[42:43], v[22:23], v[40:41] op_sel_hi:[1,0,1]
	v_pk_add_f32 v[2:3], v[2:3], v[14:15]
	v_mov_b32_e32 v19, v21
	v_pk_add_f32 v[2:3], v[2:3], v[36:37]
	s_nop 0
	v_pk_add_f32 v[2:3], v[2:3], v[18:19]
	s_waitcnt vmcnt(0)
	v_pk_add_f32 v[2:3], v[44:45], v[2:3] neg_lo:[0,1] neg_hi:[0,1]
	scratch_store_dwordx2 off, v[2:3], off offset:168
	s_and_saveexec_b64 s[0:1], vcc
	s_cbranch_execz .LBB95_165
; %bb.164:
	scratch_load_dwordx2 v[2:3], off, off offset:160
	v_mov_b32_e32 v4, 0
	v_mov_b32_e32 v5, v4
	scratch_store_dwordx2 off, v[4:5], off offset:160
	s_waitcnt vmcnt(1)
	ds_write_b64 v1, v[2:3]
.LBB95_165:
	s_or_b64 exec, exec, s[0:1]
	s_waitcnt lgkmcnt(0)
	; wave barrier
	scratch_load_dwordx4 v[4:7], off, off offset:168
	scratch_load_dwordx4 v[8:11], off, off offset:184
	;; [unrolled: 1-line block ×5, first 2 shown]
	scratch_load_dwordx2 v[44:45], off, off offset:248
	scratch_load_dwordx2 v[46:47], off, off offset:160
	v_mov_b32_e32 v2, 0
	ds_read2_b64 v[24:27], v2 offset0:53 offset1:54
	ds_read2_b64 v[28:31], v2 offset0:55 offset1:56
	;; [unrolled: 1-line block ×5, first 2 shown]
	ds_read_b64 v[48:49], v2 offset:504
	v_cmp_lt_u32_e32 vcc, 19, v0
	s_waitcnt vmcnt(6) lgkmcnt(5)
	v_mul_f32_e32 v3, v24, v5
	v_mul_f32_e32 v5, v25, v5
	;; [unrolled: 1-line block ×3, first 2 shown]
	s_waitcnt vmcnt(5) lgkmcnt(4)
	v_mul_f32_e32 v53, v28, v9
	v_mul_f32_e32 v7, v27, v7
	;; [unrolled: 1-line block ×3, first 2 shown]
	v_mov_b32_e32 v54, v11
	s_waitcnt vmcnt(3) lgkmcnt(2)
	v_pk_mul_f32 v[60:61], v[36:37], v[16:17] op_sel:[1,1] op_sel_hi:[0,1]
	s_waitcnt vmcnt(2) lgkmcnt(1)
	v_pk_mul_f32 v[64:65], v[40:41], v[20:21] op_sel:[1,1] op_sel_hi:[0,1]
	;; [unrolled: 2-line block ×3, first 2 shown]
	v_fmac_f32_e32 v3, v25, v4
	v_fma_f32 v55, v24, v4, -v5
	v_fmac_f32_e32 v51, v27, v6
	v_fmac_f32_e32 v53, v29, v8
	v_fma_f32 v50, v26, v6, -v7
	v_fma_f32 v52, v28, v8, -v9
	v_pk_mul_f32 v[4:5], v[30:31], v[54:55] op_sel:[1,0] op_sel_hi:[0,0]
	v_pk_fma_f32 v[24:25], v[36:37], v[16:17], v[60:61] neg_lo:[0,0,1] neg_hi:[0,0,1]
	v_pk_fma_f32 v[16:17], v[36:37], v[16:17], v[60:61] op_sel_hi:[1,0,1]
	v_pk_fma_f32 v[28:29], v[40:41], v[20:21], v[64:65] neg_lo:[0,0,1] neg_hi:[0,0,1]
	v_pk_fma_f32 v[20:21], v[40:41], v[20:21], v[64:65] op_sel_hi:[1,0,1]
	;; [unrolled: 2-line block ×3, first 2 shown]
	v_add_f32_e32 v45, 0, v3
	v_add_f32_e32 v44, 0, v55
	v_pk_mul_f32 v[56:57], v[32:33], v[12:13] op_sel:[1,1] op_sel_hi:[0,1]
	v_mov_b32_e32 v58, v15
	v_pk_fma_f32 v[48:49], v[30:31], v[10:11], v[4:5] neg_lo:[0,0,1] neg_hi:[0,0,1]
	v_pk_fma_f32 v[4:5], v[30:31], v[10:11], v[4:5] op_sel_hi:[1,0,1]
	v_mov_b32_e32 v29, v21
	v_pk_add_f32 v[20:21], v[44:45], v[50:51]
	v_pk_fma_f32 v[6:7], v[32:33], v[12:13], v[56:57] neg_lo:[0,0,1] neg_hi:[0,0,1]
	v_pk_fma_f32 v[8:9], v[32:33], v[12:13], v[56:57] op_sel_hi:[1,0,1]
	v_pk_mul_f32 v[12:13], v[34:35], v[58:59] op_sel:[1,0] op_sel_hi:[0,0]
	v_mov_b32_e32 v49, v5
	v_pk_add_f32 v[4:5], v[20:21], v[52:53]
	v_mov_b32_e32 v62, v19
	v_mov_b32_e32 v7, v9
	v_pk_fma_f32 v[8:9], v[34:35], v[14:15], v[12:13] neg_lo:[0,0,1] neg_hi:[0,0,1]
	v_pk_fma_f32 v[10:11], v[34:35], v[14:15], v[12:13] op_sel_hi:[1,0,1]
	v_pk_add_f32 v[4:5], v[4:5], v[48:49]
	v_pk_mul_f32 v[26:27], v[38:39], v[62:63] op_sel:[1,0] op_sel_hi:[0,0]
	v_mov_b32_e32 v9, v11
	v_pk_add_f32 v[4:5], v[4:5], v[6:7]
	v_mov_b32_e32 v66, v23
	v_mov_b32_e32 v25, v17
	v_pk_fma_f32 v[12:13], v[38:39], v[18:19], v[26:27] neg_lo:[0,0,1] neg_hi:[0,0,1]
	v_pk_fma_f32 v[14:15], v[38:39], v[18:19], v[26:27] op_sel_hi:[1,0,1]
	v_pk_add_f32 v[4:5], v[4:5], v[8:9]
	v_pk_mul_f32 v[32:33], v[42:43], v[66:67] op_sel:[1,0] op_sel_hi:[0,0]
	v_mov_b32_e32 v13, v15
	v_pk_add_f32 v[4:5], v[4:5], v[24:25]
	v_pk_fma_f32 v[16:17], v[42:43], v[22:23], v[32:33] neg_lo:[0,0,1] neg_hi:[0,0,1]
	v_pk_fma_f32 v[18:19], v[42:43], v[22:23], v[32:33] op_sel_hi:[1,0,1]
	v_pk_add_f32 v[4:5], v[4:5], v[12:13]
	v_mov_b32_e32 v17, v19
	v_pk_add_f32 v[4:5], v[4:5], v[28:29]
	v_mov_b32_e32 v37, v41
	v_pk_add_f32 v[4:5], v[4:5], v[16:17]
	s_nop 0
	v_pk_add_f32 v[4:5], v[4:5], v[36:37]
	s_waitcnt vmcnt(0)
	v_pk_add_f32 v[4:5], v[46:47], v[4:5] neg_lo:[0,1] neg_hi:[0,1]
	scratch_store_dwordx2 off, v[4:5], off offset:160
	s_and_saveexec_b64 s[0:1], vcc
	s_cbranch_execz .LBB95_167
; %bb.166:
	scratch_load_dwordx2 v[4:5], off, off offset:152
	v_mov_b32_e32 v3, v2
	scratch_store_dwordx2 off, v[2:3], off offset:152
	s_waitcnt vmcnt(1)
	ds_write_b64 v1, v[4:5]
.LBB95_167:
	s_or_b64 exec, exec, s[0:1]
	s_waitcnt lgkmcnt(0)
	; wave barrier
	ds_read_b128 v[4:7], v2 offset:416
	ds_read_b128 v[8:11], v2 offset:432
	;; [unrolled: 1-line block ×4, first 2 shown]
	scratch_load_dwordx4 v[20:23], off, off offset:160
	v_cmp_lt_u32_e32 vcc, 18, v0
	s_waitcnt vmcnt(0) lgkmcnt(3)
	v_mul_f32_e32 v3, v4, v21
	v_fmac_f32_e32 v3, v5, v20
	v_mul_f32_e32 v24, v6, v23
	v_add_f32_e32 v3, 0, v3
	v_fmac_f32_e32 v24, v7, v22
	v_add_f32_e32 v45, v3, v24
	scratch_load_dwordx4 v[24:27], off, off offset:176
	scratch_load_dwordx4 v[28:31], off, off offset:192
	;; [unrolled: 1-line block ×5, first 2 shown]
	v_mul_f32_e32 v3, v5, v21
	v_fma_f32 v3, v4, v20, -v3
	v_mul_f32_e32 v4, v7, v23
	v_fma_f32 v4, v6, v22, -v4
	v_add_f32_e32 v3, 0, v3
	v_add_f32_e32 v44, v3, v4
	s_waitcnt vmcnt(3) lgkmcnt(1)
	v_pk_mul_f32 v[20:21], v[12:13], v[28:29] op_sel:[1,1] op_sel_hi:[0,1]
	v_pk_fma_f32 v[22:23], v[12:13], v[28:29], v[20:21] neg_lo:[0,0,1] neg_hi:[0,0,1]
	v_pk_fma_f32 v[12:13], v[12:13], v[28:29], v[20:21] op_sel_hi:[1,0,1]
	v_mul_f32_e32 v47, v8, v25
	v_mov_b32_e32 v12, v31
	v_mul_f32_e32 v3, v9, v25
	v_mov_b32_e32 v23, v13
	v_pk_mul_f32 v[12:13], v[14:15], v[12:13] op_sel:[1,0] op_sel_hi:[0,0]
	v_fmac_f32_e32 v47, v9, v24
	v_mul_f32_e32 v49, v10, v27
	v_fma_f32 v46, v8, v24, -v3
	v_mul_f32_e32 v3, v11, v27
	v_pk_fma_f32 v[20:21], v[14:15], v[30:31], v[12:13] neg_lo:[0,0,1] neg_hi:[0,0,1]
	v_pk_fma_f32 v[12:13], v[14:15], v[30:31], v[12:13] op_sel_hi:[1,0,1]
	v_fmac_f32_e32 v49, v11, v26
	v_fma_f32 v48, v10, v26, -v3
	ds_read_b128 v[4:7], v2 offset:480
	ds_read_b128 v[8:11], v2 offset:496
	v_pk_add_f32 v[2:3], v[44:45], v[46:47]
	v_mov_b32_e32 v21, v13
	s_waitcnt vmcnt(2) lgkmcnt(2)
	v_pk_mul_f32 v[12:13], v[16:17], v[32:33] op_sel:[1,1] op_sel_hi:[0,1]
	v_pk_add_f32 v[2:3], v[2:3], v[48:49]
	v_pk_fma_f32 v[14:15], v[16:17], v[32:33], v[12:13] neg_lo:[0,0,1] neg_hi:[0,0,1]
	v_pk_fma_f32 v[12:13], v[16:17], v[32:33], v[12:13] op_sel_hi:[1,0,1]
	v_pk_add_f32 v[2:3], v[2:3], v[22:23]
	v_mov_b32_e32 v12, v35
	v_pk_add_f32 v[2:3], v[2:3], v[20:21]
	v_mov_b32_e32 v15, v13
	v_pk_mul_f32 v[12:13], v[18:19], v[12:13] op_sel:[1,0] op_sel_hi:[0,0]
	v_pk_add_f32 v[2:3], v[2:3], v[14:15]
	v_pk_fma_f32 v[14:15], v[18:19], v[34:35], v[12:13] neg_lo:[0,0,1] neg_hi:[0,0,1]
	v_pk_fma_f32 v[12:13], v[18:19], v[34:35], v[12:13] op_sel_hi:[1,0,1]
	s_nop 0
	v_mov_b32_e32 v15, v13
	s_waitcnt vmcnt(1) lgkmcnt(1)
	v_pk_mul_f32 v[12:13], v[4:5], v[36:37] op_sel:[1,1] op_sel_hi:[0,1]
	v_pk_add_f32 v[2:3], v[2:3], v[14:15]
	v_pk_fma_f32 v[14:15], v[4:5], v[36:37], v[12:13] neg_lo:[0,0,1] neg_hi:[0,0,1]
	v_pk_fma_f32 v[4:5], v[4:5], v[36:37], v[12:13] op_sel_hi:[1,0,1]
	s_nop 0
	v_mov_b32_e32 v4, v39
	v_mov_b32_e32 v15, v5
	v_pk_mul_f32 v[4:5], v[6:7], v[4:5] op_sel:[1,0] op_sel_hi:[0,0]
	v_pk_fma_f32 v[12:13], v[6:7], v[38:39], v[4:5] neg_lo:[0,0,1] neg_hi:[0,0,1]
	v_pk_fma_f32 v[4:5], v[6:7], v[38:39], v[4:5] op_sel_hi:[1,0,1]
	v_pk_add_f32 v[2:3], v[2:3], v[14:15]
	v_mov_b32_e32 v13, v5
	s_waitcnt vmcnt(0) lgkmcnt(0)
	v_pk_mul_f32 v[4:5], v[8:9], v[40:41] op_sel:[1,1] op_sel_hi:[0,1]
	v_pk_fma_f32 v[6:7], v[8:9], v[40:41], v[4:5] neg_lo:[0,0,1] neg_hi:[0,0,1]
	v_pk_fma_f32 v[4:5], v[8:9], v[40:41], v[4:5] op_sel_hi:[1,0,1]
	v_pk_add_f32 v[2:3], v[2:3], v[12:13]
	v_mov_b32_e32 v4, v43
	v_mov_b32_e32 v7, v5
	v_pk_mul_f32 v[4:5], v[10:11], v[4:5] op_sel:[1,0] op_sel_hi:[0,0]
	v_pk_add_f32 v[2:3], v[2:3], v[6:7]
	v_pk_fma_f32 v[6:7], v[10:11], v[42:43], v[4:5] neg_lo:[0,0,1] neg_hi:[0,0,1]
	v_pk_fma_f32 v[4:5], v[10:11], v[42:43], v[4:5] op_sel_hi:[1,0,1]
	s_nop 0
	v_mov_b32_e32 v7, v5
	scratch_load_dwordx2 v[4:5], off, off offset:152
	v_pk_add_f32 v[2:3], v[2:3], v[6:7]
	s_waitcnt vmcnt(0)
	v_pk_add_f32 v[2:3], v[4:5], v[2:3] neg_lo:[0,1] neg_hi:[0,1]
	scratch_store_dwordx2 off, v[2:3], off offset:152
	s_and_saveexec_b64 s[0:1], vcc
	s_cbranch_execz .LBB95_169
; %bb.168:
	scratch_load_dwordx2 v[2:3], off, off offset:144
	v_mov_b32_e32 v4, 0
	v_mov_b32_e32 v5, v4
	scratch_store_dwordx2 off, v[4:5], off offset:144
	s_waitcnt vmcnt(1)
	ds_write_b64 v1, v[2:3]
.LBB95_169:
	s_or_b64 exec, exec, s[0:1]
	s_waitcnt lgkmcnt(0)
	; wave barrier
	scratch_load_dwordx4 v[8:11], off, off offset:152
	scratch_load_dwordx4 v[16:19], off, off offset:168
	v_mov_b32_e32 v2, 0
	ds_read2_b64 v[4:7], v2 offset0:51 offset1:52
	scratch_load_dwordx4 v[24:27], off, off offset:184
	v_cmp_lt_u32_e32 vcc, 17, v0
	s_waitcnt vmcnt(2) lgkmcnt(0)
	v_mul_f32_e32 v3, v4, v9
	v_fmac_f32_e32 v3, v5, v8
	v_mul_f32_e32 v12, v6, v11
	v_add_f32_e32 v3, 0, v3
	v_fmac_f32_e32 v12, v7, v10
	v_add_f32_e32 v3, v3, v12
	ds_read2_b64 v[12:15], v2 offset0:53 offset1:54
	s_waitcnt vmcnt(1) lgkmcnt(0)
	v_mul_f32_e32 v20, v12, v17
	v_fmac_f32_e32 v20, v13, v16
	v_add_f32_e32 v41, v3, v20
	ds_read2_b64 v[20:23], v2 offset0:55 offset1:56
	scratch_load_dwordx4 v[28:31], off, off offset:200
	scratch_load_dwordx4 v[32:35], off, off offset:216
	;; [unrolled: 1-line block ×3, first 2 shown]
	scratch_load_dwordx2 v[46:47], off, off offset:248
	v_mul_f32_e32 v3, v5, v9
	v_fma_f32 v3, v4, v8, -v3
	v_mul_f32_e32 v4, v7, v11
	v_add_f32_e32 v3, 0, v3
	v_fma_f32 v4, v6, v10, -v4
	v_add_f32_e32 v3, v3, v4
	v_mul_f32_e32 v4, v13, v17
	v_fma_f32 v4, v12, v16, -v4
	v_add_f32_e32 v40, v3, v4
	v_mul_f32_e32 v3, v15, v19
	v_fma_f32 v42, v14, v18, -v3
	s_waitcnt vmcnt(4) lgkmcnt(0)
	v_mul_f32_e32 v3, v21, v25
	v_mul_f32_e32 v43, v14, v19
	;; [unrolled: 1-line block ×3, first 2 shown]
	v_fma_f32 v44, v20, v24, -v3
	v_mov_b32_e32 v20, v27
	v_fmac_f32_e32 v43, v15, v18
	v_fmac_f32_e32 v45, v21, v24
	ds_read2_b64 v[4:7], v2 offset0:57 offset1:58
	ds_read2_b64 v[8:11], v2 offset0:59 offset1:60
	;; [unrolled: 1-line block ×3, first 2 shown]
	ds_read_b64 v[16:17], v2 offset:504
	v_pk_mul_f32 v[20:21], v[22:23], v[20:21] op_sel:[1,0] op_sel_hi:[0,0]
	v_pk_fma_f32 v[24:25], v[22:23], v[26:27], v[20:21] neg_lo:[0,0,1] neg_hi:[0,0,1]
	v_pk_fma_f32 v[20:21], v[22:23], v[26:27], v[20:21] op_sel_hi:[1,0,1]
	v_pk_add_f32 v[18:19], v[40:41], v[42:43]
	v_mov_b32_e32 v25, v21
	v_pk_add_f32 v[18:19], v[18:19], v[44:45]
	s_waitcnt vmcnt(3) lgkmcnt(3)
	v_pk_mul_f32 v[20:21], v[4:5], v[28:29] op_sel:[1,1] op_sel_hi:[0,1]
	v_pk_fma_f32 v[22:23], v[4:5], v[28:29], v[20:21] neg_lo:[0,0,1] neg_hi:[0,0,1]
	v_pk_fma_f32 v[4:5], v[4:5], v[28:29], v[20:21] op_sel_hi:[1,0,1]
	v_pk_add_f32 v[18:19], v[18:19], v[24:25]
	v_mov_b32_e32 v23, v5
	v_pk_add_f32 v[4:5], v[18:19], v[22:23]
	v_mov_b32_e32 v18, v31
	v_pk_mul_f32 v[18:19], v[6:7], v[18:19] op_sel:[1,0] op_sel_hi:[0,0]
	v_pk_fma_f32 v[20:21], v[6:7], v[30:31], v[18:19] neg_lo:[0,0,1] neg_hi:[0,0,1]
	v_pk_fma_f32 v[6:7], v[6:7], v[30:31], v[18:19] op_sel_hi:[1,0,1]
	s_nop 0
	v_mov_b32_e32 v21, v7
	s_waitcnt vmcnt(2) lgkmcnt(2)
	v_pk_mul_f32 v[6:7], v[8:9], v[32:33] op_sel:[1,1] op_sel_hi:[0,1]
	v_pk_fma_f32 v[18:19], v[8:9], v[32:33], v[6:7] neg_lo:[0,0,1] neg_hi:[0,0,1]
	v_pk_fma_f32 v[6:7], v[8:9], v[32:33], v[6:7] op_sel_hi:[1,0,1]
	v_pk_add_f32 v[4:5], v[4:5], v[20:21]
	v_mov_b32_e32 v6, v35
	v_mov_b32_e32 v19, v7
	v_pk_mul_f32 v[6:7], v[10:11], v[6:7] op_sel:[1,0] op_sel_hi:[0,0]
	v_pk_fma_f32 v[8:9], v[10:11], v[34:35], v[6:7] neg_lo:[0,0,1] neg_hi:[0,0,1]
	v_pk_fma_f32 v[6:7], v[10:11], v[34:35], v[6:7] op_sel_hi:[1,0,1]
	v_pk_add_f32 v[4:5], v[4:5], v[18:19]
	v_mov_b32_e32 v9, v7
	s_waitcnt vmcnt(1) lgkmcnt(1)
	v_pk_mul_f32 v[6:7], v[12:13], v[36:37] op_sel:[1,1] op_sel_hi:[0,1]
	v_pk_add_f32 v[4:5], v[4:5], v[8:9]
	v_pk_fma_f32 v[8:9], v[12:13], v[36:37], v[6:7] neg_lo:[0,0,1] neg_hi:[0,0,1]
	v_pk_fma_f32 v[6:7], v[12:13], v[36:37], v[6:7] op_sel_hi:[1,0,1]
	s_nop 0
	v_mov_b32_e32 v6, v39
	v_mov_b32_e32 v9, v7
	v_pk_mul_f32 v[6:7], v[14:15], v[6:7] op_sel:[1,0] op_sel_hi:[0,0]
	v_pk_add_f32 v[4:5], v[4:5], v[8:9]
	v_pk_fma_f32 v[8:9], v[14:15], v[38:39], v[6:7] neg_lo:[0,0,1] neg_hi:[0,0,1]
	v_pk_fma_f32 v[6:7], v[14:15], v[38:39], v[6:7] op_sel_hi:[1,0,1]
	s_nop 0
	v_mov_b32_e32 v9, v7
	s_waitcnt vmcnt(0) lgkmcnt(0)
	v_pk_mul_f32 v[6:7], v[16:17], v[46:47] op_sel:[1,1] op_sel_hi:[0,1]
	v_pk_add_f32 v[4:5], v[4:5], v[8:9]
	v_pk_fma_f32 v[8:9], v[16:17], v[46:47], v[6:7] neg_lo:[0,0,1] neg_hi:[0,0,1]
	v_pk_fma_f32 v[6:7], v[16:17], v[46:47], v[6:7] op_sel_hi:[1,0,1]
	s_nop 0
	v_mov_b32_e32 v9, v7
	scratch_load_dwordx2 v[6:7], off, off offset:144
	v_pk_add_f32 v[4:5], v[4:5], v[8:9]
	s_waitcnt vmcnt(0)
	v_pk_add_f32 v[4:5], v[6:7], v[4:5] neg_lo:[0,1] neg_hi:[0,1]
	scratch_store_dwordx2 off, v[4:5], off offset:144
	s_and_saveexec_b64 s[0:1], vcc
	s_cbranch_execz .LBB95_171
; %bb.170:
	scratch_load_dwordx2 v[4:5], off, off offset:136
	v_mov_b32_e32 v3, v2
	scratch_store_dwordx2 off, v[2:3], off offset:136
	s_waitcnt vmcnt(1)
	ds_write_b64 v1, v[4:5]
.LBB95_171:
	s_or_b64 exec, exec, s[0:1]
	s_waitcnt lgkmcnt(0)
	; wave barrier
	ds_read_b128 v[4:7], v2 offset:400
	ds_read_b128 v[8:11], v2 offset:416
	;; [unrolled: 1-line block ×4, first 2 shown]
	scratch_load_dwordx4 v[20:23], off, off offset:144
	v_cmp_lt_u32_e32 vcc, 16, v0
	s_waitcnt vmcnt(0) lgkmcnt(3)
	v_mul_f32_e32 v3, v4, v21
	v_fmac_f32_e32 v3, v5, v20
	v_mul_f32_e32 v24, v6, v23
	v_add_f32_e32 v3, 0, v3
	v_fmac_f32_e32 v24, v7, v22
	v_add_f32_e32 v3, v3, v24
	scratch_load_dwordx4 v[24:27], off, off offset:160
	s_waitcnt vmcnt(0) lgkmcnt(2)
	v_mul_f32_e32 v28, v8, v25
	v_fmac_f32_e32 v28, v9, v24
	v_add_f32_e32 v3, v3, v28
	v_mul_f32_e32 v28, v10, v27
	v_fmac_f32_e32 v28, v11, v26
	v_add_f32_e32 v49, v3, v28
	scratch_load_dwordx4 v[28:31], off, off offset:176
	scratch_load_dwordx4 v[32:35], off, off offset:192
	;; [unrolled: 1-line block ×5, first 2 shown]
	v_mul_f32_e32 v3, v5, v21
	v_fma_f32 v3, v4, v20, -v3
	v_mul_f32_e32 v4, v7, v23
	v_add_f32_e32 v3, 0, v3
	v_fma_f32 v4, v6, v22, -v4
	v_add_f32_e32 v3, v3, v4
	v_mul_f32_e32 v4, v9, v25
	v_fma_f32 v4, v8, v24, -v4
	v_add_f32_e32 v3, v3, v4
	v_mul_f32_e32 v4, v11, v27
	v_fma_f32 v4, v10, v26, -v4
	v_add_f32_e32 v48, v3, v4
	s_waitcnt vmcnt(3) lgkmcnt(0)
	v_pk_mul_f32 v[20:21], v[16:17], v[32:33] op_sel:[1,1] op_sel_hi:[0,1]
	v_pk_fma_f32 v[22:23], v[16:17], v[32:33], v[20:21] neg_lo:[0,0,1] neg_hi:[0,0,1]
	v_mul_f32_e32 v3, v13, v29
	v_mul_f32_e32 v51, v12, v29
	;; [unrolled: 1-line block ×3, first 2 shown]
	v_fma_f32 v50, v12, v28, -v3
	v_mul_f32_e32 v3, v15, v31
	v_pk_fma_f32 v[16:17], v[16:17], v[32:33], v[20:21] op_sel_hi:[1,0,1]
	v_fmac_f32_e32 v51, v13, v28
	v_fmac_f32_e32 v53, v15, v30
	v_fma_f32 v52, v14, v30, -v3
	ds_read_b128 v[4:7], v2 offset:464
	ds_read_b128 v[8:11], v2 offset:480
	;; [unrolled: 1-line block ×3, first 2 shown]
	v_mov_b32_e32 v16, v35
	v_mov_b32_e32 v23, v17
	v_pk_mul_f32 v[16:17], v[18:19], v[16:17] op_sel:[1,0] op_sel_hi:[0,0]
	v_pk_fma_f32 v[20:21], v[18:19], v[34:35], v[16:17] neg_lo:[0,0,1] neg_hi:[0,0,1]
	v_pk_fma_f32 v[16:17], v[18:19], v[34:35], v[16:17] op_sel_hi:[1,0,1]
	v_pk_add_f32 v[2:3], v[48:49], v[50:51]
	v_mov_b32_e32 v21, v17
	s_waitcnt vmcnt(2) lgkmcnt(2)
	v_pk_mul_f32 v[16:17], v[4:5], v[36:37] op_sel:[1,1] op_sel_hi:[0,1]
	v_pk_fma_f32 v[18:19], v[4:5], v[36:37], v[16:17] neg_lo:[0,0,1] neg_hi:[0,0,1]
	v_pk_fma_f32 v[4:5], v[4:5], v[36:37], v[16:17] op_sel_hi:[1,0,1]
	v_pk_add_f32 v[2:3], v[2:3], v[52:53]
	v_mov_b32_e32 v4, v39
	v_mov_b32_e32 v19, v5
	v_pk_mul_f32 v[4:5], v[6:7], v[4:5] op_sel:[1,0] op_sel_hi:[0,0]
	v_pk_fma_f32 v[16:17], v[6:7], v[38:39], v[4:5] neg_lo:[0,0,1] neg_hi:[0,0,1]
	v_pk_fma_f32 v[4:5], v[6:7], v[38:39], v[4:5] op_sel_hi:[1,0,1]
	v_pk_add_f32 v[2:3], v[2:3], v[22:23]
	v_mov_b32_e32 v17, v5
	s_waitcnt vmcnt(1) lgkmcnt(1)
	v_pk_mul_f32 v[4:5], v[8:9], v[40:41] op_sel:[1,1] op_sel_hi:[0,1]
	v_pk_add_f32 v[2:3], v[2:3], v[20:21]
	v_pk_fma_f32 v[6:7], v[8:9], v[40:41], v[4:5] neg_lo:[0,0,1] neg_hi:[0,0,1]
	v_pk_fma_f32 v[4:5], v[8:9], v[40:41], v[4:5] op_sel_hi:[1,0,1]
	v_pk_add_f32 v[2:3], v[2:3], v[18:19]
	v_mov_b32_e32 v4, v43
	v_pk_add_f32 v[2:3], v[2:3], v[16:17]
	v_mov_b32_e32 v7, v5
	v_pk_mul_f32 v[4:5], v[10:11], v[4:5] op_sel:[1,0] op_sel_hi:[0,0]
	v_pk_add_f32 v[2:3], v[2:3], v[6:7]
	v_pk_fma_f32 v[6:7], v[10:11], v[42:43], v[4:5] neg_lo:[0,0,1] neg_hi:[0,0,1]
	v_pk_fma_f32 v[4:5], v[10:11], v[42:43], v[4:5] op_sel_hi:[1,0,1]
	s_nop 0
	v_mov_b32_e32 v7, v5
	s_waitcnt vmcnt(0) lgkmcnt(0)
	v_pk_mul_f32 v[4:5], v[12:13], v[44:45] op_sel:[1,1] op_sel_hi:[0,1]
	v_pk_add_f32 v[2:3], v[2:3], v[6:7]
	v_pk_fma_f32 v[6:7], v[12:13], v[44:45], v[4:5] neg_lo:[0,0,1] neg_hi:[0,0,1]
	v_pk_fma_f32 v[4:5], v[12:13], v[44:45], v[4:5] op_sel_hi:[1,0,1]
	s_nop 0
	v_mov_b32_e32 v4, v47
	v_mov_b32_e32 v7, v5
	v_pk_mul_f32 v[4:5], v[14:15], v[4:5] op_sel:[1,0] op_sel_hi:[0,0]
	v_pk_add_f32 v[2:3], v[2:3], v[6:7]
	v_pk_fma_f32 v[6:7], v[14:15], v[46:47], v[4:5] neg_lo:[0,0,1] neg_hi:[0,0,1]
	v_pk_fma_f32 v[4:5], v[14:15], v[46:47], v[4:5] op_sel_hi:[1,0,1]
	s_nop 0
	v_mov_b32_e32 v7, v5
	scratch_load_dwordx2 v[4:5], off, off offset:136
	v_pk_add_f32 v[2:3], v[2:3], v[6:7]
	s_waitcnt vmcnt(0)
	v_pk_add_f32 v[2:3], v[4:5], v[2:3] neg_lo:[0,1] neg_hi:[0,1]
	scratch_store_dwordx2 off, v[2:3], off offset:136
	s_and_saveexec_b64 s[0:1], vcc
	s_cbranch_execz .LBB95_173
; %bb.172:
	scratch_load_dwordx2 v[2:3], off, off offset:128
	v_mov_b32_e32 v4, 0
	v_mov_b32_e32 v5, v4
	scratch_store_dwordx2 off, v[4:5], off offset:128
	s_waitcnt vmcnt(1)
	ds_write_b64 v1, v[2:3]
.LBB95_173:
	s_or_b64 exec, exec, s[0:1]
	s_waitcnt lgkmcnt(0)
	; wave barrier
	scratch_load_dwordx4 v[8:11], off, off offset:136
	scratch_load_dwordx4 v[16:19], off, off offset:152
	;; [unrolled: 1-line block ×4, first 2 shown]
	v_mov_b32_e32 v2, 0
	ds_read2_b64 v[4:7], v2 offset0:49 offset1:50
	v_cmp_lt_u32_e32 vcc, 15, v0
	s_waitcnt vmcnt(3) lgkmcnt(0)
	v_mul_f32_e32 v3, v4, v9
	v_fmac_f32_e32 v3, v5, v8
	v_mul_f32_e32 v12, v6, v11
	v_add_f32_e32 v3, 0, v3
	v_fmac_f32_e32 v12, v7, v10
	v_add_f32_e32 v3, v3, v12
	ds_read2_b64 v[12:15], v2 offset0:51 offset1:52
	s_waitcnt vmcnt(2) lgkmcnt(0)
	v_mul_f32_e32 v20, v12, v17
	v_fmac_f32_e32 v20, v13, v16
	v_add_f32_e32 v3, v3, v20
	v_mul_f32_e32 v20, v14, v19
	v_fmac_f32_e32 v20, v15, v18
	v_add_f32_e32 v3, v3, v20
	ds_read2_b64 v[20:23], v2 offset0:53 offset1:54
	s_waitcnt vmcnt(1) lgkmcnt(0)
	v_mul_f32_e32 v28, v20, v25
	v_fmac_f32_e32 v28, v21, v24
	v_add_f32_e32 v49, v3, v28
	ds_read2_b64 v[28:31], v2 offset0:55 offset1:56
	scratch_load_dwordx4 v[36:39], off, off offset:200
	scratch_load_dwordx4 v[40:43], off, off offset:216
	;; [unrolled: 1-line block ×3, first 2 shown]
	scratch_load_dwordx2 v[54:55], off, off offset:248
	v_mul_f32_e32 v3, v5, v9
	v_fma_f32 v3, v4, v8, -v3
	v_mul_f32_e32 v4, v7, v11
	v_add_f32_e32 v3, 0, v3
	v_fma_f32 v4, v6, v10, -v4
	v_add_f32_e32 v3, v3, v4
	v_mul_f32_e32 v4, v13, v17
	v_fma_f32 v4, v12, v16, -v4
	v_add_f32_e32 v3, v3, v4
	v_mul_f32_e32 v4, v15, v19
	;; [unrolled: 3-line block ×3, first 2 shown]
	v_fma_f32 v4, v20, v24, -v4
	v_mul_f32_e32 v51, v22, v27
	v_add_f32_e32 v48, v3, v4
	v_mul_f32_e32 v3, v23, v27
	s_waitcnt vmcnt(4)
	v_mov_b32_e32 v20, v35
	v_fmac_f32_e32 v51, v23, v26
	s_waitcnt lgkmcnt(0)
	v_mul_f32_e32 v53, v28, v33
	v_fma_f32 v50, v22, v26, -v3
	v_mul_f32_e32 v3, v29, v33
	ds_read2_b64 v[4:7], v2 offset0:57 offset1:58
	ds_read2_b64 v[8:11], v2 offset0:59 offset1:60
	;; [unrolled: 1-line block ×3, first 2 shown]
	ds_read_b64 v[16:17], v2 offset:504
	v_pk_mul_f32 v[20:21], v[30:31], v[20:21] op_sel:[1,0] op_sel_hi:[0,0]
	v_fmac_f32_e32 v53, v29, v32
	v_fma_f32 v52, v28, v32, -v3
	v_pk_add_f32 v[18:19], v[48:49], v[50:51]
	v_pk_fma_f32 v[22:23], v[30:31], v[34:35], v[20:21] neg_lo:[0,0,1] neg_hi:[0,0,1]
	v_pk_fma_f32 v[20:21], v[30:31], v[34:35], v[20:21] op_sel_hi:[1,0,1]
	v_pk_add_f32 v[18:19], v[18:19], v[52:53]
	v_mov_b32_e32 v23, v21
	v_pk_add_f32 v[18:19], v[18:19], v[22:23]
	s_waitcnt vmcnt(3) lgkmcnt(3)
	v_pk_mul_f32 v[20:21], v[4:5], v[36:37] op_sel:[1,1] op_sel_hi:[0,1]
	v_pk_fma_f32 v[22:23], v[4:5], v[36:37], v[20:21] neg_lo:[0,0,1] neg_hi:[0,0,1]
	v_pk_fma_f32 v[4:5], v[4:5], v[36:37], v[20:21] op_sel_hi:[1,0,1]
	s_nop 0
	v_mov_b32_e32 v23, v5
	v_pk_add_f32 v[4:5], v[18:19], v[22:23]
	v_mov_b32_e32 v18, v39
	v_pk_mul_f32 v[18:19], v[6:7], v[18:19] op_sel:[1,0] op_sel_hi:[0,0]
	v_pk_fma_f32 v[20:21], v[6:7], v[38:39], v[18:19] neg_lo:[0,0,1] neg_hi:[0,0,1]
	v_pk_fma_f32 v[6:7], v[6:7], v[38:39], v[18:19] op_sel_hi:[1,0,1]
	s_nop 0
	v_mov_b32_e32 v21, v7
	s_waitcnt vmcnt(2) lgkmcnt(2)
	v_pk_mul_f32 v[6:7], v[8:9], v[40:41] op_sel:[1,1] op_sel_hi:[0,1]
	v_pk_fma_f32 v[18:19], v[8:9], v[40:41], v[6:7] neg_lo:[0,0,1] neg_hi:[0,0,1]
	v_pk_fma_f32 v[6:7], v[8:9], v[40:41], v[6:7] op_sel_hi:[1,0,1]
	v_pk_add_f32 v[4:5], v[4:5], v[20:21]
	v_mov_b32_e32 v6, v43
	v_mov_b32_e32 v19, v7
	v_pk_mul_f32 v[6:7], v[10:11], v[6:7] op_sel:[1,0] op_sel_hi:[0,0]
	v_pk_fma_f32 v[8:9], v[10:11], v[42:43], v[6:7] neg_lo:[0,0,1] neg_hi:[0,0,1]
	v_pk_fma_f32 v[6:7], v[10:11], v[42:43], v[6:7] op_sel_hi:[1,0,1]
	v_pk_add_f32 v[4:5], v[4:5], v[18:19]
	v_mov_b32_e32 v9, v7
	s_waitcnt vmcnt(1) lgkmcnt(1)
	v_pk_mul_f32 v[6:7], v[12:13], v[44:45] op_sel:[1,1] op_sel_hi:[0,1]
	v_pk_add_f32 v[4:5], v[4:5], v[8:9]
	v_pk_fma_f32 v[8:9], v[12:13], v[44:45], v[6:7] neg_lo:[0,0,1] neg_hi:[0,0,1]
	v_pk_fma_f32 v[6:7], v[12:13], v[44:45], v[6:7] op_sel_hi:[1,0,1]
	s_nop 0
	v_mov_b32_e32 v6, v47
	v_mov_b32_e32 v9, v7
	v_pk_mul_f32 v[6:7], v[14:15], v[6:7] op_sel:[1,0] op_sel_hi:[0,0]
	v_pk_add_f32 v[4:5], v[4:5], v[8:9]
	v_pk_fma_f32 v[8:9], v[14:15], v[46:47], v[6:7] neg_lo:[0,0,1] neg_hi:[0,0,1]
	v_pk_fma_f32 v[6:7], v[14:15], v[46:47], v[6:7] op_sel_hi:[1,0,1]
	s_nop 0
	v_mov_b32_e32 v9, v7
	s_waitcnt vmcnt(0) lgkmcnt(0)
	v_pk_mul_f32 v[6:7], v[16:17], v[54:55] op_sel:[1,1] op_sel_hi:[0,1]
	v_pk_add_f32 v[4:5], v[4:5], v[8:9]
	v_pk_fma_f32 v[8:9], v[16:17], v[54:55], v[6:7] neg_lo:[0,0,1] neg_hi:[0,0,1]
	v_pk_fma_f32 v[6:7], v[16:17], v[54:55], v[6:7] op_sel_hi:[1,0,1]
	s_nop 0
	v_mov_b32_e32 v9, v7
	scratch_load_dwordx2 v[6:7], off, off offset:128
	v_pk_add_f32 v[4:5], v[4:5], v[8:9]
	s_waitcnt vmcnt(0)
	v_pk_add_f32 v[4:5], v[6:7], v[4:5] neg_lo:[0,1] neg_hi:[0,1]
	scratch_store_dwordx2 off, v[4:5], off offset:128
	s_and_saveexec_b64 s[0:1], vcc
	s_cbranch_execz .LBB95_175
; %bb.174:
	scratch_load_dwordx2 v[4:5], off, off offset:120
	v_mov_b32_e32 v3, v2
	scratch_store_dwordx2 off, v[2:3], off offset:120
	s_waitcnt vmcnt(1)
	ds_write_b64 v1, v[4:5]
.LBB95_175:
	s_or_b64 exec, exec, s[0:1]
	s_waitcnt lgkmcnt(0)
	; wave barrier
	ds_read_b128 v[4:7], v2 offset:384
	ds_read_b128 v[8:11], v2 offset:400
	;; [unrolled: 1-line block ×4, first 2 shown]
	scratch_load_dwordx4 v[20:23], off, off offset:128
	v_cmp_lt_u32_e32 vcc, 14, v0
	s_waitcnt vmcnt(0) lgkmcnt(3)
	v_mul_f32_e32 v3, v4, v21
	v_fmac_f32_e32 v3, v5, v20
	v_mul_f32_e32 v24, v6, v23
	v_add_f32_e32 v3, 0, v3
	v_fmac_f32_e32 v24, v7, v22
	v_add_f32_e32 v3, v3, v24
	scratch_load_dwordx4 v[24:27], off, off offset:144
	s_waitcnt vmcnt(0) lgkmcnt(2)
	v_mul_f32_e32 v28, v8, v25
	v_fmac_f32_e32 v28, v9, v24
	v_add_f32_e32 v3, v3, v28
	v_mul_f32_e32 v28, v10, v27
	v_fmac_f32_e32 v28, v11, v26
	v_add_f32_e32 v3, v3, v28
	scratch_load_dwordx4 v[28:31], off, off offset:160
	s_waitcnt vmcnt(0) lgkmcnt(1)
	v_mul_f32_e32 v32, v12, v29
	v_fmac_f32_e32 v32, v13, v28
	v_add_f32_e32 v3, v3, v32
	v_mul_f32_e32 v32, v14, v31
	v_fmac_f32_e32 v32, v15, v30
	v_add_f32_e32 v53, v3, v32
	scratch_load_dwordx4 v[32:35], off, off offset:176
	scratch_load_dwordx4 v[36:39], off, off offset:192
	;; [unrolled: 1-line block ×5, first 2 shown]
	v_mul_f32_e32 v3, v5, v21
	v_fma_f32 v3, v4, v20, -v3
	v_mul_f32_e32 v4, v7, v23
	v_add_f32_e32 v3, 0, v3
	v_fma_f32 v4, v6, v22, -v4
	v_add_f32_e32 v3, v3, v4
	v_mul_f32_e32 v4, v9, v25
	v_fma_f32 v4, v8, v24, -v4
	v_add_f32_e32 v3, v3, v4
	v_mul_f32_e32 v4, v11, v27
	;; [unrolled: 3-line block ×4, first 2 shown]
	v_fma_f32 v4, v14, v30, -v4
	v_add_f32_e32 v52, v3, v4
	s_waitcnt vmcnt(4) lgkmcnt(0)
	v_mul_f32_e32 v3, v17, v33
	v_mul_f32_e32 v55, v16, v33
	;; [unrolled: 1-line block ×3, first 2 shown]
	v_fma_f32 v54, v16, v32, -v3
	v_mul_f32_e32 v3, v19, v35
	v_fmac_f32_e32 v55, v17, v32
	v_fmac_f32_e32 v57, v19, v34
	v_fma_f32 v56, v18, v34, -v3
	ds_read_b128 v[4:7], v2 offset:448
	ds_read_b128 v[8:11], v2 offset:464
	;; [unrolled: 1-line block ×4, first 2 shown]
	v_pk_add_f32 v[2:3], v[52:53], v[54:55]
	s_waitcnt vmcnt(3) lgkmcnt(3)
	v_pk_mul_f32 v[20:21], v[4:5], v[36:37] op_sel:[1,1] op_sel_hi:[0,1]
	v_pk_fma_f32 v[22:23], v[4:5], v[36:37], v[20:21] neg_lo:[0,0,1] neg_hi:[0,0,1]
	v_pk_fma_f32 v[4:5], v[4:5], v[36:37], v[20:21] op_sel_hi:[1,0,1]
	v_pk_add_f32 v[2:3], v[2:3], v[56:57]
	v_mov_b32_e32 v4, v39
	v_mov_b32_e32 v23, v5
	v_pk_mul_f32 v[4:5], v[6:7], v[4:5] op_sel:[1,0] op_sel_hi:[0,0]
	v_pk_fma_f32 v[20:21], v[6:7], v[38:39], v[4:5] neg_lo:[0,0,1] neg_hi:[0,0,1]
	v_pk_fma_f32 v[4:5], v[6:7], v[38:39], v[4:5] op_sel_hi:[1,0,1]
	v_pk_add_f32 v[2:3], v[2:3], v[22:23]
	v_mov_b32_e32 v21, v5
	s_waitcnt vmcnt(2) lgkmcnt(2)
	v_pk_mul_f32 v[4:5], v[8:9], v[40:41] op_sel:[1,1] op_sel_hi:[0,1]
	v_pk_fma_f32 v[6:7], v[8:9], v[40:41], v[4:5] neg_lo:[0,0,1] neg_hi:[0,0,1]
	v_pk_fma_f32 v[4:5], v[8:9], v[40:41], v[4:5] op_sel_hi:[1,0,1]
	v_pk_add_f32 v[2:3], v[2:3], v[20:21]
	v_mov_b32_e32 v4, v43
	v_mov_b32_e32 v7, v5
	v_pk_mul_f32 v[4:5], v[10:11], v[4:5] op_sel:[1,0] op_sel_hi:[0,0]
	v_pk_add_f32 v[2:3], v[2:3], v[6:7]
	v_pk_fma_f32 v[6:7], v[10:11], v[42:43], v[4:5] neg_lo:[0,0,1] neg_hi:[0,0,1]
	v_pk_fma_f32 v[4:5], v[10:11], v[42:43], v[4:5] op_sel_hi:[1,0,1]
	s_nop 0
	v_mov_b32_e32 v7, v5
	s_waitcnt vmcnt(1) lgkmcnt(1)
	v_pk_mul_f32 v[4:5], v[12:13], v[44:45] op_sel:[1,1] op_sel_hi:[0,1]
	v_pk_add_f32 v[2:3], v[2:3], v[6:7]
	v_pk_fma_f32 v[6:7], v[12:13], v[44:45], v[4:5] neg_lo:[0,0,1] neg_hi:[0,0,1]
	v_pk_fma_f32 v[4:5], v[12:13], v[44:45], v[4:5] op_sel_hi:[1,0,1]
	s_nop 0
	v_mov_b32_e32 v4, v47
	v_mov_b32_e32 v7, v5
	v_pk_mul_f32 v[4:5], v[14:15], v[4:5] op_sel:[1,0] op_sel_hi:[0,0]
	v_pk_add_f32 v[2:3], v[2:3], v[6:7]
	v_pk_fma_f32 v[6:7], v[14:15], v[46:47], v[4:5] neg_lo:[0,0,1] neg_hi:[0,0,1]
	v_pk_fma_f32 v[4:5], v[14:15], v[46:47], v[4:5] op_sel_hi:[1,0,1]
	s_nop 0
	v_mov_b32_e32 v7, v5
	s_waitcnt vmcnt(0) lgkmcnt(0)
	v_pk_mul_f32 v[4:5], v[16:17], v[48:49] op_sel:[1,1] op_sel_hi:[0,1]
	v_pk_add_f32 v[2:3], v[2:3], v[6:7]
	v_pk_fma_f32 v[6:7], v[16:17], v[48:49], v[4:5] neg_lo:[0,0,1] neg_hi:[0,0,1]
	v_pk_fma_f32 v[4:5], v[16:17], v[48:49], v[4:5] op_sel_hi:[1,0,1]
	s_nop 0
	v_mov_b32_e32 v4, v51
	v_mov_b32_e32 v7, v5
	v_pk_mul_f32 v[4:5], v[18:19], v[4:5] op_sel:[1,0] op_sel_hi:[0,0]
	v_pk_add_f32 v[2:3], v[2:3], v[6:7]
	v_pk_fma_f32 v[6:7], v[18:19], v[50:51], v[4:5] neg_lo:[0,0,1] neg_hi:[0,0,1]
	v_pk_fma_f32 v[4:5], v[18:19], v[50:51], v[4:5] op_sel_hi:[1,0,1]
	s_nop 0
	v_mov_b32_e32 v7, v5
	scratch_load_dwordx2 v[4:5], off, off offset:120
	v_pk_add_f32 v[2:3], v[2:3], v[6:7]
	s_waitcnt vmcnt(0)
	v_pk_add_f32 v[2:3], v[4:5], v[2:3] neg_lo:[0,1] neg_hi:[0,1]
	scratch_store_dwordx2 off, v[2:3], off offset:120
	s_and_saveexec_b64 s[0:1], vcc
	s_cbranch_execz .LBB95_177
; %bb.176:
	scratch_load_dwordx2 v[2:3], off, off offset:112
	v_mov_b32_e32 v4, 0
	v_mov_b32_e32 v5, v4
	scratch_store_dwordx2 off, v[4:5], off offset:112
	s_waitcnt vmcnt(1)
	ds_write_b64 v1, v[2:3]
.LBB95_177:
	s_or_b64 exec, exec, s[0:1]
	s_waitcnt lgkmcnt(0)
	; wave barrier
	scratch_load_dwordx4 v[8:11], off, off offset:120
	scratch_load_dwordx4 v[16:19], off, off offset:136
	;; [unrolled: 1-line block ×4, first 2 shown]
	v_mov_b32_e32 v2, 0
	ds_read2_b64 v[4:7], v2 offset0:47 offset1:48
	scratch_load_dwordx4 v[40:43], off, off offset:184
	v_cmp_lt_u32_e32 vcc, 13, v0
	s_waitcnt vmcnt(4) lgkmcnt(0)
	v_mul_f32_e32 v3, v4, v9
	v_fmac_f32_e32 v3, v5, v8
	v_mul_f32_e32 v12, v6, v11
	v_add_f32_e32 v3, 0, v3
	v_fmac_f32_e32 v12, v7, v10
	v_add_f32_e32 v3, v3, v12
	ds_read2_b64 v[12:15], v2 offset0:49 offset1:50
	s_waitcnt vmcnt(3) lgkmcnt(0)
	v_mul_f32_e32 v20, v12, v17
	v_fmac_f32_e32 v20, v13, v16
	v_add_f32_e32 v3, v3, v20
	v_mul_f32_e32 v20, v14, v19
	v_fmac_f32_e32 v20, v15, v18
	v_add_f32_e32 v3, v3, v20
	ds_read2_b64 v[20:23], v2 offset0:51 offset1:52
	s_waitcnt vmcnt(2) lgkmcnt(0)
	v_mul_f32_e32 v28, v20, v25
	v_fmac_f32_e32 v28, v21, v24
	v_add_f32_e32 v3, v3, v28
	v_mul_f32_e32 v28, v22, v27
	v_fmac_f32_e32 v28, v23, v26
	v_add_f32_e32 v3, v3, v28
	ds_read2_b64 v[28:31], v2 offset0:53 offset1:54
	s_waitcnt vmcnt(1) lgkmcnt(0)
	v_mul_f32_e32 v36, v28, v33
	v_fmac_f32_e32 v36, v29, v32
	v_add_f32_e32 v57, v3, v36
	ds_read2_b64 v[36:39], v2 offset0:55 offset1:56
	scratch_load_dwordx4 v[44:47], off, off offset:200
	scratch_load_dwordx4 v[48:51], off, off offset:216
	;; [unrolled: 1-line block ×3, first 2 shown]
	scratch_load_dwordx2 v[62:63], off, off offset:248
	v_mul_f32_e32 v3, v5, v9
	v_fma_f32 v3, v4, v8, -v3
	v_mul_f32_e32 v4, v7, v11
	v_add_f32_e32 v3, 0, v3
	v_fma_f32 v4, v6, v10, -v4
	v_add_f32_e32 v3, v3, v4
	v_mul_f32_e32 v4, v13, v17
	v_fma_f32 v4, v12, v16, -v4
	v_add_f32_e32 v3, v3, v4
	v_mul_f32_e32 v4, v15, v19
	;; [unrolled: 3-line block ×5, first 2 shown]
	v_fma_f32 v4, v28, v32, -v4
	v_mul_f32_e32 v59, v30, v35
	v_add_f32_e32 v56, v3, v4
	v_mul_f32_e32 v3, v31, v35
	s_waitcnt vmcnt(4)
	v_mov_b32_e32 v20, v43
	v_fmac_f32_e32 v59, v31, v34
	s_waitcnt lgkmcnt(0)
	v_mul_f32_e32 v61, v36, v41
	v_fma_f32 v58, v30, v34, -v3
	v_mul_f32_e32 v3, v37, v41
	ds_read2_b64 v[4:7], v2 offset0:57 offset1:58
	ds_read2_b64 v[8:11], v2 offset0:59 offset1:60
	;; [unrolled: 1-line block ×3, first 2 shown]
	ds_read_b64 v[16:17], v2 offset:504
	v_pk_mul_f32 v[20:21], v[38:39], v[20:21] op_sel:[1,0] op_sel_hi:[0,0]
	v_fmac_f32_e32 v61, v37, v40
	v_fma_f32 v60, v36, v40, -v3
	v_pk_add_f32 v[18:19], v[56:57], v[58:59]
	v_pk_fma_f32 v[22:23], v[38:39], v[42:43], v[20:21] neg_lo:[0,0,1] neg_hi:[0,0,1]
	v_pk_fma_f32 v[20:21], v[38:39], v[42:43], v[20:21] op_sel_hi:[1,0,1]
	v_pk_add_f32 v[18:19], v[18:19], v[60:61]
	v_mov_b32_e32 v23, v21
	v_pk_add_f32 v[18:19], v[18:19], v[22:23]
	s_waitcnt vmcnt(3) lgkmcnt(3)
	v_pk_mul_f32 v[20:21], v[4:5], v[44:45] op_sel:[1,1] op_sel_hi:[0,1]
	v_pk_fma_f32 v[22:23], v[4:5], v[44:45], v[20:21] neg_lo:[0,0,1] neg_hi:[0,0,1]
	v_pk_fma_f32 v[4:5], v[4:5], v[44:45], v[20:21] op_sel_hi:[1,0,1]
	s_nop 0
	v_mov_b32_e32 v23, v5
	v_pk_add_f32 v[4:5], v[18:19], v[22:23]
	v_mov_b32_e32 v18, v47
	v_pk_mul_f32 v[18:19], v[6:7], v[18:19] op_sel:[1,0] op_sel_hi:[0,0]
	v_pk_fma_f32 v[20:21], v[6:7], v[46:47], v[18:19] neg_lo:[0,0,1] neg_hi:[0,0,1]
	v_pk_fma_f32 v[6:7], v[6:7], v[46:47], v[18:19] op_sel_hi:[1,0,1]
	s_nop 0
	v_mov_b32_e32 v21, v7
	s_waitcnt vmcnt(2) lgkmcnt(2)
	v_pk_mul_f32 v[6:7], v[8:9], v[48:49] op_sel:[1,1] op_sel_hi:[0,1]
	v_pk_fma_f32 v[18:19], v[8:9], v[48:49], v[6:7] neg_lo:[0,0,1] neg_hi:[0,0,1]
	v_pk_fma_f32 v[6:7], v[8:9], v[48:49], v[6:7] op_sel_hi:[1,0,1]
	v_pk_add_f32 v[4:5], v[4:5], v[20:21]
	v_mov_b32_e32 v6, v51
	v_mov_b32_e32 v19, v7
	v_pk_mul_f32 v[6:7], v[10:11], v[6:7] op_sel:[1,0] op_sel_hi:[0,0]
	v_pk_fma_f32 v[8:9], v[10:11], v[50:51], v[6:7] neg_lo:[0,0,1] neg_hi:[0,0,1]
	v_pk_fma_f32 v[6:7], v[10:11], v[50:51], v[6:7] op_sel_hi:[1,0,1]
	v_pk_add_f32 v[4:5], v[4:5], v[18:19]
	v_mov_b32_e32 v9, v7
	s_waitcnt vmcnt(1) lgkmcnt(1)
	v_pk_mul_f32 v[6:7], v[12:13], v[52:53] op_sel:[1,1] op_sel_hi:[0,1]
	v_pk_add_f32 v[4:5], v[4:5], v[8:9]
	v_pk_fma_f32 v[8:9], v[12:13], v[52:53], v[6:7] neg_lo:[0,0,1] neg_hi:[0,0,1]
	v_pk_fma_f32 v[6:7], v[12:13], v[52:53], v[6:7] op_sel_hi:[1,0,1]
	s_nop 0
	v_mov_b32_e32 v6, v55
	v_mov_b32_e32 v9, v7
	v_pk_mul_f32 v[6:7], v[14:15], v[6:7] op_sel:[1,0] op_sel_hi:[0,0]
	v_pk_add_f32 v[4:5], v[4:5], v[8:9]
	v_pk_fma_f32 v[8:9], v[14:15], v[54:55], v[6:7] neg_lo:[0,0,1] neg_hi:[0,0,1]
	v_pk_fma_f32 v[6:7], v[14:15], v[54:55], v[6:7] op_sel_hi:[1,0,1]
	s_nop 0
	v_mov_b32_e32 v9, v7
	s_waitcnt vmcnt(0) lgkmcnt(0)
	v_pk_mul_f32 v[6:7], v[16:17], v[62:63] op_sel:[1,1] op_sel_hi:[0,1]
	v_pk_add_f32 v[4:5], v[4:5], v[8:9]
	v_pk_fma_f32 v[8:9], v[16:17], v[62:63], v[6:7] neg_lo:[0,0,1] neg_hi:[0,0,1]
	v_pk_fma_f32 v[6:7], v[16:17], v[62:63], v[6:7] op_sel_hi:[1,0,1]
	s_nop 0
	v_mov_b32_e32 v9, v7
	scratch_load_dwordx2 v[6:7], off, off offset:112
	v_pk_add_f32 v[4:5], v[4:5], v[8:9]
	s_waitcnt vmcnt(0)
	v_pk_add_f32 v[4:5], v[6:7], v[4:5] neg_lo:[0,1] neg_hi:[0,1]
	scratch_store_dwordx2 off, v[4:5], off offset:112
	s_and_saveexec_b64 s[0:1], vcc
	s_cbranch_execz .LBB95_179
; %bb.178:
	scratch_load_dwordx2 v[4:5], off, off offset:104
	v_mov_b32_e32 v3, v2
	scratch_store_dwordx2 off, v[2:3], off offset:104
	s_waitcnt vmcnt(1)
	ds_write_b64 v1, v[4:5]
.LBB95_179:
	s_or_b64 exec, exec, s[0:1]
	s_waitcnt lgkmcnt(0)
	; wave barrier
	ds_read_b128 v[4:7], v2 offset:368
	ds_read_b128 v[8:11], v2 offset:384
	;; [unrolled: 1-line block ×4, first 2 shown]
	scratch_load_dwordx4 v[20:23], off, off offset:112
	scratch_load_dwordx4 v[40:43], off, off offset:176
	v_cmp_lt_u32_e32 vcc, 12, v0
	s_waitcnt vmcnt(1) lgkmcnt(3)
	v_mul_f32_e32 v3, v4, v21
	v_fmac_f32_e32 v3, v5, v20
	v_mul_f32_e32 v24, v6, v23
	v_add_f32_e32 v3, 0, v3
	v_fmac_f32_e32 v24, v7, v22
	v_add_f32_e32 v3, v3, v24
	scratch_load_dwordx4 v[24:27], off, off offset:128
	s_waitcnt vmcnt(0) lgkmcnt(2)
	v_mul_f32_e32 v28, v8, v25
	v_fmac_f32_e32 v28, v9, v24
	v_add_f32_e32 v3, v3, v28
	v_mul_f32_e32 v28, v10, v27
	v_fmac_f32_e32 v28, v11, v26
	v_add_f32_e32 v3, v3, v28
	scratch_load_dwordx4 v[28:31], off, off offset:144
	s_waitcnt vmcnt(0) lgkmcnt(1)
	v_mul_f32_e32 v32, v12, v29
	v_fmac_f32_e32 v32, v13, v28
	v_add_f32_e32 v3, v3, v32
	v_mul_f32_e32 v32, v14, v31
	;; [unrolled: 8-line block ×3, first 2 shown]
	v_fmac_f32_e32 v36, v19, v34
	v_add_f32_e32 v61, v3, v36
	ds_read_b128 v[36:39], v2 offset:432
	scratch_load_dwordx4 v[44:47], off, off offset:192
	scratch_load_dwordx4 v[48:51], off, off offset:208
	;; [unrolled: 1-line block ×4, first 2 shown]
	v_mul_f32_e32 v3, v5, v21
	v_fma_f32 v3, v4, v20, -v3
	v_mul_f32_e32 v4, v7, v23
	v_add_f32_e32 v3, 0, v3
	v_fma_f32 v4, v6, v22, -v4
	v_add_f32_e32 v3, v3, v4
	v_mul_f32_e32 v4, v9, v25
	v_fma_f32 v4, v8, v24, -v4
	v_add_f32_e32 v3, v3, v4
	v_mul_f32_e32 v4, v11, v27
	;; [unrolled: 3-line block ×6, first 2 shown]
	v_fma_f32 v4, v18, v34, -v4
	v_add_f32_e32 v60, v3, v4
	ds_read_b128 v[4:7], v2 offset:448
	ds_read_b128 v[8:11], v2 offset:464
	ds_read_b128 v[12:15], v2 offset:480
	ds_read_b128 v[16:19], v2 offset:496
	s_waitcnt lgkmcnt(4)
	v_mul_f32_e32 v63, v36, v41
	v_mul_f32_e32 v3, v37, v41
	v_fmac_f32_e32 v63, v37, v40
	v_mul_f32_e32 v65, v38, v43
	v_fma_f32 v62, v36, v40, -v3
	v_mul_f32_e32 v3, v39, v43
	v_fmac_f32_e32 v65, v39, v42
	v_fma_f32 v64, v38, v42, -v3
	v_pk_add_f32 v[2:3], v[60:61], v[62:63]
	s_waitcnt vmcnt(3) lgkmcnt(3)
	v_pk_mul_f32 v[20:21], v[4:5], v[44:45] op_sel:[1,1] op_sel_hi:[0,1]
	v_pk_fma_f32 v[22:23], v[4:5], v[44:45], v[20:21] neg_lo:[0,0,1] neg_hi:[0,0,1]
	v_pk_fma_f32 v[4:5], v[4:5], v[44:45], v[20:21] op_sel_hi:[1,0,1]
	v_pk_add_f32 v[2:3], v[2:3], v[64:65]
	v_mov_b32_e32 v4, v47
	v_mov_b32_e32 v23, v5
	v_pk_mul_f32 v[4:5], v[6:7], v[4:5] op_sel:[1,0] op_sel_hi:[0,0]
	v_pk_fma_f32 v[20:21], v[6:7], v[46:47], v[4:5] neg_lo:[0,0,1] neg_hi:[0,0,1]
	v_pk_fma_f32 v[4:5], v[6:7], v[46:47], v[4:5] op_sel_hi:[1,0,1]
	v_pk_add_f32 v[2:3], v[2:3], v[22:23]
	v_mov_b32_e32 v21, v5
	s_waitcnt vmcnt(2) lgkmcnt(2)
	v_pk_mul_f32 v[4:5], v[8:9], v[48:49] op_sel:[1,1] op_sel_hi:[0,1]
	v_pk_fma_f32 v[6:7], v[8:9], v[48:49], v[4:5] neg_lo:[0,0,1] neg_hi:[0,0,1]
	v_pk_fma_f32 v[4:5], v[8:9], v[48:49], v[4:5] op_sel_hi:[1,0,1]
	v_pk_add_f32 v[2:3], v[2:3], v[20:21]
	v_mov_b32_e32 v4, v51
	v_mov_b32_e32 v7, v5
	v_pk_mul_f32 v[4:5], v[10:11], v[4:5] op_sel:[1,0] op_sel_hi:[0,0]
	v_pk_add_f32 v[2:3], v[2:3], v[6:7]
	v_pk_fma_f32 v[6:7], v[10:11], v[50:51], v[4:5] neg_lo:[0,0,1] neg_hi:[0,0,1]
	v_pk_fma_f32 v[4:5], v[10:11], v[50:51], v[4:5] op_sel_hi:[1,0,1]
	s_nop 0
	v_mov_b32_e32 v7, v5
	s_waitcnt vmcnt(1) lgkmcnt(1)
	v_pk_mul_f32 v[4:5], v[12:13], v[52:53] op_sel:[1,1] op_sel_hi:[0,1]
	v_pk_add_f32 v[2:3], v[2:3], v[6:7]
	v_pk_fma_f32 v[6:7], v[12:13], v[52:53], v[4:5] neg_lo:[0,0,1] neg_hi:[0,0,1]
	v_pk_fma_f32 v[4:5], v[12:13], v[52:53], v[4:5] op_sel_hi:[1,0,1]
	s_nop 0
	v_mov_b32_e32 v4, v55
	v_mov_b32_e32 v7, v5
	v_pk_mul_f32 v[4:5], v[14:15], v[4:5] op_sel:[1,0] op_sel_hi:[0,0]
	v_pk_add_f32 v[2:3], v[2:3], v[6:7]
	v_pk_fma_f32 v[6:7], v[14:15], v[54:55], v[4:5] neg_lo:[0,0,1] neg_hi:[0,0,1]
	v_pk_fma_f32 v[4:5], v[14:15], v[54:55], v[4:5] op_sel_hi:[1,0,1]
	s_nop 0
	v_mov_b32_e32 v7, v5
	s_waitcnt vmcnt(0) lgkmcnt(0)
	v_pk_mul_f32 v[4:5], v[16:17], v[56:57] op_sel:[1,1] op_sel_hi:[0,1]
	v_pk_add_f32 v[2:3], v[2:3], v[6:7]
	v_pk_fma_f32 v[6:7], v[16:17], v[56:57], v[4:5] neg_lo:[0,0,1] neg_hi:[0,0,1]
	v_pk_fma_f32 v[4:5], v[16:17], v[56:57], v[4:5] op_sel_hi:[1,0,1]
	s_nop 0
	v_mov_b32_e32 v4, v59
	v_mov_b32_e32 v7, v5
	v_pk_mul_f32 v[4:5], v[18:19], v[4:5] op_sel:[1,0] op_sel_hi:[0,0]
	v_pk_add_f32 v[2:3], v[2:3], v[6:7]
	v_pk_fma_f32 v[6:7], v[18:19], v[58:59], v[4:5] neg_lo:[0,0,1] neg_hi:[0,0,1]
	v_pk_fma_f32 v[4:5], v[18:19], v[58:59], v[4:5] op_sel_hi:[1,0,1]
	s_nop 0
	v_mov_b32_e32 v7, v5
	scratch_load_dwordx2 v[4:5], off, off offset:104
	v_pk_add_f32 v[2:3], v[2:3], v[6:7]
	s_waitcnt vmcnt(0)
	v_pk_add_f32 v[2:3], v[4:5], v[2:3] neg_lo:[0,1] neg_hi:[0,1]
	scratch_store_dwordx2 off, v[2:3], off offset:104
	s_and_saveexec_b64 s[0:1], vcc
	s_cbranch_execz .LBB95_181
; %bb.180:
	scratch_load_dwordx2 v[2:3], off, off offset:96
	v_mov_b32_e32 v4, 0
	v_mov_b32_e32 v5, v4
	scratch_store_dwordx2 off, v[4:5], off offset:96
	s_waitcnt vmcnt(1)
	ds_write_b64 v1, v[2:3]
.LBB95_181:
	s_or_b64 exec, exec, s[0:1]
	s_waitcnt lgkmcnt(0)
	; wave barrier
	scratch_load_dwordx4 v[4:7], off, off offset:104
	scratch_load_dwordx4 v[8:11], off, off offset:120
	;; [unrolled: 1-line block ×9, first 2 shown]
	scratch_load_dwordx2 v[76:77], off, off offset:248
	scratch_load_dwordx2 v[78:79], off, off offset:96
	v_mov_b32_e32 v2, 0
	ds_read2_b64 v[40:43], v2 offset0:45 offset1:46
	ds_read2_b64 v[44:47], v2 offset0:47 offset1:48
	;; [unrolled: 1-line block ×9, first 2 shown]
	ds_read_b64 v[80:81], v2 offset:504
	v_cmp_lt_u32_e32 vcc, 11, v0
	s_waitcnt vmcnt(10) lgkmcnt(9)
	v_mul_f32_e32 v87, v42, v7
	v_mul_f32_e32 v3, v40, v5
	v_mul_f32_e32 v5, v41, v5
	v_fmac_f32_e32 v87, v43, v6
	s_waitcnt vmcnt(9) lgkmcnt(8)
	v_mul_f32_e32 v88, v44, v9
	s_waitcnt vmcnt(5)
	v_mov_b32_e32 v86, v27
	v_mul_f32_e32 v89, v46, v11
	s_waitcnt lgkmcnt(7)
	v_mul_f32_e32 v91, v50, v15
	v_mul_f32_e32 v7, v43, v7
	;; [unrolled: 1-line block ×5, first 2 shown]
	v_fmac_f32_e32 v3, v41, v4
	v_fma_f32 v40, v40, v4, -v5
	s_waitcnt lgkmcnt(4)
	v_pk_mul_f32 v[4:5], v[62:63], v[86:87] op_sel:[1,0] op_sel_hi:[0,0]
	v_fmac_f32_e32 v88, v45, v8
	v_fma_f32 v41, v42, v6, -v7
	v_fma_f32 v8, v44, v8, -v9
	;; [unrolled: 1-line block ×4, first 2 shown]
	v_add_f32_e32 v3, 0, v3
	v_add_f32_e32 v15, 0, v40
	v_pk_fma_f32 v[6:7], v[62:63], v[26:27], v[4:5] neg_lo:[0,0,1] neg_hi:[0,0,1]
	v_pk_fma_f32 v[4:5], v[62:63], v[26:27], v[4:5] op_sel_hi:[1,0,1]
	v_add_f32_e32 v3, v3, v87
	v_add_f32_e32 v4, v15, v41
	v_mul_f32_e32 v90, v48, v13
	v_mul_f32_e32 v13, v49, v13
	v_fmac_f32_e32 v89, v47, v10
	v_add_f32_e32 v3, v3, v88
	v_add_f32_e32 v4, v4, v8
	v_fmac_f32_e32 v90, v49, v12
	v_fma_f32 v10, v48, v12, -v13
	v_add_f32_e32 v3, v3, v89
	v_add_f32_e32 v4, v4, v9
	v_mul_f32_e32 v92, v52, v17
	v_mul_f32_e32 v17, v53, v17
	v_fmac_f32_e32 v91, v51, v14
	v_add_f32_e32 v3, v3, v90
	v_add_f32_e32 v4, v4, v10
	v_mul_f32_e32 v93, v54, v19
	v_mul_f32_e32 v19, v55, v19
	v_fmac_f32_e32 v92, v53, v16
	v_fma_f32 v12, v52, v16, -v17
	v_add_f32_e32 v3, v3, v91
	v_add_f32_e32 v4, v4, v11
	v_mul_f32_e32 v94, v56, v21
	v_mul_f32_e32 v21, v57, v21
	v_fmac_f32_e32 v93, v55, v18
	v_fma_f32 v13, v54, v18, -v19
	;; [unrolled: 6-line block ×4, first 2 shown]
	v_mov_b32_e32 v7, v5
	v_add_f32_e32 v5, v3, v94
	v_add_f32_e32 v4, v4, v14
	v_fmac_f32_e32 v85, v61, v24
	v_fma_f32 v84, v60, v24, -v25
	v_pk_add_f32 v[4:5], v[4:5], v[82:83]
	s_nop 0
	v_pk_add_f32 v[4:5], v[4:5], v[84:85]
	s_nop 0
	v_pk_add_f32 v[4:5], v[4:5], v[6:7]
	s_waitcnt vmcnt(4) lgkmcnt(3)
	v_pk_mul_f32 v[6:7], v[64:65], v[28:29] op_sel:[1,1] op_sel_hi:[0,1]
	v_pk_fma_f32 v[8:9], v[64:65], v[28:29], v[6:7] neg_lo:[0,0,1] neg_hi:[0,0,1]
	v_pk_fma_f32 v[6:7], v[64:65], v[28:29], v[6:7] op_sel_hi:[1,0,1]
	s_nop 0
	v_mov_b32_e32 v6, v31
	v_mov_b32_e32 v9, v7
	v_pk_mul_f32 v[6:7], v[66:67], v[6:7] op_sel:[1,0] op_sel_hi:[0,0]
	v_pk_add_f32 v[4:5], v[4:5], v[8:9]
	v_pk_fma_f32 v[8:9], v[66:67], v[30:31], v[6:7] neg_lo:[0,0,1] neg_hi:[0,0,1]
	v_pk_fma_f32 v[6:7], v[66:67], v[30:31], v[6:7] op_sel_hi:[1,0,1]
	s_nop 0
	v_mov_b32_e32 v9, v7
	s_waitcnt vmcnt(3) lgkmcnt(2)
	v_pk_mul_f32 v[6:7], v[68:69], v[32:33] op_sel:[1,1] op_sel_hi:[0,1]
	v_pk_add_f32 v[4:5], v[4:5], v[8:9]
	v_pk_fma_f32 v[8:9], v[68:69], v[32:33], v[6:7] neg_lo:[0,0,1] neg_hi:[0,0,1]
	v_pk_fma_f32 v[6:7], v[68:69], v[32:33], v[6:7] op_sel_hi:[1,0,1]
	s_nop 0
	v_mov_b32_e32 v6, v35
	v_mov_b32_e32 v9, v7
	v_pk_mul_f32 v[6:7], v[70:71], v[6:7] op_sel:[1,0] op_sel_hi:[0,0]
	v_pk_add_f32 v[4:5], v[4:5], v[8:9]
	v_pk_fma_f32 v[8:9], v[70:71], v[34:35], v[6:7] neg_lo:[0,0,1] neg_hi:[0,0,1]
	v_pk_fma_f32 v[6:7], v[70:71], v[34:35], v[6:7] op_sel_hi:[1,0,1]
	s_nop 0
	v_mov_b32_e32 v9, v7
	s_waitcnt vmcnt(2) lgkmcnt(1)
	v_pk_mul_f32 v[6:7], v[72:73], v[36:37] op_sel:[1,1] op_sel_hi:[0,1]
	v_pk_add_f32 v[4:5], v[4:5], v[8:9]
	;; [unrolled: 14-line block ×3, first 2 shown]
	v_pk_fma_f32 v[8:9], v[80:81], v[76:77], v[6:7] neg_lo:[0,0,1] neg_hi:[0,0,1]
	v_pk_fma_f32 v[6:7], v[80:81], v[76:77], v[6:7] op_sel_hi:[1,0,1]
	s_nop 0
	v_mov_b32_e32 v9, v7
	v_pk_add_f32 v[4:5], v[4:5], v[8:9]
	s_waitcnt vmcnt(0)
	v_pk_add_f32 v[4:5], v[78:79], v[4:5] neg_lo:[0,1] neg_hi:[0,1]
	scratch_store_dwordx2 off, v[4:5], off offset:96
	s_and_saveexec_b64 s[0:1], vcc
	s_cbranch_execz .LBB95_183
; %bb.182:
	scratch_load_dwordx2 v[4:5], off, off offset:88
	v_mov_b32_e32 v3, v2
	scratch_store_dwordx2 off, v[2:3], off offset:88
	s_waitcnt vmcnt(1)
	ds_write_b64 v1, v[4:5]
.LBB95_183:
	s_or_b64 exec, exec, s[0:1]
	s_waitcnt lgkmcnt(0)
	; wave barrier
	scratch_load_dwordx4 v[4:7], off, off offset:96
	scratch_load_dwordx4 v[8:11], off, off offset:112
	;; [unrolled: 1-line block ×7, first 2 shown]
	ds_read_b128 v[32:35], v2 offset:352
	ds_read_b128 v[36:39], v2 offset:368
	;; [unrolled: 1-line block ×6, first 2 shown]
	scratch_load_dwordx4 v[56:59], off, off offset:208
	scratch_load_dwordx4 v[60:63], off, off offset:224
	;; [unrolled: 1-line block ×3, first 2 shown]
	ds_read_b128 v[68:71], v2 offset:448
	ds_read_b128 v[72:75], v2 offset:464
	;; [unrolled: 1-line block ×4, first 2 shown]
	scratch_load_dwordx2 v[2:3], off, off offset:88
	v_cmp_lt_u32_e32 vcc, 10, v0
	s_waitcnt vmcnt(10) lgkmcnt(9)
	v_mul_f32_e32 v90, v32, v5
	v_mul_f32_e32 v5, v33, v5
	v_mul_f32_e32 v91, v34, v7
	s_waitcnt vmcnt(9) lgkmcnt(8)
	v_mul_f32_e32 v92, v36, v9
	s_waitcnt vmcnt(8) lgkmcnt(7)
	v_mul_f32_e32 v95, v42, v15
	v_mul_f32_e32 v7, v35, v7
	;; [unrolled: 1-line block ×4, first 2 shown]
	v_fmac_f32_e32 v90, v33, v4
	v_fma_f32 v4, v32, v4, -v5
	v_fmac_f32_e32 v91, v35, v6
	v_fmac_f32_e32 v95, v43, v14
	v_fma_f32 v5, v34, v6, -v7
	v_fma_f32 v6, v36, v8, -v9
	;; [unrolled: 1-line block ×3, first 2 shown]
	v_add_f32_e32 v14, 0, v90
	v_add_f32_e32 v4, 0, v4
	v_mul_f32_e32 v93, v38, v11
	v_mul_f32_e32 v11, v39, v11
	v_fmac_f32_e32 v92, v37, v8
	v_add_f32_e32 v14, v14, v91
	v_add_f32_e32 v4, v4, v5
	v_mul_f32_e32 v94, v40, v13
	v_mul_f32_e32 v13, v41, v13
	v_fmac_f32_e32 v93, v39, v10
	v_fma_f32 v7, v38, v10, -v11
	v_add_f32_e32 v5, v14, v92
	v_add_f32_e32 v4, v4, v6
	v_fmac_f32_e32 v94, v41, v12
	v_fma_f32 v8, v40, v12, -v13
	v_add_f32_e32 v5, v5, v93
	v_add_f32_e32 v4, v4, v7
	s_waitcnt vmcnt(7) lgkmcnt(6)
	v_mul_f32_e32 v96, v44, v17
	v_mul_f32_e32 v17, v45, v17
	v_add_f32_e32 v5, v5, v94
	v_add_f32_e32 v4, v4, v8
	v_mul_f32_e32 v97, v46, v19
	v_mul_f32_e32 v19, v47, v19
	v_fmac_f32_e32 v96, v45, v16
	v_fma_f32 v10, v44, v16, -v17
	v_add_f32_e32 v5, v5, v95
	v_add_f32_e32 v4, v4, v9
	s_waitcnt vmcnt(6) lgkmcnt(5)
	v_mul_f32_e32 v98, v48, v21
	v_mul_f32_e32 v21, v49, v21
	v_fmac_f32_e32 v97, v47, v18
	v_fma_f32 v11, v46, v18, -v19
	v_add_f32_e32 v5, v5, v96
	v_add_f32_e32 v4, v4, v10
	v_mul_f32_e32 v99, v50, v23
	v_mul_f32_e32 v23, v51, v23
	v_fmac_f32_e32 v98, v49, v20
	v_fma_f32 v12, v48, v20, -v21
	v_add_f32_e32 v5, v5, v97
	v_add_f32_e32 v4, v4, v11
	s_waitcnt vmcnt(5) lgkmcnt(4)
	v_mul_f32_e32 v85, v52, v25
	v_mul_f32_e32 v25, v53, v25
	v_fmac_f32_e32 v99, v51, v22
	v_fma_f32 v13, v50, v22, -v23
	v_add_f32_e32 v5, v5, v98
	v_add_f32_e32 v4, v4, v12
	v_mul_f32_e32 v87, v54, v27
	v_mul_f32_e32 v27, v55, v27
	s_waitcnt vmcnt(4) lgkmcnt(3)
	v_pk_mul_f32 v[88:89], v[68:69], v[28:29] op_sel:[1,1] op_sel_hi:[0,1]
	v_fmac_f32_e32 v85, v53, v24
	v_fma_f32 v84, v52, v24, -v25
	v_add_f32_e32 v5, v5, v99
	v_add_f32_e32 v4, v4, v13
	v_fmac_f32_e32 v87, v55, v26
	v_fma_f32 v86, v54, v26, -v27
	v_pk_add_f32 v[4:5], v[4:5], v[84:85]
	v_pk_fma_f32 v[6:7], v[68:69], v[28:29], v[88:89] neg_lo:[0,0,1] neg_hi:[0,0,1]
	v_pk_fma_f32 v[8:9], v[68:69], v[28:29], v[88:89] op_sel_hi:[1,0,1]
	v_pk_add_f32 v[4:5], v[4:5], v[86:87]
	v_mov_b32_e32 v7, v9
	v_pk_add_f32 v[4:5], v[4:5], v[6:7]
	v_mov_b32_e32 v6, v31
	v_pk_mul_f32 v[6:7], v[70:71], v[6:7] op_sel:[1,0] op_sel_hi:[0,0]
	v_pk_fma_f32 v[8:9], v[70:71], v[30:31], v[6:7] neg_lo:[0,0,1] neg_hi:[0,0,1]
	v_pk_fma_f32 v[6:7], v[70:71], v[30:31], v[6:7] op_sel_hi:[1,0,1]
	s_nop 0
	v_mov_b32_e32 v9, v7
	s_waitcnt vmcnt(3) lgkmcnt(2)
	v_pk_mul_f32 v[6:7], v[72:73], v[56:57] op_sel:[1,1] op_sel_hi:[0,1]
	v_pk_add_f32 v[4:5], v[4:5], v[8:9]
	v_pk_fma_f32 v[8:9], v[72:73], v[56:57], v[6:7] neg_lo:[0,0,1] neg_hi:[0,0,1]
	v_pk_fma_f32 v[6:7], v[72:73], v[56:57], v[6:7] op_sel_hi:[1,0,1]
	s_nop 0
	v_mov_b32_e32 v6, v59
	v_mov_b32_e32 v9, v7
	v_pk_mul_f32 v[6:7], v[74:75], v[6:7] op_sel:[1,0] op_sel_hi:[0,0]
	v_pk_add_f32 v[4:5], v[4:5], v[8:9]
	v_pk_fma_f32 v[8:9], v[74:75], v[58:59], v[6:7] neg_lo:[0,0,1] neg_hi:[0,0,1]
	v_pk_fma_f32 v[6:7], v[74:75], v[58:59], v[6:7] op_sel_hi:[1,0,1]
	s_nop 0
	v_mov_b32_e32 v9, v7
	s_waitcnt vmcnt(2) lgkmcnt(1)
	v_pk_mul_f32 v[6:7], v[76:77], v[60:61] op_sel:[1,1] op_sel_hi:[0,1]
	v_pk_add_f32 v[4:5], v[4:5], v[8:9]
	v_pk_fma_f32 v[8:9], v[76:77], v[60:61], v[6:7] neg_lo:[0,0,1] neg_hi:[0,0,1]
	v_pk_fma_f32 v[6:7], v[76:77], v[60:61], v[6:7] op_sel_hi:[1,0,1]
	s_nop 0
	v_mov_b32_e32 v6, v63
	v_mov_b32_e32 v9, v7
	v_pk_mul_f32 v[6:7], v[78:79], v[6:7] op_sel:[1,0] op_sel_hi:[0,0]
	v_pk_add_f32 v[4:5], v[4:5], v[8:9]
	;; [unrolled: 14-line block ×3, first 2 shown]
	v_pk_fma_f32 v[8:9], v[82:83], v[66:67], v[6:7] neg_lo:[0,0,1] neg_hi:[0,0,1]
	v_pk_fma_f32 v[6:7], v[82:83], v[66:67], v[6:7] op_sel_hi:[1,0,1]
	s_nop 0
	v_mov_b32_e32 v9, v7
	v_pk_add_f32 v[4:5], v[4:5], v[8:9]
	s_waitcnt vmcnt(0)
	v_pk_add_f32 v[2:3], v[2:3], v[4:5] neg_lo:[0,1] neg_hi:[0,1]
	scratch_store_dwordx2 off, v[2:3], off offset:88
	s_and_saveexec_b64 s[0:1], vcc
	s_cbranch_execz .LBB95_185
; %bb.184:
	scratch_load_dwordx2 v[2:3], off, off offset:80
	v_mov_b32_e32 v4, 0
	v_mov_b32_e32 v5, v4
	scratch_store_dwordx2 off, v[4:5], off offset:80
	s_waitcnt vmcnt(1)
	ds_write_b64 v1, v[2:3]
.LBB95_185:
	s_or_b64 exec, exec, s[0:1]
	s_waitcnt lgkmcnt(0)
	; wave barrier
	scratch_load_dwordx4 v[2:5], off, off offset:88
	scratch_load_dwordx4 v[8:11], off, off offset:104
	;; [unrolled: 1-line block ×10, first 2 shown]
	scratch_load_dwordx2 v[76:77], off, off offset:248
	scratch_load_dwordx2 v[78:79], off, off offset:80
	v_mov_b32_e32 v6, 0
	ds_read2_b64 v[44:47], v6 offset0:43 offset1:44
	ds_read2_b64 v[48:51], v6 offset0:45 offset1:46
	;; [unrolled: 1-line block ×8, first 2 shown]
	v_cmp_lt_u32_e32 vcc, 9, v0
	s_waitcnt vmcnt(11) lgkmcnt(7)
	v_mul_f32_e32 v7, v44, v3
	v_mul_f32_e32 v3, v45, v3
	;; [unrolled: 1-line block ×4, first 2 shown]
	v_fmac_f32_e32 v7, v45, v2
	v_fma_f32 v2, v44, v2, -v3
	s_waitcnt vmcnt(10) lgkmcnt(6)
	v_mul_f32_e32 v82, v48, v9
	v_mul_f32_e32 v9, v49, v9
	v_fma_f32 v3, v46, v4, -v5
	v_add_f32_e32 v2, 0, v2
	v_mul_f32_e32 v84, v50, v11
	v_mul_f32_e32 v11, v51, v11
	v_fmac_f32_e32 v80, v47, v4
	v_fma_f32 v4, v48, v8, -v9
	v_add_f32_e32 v7, 0, v7
	v_add_f32_e32 v2, v2, v3
	s_waitcnt vmcnt(9) lgkmcnt(5)
	v_mul_f32_e32 v85, v52, v13
	v_mul_f32_e32 v13, v53, v13
	v_fmac_f32_e32 v82, v49, v8
	v_fma_f32 v5, v50, v10, -v11
	v_add_f32_e32 v7, v7, v80
	v_add_f32_e32 v2, v2, v4
	v_mul_f32_e32 v86, v54, v15
	v_mul_f32_e32 v15, v55, v15
	v_fmac_f32_e32 v84, v51, v10
	v_fma_f32 v8, v52, v12, -v13
	v_add_f32_e32 v3, v7, v82
	v_add_f32_e32 v2, v2, v5
	s_waitcnt vmcnt(8) lgkmcnt(4)
	v_mul_f32_e32 v87, v56, v17
	v_mul_f32_e32 v17, v57, v17
	v_fmac_f32_e32 v85, v53, v12
	v_fma_f32 v9, v54, v14, -v15
	v_add_f32_e32 v3, v3, v84
	;; [unrolled: 13-line block ×4, first 2 shown]
	v_add_f32_e32 v2, v2, v12
	v_fmac_f32_e32 v90, v63, v22
	v_fma_f32 v14, v64, v24, -v25
	v_add_f32_e32 v3, v3, v89
	v_add_f32_e32 v2, v2, v13
	v_mul_f32_e32 v81, v66, v27
	v_fmac_f32_e32 v91, v65, v24
	v_add_f32_e32 v3, v3, v90
	v_add_f32_e32 v12, v2, v14
	v_mul_f32_e32 v2, v67, v27
	s_waitcnt vmcnt(5)
	v_mov_b32_e32 v16, v31
	s_waitcnt lgkmcnt(1)
	v_mul_f32_e32 v83, v68, v29
	v_fmac_f32_e32 v81, v67, v26
	v_add_f32_e32 v13, v3, v91
	v_fma_f32 v80, v66, v26, -v2
	v_mul_f32_e32 v2, v69, v29
	v_pk_mul_f32 v[16:17], v[70:71], v[16:17] op_sel:[1,0] op_sel_hi:[0,0]
	v_fmac_f32_e32 v83, v69, v28
	v_fma_f32 v82, v68, v28, -v2
	v_pk_add_f32 v[12:13], v[12:13], v[80:81]
	v_pk_fma_f32 v[18:19], v[70:71], v[30:31], v[16:17] neg_lo:[0,0,1] neg_hi:[0,0,1]
	v_pk_fma_f32 v[16:17], v[70:71], v[30:31], v[16:17] op_sel_hi:[1,0,1]
	v_pk_add_f32 v[12:13], v[12:13], v[82:83]
	v_mov_b32_e32 v19, v17
	s_waitcnt vmcnt(4) lgkmcnt(0)
	v_pk_mul_f32 v[16:17], v[72:73], v[32:33] op_sel:[1,1] op_sel_hi:[0,1]
	v_pk_add_f32 v[12:13], v[12:13], v[18:19]
	v_pk_fma_f32 v[18:19], v[72:73], v[32:33], v[16:17] neg_lo:[0,0,1] neg_hi:[0,0,1]
	v_pk_fma_f32 v[16:17], v[72:73], v[32:33], v[16:17] op_sel_hi:[1,0,1]
	ds_read2_b64 v[2:5], v6 offset0:59 offset1:60
	ds_read2_b64 v[8:11], v6 offset0:61 offset1:62
	ds_read_b64 v[14:15], v6 offset:504
	v_mov_b32_e32 v16, v35
	v_mov_b32_e32 v19, v17
	v_pk_mul_f32 v[16:17], v[74:75], v[16:17] op_sel:[1,0] op_sel_hi:[0,0]
	v_pk_add_f32 v[12:13], v[12:13], v[18:19]
	v_pk_fma_f32 v[18:19], v[74:75], v[34:35], v[16:17] neg_lo:[0,0,1] neg_hi:[0,0,1]
	v_pk_fma_f32 v[16:17], v[74:75], v[34:35], v[16:17] op_sel_hi:[1,0,1]
	s_nop 0
	v_mov_b32_e32 v19, v17
	s_waitcnt vmcnt(3) lgkmcnt(2)
	v_pk_mul_f32 v[16:17], v[2:3], v[36:37] op_sel:[1,1] op_sel_hi:[0,1]
	v_pk_add_f32 v[12:13], v[12:13], v[18:19]
	v_pk_fma_f32 v[18:19], v[2:3], v[36:37], v[16:17] neg_lo:[0,0,1] neg_hi:[0,0,1]
	v_pk_fma_f32 v[2:3], v[2:3], v[36:37], v[16:17] op_sel_hi:[1,0,1]
	s_nop 0
	v_mov_b32_e32 v19, v3
	v_pk_add_f32 v[2:3], v[12:13], v[18:19]
	v_mov_b32_e32 v12, v39
	v_pk_mul_f32 v[12:13], v[4:5], v[12:13] op_sel:[1,0] op_sel_hi:[0,0]
	v_pk_fma_f32 v[16:17], v[4:5], v[38:39], v[12:13] neg_lo:[0,0,1] neg_hi:[0,0,1]
	v_pk_fma_f32 v[4:5], v[4:5], v[38:39], v[12:13] op_sel_hi:[1,0,1]
	s_nop 0
	v_mov_b32_e32 v17, v5
	s_waitcnt vmcnt(2) lgkmcnt(1)
	v_pk_mul_f32 v[4:5], v[8:9], v[40:41] op_sel:[1,1] op_sel_hi:[0,1]
	v_pk_fma_f32 v[12:13], v[8:9], v[40:41], v[4:5] neg_lo:[0,0,1] neg_hi:[0,0,1]
	v_pk_fma_f32 v[4:5], v[8:9], v[40:41], v[4:5] op_sel_hi:[1,0,1]
	v_pk_add_f32 v[2:3], v[2:3], v[16:17]
	v_mov_b32_e32 v4, v43
	v_mov_b32_e32 v13, v5
	v_pk_mul_f32 v[4:5], v[10:11], v[4:5] op_sel:[1,0] op_sel_hi:[0,0]
	v_pk_fma_f32 v[8:9], v[10:11], v[42:43], v[4:5] neg_lo:[0,0,1] neg_hi:[0,0,1]
	v_pk_fma_f32 v[4:5], v[10:11], v[42:43], v[4:5] op_sel_hi:[1,0,1]
	v_pk_add_f32 v[2:3], v[2:3], v[12:13]
	v_mov_b32_e32 v9, v5
	s_waitcnt vmcnt(1) lgkmcnt(0)
	v_pk_mul_f32 v[4:5], v[14:15], v[76:77] op_sel:[1,1] op_sel_hi:[0,1]
	v_pk_add_f32 v[2:3], v[2:3], v[8:9]
	v_pk_fma_f32 v[8:9], v[14:15], v[76:77], v[4:5] neg_lo:[0,0,1] neg_hi:[0,0,1]
	v_pk_fma_f32 v[4:5], v[14:15], v[76:77], v[4:5] op_sel_hi:[1,0,1]
	s_nop 0
	v_mov_b32_e32 v9, v5
	v_pk_add_f32 v[2:3], v[2:3], v[8:9]
	s_waitcnt vmcnt(0)
	v_pk_add_f32 v[2:3], v[78:79], v[2:3] neg_lo:[0,1] neg_hi:[0,1]
	scratch_store_dwordx2 off, v[2:3], off offset:80
	s_and_saveexec_b64 s[0:1], vcc
	s_cbranch_execz .LBB95_187
; %bb.186:
	scratch_load_dwordx2 v[2:3], off, off offset:72
	v_mov_b32_e32 v7, v6
	scratch_store_dwordx2 off, v[6:7], off offset:72
	s_waitcnt vmcnt(1)
	ds_write_b64 v1, v[2:3]
.LBB95_187:
	s_or_b64 exec, exec, s[0:1]
	s_waitcnt lgkmcnt(0)
	; wave barrier
	scratch_load_dwordx4 v[8:11], off, off offset:80
	scratch_load_dwordx4 v[12:15], off, off offset:96
	scratch_load_dwordx4 v[16:19], off, off offset:112
	scratch_load_dwordx4 v[20:23], off, off offset:128
	scratch_load_dwordx4 v[24:27], off, off offset:144
	scratch_load_dwordx4 v[28:31], off, off offset:160
	scratch_load_dwordx4 v[32:35], off, off offset:176
	ds_read_b128 v[36:39], v6 offset:336
	ds_read_b128 v[40:43], v6 offset:352
	;; [unrolled: 1-line block ×6, first 2 shown]
	scratch_load_dwordx4 v[60:63], off, off offset:192
	scratch_load_dwordx4 v[64:67], off, off offset:208
	;; [unrolled: 1-line block ×4, first 2 shown]
	ds_read_b128 v[72:75], v6 offset:432
	ds_read_b128 v[76:79], v6 offset:448
	scratch_load_dwordx2 v[80:81], off, off offset:72
	v_cmp_lt_u32_e32 vcc, 8, v0
	s_waitcnt vmcnt(11) lgkmcnt(7)
	v_mul_f32_e32 v7, v36, v9
	v_mul_f32_e32 v82, v38, v11
	;; [unrolled: 1-line block ×3, first 2 shown]
	v_fmac_f32_e32 v7, v37, v8
	s_waitcnt vmcnt(10) lgkmcnt(6)
	v_mul_f32_e32 v84, v40, v13
	v_mul_f32_e32 v11, v39, v11
	v_fmac_f32_e32 v82, v39, v10
	v_fma_f32 v8, v36, v8, -v9
	v_add_f32_e32 v7, 0, v7
	v_mul_f32_e32 v86, v42, v15
	v_mul_f32_e32 v13, v41, v13
	v_fmac_f32_e32 v84, v41, v12
	v_fma_f32 v9, v38, v10, -v11
	v_add_f32_e32 v8, 0, v8
	v_add_f32_e32 v7, v7, v82
	s_waitcnt vmcnt(9) lgkmcnt(5)
	v_mul_f32_e32 v87, v44, v17
	v_mul_f32_e32 v15, v43, v15
	v_fmac_f32_e32 v86, v43, v14
	v_fma_f32 v10, v40, v12, -v13
	v_add_f32_e32 v8, v8, v9
	v_add_f32_e32 v7, v7, v84
	v_mul_f32_e32 v88, v46, v19
	v_mul_f32_e32 v17, v45, v17
	v_fmac_f32_e32 v87, v45, v16
	v_fma_f32 v11, v42, v14, -v15
	v_add_f32_e32 v8, v8, v10
	v_add_f32_e32 v7, v7, v86
	s_waitcnt vmcnt(8) lgkmcnt(4)
	v_mul_f32_e32 v89, v48, v21
	v_mul_f32_e32 v19, v47, v19
	v_fmac_f32_e32 v88, v47, v18
	v_fma_f32 v12, v44, v16, -v17
	v_add_f32_e32 v8, v8, v11
	v_add_f32_e32 v7, v7, v87
	v_mul_f32_e32 v90, v50, v23
	v_mul_f32_e32 v21, v49, v21
	v_fmac_f32_e32 v89, v49, v20
	v_fma_f32 v13, v46, v18, -v19
	v_add_f32_e32 v8, v8, v12
	v_add_f32_e32 v7, v7, v88
	s_waitcnt vmcnt(7) lgkmcnt(3)
	v_mul_f32_e32 v91, v52, v25
	v_mul_f32_e32 v23, v51, v23
	v_fmac_f32_e32 v90, v51, v22
	v_fma_f32 v14, v48, v20, -v21
	v_add_f32_e32 v8, v8, v13
	v_add_f32_e32 v7, v7, v89
	v_mul_f32_e32 v92, v54, v27
	v_mul_f32_e32 v25, v53, v25
	v_fmac_f32_e32 v91, v53, v24
	v_fma_f32 v15, v50, v22, -v23
	v_add_f32_e32 v8, v8, v14
	v_add_f32_e32 v7, v7, v90
	s_waitcnt vmcnt(6) lgkmcnt(2)
	v_mul_f32_e32 v93, v56, v29
	v_mul_f32_e32 v27, v55, v27
	v_fmac_f32_e32 v92, v55, v26
	v_fma_f32 v16, v52, v24, -v25
	v_add_f32_e32 v8, v8, v15
	v_add_f32_e32 v7, v7, v91
	v_mul_f32_e32 v94, v58, v31
	v_mul_f32_e32 v29, v57, v29
	v_fmac_f32_e32 v93, v57, v28
	v_fma_f32 v17, v54, v26, -v27
	v_add_f32_e32 v8, v8, v16
	v_add_f32_e32 v7, v7, v92
	v_fmac_f32_e32 v94, v59, v30
	v_fma_f32 v18, v56, v28, -v29
	v_add_f32_e32 v8, v8, v17
	v_add_f32_e32 v7, v7, v93
	;; [unrolled: 1-line block ×4, first 2 shown]
	v_mul_f32_e32 v8, v59, v31
	v_fma_f32 v8, v58, v30, -v8
	s_waitcnt vmcnt(5) lgkmcnt(1)
	v_mul_f32_e32 v83, v72, v33
	v_add_f32_e32 v20, v7, v8
	v_mul_f32_e32 v7, v73, v33
	v_fmac_f32_e32 v83, v73, v32
	v_fma_f32 v82, v72, v32, -v7
	v_mul_f32_e32 v7, v75, v35
	v_fma_f32 v84, v74, v34, -v7
	ds_read_b128 v[8:11], v6 offset:464
	ds_read_b128 v[12:15], v6 offset:480
	;; [unrolled: 1-line block ×3, first 2 shown]
	v_pk_add_f32 v[6:7], v[20:21], v[82:83]
	s_waitcnt vmcnt(4) lgkmcnt(3)
	v_pk_mul_f32 v[20:21], v[76:77], v[60:61] op_sel:[1,1] op_sel_hi:[0,1]
	v_mul_f32_e32 v85, v74, v35
	v_pk_fma_f32 v[22:23], v[76:77], v[60:61], v[20:21] neg_lo:[0,0,1] neg_hi:[0,0,1]
	v_pk_fma_f32 v[20:21], v[76:77], v[60:61], v[20:21] op_sel_hi:[1,0,1]
	v_fmac_f32_e32 v85, v75, v34
	v_mov_b32_e32 v20, v63
	v_pk_add_f32 v[6:7], v[6:7], v[84:85]
	v_mov_b32_e32 v23, v21
	v_pk_mul_f32 v[20:21], v[78:79], v[20:21] op_sel:[1,0] op_sel_hi:[0,0]
	v_pk_add_f32 v[6:7], v[6:7], v[22:23]
	v_pk_fma_f32 v[22:23], v[78:79], v[62:63], v[20:21] neg_lo:[0,0,1] neg_hi:[0,0,1]
	v_pk_fma_f32 v[20:21], v[78:79], v[62:63], v[20:21] op_sel_hi:[1,0,1]
	s_nop 0
	v_mov_b32_e32 v23, v21
	s_waitcnt vmcnt(3) lgkmcnt(2)
	v_pk_mul_f32 v[20:21], v[8:9], v[64:65] op_sel:[1,1] op_sel_hi:[0,1]
	v_pk_add_f32 v[6:7], v[6:7], v[22:23]
	v_pk_fma_f32 v[22:23], v[8:9], v[64:65], v[20:21] neg_lo:[0,0,1] neg_hi:[0,0,1]
	v_pk_fma_f32 v[8:9], v[8:9], v[64:65], v[20:21] op_sel_hi:[1,0,1]
	s_nop 0
	v_mov_b32_e32 v8, v67
	v_mov_b32_e32 v23, v9
	v_pk_mul_f32 v[8:9], v[10:11], v[8:9] op_sel:[1,0] op_sel_hi:[0,0]
	v_pk_fma_f32 v[20:21], v[10:11], v[66:67], v[8:9] neg_lo:[0,0,1] neg_hi:[0,0,1]
	v_pk_fma_f32 v[8:9], v[10:11], v[66:67], v[8:9] op_sel_hi:[1,0,1]
	v_pk_add_f32 v[6:7], v[6:7], v[22:23]
	v_mov_b32_e32 v21, v9
	s_waitcnt vmcnt(2) lgkmcnt(1)
	v_pk_mul_f32 v[8:9], v[12:13], v[68:69] op_sel:[1,1] op_sel_hi:[0,1]
	v_pk_fma_f32 v[10:11], v[12:13], v[68:69], v[8:9] neg_lo:[0,0,1] neg_hi:[0,0,1]
	v_pk_fma_f32 v[8:9], v[12:13], v[68:69], v[8:9] op_sel_hi:[1,0,1]
	v_pk_add_f32 v[6:7], v[6:7], v[20:21]
	v_mov_b32_e32 v8, v71
	v_mov_b32_e32 v11, v9
	v_pk_mul_f32 v[8:9], v[14:15], v[8:9] op_sel:[1,0] op_sel_hi:[0,0]
	v_pk_add_f32 v[6:7], v[6:7], v[10:11]
	v_pk_fma_f32 v[10:11], v[14:15], v[70:71], v[8:9] neg_lo:[0,0,1] neg_hi:[0,0,1]
	v_pk_fma_f32 v[8:9], v[14:15], v[70:71], v[8:9] op_sel_hi:[1,0,1]
	s_nop 0
	v_mov_b32_e32 v11, v9
	s_waitcnt vmcnt(1) lgkmcnt(0)
	v_pk_mul_f32 v[8:9], v[16:17], v[2:3] op_sel:[1,1] op_sel_hi:[0,1]
	v_pk_add_f32 v[6:7], v[6:7], v[10:11]
	v_pk_fma_f32 v[10:11], v[16:17], v[2:3], v[8:9] neg_lo:[0,0,1] neg_hi:[0,0,1]
	v_pk_fma_f32 v[2:3], v[16:17], v[2:3], v[8:9] op_sel_hi:[1,0,1]
	s_nop 0
	v_mov_b32_e32 v11, v3
	v_pk_add_f32 v[2:3], v[6:7], v[10:11]
	v_mov_b32_e32 v6, v5
	v_pk_mul_f32 v[6:7], v[18:19], v[6:7] op_sel:[1,0] op_sel_hi:[0,0]
	v_pk_fma_f32 v[8:9], v[18:19], v[4:5], v[6:7] neg_lo:[0,0,1] neg_hi:[0,0,1]
	v_pk_fma_f32 v[4:5], v[18:19], v[4:5], v[6:7] op_sel_hi:[1,0,1]
	s_nop 0
	v_mov_b32_e32 v9, v5
	v_pk_add_f32 v[2:3], v[2:3], v[8:9]
	s_waitcnt vmcnt(0)
	v_pk_add_f32 v[2:3], v[80:81], v[2:3] neg_lo:[0,1] neg_hi:[0,1]
	scratch_store_dwordx2 off, v[2:3], off offset:72
	s_and_saveexec_b64 s[0:1], vcc
	s_cbranch_execz .LBB95_189
; %bb.188:
	scratch_load_dwordx2 v[2:3], off, off offset:64
	v_mov_b32_e32 v4, 0
	v_mov_b32_e32 v5, v4
	scratch_store_dwordx2 off, v[4:5], off offset:64
	s_waitcnt vmcnt(1)
	ds_write_b64 v1, v[2:3]
.LBB95_189:
	s_or_b64 exec, exec, s[0:1]
	s_waitcnt lgkmcnt(0)
	; wave barrier
	scratch_load_dwordx4 v[2:5], off, off offset:72
	scratch_load_dwordx4 v[14:17], off, off offset:88
	;; [unrolled: 1-line block ×11, first 2 shown]
	scratch_load_dwordx2 v[22:23], off, off offset:248
	scratch_load_dwordx2 v[36:37], off, off offset:64
	v_mov_b32_e32 v38, 0
	ds_read2_b64 v[52:55], v38 offset0:41 offset1:42
	ds_read2_b64 v[56:59], v38 offset0:43 offset1:44
	;; [unrolled: 1-line block ×8, first 2 shown]
	v_cmp_lt_u32_e32 vcc, 7, v0
	s_waitcnt vmcnt(12) lgkmcnt(7)
	v_mul_f32_e32 v39, v52, v3
	v_mul_f32_e32 v84, v54, v5
	;; [unrolled: 1-line block ×3, first 2 shown]
	v_fmac_f32_e32 v39, v53, v2
	s_waitcnt vmcnt(8) lgkmcnt(3)
	v_mul_f32_e32 v93, v68, v19
	v_mul_f32_e32 v19, v69, v19
	;; [unrolled: 1-line block ×4, first 2 shown]
	v_fmac_f32_e32 v84, v55, v4
	v_fmac_f32_e32 v93, v69, v18
	v_fma_f32 v2, v52, v2, -v3
	v_fma_f32 v18, v68, v18, -v19
	v_add_f32_e32 v19, 0, v39
	v_mul_f32_e32 v88, v58, v17
	v_fmac_f32_e32 v86, v57, v14
	v_fma_f32 v3, v54, v4, -v5
	v_add_f32_e32 v2, 0, v2
	v_add_f32_e32 v19, v19, v84
	v_mul_f32_e32 v89, v60, v25
	v_fmac_f32_e32 v88, v59, v16
	v_add_f32_e32 v2, v2, v3
	v_add_f32_e32 v3, v19, v86
	v_mul_f32_e32 v90, v62, v27
	v_fmac_f32_e32 v89, v61, v24
	v_add_f32_e32 v3, v3, v88
	v_mul_f32_e32 v91, v64, v29
	v_mul_f32_e32 v15, v57, v15
	v_fmac_f32_e32 v90, v63, v26
	v_add_f32_e32 v3, v3, v89
	v_mul_f32_e32 v92, v66, v31
	v_mul_f32_e32 v17, v59, v17
	v_fmac_f32_e32 v91, v65, v28
	v_fma_f32 v4, v56, v14, -v15
	v_add_f32_e32 v3, v3, v90
	v_mul_f32_e32 v25, v61, v25
	v_fmac_f32_e32 v92, v67, v30
	v_fma_f32 v5, v58, v16, -v17
	v_add_f32_e32 v2, v2, v4
	v_add_f32_e32 v3, v3, v91
	v_mul_f32_e32 v94, v70, v21
	v_mul_f32_e32 v27, v63, v27
	v_fma_f32 v14, v60, v24, -v25
	v_add_f32_e32 v2, v2, v5
	v_add_f32_e32 v3, v3, v92
	s_waitcnt vmcnt(7) lgkmcnt(2)
	v_mul_f32_e32 v95, v72, v33
	v_mul_f32_e32 v29, v65, v29
	v_fmac_f32_e32 v94, v71, v20
	v_fma_f32 v15, v62, v26, -v27
	v_add_f32_e32 v2, v2, v14
	v_add_f32_e32 v3, v3, v93
	v_mul_f32_e32 v96, v74, v35
	v_mul_f32_e32 v31, v67, v31
	v_fmac_f32_e32 v95, v73, v32
	v_fma_f32 v16, v64, v28, -v29
	v_add_f32_e32 v2, v2, v15
	v_add_f32_e32 v3, v3, v94
	s_waitcnt vmcnt(6) lgkmcnt(1)
	v_mul_f32_e32 v97, v76, v41
	v_fmac_f32_e32 v96, v75, v34
	v_fma_f32 v17, v66, v30, -v31
	v_add_f32_e32 v2, v2, v16
	v_add_f32_e32 v3, v3, v95
	v_mul_f32_e32 v21, v71, v21
	v_fmac_f32_e32 v97, v77, v40
	v_add_f32_e32 v2, v2, v17
	v_add_f32_e32 v3, v3, v96
	;; [unrolled: 1-line block ×4, first 2 shown]
	v_fma_f32 v3, v70, v20, -v21
	v_add_f32_e32 v2, v2, v3
	v_mul_f32_e32 v3, v73, v33
	v_fma_f32 v3, v72, v32, -v3
	v_add_f32_e32 v2, v2, v3
	v_mul_f32_e32 v3, v75, v35
	;; [unrolled: 3-line block ×4, first 2 shown]
	v_mul_f32_e32 v85, v78, v43
	v_fma_f32 v84, v78, v42, -v2
	s_waitcnt vmcnt(5) lgkmcnt(0)
	v_mul_f32_e32 v2, v81, v45
	v_mov_b32_e32 v28, v47
	v_mul_f32_e32 v87, v80, v45
	v_fmac_f32_e32 v85, v79, v42
	v_fma_f32 v86, v80, v44, -v2
	ds_read2_b64 v[2:5], v38 offset0:57 offset1:58
	ds_read2_b64 v[14:17], v38 offset0:59 offset1:60
	;; [unrolled: 1-line block ×3, first 2 shown]
	ds_read_b64 v[26:27], v38 offset:504
	v_pk_mul_f32 v[28:29], v[82:83], v[28:29] op_sel:[1,0] op_sel_hi:[0,0]
	v_fmac_f32_e32 v87, v81, v44
	v_pk_add_f32 v[24:25], v[24:25], v[84:85]
	v_pk_fma_f32 v[30:31], v[82:83], v[46:47], v[28:29] neg_lo:[0,0,1] neg_hi:[0,0,1]
	v_pk_fma_f32 v[28:29], v[82:83], v[46:47], v[28:29] op_sel_hi:[1,0,1]
	v_pk_add_f32 v[24:25], v[24:25], v[86:87]
	v_mov_b32_e32 v31, v29
	s_waitcnt vmcnt(4) lgkmcnt(3)
	v_pk_mul_f32 v[28:29], v[2:3], v[48:49] op_sel:[1,1] op_sel_hi:[0,1]
	v_pk_add_f32 v[24:25], v[24:25], v[30:31]
	v_pk_fma_f32 v[30:31], v[2:3], v[48:49], v[28:29] neg_lo:[0,0,1] neg_hi:[0,0,1]
	v_pk_fma_f32 v[2:3], v[2:3], v[48:49], v[28:29] op_sel_hi:[1,0,1]
	s_nop 0
	v_mov_b32_e32 v31, v3
	v_pk_add_f32 v[2:3], v[24:25], v[30:31]
	v_mov_b32_e32 v24, v51
	v_pk_mul_f32 v[24:25], v[4:5], v[24:25] op_sel:[1,0] op_sel_hi:[0,0]
	v_pk_fma_f32 v[28:29], v[4:5], v[50:51], v[24:25] neg_lo:[0,0,1] neg_hi:[0,0,1]
	v_pk_fma_f32 v[4:5], v[4:5], v[50:51], v[24:25] op_sel_hi:[1,0,1]
	s_nop 0
	v_mov_b32_e32 v29, v5
	s_waitcnt vmcnt(3) lgkmcnt(2)
	v_pk_mul_f32 v[4:5], v[14:15], v[10:11] op_sel:[1,1] op_sel_hi:[0,1]
	v_pk_fma_f32 v[24:25], v[14:15], v[10:11], v[4:5] neg_lo:[0,0,1] neg_hi:[0,0,1]
	v_pk_fma_f32 v[4:5], v[14:15], v[10:11], v[4:5] op_sel_hi:[1,0,1]
	v_pk_add_f32 v[2:3], v[2:3], v[28:29]
	v_mov_b32_e32 v4, v13
	v_mov_b32_e32 v25, v5
	v_pk_mul_f32 v[4:5], v[16:17], v[4:5] op_sel:[1,0] op_sel_hi:[0,0]
	v_pk_fma_f32 v[10:11], v[16:17], v[12:13], v[4:5] neg_lo:[0,0,1] neg_hi:[0,0,1]
	v_pk_fma_f32 v[4:5], v[16:17], v[12:13], v[4:5] op_sel_hi:[1,0,1]
	v_pk_add_f32 v[2:3], v[2:3], v[24:25]
	v_mov_b32_e32 v11, v5
	s_waitcnt vmcnt(2) lgkmcnt(1)
	v_pk_mul_f32 v[4:5], v[18:19], v[6:7] op_sel:[1,1] op_sel_hi:[0,1]
	v_pk_add_f32 v[2:3], v[2:3], v[10:11]
	v_pk_fma_f32 v[10:11], v[18:19], v[6:7], v[4:5] neg_lo:[0,0,1] neg_hi:[0,0,1]
	v_pk_fma_f32 v[4:5], v[18:19], v[6:7], v[4:5] op_sel_hi:[1,0,1]
	s_nop 0
	v_mov_b32_e32 v4, v9
	v_mov_b32_e32 v11, v5
	v_pk_mul_f32 v[4:5], v[20:21], v[4:5] op_sel:[1,0] op_sel_hi:[0,0]
	v_pk_fma_f32 v[6:7], v[20:21], v[8:9], v[4:5] neg_lo:[0,0,1] neg_hi:[0,0,1]
	v_pk_fma_f32 v[4:5], v[20:21], v[8:9], v[4:5] op_sel_hi:[1,0,1]
	v_pk_add_f32 v[2:3], v[2:3], v[10:11]
	v_mov_b32_e32 v7, v5
	s_waitcnt vmcnt(1) lgkmcnt(0)
	v_pk_mul_f32 v[4:5], v[26:27], v[22:23] op_sel:[1,1] op_sel_hi:[0,1]
	v_pk_add_f32 v[2:3], v[2:3], v[6:7]
	v_pk_fma_f32 v[6:7], v[26:27], v[22:23], v[4:5] neg_lo:[0,0,1] neg_hi:[0,0,1]
	v_pk_fma_f32 v[4:5], v[26:27], v[22:23], v[4:5] op_sel_hi:[1,0,1]
	s_nop 0
	v_mov_b32_e32 v7, v5
	v_pk_add_f32 v[2:3], v[2:3], v[6:7]
	s_waitcnt vmcnt(0)
	v_pk_add_f32 v[2:3], v[36:37], v[2:3] neg_lo:[0,1] neg_hi:[0,1]
	scratch_store_dwordx2 off, v[2:3], off offset:64
	s_and_saveexec_b64 s[0:1], vcc
	s_cbranch_execz .LBB95_191
; %bb.190:
	scratch_load_dwordx2 v[2:3], off, off offset:56
	v_mov_b32_e32 v39, v38
	scratch_store_dwordx2 off, v[38:39], off offset:56
	s_waitcnt vmcnt(1)
	ds_write_b64 v1, v[2:3]
.LBB95_191:
	s_or_b64 exec, exec, s[0:1]
	s_waitcnt lgkmcnt(0)
	; wave barrier
	scratch_load_dwordx4 v[6:9], off, off offset:64
	scratch_load_dwordx4 v[18:21], off, off offset:80
	scratch_load_dwordx4 v[34:37], off, off offset:96
	scratch_load_dwordx4 v[40:43], off, off offset:112
	scratch_load_dwordx4 v[14:17], off, off offset:128
	scratch_load_dwordx4 v[22:25], off, off offset:144
	scratch_load_dwordx4 v[30:33], off, off offset:160
	scratch_load_dwordx4 v[44:47], off, off offset:176
	ds_read_b128 v[48:51], v38 offset:320
	ds_read_b128 v[52:55], v38 offset:336
	;; [unrolled: 1-line block ×8, first 2 shown]
	scratch_load_dwordx4 v[80:83], off, off offset:192
	scratch_load_dwordx4 v[26:29], off, off offset:208
	;; [unrolled: 1-line block ×4, first 2 shown]
	scratch_load_dwordx2 v[84:85], off, off offset:56
	v_cmp_lt_u32_e32 vcc, 6, v0
	s_waitcnt vmcnt(12) lgkmcnt(7)
	v_mul_f32_e32 v39, v48, v7
	v_mul_f32_e32 v86, v50, v9
	;; [unrolled: 1-line block ×3, first 2 shown]
	v_fmac_f32_e32 v39, v49, v6
	s_waitcnt vmcnt(8) lgkmcnt(3)
	v_mul_f32_e32 v95, v64, v15
	v_mul_f32_e32 v15, v65, v15
	;; [unrolled: 1-line block ×4, first 2 shown]
	v_fmac_f32_e32 v86, v51, v8
	v_fmac_f32_e32 v95, v65, v14
	v_fma_f32 v6, v48, v6, -v7
	v_fma_f32 v14, v64, v14, -v15
	v_add_f32_e32 v15, 0, v39
	v_mul_f32_e32 v90, v54, v21
	v_fmac_f32_e32 v88, v53, v18
	v_fma_f32 v7, v50, v8, -v9
	v_add_f32_e32 v6, 0, v6
	v_add_f32_e32 v15, v15, v86
	v_mul_f32_e32 v91, v56, v35
	v_fmac_f32_e32 v90, v55, v20
	v_add_f32_e32 v6, v6, v7
	v_add_f32_e32 v7, v15, v88
	v_mul_f32_e32 v92, v58, v37
	v_fmac_f32_e32 v91, v57, v34
	v_add_f32_e32 v7, v7, v90
	v_mul_f32_e32 v93, v60, v41
	v_fmac_f32_e32 v92, v59, v36
	;; [unrolled: 3-line block ×4, first 2 shown]
	v_add_f32_e32 v7, v7, v93
	v_mul_f32_e32 v96, v66, v17
	v_mul_f32_e32 v21, v55, v21
	v_fma_f32 v8, v52, v18, -v19
	v_add_f32_e32 v7, v7, v94
	s_waitcnt vmcnt(7) lgkmcnt(2)
	v_mul_f32_e32 v97, v68, v23
	v_mul_f32_e32 v35, v57, v35
	v_fmac_f32_e32 v96, v67, v16
	v_fma_f32 v9, v54, v20, -v21
	v_add_f32_e32 v6, v6, v8
	v_add_f32_e32 v7, v7, v95
	v_mul_f32_e32 v98, v70, v25
	v_mul_f32_e32 v37, v59, v37
	v_fmac_f32_e32 v97, v69, v22
	v_fma_f32 v18, v56, v34, -v35
	v_add_f32_e32 v6, v6, v9
	v_add_f32_e32 v7, v7, v96
	s_waitcnt vmcnt(6) lgkmcnt(1)
	v_mul_f32_e32 v99, v72, v31
	v_mul_f32_e32 v41, v61, v41
	v_fmac_f32_e32 v98, v71, v24
	v_fma_f32 v19, v58, v36, -v37
	v_add_f32_e32 v6, v6, v18
	v_add_f32_e32 v7, v7, v97
	v_mul_f32_e32 v100, v74, v33
	v_mul_f32_e32 v43, v63, v43
	v_fmac_f32_e32 v99, v73, v30
	v_fma_f32 v20, v60, v40, -v41
	v_add_f32_e32 v6, v6, v19
	v_add_f32_e32 v7, v7, v98
	v_fmac_f32_e32 v100, v75, v32
	v_fma_f32 v21, v62, v42, -v43
	v_add_f32_e32 v6, v6, v20
	v_add_f32_e32 v7, v7, v99
	;; [unrolled: 1-line block ×4, first 2 shown]
	v_mul_f32_e32 v7, v67, v17
	v_add_f32_e32 v6, v6, v14
	v_fma_f32 v7, v66, v16, -v7
	v_add_f32_e32 v6, v6, v7
	v_mul_f32_e32 v7, v69, v23
	v_fma_f32 v7, v68, v22, -v7
	v_add_f32_e32 v6, v6, v7
	v_mul_f32_e32 v7, v71, v25
	;; [unrolled: 3-line block ×4, first 2 shown]
	v_fma_f32 v7, v74, v32, -v7
	v_add_f32_e32 v34, v6, v7
	s_waitcnt vmcnt(5) lgkmcnt(0)
	v_mul_f32_e32 v6, v77, v45
	v_fma_f32 v86, v76, v44, -v6
	v_mul_f32_e32 v6, v79, v47
	v_fma_f32 v88, v78, v46, -v6
	ds_read_b128 v[6:9], v38 offset:448
	ds_read_b128 v[14:17], v38 offset:464
	;; [unrolled: 1-line block ×4, first 2 shown]
	v_mul_f32_e32 v87, v76, v45
	v_mul_f32_e32 v89, v78, v47
	v_fmac_f32_e32 v87, v77, v44
	s_waitcnt vmcnt(4) lgkmcnt(3)
	v_pk_mul_f32 v[32:33], v[6:7], v[80:81] op_sel:[1,1] op_sel_hi:[0,1]
	v_fmac_f32_e32 v89, v79, v46
	v_pk_add_f32 v[30:31], v[34:35], v[86:87]
	v_pk_fma_f32 v[34:35], v[6:7], v[80:81], v[32:33] neg_lo:[0,0,1] neg_hi:[0,0,1]
	v_pk_fma_f32 v[6:7], v[6:7], v[80:81], v[32:33] op_sel_hi:[1,0,1]
	v_pk_add_f32 v[30:31], v[30:31], v[88:89]
	v_mov_b32_e32 v35, v7
	v_pk_add_f32 v[6:7], v[30:31], v[34:35]
	v_mov_b32_e32 v30, v83
	v_pk_mul_f32 v[30:31], v[8:9], v[30:31] op_sel:[1,0] op_sel_hi:[0,0]
	v_pk_fma_f32 v[32:33], v[8:9], v[82:83], v[30:31] neg_lo:[0,0,1] neg_hi:[0,0,1]
	v_pk_fma_f32 v[8:9], v[8:9], v[82:83], v[30:31] op_sel_hi:[1,0,1]
	s_nop 0
	v_mov_b32_e32 v33, v9
	s_waitcnt vmcnt(3) lgkmcnt(2)
	v_pk_mul_f32 v[8:9], v[14:15], v[26:27] op_sel:[1,1] op_sel_hi:[0,1]
	v_pk_fma_f32 v[30:31], v[14:15], v[26:27], v[8:9] neg_lo:[0,0,1] neg_hi:[0,0,1]
	v_pk_fma_f32 v[8:9], v[14:15], v[26:27], v[8:9] op_sel_hi:[1,0,1]
	v_pk_add_f32 v[6:7], v[6:7], v[32:33]
	v_mov_b32_e32 v8, v29
	v_mov_b32_e32 v31, v9
	v_pk_mul_f32 v[8:9], v[16:17], v[8:9] op_sel:[1,0] op_sel_hi:[0,0]
	v_pk_fma_f32 v[14:15], v[16:17], v[28:29], v[8:9] neg_lo:[0,0,1] neg_hi:[0,0,1]
	v_pk_fma_f32 v[8:9], v[16:17], v[28:29], v[8:9] op_sel_hi:[1,0,1]
	v_pk_add_f32 v[6:7], v[6:7], v[30:31]
	v_mov_b32_e32 v15, v9
	s_waitcnt vmcnt(2) lgkmcnt(1)
	v_pk_mul_f32 v[8:9], v[18:19], v[10:11] op_sel:[1,1] op_sel_hi:[0,1]
	v_pk_add_f32 v[6:7], v[6:7], v[14:15]
	v_pk_fma_f32 v[14:15], v[18:19], v[10:11], v[8:9] neg_lo:[0,0,1] neg_hi:[0,0,1]
	v_pk_fma_f32 v[8:9], v[18:19], v[10:11], v[8:9] op_sel_hi:[1,0,1]
	s_nop 0
	v_mov_b32_e32 v8, v13
	v_mov_b32_e32 v15, v9
	v_pk_mul_f32 v[8:9], v[20:21], v[8:9] op_sel:[1,0] op_sel_hi:[0,0]
	v_pk_fma_f32 v[10:11], v[20:21], v[12:13], v[8:9] neg_lo:[0,0,1] neg_hi:[0,0,1]
	v_pk_fma_f32 v[8:9], v[20:21], v[12:13], v[8:9] op_sel_hi:[1,0,1]
	v_pk_add_f32 v[6:7], v[6:7], v[14:15]
	v_mov_b32_e32 v11, v9
	s_waitcnt vmcnt(1) lgkmcnt(0)
	v_pk_mul_f32 v[8:9], v[22:23], v[2:3] op_sel:[1,1] op_sel_hi:[0,1]
	v_pk_add_f32 v[6:7], v[6:7], v[10:11]
	v_pk_fma_f32 v[10:11], v[22:23], v[2:3], v[8:9] neg_lo:[0,0,1] neg_hi:[0,0,1]
	v_pk_fma_f32 v[2:3], v[22:23], v[2:3], v[8:9] op_sel_hi:[1,0,1]
	s_nop 0
	v_mov_b32_e32 v11, v3
	v_pk_add_f32 v[2:3], v[6:7], v[10:11]
	v_mov_b32_e32 v6, v5
	v_pk_mul_f32 v[6:7], v[24:25], v[6:7] op_sel:[1,0] op_sel_hi:[0,0]
	v_pk_fma_f32 v[8:9], v[24:25], v[4:5], v[6:7] neg_lo:[0,0,1] neg_hi:[0,0,1]
	v_pk_fma_f32 v[4:5], v[24:25], v[4:5], v[6:7] op_sel_hi:[1,0,1]
	s_nop 0
	v_mov_b32_e32 v9, v5
	v_pk_add_f32 v[2:3], v[2:3], v[8:9]
	s_waitcnt vmcnt(0)
	v_pk_add_f32 v[2:3], v[84:85], v[2:3] neg_lo:[0,1] neg_hi:[0,1]
	scratch_store_dwordx2 off, v[2:3], off offset:56
	s_and_saveexec_b64 s[0:1], vcc
	s_cbranch_execz .LBB95_193
; %bb.192:
	scratch_load_dwordx2 v[2:3], off, off offset:48
	v_mov_b32_e32 v4, 0
	v_mov_b32_e32 v5, v4
	scratch_store_dwordx2 off, v[4:5], off offset:48
	s_waitcnt vmcnt(1)
	ds_write_b64 v1, v[2:3]
.LBB95_193:
	s_or_b64 exec, exec, s[0:1]
	s_waitcnt lgkmcnt(0)
	; wave barrier
	scratch_load_dwordx4 v[8:11], off, off offset:56
	scratch_load_dwordx4 v[16:19], off, off offset:72
	;; [unrolled: 1-line block ×8, first 2 shown]
	v_mov_b32_e32 v2, 0
	ds_read2_b64 v[4:7], v2 offset0:39 offset1:40
	scratch_load_dwordx4 v[72:75], off, off offset:184
	v_cmp_lt_u32_e32 vcc, 5, v0
	s_waitcnt vmcnt(8) lgkmcnt(0)
	v_mul_f32_e32 v3, v4, v9
	v_fmac_f32_e32 v3, v5, v8
	v_mul_f32_e32 v12, v6, v11
	v_add_f32_e32 v3, 0, v3
	v_fmac_f32_e32 v12, v7, v10
	v_add_f32_e32 v3, v3, v12
	ds_read2_b64 v[12:15], v2 offset0:41 offset1:42
	s_waitcnt vmcnt(7) lgkmcnt(0)
	v_mul_f32_e32 v20, v12, v17
	v_fmac_f32_e32 v20, v13, v16
	v_add_f32_e32 v3, v3, v20
	v_mul_f32_e32 v20, v14, v19
	v_fmac_f32_e32 v20, v15, v18
	v_add_f32_e32 v3, v3, v20
	ds_read2_b64 v[20:23], v2 offset0:43 offset1:44
	s_waitcnt vmcnt(6) lgkmcnt(0)
	v_mul_f32_e32 v28, v20, v25
	v_fmac_f32_e32 v28, v21, v24
	v_add_f32_e32 v3, v3, v28
	v_mul_f32_e32 v28, v22, v27
	;; [unrolled: 8-line block ×6, first 2 shown]
	v_fmac_f32_e32 v60, v55, v58
	v_add_f32_e32 v3, v3, v60
	ds_read2_b64 v[60:63], v2 offset0:53 offset1:54
	s_waitcnt vmcnt(1) lgkmcnt(0)
	v_mul_f32_e32 v68, v60, v65
	v_fmac_f32_e32 v68, v61, v64
	v_add_f32_e32 v89, v3, v68
	ds_read2_b64 v[68:71], v2 offset0:55 offset1:56
	scratch_load_dwordx4 v[76:79], off, off offset:200
	scratch_load_dwordx4 v[80:83], off, off offset:216
	;; [unrolled: 1-line block ×3, first 2 shown]
	scratch_load_dwordx2 v[94:95], off, off offset:248
	v_mul_f32_e32 v3, v5, v9
	v_fma_f32 v3, v4, v8, -v3
	v_mul_f32_e32 v4, v7, v11
	v_add_f32_e32 v3, 0, v3
	v_fma_f32 v4, v6, v10, -v4
	v_add_f32_e32 v3, v3, v4
	v_mul_f32_e32 v4, v13, v17
	v_fma_f32 v4, v12, v16, -v4
	v_add_f32_e32 v3, v3, v4
	v_mul_f32_e32 v4, v15, v19
	;; [unrolled: 3-line block ×13, first 2 shown]
	v_fma_f32 v4, v60, v64, -v4
	v_mul_f32_e32 v91, v62, v67
	v_add_f32_e32 v88, v3, v4
	v_mul_f32_e32 v3, v63, v67
	s_waitcnt vmcnt(4)
	v_mov_b32_e32 v20, v75
	v_fmac_f32_e32 v91, v63, v66
	s_waitcnt lgkmcnt(0)
	v_mul_f32_e32 v93, v68, v73
	v_fma_f32 v90, v62, v66, -v3
	v_mul_f32_e32 v3, v69, v73
	ds_read2_b64 v[4:7], v2 offset0:57 offset1:58
	ds_read2_b64 v[8:11], v2 offset0:59 offset1:60
	ds_read2_b64 v[12:15], v2 offset0:61 offset1:62
	ds_read_b64 v[16:17], v2 offset:504
	v_pk_mul_f32 v[20:21], v[70:71], v[20:21] op_sel:[1,0] op_sel_hi:[0,0]
	v_fmac_f32_e32 v93, v69, v72
	v_fma_f32 v92, v68, v72, -v3
	v_pk_add_f32 v[18:19], v[88:89], v[90:91]
	v_pk_fma_f32 v[22:23], v[70:71], v[74:75], v[20:21] neg_lo:[0,0,1] neg_hi:[0,0,1]
	v_pk_fma_f32 v[20:21], v[70:71], v[74:75], v[20:21] op_sel_hi:[1,0,1]
	v_pk_add_f32 v[18:19], v[18:19], v[92:93]
	v_mov_b32_e32 v23, v21
	v_pk_add_f32 v[18:19], v[18:19], v[22:23]
	s_waitcnt vmcnt(3) lgkmcnt(3)
	v_pk_mul_f32 v[20:21], v[4:5], v[76:77] op_sel:[1,1] op_sel_hi:[0,1]
	v_pk_fma_f32 v[22:23], v[4:5], v[76:77], v[20:21] neg_lo:[0,0,1] neg_hi:[0,0,1]
	v_pk_fma_f32 v[4:5], v[4:5], v[76:77], v[20:21] op_sel_hi:[1,0,1]
	s_nop 0
	v_mov_b32_e32 v23, v5
	v_pk_add_f32 v[4:5], v[18:19], v[22:23]
	v_mov_b32_e32 v18, v79
	v_pk_mul_f32 v[18:19], v[6:7], v[18:19] op_sel:[1,0] op_sel_hi:[0,0]
	v_pk_fma_f32 v[20:21], v[6:7], v[78:79], v[18:19] neg_lo:[0,0,1] neg_hi:[0,0,1]
	v_pk_fma_f32 v[6:7], v[6:7], v[78:79], v[18:19] op_sel_hi:[1,0,1]
	s_nop 0
	v_mov_b32_e32 v21, v7
	s_waitcnt vmcnt(2) lgkmcnt(2)
	v_pk_mul_f32 v[6:7], v[8:9], v[80:81] op_sel:[1,1] op_sel_hi:[0,1]
	v_pk_fma_f32 v[18:19], v[8:9], v[80:81], v[6:7] neg_lo:[0,0,1] neg_hi:[0,0,1]
	v_pk_fma_f32 v[6:7], v[8:9], v[80:81], v[6:7] op_sel_hi:[1,0,1]
	v_pk_add_f32 v[4:5], v[4:5], v[20:21]
	v_mov_b32_e32 v6, v83
	v_mov_b32_e32 v19, v7
	v_pk_mul_f32 v[6:7], v[10:11], v[6:7] op_sel:[1,0] op_sel_hi:[0,0]
	v_pk_fma_f32 v[8:9], v[10:11], v[82:83], v[6:7] neg_lo:[0,0,1] neg_hi:[0,0,1]
	v_pk_fma_f32 v[6:7], v[10:11], v[82:83], v[6:7] op_sel_hi:[1,0,1]
	v_pk_add_f32 v[4:5], v[4:5], v[18:19]
	v_mov_b32_e32 v9, v7
	s_waitcnt vmcnt(1) lgkmcnt(1)
	v_pk_mul_f32 v[6:7], v[12:13], v[84:85] op_sel:[1,1] op_sel_hi:[0,1]
	v_pk_add_f32 v[4:5], v[4:5], v[8:9]
	v_pk_fma_f32 v[8:9], v[12:13], v[84:85], v[6:7] neg_lo:[0,0,1] neg_hi:[0,0,1]
	v_pk_fma_f32 v[6:7], v[12:13], v[84:85], v[6:7] op_sel_hi:[1,0,1]
	s_nop 0
	v_mov_b32_e32 v6, v87
	v_mov_b32_e32 v9, v7
	v_pk_mul_f32 v[6:7], v[14:15], v[6:7] op_sel:[1,0] op_sel_hi:[0,0]
	v_pk_add_f32 v[4:5], v[4:5], v[8:9]
	v_pk_fma_f32 v[8:9], v[14:15], v[86:87], v[6:7] neg_lo:[0,0,1] neg_hi:[0,0,1]
	v_pk_fma_f32 v[6:7], v[14:15], v[86:87], v[6:7] op_sel_hi:[1,0,1]
	s_nop 0
	v_mov_b32_e32 v9, v7
	s_waitcnt vmcnt(0) lgkmcnt(0)
	v_pk_mul_f32 v[6:7], v[16:17], v[94:95] op_sel:[1,1] op_sel_hi:[0,1]
	v_pk_add_f32 v[4:5], v[4:5], v[8:9]
	v_pk_fma_f32 v[8:9], v[16:17], v[94:95], v[6:7] neg_lo:[0,0,1] neg_hi:[0,0,1]
	v_pk_fma_f32 v[6:7], v[16:17], v[94:95], v[6:7] op_sel_hi:[1,0,1]
	s_nop 0
	v_mov_b32_e32 v9, v7
	scratch_load_dwordx2 v[6:7], off, off offset:48
	v_pk_add_f32 v[4:5], v[4:5], v[8:9]
	s_waitcnt vmcnt(0)
	v_pk_add_f32 v[4:5], v[6:7], v[4:5] neg_lo:[0,1] neg_hi:[0,1]
	scratch_store_dwordx2 off, v[4:5], off offset:48
	s_and_saveexec_b64 s[0:1], vcc
	s_cbranch_execz .LBB95_195
; %bb.194:
	scratch_load_dwordx2 v[4:5], off, off offset:40
	v_mov_b32_e32 v3, v2
	scratch_store_dwordx2 off, v[2:3], off offset:40
	s_waitcnt vmcnt(1)
	ds_write_b64 v1, v[4:5]
.LBB95_195:
	s_or_b64 exec, exec, s[0:1]
	s_waitcnt lgkmcnt(0)
	; wave barrier
	ds_read_b128 v[4:7], v2 offset:304
	ds_read_b128 v[8:11], v2 offset:320
	;; [unrolled: 1-line block ×4, first 2 shown]
	scratch_load_dwordx4 v[20:23], off, off offset:48
	scratch_load_dwordx4 v[40:43], off, off offset:112
	;; [unrolled: 1-line block ×3, first 2 shown]
	v_cmp_lt_u32_e32 vcc, 4, v0
	scratch_load_dwordx4 v[48:51], off, off offset:128
	scratch_load_dwordx4 v[56:59], off, off offset:144
	;; [unrolled: 1-line block ×3, first 2 shown]
	s_waitcnt vmcnt(5) lgkmcnt(3)
	v_mul_f32_e32 v3, v4, v21
	v_fmac_f32_e32 v3, v5, v20
	v_mul_f32_e32 v24, v6, v23
	v_add_f32_e32 v3, 0, v3
	v_fmac_f32_e32 v24, v7, v22
	v_add_f32_e32 v3, v3, v24
	scratch_load_dwordx4 v[24:27], off, off offset:64
	s_waitcnt vmcnt(0) lgkmcnt(2)
	v_mul_f32_e32 v28, v8, v25
	v_fmac_f32_e32 v28, v9, v24
	v_add_f32_e32 v3, v3, v28
	v_mul_f32_e32 v28, v10, v27
	v_fmac_f32_e32 v28, v11, v26
	v_add_f32_e32 v3, v3, v28
	scratch_load_dwordx4 v[28:31], off, off offset:80
	s_waitcnt vmcnt(0) lgkmcnt(1)
	v_mul_f32_e32 v32, v12, v29
	v_fmac_f32_e32 v32, v13, v28
	v_add_f32_e32 v3, v3, v32
	v_mul_f32_e32 v32, v14, v31
	;; [unrolled: 8-line block ×3, first 2 shown]
	v_fmac_f32_e32 v36, v19, v34
	v_add_f32_e32 v3, v3, v36
	ds_read_b128 v[36:39], v2 offset:368
	s_waitcnt lgkmcnt(0)
	v_mul_f32_e32 v44, v36, v41
	v_fmac_f32_e32 v44, v37, v40
	v_add_f32_e32 v3, v3, v44
	v_mul_f32_e32 v44, v38, v43
	v_fmac_f32_e32 v44, v39, v42
	v_add_f32_e32 v3, v3, v44
	ds_read_b128 v[44:47], v2 offset:384
	s_waitcnt lgkmcnt(0)
	v_mul_f32_e32 v52, v44, v49
	v_fmac_f32_e32 v52, v45, v48
	v_add_f32_e32 v3, v3, v52
	v_mul_f32_e32 v52, v46, v51
	;; [unrolled: 8-line block ×4, first 2 shown]
	v_fmac_f32_e32 v68, v63, v66
	v_add_f32_e32 v93, v3, v68
	ds_read_b128 v[68:71], v2 offset:432
	scratch_load_dwordx4 v[76:79], off, off offset:192
	scratch_load_dwordx4 v[80:83], off, off offset:208
	;; [unrolled: 1-line block ×4, first 2 shown]
	v_mul_f32_e32 v3, v5, v21
	v_fma_f32 v3, v4, v20, -v3
	v_mul_f32_e32 v4, v7, v23
	v_add_f32_e32 v3, 0, v3
	v_fma_f32 v4, v6, v22, -v4
	v_add_f32_e32 v3, v3, v4
	v_mul_f32_e32 v4, v9, v25
	v_fma_f32 v4, v8, v24, -v4
	v_add_f32_e32 v3, v3, v4
	v_mul_f32_e32 v4, v11, v27
	;; [unrolled: 3-line block ×14, first 2 shown]
	v_fma_f32 v4, v62, v66, -v4
	v_add_f32_e32 v92, v3, v4
	ds_read_b128 v[4:7], v2 offset:448
	ds_read_b128 v[8:11], v2 offset:464
	;; [unrolled: 1-line block ×4, first 2 shown]
	s_waitcnt lgkmcnt(4)
	v_mul_f32_e32 v95, v68, v73
	v_mul_f32_e32 v3, v69, v73
	v_fmac_f32_e32 v95, v69, v72
	v_mul_f32_e32 v97, v70, v75
	v_fma_f32 v94, v68, v72, -v3
	v_mul_f32_e32 v3, v71, v75
	v_fmac_f32_e32 v97, v71, v74
	v_fma_f32 v96, v70, v74, -v3
	v_pk_add_f32 v[2:3], v[92:93], v[94:95]
	s_waitcnt vmcnt(3) lgkmcnt(3)
	v_pk_mul_f32 v[20:21], v[4:5], v[76:77] op_sel:[1,1] op_sel_hi:[0,1]
	v_pk_fma_f32 v[22:23], v[4:5], v[76:77], v[20:21] neg_lo:[0,0,1] neg_hi:[0,0,1]
	v_pk_fma_f32 v[4:5], v[4:5], v[76:77], v[20:21] op_sel_hi:[1,0,1]
	v_pk_add_f32 v[2:3], v[2:3], v[96:97]
	v_mov_b32_e32 v4, v79
	v_mov_b32_e32 v23, v5
	v_pk_mul_f32 v[4:5], v[6:7], v[4:5] op_sel:[1,0] op_sel_hi:[0,0]
	v_pk_fma_f32 v[20:21], v[6:7], v[78:79], v[4:5] neg_lo:[0,0,1] neg_hi:[0,0,1]
	v_pk_fma_f32 v[4:5], v[6:7], v[78:79], v[4:5] op_sel_hi:[1,0,1]
	v_pk_add_f32 v[2:3], v[2:3], v[22:23]
	v_mov_b32_e32 v21, v5
	s_waitcnt vmcnt(2) lgkmcnt(2)
	v_pk_mul_f32 v[4:5], v[8:9], v[80:81] op_sel:[1,1] op_sel_hi:[0,1]
	v_pk_fma_f32 v[6:7], v[8:9], v[80:81], v[4:5] neg_lo:[0,0,1] neg_hi:[0,0,1]
	v_pk_fma_f32 v[4:5], v[8:9], v[80:81], v[4:5] op_sel_hi:[1,0,1]
	v_pk_add_f32 v[2:3], v[2:3], v[20:21]
	v_mov_b32_e32 v4, v83
	v_mov_b32_e32 v7, v5
	v_pk_mul_f32 v[4:5], v[10:11], v[4:5] op_sel:[1,0] op_sel_hi:[0,0]
	v_pk_add_f32 v[2:3], v[2:3], v[6:7]
	v_pk_fma_f32 v[6:7], v[10:11], v[82:83], v[4:5] neg_lo:[0,0,1] neg_hi:[0,0,1]
	v_pk_fma_f32 v[4:5], v[10:11], v[82:83], v[4:5] op_sel_hi:[1,0,1]
	s_nop 0
	v_mov_b32_e32 v7, v5
	s_waitcnt vmcnt(1) lgkmcnt(1)
	v_pk_mul_f32 v[4:5], v[12:13], v[84:85] op_sel:[1,1] op_sel_hi:[0,1]
	v_pk_add_f32 v[2:3], v[2:3], v[6:7]
	v_pk_fma_f32 v[6:7], v[12:13], v[84:85], v[4:5] neg_lo:[0,0,1] neg_hi:[0,0,1]
	v_pk_fma_f32 v[4:5], v[12:13], v[84:85], v[4:5] op_sel_hi:[1,0,1]
	s_nop 0
	v_mov_b32_e32 v4, v87
	v_mov_b32_e32 v7, v5
	v_pk_mul_f32 v[4:5], v[14:15], v[4:5] op_sel:[1,0] op_sel_hi:[0,0]
	v_pk_add_f32 v[2:3], v[2:3], v[6:7]
	v_pk_fma_f32 v[6:7], v[14:15], v[86:87], v[4:5] neg_lo:[0,0,1] neg_hi:[0,0,1]
	v_pk_fma_f32 v[4:5], v[14:15], v[86:87], v[4:5] op_sel_hi:[1,0,1]
	s_nop 0
	v_mov_b32_e32 v7, v5
	s_waitcnt vmcnt(0) lgkmcnt(0)
	v_pk_mul_f32 v[4:5], v[16:17], v[88:89] op_sel:[1,1] op_sel_hi:[0,1]
	v_pk_add_f32 v[2:3], v[2:3], v[6:7]
	v_pk_fma_f32 v[6:7], v[16:17], v[88:89], v[4:5] neg_lo:[0,0,1] neg_hi:[0,0,1]
	v_pk_fma_f32 v[4:5], v[16:17], v[88:89], v[4:5] op_sel_hi:[1,0,1]
	s_nop 0
	v_mov_b32_e32 v4, v91
	v_mov_b32_e32 v7, v5
	v_pk_mul_f32 v[4:5], v[18:19], v[4:5] op_sel:[1,0] op_sel_hi:[0,0]
	v_pk_add_f32 v[2:3], v[2:3], v[6:7]
	v_pk_fma_f32 v[6:7], v[18:19], v[90:91], v[4:5] neg_lo:[0,0,1] neg_hi:[0,0,1]
	v_pk_fma_f32 v[4:5], v[18:19], v[90:91], v[4:5] op_sel_hi:[1,0,1]
	s_nop 0
	v_mov_b32_e32 v7, v5
	scratch_load_dwordx2 v[4:5], off, off offset:40
	v_pk_add_f32 v[2:3], v[2:3], v[6:7]
	s_waitcnt vmcnt(0)
	v_pk_add_f32 v[2:3], v[4:5], v[2:3] neg_lo:[0,1] neg_hi:[0,1]
	scratch_store_dwordx2 off, v[2:3], off offset:40
	s_and_saveexec_b64 s[0:1], vcc
	s_cbranch_execz .LBB95_197
; %bb.196:
	scratch_load_dwordx2 v[2:3], off, off offset:32
	v_mov_b32_e32 v4, 0
	v_mov_b32_e32 v5, v4
	scratch_store_dwordx2 off, v[4:5], off offset:32
	s_waitcnt vmcnt(1)
	ds_write_b64 v1, v[2:3]
.LBB95_197:
	s_or_b64 exec, exec, s[0:1]
	s_waitcnt lgkmcnt(0)
	; wave barrier
	scratch_load_dwordx4 v[8:11], off, off offset:40
	scratch_load_dwordx4 v[16:19], off, off offset:56
	;; [unrolled: 1-line block ×10, first 2 shown]
	v_mov_b32_e32 v2, 0
	ds_read2_b64 v[4:7], v2 offset0:37 offset1:38
	v_cmp_lt_u32_e32 vcc, 3, v0
	s_waitcnt vmcnt(9) lgkmcnt(0)
	v_mul_f32_e32 v3, v4, v9
	v_fmac_f32_e32 v3, v5, v8
	v_mul_f32_e32 v12, v6, v11
	v_add_f32_e32 v3, 0, v3
	v_fmac_f32_e32 v12, v7, v10
	v_add_f32_e32 v3, v3, v12
	ds_read2_b64 v[12:15], v2 offset0:39 offset1:40
	s_waitcnt vmcnt(8) lgkmcnt(0)
	v_mul_f32_e32 v20, v12, v17
	v_fmac_f32_e32 v20, v13, v16
	v_add_f32_e32 v3, v3, v20
	v_mul_f32_e32 v20, v14, v19
	v_fmac_f32_e32 v20, v15, v18
	v_add_f32_e32 v3, v3, v20
	ds_read2_b64 v[20:23], v2 offset0:41 offset1:42
	s_waitcnt vmcnt(7) lgkmcnt(0)
	v_mul_f32_e32 v28, v20, v25
	v_fmac_f32_e32 v28, v21, v24
	v_add_f32_e32 v3, v3, v28
	v_mul_f32_e32 v28, v22, v27
	;; [unrolled: 8-line block ×7, first 2 shown]
	v_fmac_f32_e32 v68, v63, v66
	v_add_f32_e32 v3, v3, v68
	ds_read2_b64 v[68:71], v2 offset0:53 offset1:54
	s_waitcnt vmcnt(1) lgkmcnt(0)
	v_mul_f32_e32 v76, v68, v73
	v_fmac_f32_e32 v76, v69, v72
	v_add_f32_e32 v97, v3, v76
	ds_read2_b64 v[76:79], v2 offset0:55 offset1:56
	scratch_load_dwordx4 v[84:87], off, off offset:200
	scratch_load_dwordx4 v[88:91], off, off offset:216
	;; [unrolled: 1-line block ×3, first 2 shown]
	scratch_load_dwordx2 v[166:167], off, off offset:248
	v_mul_f32_e32 v3, v5, v9
	v_fma_f32 v3, v4, v8, -v3
	v_mul_f32_e32 v4, v7, v11
	v_add_f32_e32 v3, 0, v3
	v_fma_f32 v4, v6, v10, -v4
	v_add_f32_e32 v3, v3, v4
	v_mul_f32_e32 v4, v13, v17
	v_fma_f32 v4, v12, v16, -v4
	v_add_f32_e32 v3, v3, v4
	v_mul_f32_e32 v4, v15, v19
	;; [unrolled: 3-line block ×15, first 2 shown]
	v_fma_f32 v4, v68, v72, -v4
	v_mul_f32_e32 v99, v70, v75
	v_add_f32_e32 v96, v3, v4
	v_mul_f32_e32 v3, v71, v75
	s_waitcnt vmcnt(4)
	v_mov_b32_e32 v20, v83
	v_fmac_f32_e32 v99, v71, v74
	s_waitcnt lgkmcnt(0)
	v_mul_f32_e32 v101, v76, v81
	v_fma_f32 v98, v70, v74, -v3
	v_mul_f32_e32 v3, v77, v81
	ds_read2_b64 v[4:7], v2 offset0:57 offset1:58
	ds_read2_b64 v[8:11], v2 offset0:59 offset1:60
	;; [unrolled: 1-line block ×3, first 2 shown]
	ds_read_b64 v[16:17], v2 offset:504
	v_pk_mul_f32 v[20:21], v[78:79], v[20:21] op_sel:[1,0] op_sel_hi:[0,0]
	v_fmac_f32_e32 v101, v77, v80
	v_fma_f32 v100, v76, v80, -v3
	v_pk_add_f32 v[18:19], v[96:97], v[98:99]
	v_pk_fma_f32 v[22:23], v[78:79], v[82:83], v[20:21] neg_lo:[0,0,1] neg_hi:[0,0,1]
	v_pk_fma_f32 v[20:21], v[78:79], v[82:83], v[20:21] op_sel_hi:[1,0,1]
	v_pk_add_f32 v[18:19], v[18:19], v[100:101]
	v_mov_b32_e32 v23, v21
	v_pk_add_f32 v[18:19], v[18:19], v[22:23]
	s_waitcnt vmcnt(3) lgkmcnt(3)
	v_pk_mul_f32 v[20:21], v[4:5], v[84:85] op_sel:[1,1] op_sel_hi:[0,1]
	v_pk_fma_f32 v[22:23], v[4:5], v[84:85], v[20:21] neg_lo:[0,0,1] neg_hi:[0,0,1]
	v_pk_fma_f32 v[4:5], v[4:5], v[84:85], v[20:21] op_sel_hi:[1,0,1]
	s_nop 0
	v_mov_b32_e32 v23, v5
	v_pk_add_f32 v[4:5], v[18:19], v[22:23]
	v_mov_b32_e32 v18, v87
	v_pk_mul_f32 v[18:19], v[6:7], v[18:19] op_sel:[1,0] op_sel_hi:[0,0]
	v_pk_fma_f32 v[20:21], v[6:7], v[86:87], v[18:19] neg_lo:[0,0,1] neg_hi:[0,0,1]
	v_pk_fma_f32 v[6:7], v[6:7], v[86:87], v[18:19] op_sel_hi:[1,0,1]
	s_nop 0
	v_mov_b32_e32 v21, v7
	s_waitcnt vmcnt(2) lgkmcnt(2)
	v_pk_mul_f32 v[6:7], v[8:9], v[88:89] op_sel:[1,1] op_sel_hi:[0,1]
	v_pk_fma_f32 v[18:19], v[8:9], v[88:89], v[6:7] neg_lo:[0,0,1] neg_hi:[0,0,1]
	v_pk_fma_f32 v[6:7], v[8:9], v[88:89], v[6:7] op_sel_hi:[1,0,1]
	v_pk_add_f32 v[4:5], v[4:5], v[20:21]
	v_mov_b32_e32 v6, v91
	v_mov_b32_e32 v19, v7
	v_pk_mul_f32 v[6:7], v[10:11], v[6:7] op_sel:[1,0] op_sel_hi:[0,0]
	v_pk_fma_f32 v[8:9], v[10:11], v[90:91], v[6:7] neg_lo:[0,0,1] neg_hi:[0,0,1]
	v_pk_fma_f32 v[6:7], v[10:11], v[90:91], v[6:7] op_sel_hi:[1,0,1]
	v_pk_add_f32 v[4:5], v[4:5], v[18:19]
	v_mov_b32_e32 v9, v7
	s_waitcnt vmcnt(1) lgkmcnt(1)
	v_pk_mul_f32 v[6:7], v[12:13], v[92:93] op_sel:[1,1] op_sel_hi:[0,1]
	v_pk_add_f32 v[4:5], v[4:5], v[8:9]
	v_pk_fma_f32 v[8:9], v[12:13], v[92:93], v[6:7] neg_lo:[0,0,1] neg_hi:[0,0,1]
	v_pk_fma_f32 v[6:7], v[12:13], v[92:93], v[6:7] op_sel_hi:[1,0,1]
	s_nop 0
	v_mov_b32_e32 v6, v95
	v_mov_b32_e32 v9, v7
	v_pk_mul_f32 v[6:7], v[14:15], v[6:7] op_sel:[1,0] op_sel_hi:[0,0]
	v_pk_add_f32 v[4:5], v[4:5], v[8:9]
	v_pk_fma_f32 v[8:9], v[14:15], v[94:95], v[6:7] neg_lo:[0,0,1] neg_hi:[0,0,1]
	v_pk_fma_f32 v[6:7], v[14:15], v[94:95], v[6:7] op_sel_hi:[1,0,1]
	s_nop 0
	v_mov_b32_e32 v9, v7
	s_waitcnt vmcnt(0) lgkmcnt(0)
	v_pk_mul_f32 v[6:7], v[16:17], v[166:167] op_sel:[1,1] op_sel_hi:[0,1]
	v_pk_add_f32 v[4:5], v[4:5], v[8:9]
	v_pk_fma_f32 v[8:9], v[16:17], v[166:167], v[6:7] neg_lo:[0,0,1] neg_hi:[0,0,1]
	v_pk_fma_f32 v[6:7], v[16:17], v[166:167], v[6:7] op_sel_hi:[1,0,1]
	s_nop 0
	v_mov_b32_e32 v9, v7
	scratch_load_dwordx2 v[6:7], off, off offset:32
	v_pk_add_f32 v[4:5], v[4:5], v[8:9]
	s_waitcnt vmcnt(0)
	v_pk_add_f32 v[4:5], v[6:7], v[4:5] neg_lo:[0,1] neg_hi:[0,1]
	scratch_store_dwordx2 off, v[4:5], off offset:32
	s_and_saveexec_b64 s[0:1], vcc
	s_cbranch_execz .LBB95_199
; %bb.198:
	scratch_load_dwordx2 v[4:5], off, off offset:24
	v_mov_b32_e32 v3, v2
	scratch_store_dwordx2 off, v[2:3], off offset:24
	s_waitcnt vmcnt(1)
	ds_write_b64 v1, v[4:5]
.LBB95_199:
	s_or_b64 exec, exec, s[0:1]
	s_waitcnt lgkmcnt(0)
	; wave barrier
	ds_read_b128 v[4:7], v2 offset:288
	ds_read_b128 v[8:11], v2 offset:304
	;; [unrolled: 1-line block ×4, first 2 shown]
	scratch_load_dwordx4 v[20:23], off, off offset:32
	scratch_load_dwordx4 v[40:43], off, off offset:96
	scratch_load_dwordx4 v[72:75], off, off offset:160
	scratch_load_dwordx4 v[80:83], off, off offset:176
	v_cmp_lt_u32_e32 vcc, 2, v0
	scratch_load_dwordx4 v[48:51], off, off offset:112
	scratch_load_dwordx4 v[56:59], off, off offset:128
	;; [unrolled: 1-line block ×3, first 2 shown]
	s_waitcnt vmcnt(6) lgkmcnt(3)
	v_mul_f32_e32 v3, v4, v21
	v_fmac_f32_e32 v3, v5, v20
	v_mul_f32_e32 v24, v6, v23
	v_add_f32_e32 v3, 0, v3
	v_fmac_f32_e32 v24, v7, v22
	v_add_f32_e32 v3, v3, v24
	scratch_load_dwordx4 v[24:27], off, off offset:48
	s_waitcnt vmcnt(0) lgkmcnt(2)
	v_mul_f32_e32 v28, v8, v25
	v_fmac_f32_e32 v28, v9, v24
	v_add_f32_e32 v3, v3, v28
	v_mul_f32_e32 v28, v10, v27
	v_fmac_f32_e32 v28, v11, v26
	v_add_f32_e32 v3, v3, v28
	scratch_load_dwordx4 v[28:31], off, off offset:64
	s_waitcnt vmcnt(0) lgkmcnt(1)
	v_mul_f32_e32 v32, v12, v29
	v_fmac_f32_e32 v32, v13, v28
	v_add_f32_e32 v3, v3, v32
	v_mul_f32_e32 v32, v14, v31
	;; [unrolled: 8-line block ×3, first 2 shown]
	v_fmac_f32_e32 v36, v19, v34
	v_add_f32_e32 v3, v3, v36
	ds_read_b128 v[36:39], v2 offset:352
	s_waitcnt lgkmcnt(0)
	v_mul_f32_e32 v44, v36, v41
	v_fmac_f32_e32 v44, v37, v40
	v_add_f32_e32 v3, v3, v44
	v_mul_f32_e32 v44, v38, v43
	v_fmac_f32_e32 v44, v39, v42
	v_add_f32_e32 v3, v3, v44
	ds_read_b128 v[44:47], v2 offset:368
	s_waitcnt lgkmcnt(0)
	v_mul_f32_e32 v52, v44, v49
	v_fmac_f32_e32 v52, v45, v48
	v_add_f32_e32 v3, v3, v52
	v_mul_f32_e32 v52, v46, v51
	;; [unrolled: 8-line block ×5, first 2 shown]
	v_fmac_f32_e32 v76, v71, v74
	v_add_f32_e32 v101, v3, v76
	ds_read_b128 v[76:79], v2 offset:432
	scratch_load_dwordx4 v[84:87], off, off offset:192
	scratch_load_dwordx4 v[88:91], off, off offset:208
	;; [unrolled: 1-line block ×4, first 2 shown]
	v_mul_f32_e32 v3, v5, v21
	v_fma_f32 v3, v4, v20, -v3
	v_mul_f32_e32 v4, v7, v23
	v_add_f32_e32 v3, 0, v3
	v_fma_f32 v4, v6, v22, -v4
	v_add_f32_e32 v3, v3, v4
	v_mul_f32_e32 v4, v9, v25
	v_fma_f32 v4, v8, v24, -v4
	v_add_f32_e32 v3, v3, v4
	v_mul_f32_e32 v4, v11, v27
	;; [unrolled: 3-line block ×16, first 2 shown]
	v_fma_f32 v4, v70, v74, -v4
	v_add_f32_e32 v100, v3, v4
	ds_read_b128 v[4:7], v2 offset:448
	ds_read_b128 v[8:11], v2 offset:464
	;; [unrolled: 1-line block ×4, first 2 shown]
	s_waitcnt lgkmcnt(4)
	v_mul_f32_e32 v167, v76, v81
	v_mul_f32_e32 v3, v77, v81
	v_fmac_f32_e32 v167, v77, v80
	v_mul_f32_e32 v169, v78, v83
	v_fma_f32 v166, v76, v80, -v3
	v_mul_f32_e32 v3, v79, v83
	v_fmac_f32_e32 v169, v79, v82
	v_fma_f32 v168, v78, v82, -v3
	v_pk_add_f32 v[2:3], v[100:101], v[166:167]
	s_waitcnt vmcnt(3) lgkmcnt(3)
	v_pk_mul_f32 v[20:21], v[4:5], v[84:85] op_sel:[1,1] op_sel_hi:[0,1]
	v_pk_fma_f32 v[22:23], v[4:5], v[84:85], v[20:21] neg_lo:[0,0,1] neg_hi:[0,0,1]
	v_pk_fma_f32 v[4:5], v[4:5], v[84:85], v[20:21] op_sel_hi:[1,0,1]
	v_pk_add_f32 v[2:3], v[2:3], v[168:169]
	v_mov_b32_e32 v4, v87
	v_mov_b32_e32 v23, v5
	v_pk_mul_f32 v[4:5], v[6:7], v[4:5] op_sel:[1,0] op_sel_hi:[0,0]
	v_pk_fma_f32 v[20:21], v[6:7], v[86:87], v[4:5] neg_lo:[0,0,1] neg_hi:[0,0,1]
	v_pk_fma_f32 v[4:5], v[6:7], v[86:87], v[4:5] op_sel_hi:[1,0,1]
	v_pk_add_f32 v[2:3], v[2:3], v[22:23]
	v_mov_b32_e32 v21, v5
	s_waitcnt vmcnt(2) lgkmcnt(2)
	v_pk_mul_f32 v[4:5], v[8:9], v[88:89] op_sel:[1,1] op_sel_hi:[0,1]
	v_pk_fma_f32 v[6:7], v[8:9], v[88:89], v[4:5] neg_lo:[0,0,1] neg_hi:[0,0,1]
	v_pk_fma_f32 v[4:5], v[8:9], v[88:89], v[4:5] op_sel_hi:[1,0,1]
	v_pk_add_f32 v[2:3], v[2:3], v[20:21]
	v_mov_b32_e32 v4, v91
	v_mov_b32_e32 v7, v5
	v_pk_mul_f32 v[4:5], v[10:11], v[4:5] op_sel:[1,0] op_sel_hi:[0,0]
	v_pk_add_f32 v[2:3], v[2:3], v[6:7]
	v_pk_fma_f32 v[6:7], v[10:11], v[90:91], v[4:5] neg_lo:[0,0,1] neg_hi:[0,0,1]
	v_pk_fma_f32 v[4:5], v[10:11], v[90:91], v[4:5] op_sel_hi:[1,0,1]
	s_nop 0
	v_mov_b32_e32 v7, v5
	s_waitcnt vmcnt(1) lgkmcnt(1)
	v_pk_mul_f32 v[4:5], v[12:13], v[92:93] op_sel:[1,1] op_sel_hi:[0,1]
	v_pk_add_f32 v[2:3], v[2:3], v[6:7]
	v_pk_fma_f32 v[6:7], v[12:13], v[92:93], v[4:5] neg_lo:[0,0,1] neg_hi:[0,0,1]
	v_pk_fma_f32 v[4:5], v[12:13], v[92:93], v[4:5] op_sel_hi:[1,0,1]
	s_nop 0
	v_mov_b32_e32 v4, v95
	v_mov_b32_e32 v7, v5
	v_pk_mul_f32 v[4:5], v[14:15], v[4:5] op_sel:[1,0] op_sel_hi:[0,0]
	v_pk_add_f32 v[2:3], v[2:3], v[6:7]
	v_pk_fma_f32 v[6:7], v[14:15], v[94:95], v[4:5] neg_lo:[0,0,1] neg_hi:[0,0,1]
	v_pk_fma_f32 v[4:5], v[14:15], v[94:95], v[4:5] op_sel_hi:[1,0,1]
	s_nop 0
	v_mov_b32_e32 v7, v5
	s_waitcnt vmcnt(0) lgkmcnt(0)
	v_pk_mul_f32 v[4:5], v[16:17], v[96:97] op_sel:[1,1] op_sel_hi:[0,1]
	v_pk_add_f32 v[2:3], v[2:3], v[6:7]
	v_pk_fma_f32 v[6:7], v[16:17], v[96:97], v[4:5] neg_lo:[0,0,1] neg_hi:[0,0,1]
	v_pk_fma_f32 v[4:5], v[16:17], v[96:97], v[4:5] op_sel_hi:[1,0,1]
	s_nop 0
	v_mov_b32_e32 v4, v99
	v_mov_b32_e32 v7, v5
	v_pk_mul_f32 v[4:5], v[18:19], v[4:5] op_sel:[1,0] op_sel_hi:[0,0]
	v_pk_add_f32 v[2:3], v[2:3], v[6:7]
	v_pk_fma_f32 v[6:7], v[18:19], v[98:99], v[4:5] neg_lo:[0,0,1] neg_hi:[0,0,1]
	v_pk_fma_f32 v[4:5], v[18:19], v[98:99], v[4:5] op_sel_hi:[1,0,1]
	s_nop 0
	v_mov_b32_e32 v7, v5
	scratch_load_dwordx2 v[4:5], off, off offset:24
	v_pk_add_f32 v[2:3], v[2:3], v[6:7]
	s_waitcnt vmcnt(0)
	v_pk_add_f32 v[2:3], v[4:5], v[2:3] neg_lo:[0,1] neg_hi:[0,1]
	scratch_store_dwordx2 off, v[2:3], off offset:24
	s_and_saveexec_b64 s[0:1], vcc
	s_cbranch_execz .LBB95_201
; %bb.200:
	scratch_load_dwordx2 v[2:3], off, off offset:16
	v_mov_b32_e32 v4, 0
	v_mov_b32_e32 v5, v4
	scratch_store_dwordx2 off, v[4:5], off offset:16
	s_waitcnt vmcnt(1)
	ds_write_b64 v1, v[2:3]
.LBB95_201:
	s_or_b64 exec, exec, s[0:1]
	s_waitcnt lgkmcnt(0)
	; wave barrier
	scratch_load_dwordx4 v[18:21], off, off offset:24
	scratch_load_dwordx4 v[2:5], off, off offset:40
	;; [unrolled: 1-line block ×14, first 2 shown]
	scratch_load_dwordx2 v[58:59], off, off offset:248
	scratch_load_dwordx2 v[100:101], off, off offset:16
	v_mov_b32_e32 v166, 0
	ds_read2_b64 v[60:63], v166 offset0:35 offset1:36
	ds_read2_b64 v[64:67], v166 offset0:37 offset1:38
	;; [unrolled: 1-line block ×12, first 2 shown]
	v_cmp_lt_u32_e32 vcc, 1, v0
	s_waitcnt vmcnt(15) lgkmcnt(11)
	v_mul_f32_e32 v167, v60, v19
	v_mul_f32_e32 v176, v62, v21
	s_waitcnt vmcnt(14) lgkmcnt(10)
	v_mul_f32_e32 v178, v64, v3
	v_mul_f32_e32 v3, v65, v3
	v_fmac_f32_e32 v167, v61, v18
	v_fmac_f32_e32 v176, v63, v20
	;; [unrolled: 1-line block ×3, first 2 shown]
	v_fma_f32 v2, v64, v2, -v3
	v_add_f32_e32 v3, 0, v167
	v_mul_f32_e32 v180, v66, v5
	v_add_f32_e32 v3, v3, v176
	s_waitcnt vmcnt(13) lgkmcnt(9)
	v_mul_f32_e32 v181, v68, v7
	v_fmac_f32_e32 v180, v67, v4
	v_add_f32_e32 v3, v3, v178
	v_mul_f32_e32 v182, v70, v9
	v_fmac_f32_e32 v181, v69, v6
	v_add_f32_e32 v3, v3, v180
	s_waitcnt vmcnt(12) lgkmcnt(8)
	v_mul_f32_e32 v183, v72, v11
	v_fmac_f32_e32 v182, v71, v8
	v_add_f32_e32 v3, v3, v181
	v_mul_f32_e32 v184, v74, v13
	v_fmac_f32_e32 v183, v73, v10
	;; [unrolled: 7-line block ×6, first 2 shown]
	v_add_f32_e32 v3, v3, v190
	s_waitcnt vmcnt(7) lgkmcnt(3)
	v_mul_f32_e32 v193, v92, v43
	v_fmac_f32_e32 v192, v91, v40
	v_add_f32_e32 v3, v3, v191
	v_mul_f32_e32 v194, v94, v45
	v_mul_f32_e32 v19, v61, v19
	v_fmac_f32_e32 v193, v93, v42
	v_add_f32_e32 v3, v3, v192
	s_waitcnt vmcnt(6) lgkmcnt(2)
	v_mul_f32_e32 v195, v96, v51
	v_mul_f32_e32 v21, v63, v21
	v_fmac_f32_e32 v194, v95, v44
	v_fma_f32 v18, v60, v18, -v19
	v_add_f32_e32 v3, v3, v193
	v_fmac_f32_e32 v195, v97, v50
	v_fma_f32 v19, v62, v20, -v21
	v_add_f32_e32 v18, 0, v18
	v_add_f32_e32 v3, v3, v194
	;; [unrolled: 1-line block ×4, first 2 shown]
	v_mul_f32_e32 v3, v67, v5
	v_add_f32_e32 v2, v18, v2
	v_fma_f32 v3, v66, v4, -v3
	v_add_f32_e32 v2, v2, v3
	v_mul_f32_e32 v3, v69, v7
	v_fma_f32 v3, v68, v6, -v3
	v_add_f32_e32 v2, v2, v3
	v_mul_f32_e32 v3, v71, v9
	;; [unrolled: 3-line block ×15, first 2 shown]
	v_fma_f32 v3, v96, v50, -v3
	v_mul_f32_e32 v177, v98, v53
	v_add_f32_e32 v18, v2, v3
	v_mul_f32_e32 v2, v99, v53
	s_waitcnt vmcnt(5)
	v_mov_b32_e32 v14, v57
	s_waitcnt lgkmcnt(1)
	v_mul_f32_e32 v179, v168, v55
	v_fmac_f32_e32 v177, v99, v52
	v_fma_f32 v176, v98, v52, -v2
	v_mul_f32_e32 v2, v169, v55
	v_pk_mul_f32 v[14:15], v[170:171], v[14:15] op_sel:[1,0] op_sel_hi:[0,0]
	v_fmac_f32_e32 v179, v169, v54
	v_fma_f32 v178, v168, v54, -v2
	v_pk_add_f32 v[12:13], v[18:19], v[176:177]
	v_pk_fma_f32 v[16:17], v[170:171], v[56:57], v[14:15] neg_lo:[0,0,1] neg_hi:[0,0,1]
	v_pk_fma_f32 v[14:15], v[170:171], v[56:57], v[14:15] op_sel_hi:[1,0,1]
	v_pk_add_f32 v[12:13], v[12:13], v[178:179]
	v_mov_b32_e32 v17, v15
	s_waitcnt vmcnt(4) lgkmcnt(0)
	v_pk_mul_f32 v[14:15], v[172:173], v[46:47] op_sel:[1,1] op_sel_hi:[0,1]
	v_pk_add_f32 v[12:13], v[12:13], v[16:17]
	v_pk_fma_f32 v[16:17], v[172:173], v[46:47], v[14:15] neg_lo:[0,0,1] neg_hi:[0,0,1]
	v_pk_fma_f32 v[14:15], v[172:173], v[46:47], v[14:15] op_sel_hi:[1,0,1]
	ds_read2_b64 v[2:5], v166 offset0:59 offset1:60
	ds_read2_b64 v[6:9], v166 offset0:61 offset1:62
	ds_read_b64 v[10:11], v166 offset:504
	v_mov_b32_e32 v14, v49
	v_mov_b32_e32 v17, v15
	v_pk_mul_f32 v[14:15], v[174:175], v[14:15] op_sel:[1,0] op_sel_hi:[0,0]
	v_pk_add_f32 v[12:13], v[12:13], v[16:17]
	v_pk_fma_f32 v[16:17], v[174:175], v[48:49], v[14:15] neg_lo:[0,0,1] neg_hi:[0,0,1]
	v_pk_fma_f32 v[14:15], v[174:175], v[48:49], v[14:15] op_sel_hi:[1,0,1]
	s_nop 0
	v_mov_b32_e32 v17, v15
	s_waitcnt vmcnt(3) lgkmcnt(2)
	v_pk_mul_f32 v[14:15], v[2:3], v[34:35] op_sel:[1,1] op_sel_hi:[0,1]
	v_pk_add_f32 v[12:13], v[12:13], v[16:17]
	v_pk_fma_f32 v[16:17], v[2:3], v[34:35], v[14:15] neg_lo:[0,0,1] neg_hi:[0,0,1]
	v_pk_fma_f32 v[2:3], v[2:3], v[34:35], v[14:15] op_sel_hi:[1,0,1]
	s_nop 0
	v_mov_b32_e32 v17, v3
	v_pk_add_f32 v[2:3], v[12:13], v[16:17]
	v_mov_b32_e32 v12, v37
	v_pk_mul_f32 v[12:13], v[4:5], v[12:13] op_sel:[1,0] op_sel_hi:[0,0]
	v_pk_fma_f32 v[14:15], v[4:5], v[36:37], v[12:13] neg_lo:[0,0,1] neg_hi:[0,0,1]
	v_pk_fma_f32 v[4:5], v[4:5], v[36:37], v[12:13] op_sel_hi:[1,0,1]
	s_nop 0
	v_mov_b32_e32 v15, v5
	s_waitcnt vmcnt(2) lgkmcnt(1)
	v_pk_mul_f32 v[4:5], v[6:7], v[22:23] op_sel:[1,1] op_sel_hi:[0,1]
	v_pk_fma_f32 v[12:13], v[6:7], v[22:23], v[4:5] neg_lo:[0,0,1] neg_hi:[0,0,1]
	v_pk_fma_f32 v[4:5], v[6:7], v[22:23], v[4:5] op_sel_hi:[1,0,1]
	v_pk_add_f32 v[2:3], v[2:3], v[14:15]
	v_mov_b32_e32 v4, v25
	v_mov_b32_e32 v13, v5
	v_pk_mul_f32 v[4:5], v[8:9], v[4:5] op_sel:[1,0] op_sel_hi:[0,0]
	v_pk_fma_f32 v[6:7], v[8:9], v[24:25], v[4:5] neg_lo:[0,0,1] neg_hi:[0,0,1]
	v_pk_fma_f32 v[4:5], v[8:9], v[24:25], v[4:5] op_sel_hi:[1,0,1]
	v_pk_add_f32 v[2:3], v[2:3], v[12:13]
	v_mov_b32_e32 v7, v5
	s_waitcnt vmcnt(1) lgkmcnt(0)
	v_pk_mul_f32 v[4:5], v[10:11], v[58:59] op_sel:[1,1] op_sel_hi:[0,1]
	v_pk_add_f32 v[2:3], v[2:3], v[6:7]
	v_pk_fma_f32 v[6:7], v[10:11], v[58:59], v[4:5] neg_lo:[0,0,1] neg_hi:[0,0,1]
	v_pk_fma_f32 v[4:5], v[10:11], v[58:59], v[4:5] op_sel_hi:[1,0,1]
	s_nop 0
	v_mov_b32_e32 v7, v5
	v_pk_add_f32 v[2:3], v[2:3], v[6:7]
	s_waitcnt vmcnt(0)
	v_pk_add_f32 v[2:3], v[100:101], v[2:3] neg_lo:[0,1] neg_hi:[0,1]
	scratch_store_dwordx2 off, v[2:3], off offset:16
	s_and_saveexec_b64 s[0:1], vcc
	s_cbranch_execz .LBB95_203
; %bb.202:
	scratch_load_dwordx2 v[2:3], off, off offset:8
	v_mov_b32_e32 v167, v166
	scratch_store_dwordx2 off, v[166:167], off offset:8
	s_waitcnt vmcnt(1)
	ds_write_b64 v1, v[2:3]
.LBB95_203:
	s_or_b64 exec, exec, s[0:1]
	s_waitcnt lgkmcnt(0)
	; wave barrier
	scratch_load_dwordx4 v[22:25], off, off offset:16
	scratch_load_dwordx4 v[2:5], off, off offset:32
	;; [unrolled: 1-line block ×11, first 2 shown]
	ds_read_b128 v[168:171], v166 offset:272
	ds_read_b128 v[98:101], v166 offset:288
	;; [unrolled: 1-line block ×10, first 2 shown]
	scratch_load_dwordx4 v[58:61], off, off offset:192
	scratch_load_dwordx4 v[50:53], off, off offset:208
	;; [unrolled: 1-line block ×4, first 2 shown]
	ds_read_b128 v[78:81], v166 offset:432
	ds_read_b128 v[172:175], v166 offset:448
	scratch_load_dwordx2 v[176:177], off, off offset:8
	v_cmp_ne_u32_e32 vcc, 0, v0
	s_waitcnt vmcnt(15) lgkmcnt(11)
	v_mul_f32_e32 v167, v168, v23
	v_mul_f32_e32 v178, v170, v25
	s_waitcnt vmcnt(14) lgkmcnt(10)
	v_mul_f32_e32 v180, v98, v3
	v_mul_f32_e32 v3, v99, v3
	v_fmac_f32_e32 v167, v169, v22
	v_fmac_f32_e32 v178, v171, v24
	;; [unrolled: 1-line block ×3, first 2 shown]
	v_fma_f32 v2, v98, v2, -v3
	v_add_f32_e32 v3, 0, v167
	v_mul_f32_e32 v182, v100, v5
	v_add_f32_e32 v3, v3, v178
	s_waitcnt vmcnt(13) lgkmcnt(9)
	v_mul_f32_e32 v183, v94, v7
	v_fmac_f32_e32 v182, v101, v4
	v_add_f32_e32 v3, v3, v180
	v_mul_f32_e32 v184, v96, v9
	v_fmac_f32_e32 v183, v95, v6
	v_add_f32_e32 v3, v3, v182
	s_waitcnt vmcnt(12) lgkmcnt(8)
	v_mul_f32_e32 v185, v90, v11
	v_fmac_f32_e32 v184, v97, v8
	v_add_f32_e32 v3, v3, v183
	v_mul_f32_e32 v186, v92, v13
	v_fmac_f32_e32 v185, v91, v10
	;; [unrolled: 7-line block ×7, first 2 shown]
	v_add_f32_e32 v3, v3, v194
	s_waitcnt vmcnt(6) lgkmcnt(2)
	v_mul_f32_e32 v197, v62, v47
	v_mul_f32_e32 v23, v169, v23
	v_fmac_f32_e32 v196, v69, v44
	v_add_f32_e32 v3, v3, v195
	v_mul_f32_e32 v198, v64, v49
	v_mul_f32_e32 v25, v171, v25
	v_fmac_f32_e32 v197, v63, v46
	v_fma_f32 v22, v168, v22, -v23
	v_add_f32_e32 v3, v3, v196
	v_fmac_f32_e32 v198, v65, v48
	v_fma_f32 v23, v170, v24, -v25
	v_add_f32_e32 v22, 0, v22
	v_add_f32_e32 v3, v3, v197
	;; [unrolled: 1-line block ×4, first 2 shown]
	v_mul_f32_e32 v3, v101, v5
	v_add_f32_e32 v2, v22, v2
	v_fma_f32 v3, v100, v4, -v3
	v_add_f32_e32 v2, v2, v3
	v_mul_f32_e32 v3, v95, v7
	v_fma_f32 v3, v94, v6, -v3
	v_add_f32_e32 v2, v2, v3
	v_mul_f32_e32 v3, v97, v9
	;; [unrolled: 3-line block ×16, first 2 shown]
	v_fma_f32 v3, v64, v48, -v3
	s_waitcnt vmcnt(5) lgkmcnt(1)
	v_mul_f32_e32 v179, v78, v55
	v_add_f32_e32 v22, v2, v3
	v_mul_f32_e32 v2, v79, v55
	s_waitcnt vmcnt(4) lgkmcnt(0)
	v_pk_mul_f32 v[16:17], v[172:173], v[58:59] op_sel:[1,1] op_sel_hi:[0,1]
	v_mul_f32_e32 v181, v80, v57
	v_fmac_f32_e32 v179, v79, v54
	v_fma_f32 v178, v78, v54, -v2
	v_mul_f32_e32 v2, v81, v57
	v_pk_fma_f32 v[18:19], v[172:173], v[58:59], v[16:17] neg_lo:[0,0,1] neg_hi:[0,0,1]
	v_pk_fma_f32 v[16:17], v[172:173], v[58:59], v[16:17] op_sel_hi:[1,0,1]
	v_fmac_f32_e32 v181, v81, v56
	v_fma_f32 v180, v80, v56, -v2
	ds_read_b128 v[2:5], v166 offset:464
	ds_read_b128 v[6:9], v166 offset:480
	;; [unrolled: 1-line block ×3, first 2 shown]
	v_pk_add_f32 v[14:15], v[22:23], v[178:179]
	v_mov_b32_e32 v16, v61
	v_pk_add_f32 v[14:15], v[14:15], v[180:181]
	v_mov_b32_e32 v19, v17
	v_pk_mul_f32 v[16:17], v[174:175], v[16:17] op_sel:[1,0] op_sel_hi:[0,0]
	v_pk_add_f32 v[14:15], v[14:15], v[18:19]
	v_pk_fma_f32 v[18:19], v[174:175], v[60:61], v[16:17] neg_lo:[0,0,1] neg_hi:[0,0,1]
	v_pk_fma_f32 v[16:17], v[174:175], v[60:61], v[16:17] op_sel_hi:[1,0,1]
	s_nop 0
	v_mov_b32_e32 v19, v17
	s_waitcnt vmcnt(3) lgkmcnt(2)
	v_pk_mul_f32 v[16:17], v[2:3], v[50:51] op_sel:[1,1] op_sel_hi:[0,1]
	v_pk_add_f32 v[14:15], v[14:15], v[18:19]
	v_pk_fma_f32 v[18:19], v[2:3], v[50:51], v[16:17] neg_lo:[0,0,1] neg_hi:[0,0,1]
	v_pk_fma_f32 v[2:3], v[2:3], v[50:51], v[16:17] op_sel_hi:[1,0,1]
	s_nop 0
	v_mov_b32_e32 v19, v3
	v_pk_add_f32 v[2:3], v[14:15], v[18:19]
	v_mov_b32_e32 v14, v53
	v_pk_mul_f32 v[14:15], v[4:5], v[14:15] op_sel:[1,0] op_sel_hi:[0,0]
	v_pk_fma_f32 v[16:17], v[4:5], v[52:53], v[14:15] neg_lo:[0,0,1] neg_hi:[0,0,1]
	v_pk_fma_f32 v[4:5], v[4:5], v[52:53], v[14:15] op_sel_hi:[1,0,1]
	s_nop 0
	v_mov_b32_e32 v17, v5
	s_waitcnt vmcnt(2) lgkmcnt(1)
	v_pk_mul_f32 v[4:5], v[6:7], v[38:39] op_sel:[1,1] op_sel_hi:[0,1]
	v_pk_fma_f32 v[14:15], v[6:7], v[38:39], v[4:5] neg_lo:[0,0,1] neg_hi:[0,0,1]
	v_pk_fma_f32 v[4:5], v[6:7], v[38:39], v[4:5] op_sel_hi:[1,0,1]
	v_pk_add_f32 v[2:3], v[2:3], v[16:17]
	v_mov_b32_e32 v4, v41
	v_mov_b32_e32 v15, v5
	v_pk_mul_f32 v[4:5], v[8:9], v[4:5] op_sel:[1,0] op_sel_hi:[0,0]
	v_pk_fma_f32 v[6:7], v[8:9], v[40:41], v[4:5] neg_lo:[0,0,1] neg_hi:[0,0,1]
	v_pk_fma_f32 v[4:5], v[8:9], v[40:41], v[4:5] op_sel_hi:[1,0,1]
	v_pk_add_f32 v[2:3], v[2:3], v[14:15]
	v_mov_b32_e32 v7, v5
	s_waitcnt vmcnt(1) lgkmcnt(0)
	v_pk_mul_f32 v[4:5], v[10:11], v[26:27] op_sel:[1,1] op_sel_hi:[0,1]
	v_pk_add_f32 v[2:3], v[2:3], v[6:7]
	v_pk_fma_f32 v[6:7], v[10:11], v[26:27], v[4:5] neg_lo:[0,0,1] neg_hi:[0,0,1]
	v_pk_fma_f32 v[4:5], v[10:11], v[26:27], v[4:5] op_sel_hi:[1,0,1]
	s_nop 0
	v_mov_b32_e32 v4, v29
	v_mov_b32_e32 v7, v5
	v_pk_mul_f32 v[4:5], v[12:13], v[4:5] op_sel:[1,0] op_sel_hi:[0,0]
	v_pk_add_f32 v[2:3], v[2:3], v[6:7]
	v_pk_fma_f32 v[6:7], v[12:13], v[28:29], v[4:5] neg_lo:[0,0,1] neg_hi:[0,0,1]
	v_pk_fma_f32 v[4:5], v[12:13], v[28:29], v[4:5] op_sel_hi:[1,0,1]
	s_nop 0
	v_mov_b32_e32 v7, v5
	v_pk_add_f32 v[2:3], v[2:3], v[6:7]
	s_waitcnt vmcnt(0)
	v_pk_add_f32 v[2:3], v[176:177], v[2:3] neg_lo:[0,1] neg_hi:[0,1]
	scratch_store_dwordx2 off, v[2:3], off offset:8
	s_and_saveexec_b64 s[0:1], vcc
	s_cbranch_execz .LBB95_205
; %bb.204:
	scratch_load_dwordx2 v[2:3], off, off
	v_mov_b32_e32 v4, 0
	v_mov_b32_e32 v5, v4
	scratch_store_dwordx2 off, v[4:5], off
	s_waitcnt vmcnt(1)
	ds_write_b64 v1, v[2:3]
.LBB95_205:
	s_or_b64 exec, exec, s[0:1]
	s_waitcnt lgkmcnt(0)
	; wave barrier
	scratch_load_dwordx4 v[0:3], off, off offset:8
	scratch_load_dwordx4 v[4:7], off, off offset:24
	;; [unrolled: 1-line block ×15, first 2 shown]
	scratch_load_dwordx2 v[60:61], off, off offset:248
	scratch_load_dwordx2 v[100:101], off, off
	v_mov_b32_e32 v62, 0
	ds_read2_b64 v[64:67], v62 offset0:33 offset1:34
	ds_read2_b64 v[68:71], v62 offset0:35 offset1:36
	;; [unrolled: 1-line block ×12, first 2 shown]
	s_and_b64 vcc, exec, s[10:11]
	s_waitcnt vmcnt(16) lgkmcnt(11)
	v_mul_f32_e32 v63, v64, v1
	v_mul_f32_e32 v178, v66, v3
	;; [unrolled: 1-line block ×3, first 2 shown]
	v_fmac_f32_e32 v63, v65, v0
	s_waitcnt vmcnt(15) lgkmcnt(10)
	v_mul_f32_e32 v180, v68, v5
	v_fmac_f32_e32 v178, v67, v2
	v_fma_f32 v0, v64, v0, -v1
	v_add_f32_e32 v1, 0, v63
	v_mul_f32_e32 v182, v70, v7
	v_fmac_f32_e32 v180, v69, v4
	v_add_f32_e32 v1, v1, v178
	s_waitcnt vmcnt(14) lgkmcnt(9)
	v_mul_f32_e32 v183, v72, v9
	v_fmac_f32_e32 v182, v71, v6
	v_add_f32_e32 v1, v1, v180
	v_mul_f32_e32 v184, v74, v11
	v_fmac_f32_e32 v183, v73, v8
	v_add_f32_e32 v1, v1, v182
	s_waitcnt vmcnt(13) lgkmcnt(8)
	v_mul_f32_e32 v185, v76, v13
	v_fmac_f32_e32 v184, v75, v10
	;; [unrolled: 7-line block ×9, first 2 shown]
	v_add_f32_e32 v1, v1, v197
	v_mul_f32_e32 v3, v67, v3
	v_fmac_f32_e32 v199, v171, v56
	v_add_f32_e32 v1, v1, v198
	v_add_f32_e32 v0, 0, v0
	;; [unrolled: 1-line block ×3, first 2 shown]
	v_fma_f32 v1, v66, v2, -v3
	v_add_f32_e32 v0, v0, v1
	v_mul_f32_e32 v1, v69, v5
	v_fma_f32 v1, v68, v4, -v1
	v_add_f32_e32 v0, v0, v1
	v_mul_f32_e32 v1, v71, v7
	;; [unrolled: 3-line block ×20, first 2 shown]
	v_mul_f32_e32 v179, v172, v59
	v_fma_f32 v178, v172, v58, -v0
	s_waitcnt vmcnt(5) lgkmcnt(0)
	v_mul_f32_e32 v0, v175, v53
	v_mov_b32_e32 v16, v55
	v_mul_f32_e32 v181, v174, v53
	v_fmac_f32_e32 v179, v173, v58
	v_fma_f32 v180, v174, v52, -v0
	ds_read2_b64 v[0:3], v62 offset0:57 offset1:58
	ds_read2_b64 v[4:7], v62 offset0:59 offset1:60
	;; [unrolled: 1-line block ×3, first 2 shown]
	ds_read_b64 v[12:13], v62 offset:504
	v_pk_mul_f32 v[16:17], v[176:177], v[16:17] op_sel:[1,0] op_sel_hi:[0,0]
	v_fmac_f32_e32 v181, v175, v52
	v_pk_add_f32 v[14:15], v[64:65], v[178:179]
	v_pk_fma_f32 v[18:19], v[176:177], v[54:55], v[16:17] neg_lo:[0,0,1] neg_hi:[0,0,1]
	v_pk_fma_f32 v[16:17], v[176:177], v[54:55], v[16:17] op_sel_hi:[1,0,1]
	v_pk_add_f32 v[14:15], v[14:15], v[180:181]
	v_mov_b32_e32 v19, v17
	s_waitcnt vmcnt(4) lgkmcnt(3)
	v_pk_mul_f32 v[16:17], v[0:1], v[48:49] op_sel:[1,1] op_sel_hi:[0,1]
	v_pk_add_f32 v[14:15], v[14:15], v[18:19]
	v_pk_fma_f32 v[18:19], v[0:1], v[48:49], v[16:17] neg_lo:[0,0,1] neg_hi:[0,0,1]
	v_pk_fma_f32 v[0:1], v[0:1], v[48:49], v[16:17] op_sel_hi:[1,0,1]
	s_nop 0
	v_mov_b32_e32 v19, v1
	v_pk_add_f32 v[0:1], v[14:15], v[18:19]
	v_mov_b32_e32 v14, v51
	v_pk_mul_f32 v[14:15], v[2:3], v[14:15] op_sel:[1,0] op_sel_hi:[0,0]
	v_pk_fma_f32 v[16:17], v[2:3], v[50:51], v[14:15] neg_lo:[0,0,1] neg_hi:[0,0,1]
	v_pk_fma_f32 v[2:3], v[2:3], v[50:51], v[14:15] op_sel_hi:[1,0,1]
	s_nop 0
	v_mov_b32_e32 v17, v3
	s_waitcnt vmcnt(3) lgkmcnt(2)
	v_pk_mul_f32 v[2:3], v[4:5], v[36:37] op_sel:[1,1] op_sel_hi:[0,1]
	v_pk_fma_f32 v[14:15], v[4:5], v[36:37], v[2:3] neg_lo:[0,0,1] neg_hi:[0,0,1]
	v_pk_fma_f32 v[2:3], v[4:5], v[36:37], v[2:3] op_sel_hi:[1,0,1]
	v_pk_add_f32 v[0:1], v[0:1], v[16:17]
	v_mov_b32_e32 v2, v39
	v_mov_b32_e32 v15, v3
	v_pk_mul_f32 v[2:3], v[6:7], v[2:3] op_sel:[1,0] op_sel_hi:[0,0]
	v_pk_fma_f32 v[4:5], v[6:7], v[38:39], v[2:3] neg_lo:[0,0,1] neg_hi:[0,0,1]
	v_pk_fma_f32 v[2:3], v[6:7], v[38:39], v[2:3] op_sel_hi:[1,0,1]
	v_pk_add_f32 v[0:1], v[0:1], v[14:15]
	v_mov_b32_e32 v5, v3
	s_waitcnt vmcnt(2) lgkmcnt(1)
	v_pk_mul_f32 v[2:3], v[8:9], v[24:25] op_sel:[1,1] op_sel_hi:[0,1]
	v_pk_add_f32 v[0:1], v[0:1], v[4:5]
	v_pk_fma_f32 v[4:5], v[8:9], v[24:25], v[2:3] neg_lo:[0,0,1] neg_hi:[0,0,1]
	v_pk_fma_f32 v[2:3], v[8:9], v[24:25], v[2:3] op_sel_hi:[1,0,1]
	s_nop 0
	v_mov_b32_e32 v2, v27
	v_mov_b32_e32 v5, v3
	v_pk_mul_f32 v[2:3], v[10:11], v[2:3] op_sel:[1,0] op_sel_hi:[0,0]
	v_pk_add_f32 v[0:1], v[0:1], v[4:5]
	v_pk_fma_f32 v[4:5], v[10:11], v[26:27], v[2:3] neg_lo:[0,0,1] neg_hi:[0,0,1]
	v_pk_fma_f32 v[2:3], v[10:11], v[26:27], v[2:3] op_sel_hi:[1,0,1]
	s_nop 0
	v_mov_b32_e32 v5, v3
	s_waitcnt vmcnt(1) lgkmcnt(0)
	v_pk_mul_f32 v[2:3], v[12:13], v[60:61] op_sel:[1,1] op_sel_hi:[0,1]
	v_pk_add_f32 v[0:1], v[0:1], v[4:5]
	v_pk_fma_f32 v[4:5], v[12:13], v[60:61], v[2:3] neg_lo:[0,0,1] neg_hi:[0,0,1]
	v_pk_fma_f32 v[2:3], v[12:13], v[60:61], v[2:3] op_sel_hi:[1,0,1]
	s_nop 0
	v_mov_b32_e32 v5, v3
	v_pk_add_f32 v[0:1], v[0:1], v[4:5]
	s_waitcnt vmcnt(0)
	v_pk_add_f32 v[0:1], v[100:101], v[0:1] neg_lo:[0,1] neg_hi:[0,1]
	scratch_store_dwordx2 off, v[0:1], off
	s_cbranch_vccz .LBB95_268
; %bb.206:
	global_load_dword v0, v62, s[8:9] offset:120
	s_waitcnt vmcnt(0)
	v_readfirstlane_b32 s0, v0
	s_add_i32 s0, s0, -1
	s_cmp_lg_u32 s0, 30
	s_cbranch_scc0 .LBB95_208
; %bb.207:
	s_lshl_b32 s0, s0, 3
	s_nop 0
	scratch_load_dwordx2 v[0:1], off, s0
	scratch_load_dwordx2 v[2:3], off, off offset:240
	s_waitcnt vmcnt(1)
	scratch_store_dwordx2 off, v[0:1], off offset:240
	s_waitcnt vmcnt(1)
	scratch_store_dwordx2 off, v[2:3], s0
.LBB95_208:
	v_mov_b32_e32 v0, 0
	global_load_dword v1, v0, s[8:9] offset:116
	s_waitcnt vmcnt(0)
	v_readfirstlane_b32 s0, v1
	s_add_i32 s0, s0, -1
	s_cmp_eq_u32 s0, 29
	s_cbranch_scc1 .LBB95_210
; %bb.209:
	s_lshl_b32 s0, s0, 3
	s_nop 0
	scratch_load_dwordx2 v[2:3], off, s0
	scratch_load_dwordx2 v[4:5], off, off offset:232
	s_waitcnt vmcnt(1)
	scratch_store_dwordx2 off, v[2:3], off offset:232
	s_waitcnt vmcnt(1)
	scratch_store_dwordx2 off, v[4:5], s0
.LBB95_210:
	global_load_dword v0, v0, s[8:9] offset:112
	s_waitcnt vmcnt(0)
	v_readfirstlane_b32 s0, v0
	s_add_i32 s0, s0, -1
	s_cmp_eq_u32 s0, 28
	s_cbranch_scc1 .LBB95_212
; %bb.211:
	s_lshl_b32 s0, s0, 3
	s_nop 0
	scratch_load_dwordx2 v[0:1], off, s0
	scratch_load_dwordx2 v[2:3], off, off offset:224
	s_waitcnt vmcnt(1)
	scratch_store_dwordx2 off, v[0:1], off offset:224
	s_waitcnt vmcnt(1)
	scratch_store_dwordx2 off, v[2:3], s0
.LBB95_212:
	v_mov_b32_e32 v0, 0
	global_load_dword v1, v0, s[8:9] offset:108
	s_waitcnt vmcnt(0)
	v_readfirstlane_b32 s0, v1
	s_add_i32 s0, s0, -1
	s_cmp_eq_u32 s0, 27
	s_cbranch_scc1 .LBB95_214
; %bb.213:
	s_lshl_b32 s0, s0, 3
	s_nop 0
	scratch_load_dwordx2 v[2:3], off, s0
	scratch_load_dwordx2 v[4:5], off, off offset:216
	s_waitcnt vmcnt(1)
	scratch_store_dwordx2 off, v[2:3], off offset:216
	s_waitcnt vmcnt(1)
	scratch_store_dwordx2 off, v[4:5], s0
.LBB95_214:
	global_load_dword v0, v0, s[8:9] offset:104
	s_waitcnt vmcnt(0)
	v_readfirstlane_b32 s0, v0
	s_add_i32 s0, s0, -1
	s_cmp_eq_u32 s0, 26
	s_cbranch_scc1 .LBB95_216
; %bb.215:
	s_lshl_b32 s0, s0, 3
	s_nop 0
	scratch_load_dwordx2 v[0:1], off, s0
	scratch_load_dwordx2 v[2:3], off, off offset:208
	s_waitcnt vmcnt(1)
	scratch_store_dwordx2 off, v[0:1], off offset:208
	s_waitcnt vmcnt(1)
	scratch_store_dwordx2 off, v[2:3], s0
.LBB95_216:
	;; [unrolled: 33-line block ×14, first 2 shown]
	v_mov_b32_e32 v0, 0
	global_load_dword v1, v0, s[8:9] offset:4
	s_waitcnt vmcnt(0)
	v_readfirstlane_b32 s0, v1
	s_add_i32 s0, s0, -1
	s_cmp_eq_u32 s0, 1
	s_cbranch_scc1 .LBB95_266
; %bb.265:
	s_lshl_b32 s0, s0, 3
	s_nop 0
	scratch_load_dwordx2 v[2:3], off, s0
	scratch_load_dwordx2 v[4:5], off, off offset:8
	s_waitcnt vmcnt(1)
	scratch_store_dwordx2 off, v[2:3], off offset:8
	s_waitcnt vmcnt(1)
	scratch_store_dwordx2 off, v[4:5], s0
.LBB95_266:
	global_load_dword v2, v0, s[8:9]
	s_nop 0
	scratch_load_dwordx2 v[0:1], off, off
	s_waitcnt vmcnt(1)
	v_readfirstlane_b32 s0, v2
	s_add_i32 s0, s0, -1
	s_cmp_eq_u32 s0, 0
	s_cbranch_scc1 .LBB95_268
; %bb.267:
	s_lshl_b32 s0, s0, 3
	s_nop 0
	scratch_load_dwordx2 v[2:3], off, s0
	s_waitcnt vmcnt(0)
	scratch_store_dwordx2 off, v[2:3], off
	scratch_store_dwordx2 off, v[0:1], s0
	scratch_load_dwordx2 v[0:1], off, off
.LBB95_268:
	s_waitcnt vmcnt(0)
	flat_store_dwordx2 v[102:103], v[0:1]
	scratch_load_dwordx2 v[0:1], off, off offset:8
	s_waitcnt vmcnt(0)
	flat_store_dwordx2 v[104:105], v[0:1]
	scratch_load_dwordx2 v[0:1], off, off offset:16
	;; [unrolled: 3-line block ×31, first 2 shown]
	s_waitcnt vmcnt(0)
	flat_store_dwordx2 v[164:165], v[0:1]
	s_endpgm
	.section	.rodata,"a",@progbits
	.p2align	6, 0x0
	.amdhsa_kernel _ZN9rocsolver6v33100L18getri_kernel_smallILi32E19rocblas_complex_numIfEPKPS3_EEvT1_iilPiilS8_bb
		.amdhsa_group_segment_fixed_size 516
		.amdhsa_private_segment_fixed_size 272
		.amdhsa_kernarg_size 60
		.amdhsa_user_sgpr_count 2
		.amdhsa_user_sgpr_dispatch_ptr 0
		.amdhsa_user_sgpr_queue_ptr 0
		.amdhsa_user_sgpr_kernarg_segment_ptr 1
		.amdhsa_user_sgpr_dispatch_id 0
		.amdhsa_user_sgpr_kernarg_preload_length 0
		.amdhsa_user_sgpr_kernarg_preload_offset 0
		.amdhsa_user_sgpr_private_segment_size 0
		.amdhsa_uses_dynamic_stack 0
		.amdhsa_enable_private_segment 1
		.amdhsa_system_sgpr_workgroup_id_x 1
		.amdhsa_system_sgpr_workgroup_id_y 0
		.amdhsa_system_sgpr_workgroup_id_z 0
		.amdhsa_system_sgpr_workgroup_info 0
		.amdhsa_system_vgpr_workitem_id 0
		.amdhsa_next_free_vgpr 200
		.amdhsa_next_free_sgpr 17
		.amdhsa_accum_offset 200
		.amdhsa_reserve_vcc 1
		.amdhsa_float_round_mode_32 0
		.amdhsa_float_round_mode_16_64 0
		.amdhsa_float_denorm_mode_32 3
		.amdhsa_float_denorm_mode_16_64 3
		.amdhsa_dx10_clamp 1
		.amdhsa_ieee_mode 1
		.amdhsa_fp16_overflow 0
		.amdhsa_tg_split 0
		.amdhsa_exception_fp_ieee_invalid_op 0
		.amdhsa_exception_fp_denorm_src 0
		.amdhsa_exception_fp_ieee_div_zero 0
		.amdhsa_exception_fp_ieee_overflow 0
		.amdhsa_exception_fp_ieee_underflow 0
		.amdhsa_exception_fp_ieee_inexact 0
		.amdhsa_exception_int_div_zero 0
	.end_amdhsa_kernel
	.section	.text._ZN9rocsolver6v33100L18getri_kernel_smallILi32E19rocblas_complex_numIfEPKPS3_EEvT1_iilPiilS8_bb,"axG",@progbits,_ZN9rocsolver6v33100L18getri_kernel_smallILi32E19rocblas_complex_numIfEPKPS3_EEvT1_iilPiilS8_bb,comdat
.Lfunc_end95:
	.size	_ZN9rocsolver6v33100L18getri_kernel_smallILi32E19rocblas_complex_numIfEPKPS3_EEvT1_iilPiilS8_bb, .Lfunc_end95-_ZN9rocsolver6v33100L18getri_kernel_smallILi32E19rocblas_complex_numIfEPKPS3_EEvT1_iilPiilS8_bb
                                        ; -- End function
	.set _ZN9rocsolver6v33100L18getri_kernel_smallILi32E19rocblas_complex_numIfEPKPS3_EEvT1_iilPiilS8_bb.num_vgpr, 200
	.set _ZN9rocsolver6v33100L18getri_kernel_smallILi32E19rocblas_complex_numIfEPKPS3_EEvT1_iilPiilS8_bb.num_agpr, 0
	.set _ZN9rocsolver6v33100L18getri_kernel_smallILi32E19rocblas_complex_numIfEPKPS3_EEvT1_iilPiilS8_bb.numbered_sgpr, 17
	.set _ZN9rocsolver6v33100L18getri_kernel_smallILi32E19rocblas_complex_numIfEPKPS3_EEvT1_iilPiilS8_bb.num_named_barrier, 0
	.set _ZN9rocsolver6v33100L18getri_kernel_smallILi32E19rocblas_complex_numIfEPKPS3_EEvT1_iilPiilS8_bb.private_seg_size, 272
	.set _ZN9rocsolver6v33100L18getri_kernel_smallILi32E19rocblas_complex_numIfEPKPS3_EEvT1_iilPiilS8_bb.uses_vcc, 1
	.set _ZN9rocsolver6v33100L18getri_kernel_smallILi32E19rocblas_complex_numIfEPKPS3_EEvT1_iilPiilS8_bb.uses_flat_scratch, 0
	.set _ZN9rocsolver6v33100L18getri_kernel_smallILi32E19rocblas_complex_numIfEPKPS3_EEvT1_iilPiilS8_bb.has_dyn_sized_stack, 0
	.set _ZN9rocsolver6v33100L18getri_kernel_smallILi32E19rocblas_complex_numIfEPKPS3_EEvT1_iilPiilS8_bb.has_recursion, 0
	.set _ZN9rocsolver6v33100L18getri_kernel_smallILi32E19rocblas_complex_numIfEPKPS3_EEvT1_iilPiilS8_bb.has_indirect_call, 0
	.section	.AMDGPU.csdata,"",@progbits
; Kernel info:
; codeLenInByte = 36016
; TotalNumSgprs: 23
; NumVgprs: 200
; NumAgprs: 0
; TotalNumVgprs: 200
; ScratchSize: 272
; MemoryBound: 0
; FloatMode: 240
; IeeeMode: 1
; LDSByteSize: 516 bytes/workgroup (compile time only)
; SGPRBlocks: 2
; VGPRBlocks: 24
; NumSGPRsForWavesPerEU: 23
; NumVGPRsForWavesPerEU: 200
; AccumOffset: 200
; Occupancy: 2
; WaveLimiterHint : 1
; COMPUTE_PGM_RSRC2:SCRATCH_EN: 1
; COMPUTE_PGM_RSRC2:USER_SGPR: 2
; COMPUTE_PGM_RSRC2:TRAP_HANDLER: 0
; COMPUTE_PGM_RSRC2:TGID_X_EN: 1
; COMPUTE_PGM_RSRC2:TGID_Y_EN: 0
; COMPUTE_PGM_RSRC2:TGID_Z_EN: 0
; COMPUTE_PGM_RSRC2:TIDIG_COMP_CNT: 0
; COMPUTE_PGM_RSRC3_GFX90A:ACCUM_OFFSET: 49
; COMPUTE_PGM_RSRC3_GFX90A:TG_SPLIT: 0
	.section	.text._ZN9rocsolver6v33100L18getri_kernel_smallILi33E19rocblas_complex_numIfEPKPS3_EEvT1_iilPiilS8_bb,"axG",@progbits,_ZN9rocsolver6v33100L18getri_kernel_smallILi33E19rocblas_complex_numIfEPKPS3_EEvT1_iilPiilS8_bb,comdat
	.globl	_ZN9rocsolver6v33100L18getri_kernel_smallILi33E19rocblas_complex_numIfEPKPS3_EEvT1_iilPiilS8_bb ; -- Begin function _ZN9rocsolver6v33100L18getri_kernel_smallILi33E19rocblas_complex_numIfEPKPS3_EEvT1_iilPiilS8_bb
	.p2align	8
	.type	_ZN9rocsolver6v33100L18getri_kernel_smallILi33E19rocblas_complex_numIfEPKPS3_EEvT1_iilPiilS8_bb,@function
_ZN9rocsolver6v33100L18getri_kernel_smallILi33E19rocblas_complex_numIfEPKPS3_EEvT1_iilPiilS8_bb: ; @_ZN9rocsolver6v33100L18getri_kernel_smallILi33E19rocblas_complex_numIfEPKPS3_EEvT1_iilPiilS8_bb
; %bb.0:
	v_cmp_gt_u32_e32 vcc, 33, v0
	s_and_saveexec_b64 s[4:5], vcc
	s_cbranch_execz .LBB96_146
; %bb.1:
	s_load_dword s14, s[0:1], 0x38
	s_load_dwordx2 s[8:9], s[0:1], 0x0
	s_load_dwordx4 s[4:7], s[0:1], 0x28
	s_waitcnt lgkmcnt(0)
	s_bitcmp1_b32 s14, 8
	s_cselect_b64 s[10:11], -1, 0
	s_ashr_i32 s3, s2, 31
	s_lshl_b64 s[12:13], s[2:3], 3
	s_add_u32 s8, s8, s12
	s_addc_u32 s9, s9, s13
	s_load_dwordx2 s[12:13], s[8:9], 0x0
	s_bfe_u32 s8, s14, 0x10008
	s_cmp_eq_u32 s8, 0
                                        ; implicit-def: $sgpr8_sgpr9
	s_cbranch_scc1 .LBB96_3
; %bb.2:
	s_load_dword s8, s[0:1], 0x20
	s_load_dwordx2 s[14:15], s[0:1], 0x18
	s_mul_i32 s9, s4, s3
	s_mul_hi_u32 s16, s4, s2
	s_add_i32 s16, s16, s9
	s_mul_i32 s5, s5, s2
	s_add_i32 s5, s16, s5
	s_mul_i32 s4, s4, s2
	s_waitcnt lgkmcnt(0)
	s_ashr_i32 s9, s8, 31
	s_lshl_b64 s[4:5], s[4:5], 2
	s_add_u32 s14, s14, s4
	s_addc_u32 s15, s15, s5
	s_lshl_b64 s[4:5], s[8:9], 2
	s_add_u32 s8, s14, s4
	s_addc_u32 s9, s15, s5
.LBB96_3:
	s_load_dwordx2 s[4:5], s[0:1], 0x8
	s_load_dword s14, s[0:1], 0x38
	v_lshlrev_b32_e32 v2, 3, v0
	v_mov_b32_e32 v3, 0
	s_waitcnt lgkmcnt(0)
	s_ashr_i32 s1, s4, 31
	s_mov_b32 s0, s4
	s_lshl_b64 s[0:1], s[0:1], 3
	s_add_u32 s0, s12, s0
	s_addc_u32 s1, s13, s1
	v_lshl_add_u64 v[112:113], s[0:1], 0, v[2:3]
	flat_load_dwordx2 v[4:5], v[112:113]
	s_mov_b32 s12, s5
	s_ashr_i32 s13, s5, 31
	v_lshl_add_u64 v[114:115], s[12:13], 3, v[112:113]
	s_add_i32 s4, s5, s5
	v_add_u32_e32 v6, s4, v0
	v_ashrrev_i32_e32 v7, 31, v6
	v_lshl_add_u64 v[116:117], v[6:7], 3, s[0:1]
	v_add_u32_e32 v6, s5, v6
	v_ashrrev_i32_e32 v7, 31, v6
	v_lshl_add_u64 v[118:119], v[6:7], 3, s[0:1]
	;; [unrolled: 3-line block ×25, first 2 shown]
	s_waitcnt vmcnt(0) lgkmcnt(0)
	scratch_store_dwordx2 off, v[4:5], off
	flat_load_dwordx2 v[4:5], v[114:115]
	v_add_u32_e32 v6, s5, v6
	v_ashrrev_i32_e32 v7, 31, v6
	v_lshl_add_u64 v[166:167], v[6:7], 3, s[0:1]
	v_add_u32_e32 v6, s5, v6
	v_ashrrev_i32_e32 v7, 31, v6
	v_lshl_add_u64 v[168:169], v[6:7], 3, s[0:1]
	;; [unrolled: 3-line block ×6, first 2 shown]
	s_bitcmp0_b32 s14, 0
	s_mov_b64 s[4:5], -1
	s_waitcnt vmcnt(0) lgkmcnt(0)
	scratch_store_dwordx2 off, v[4:5], off offset:8
	flat_load_dwordx2 v[4:5], v[116:117]
	s_waitcnt vmcnt(0) lgkmcnt(0)
	scratch_store_dwordx2 off, v[4:5], off offset:16
	flat_load_dwordx2 v[4:5], v[118:119]
	;; [unrolled: 3-line block ×31, first 2 shown]
	s_waitcnt vmcnt(0) lgkmcnt(0)
	scratch_store_dwordx2 off, v[4:5], off offset:256
	s_cbranch_scc1 .LBB96_144
; %bb.4:
	v_cmp_eq_u32_e64 s[0:1], 0, v0
	s_and_saveexec_b64 s[4:5], s[0:1]
; %bb.5:
	v_mov_b32_e32 v1, 0
	ds_write_b32 v1, v1 offset:264
; %bb.6:
	s_or_b64 exec, exec, s[4:5]
	s_waitcnt lgkmcnt(0)
	; wave barrier
	scratch_load_dwordx2 v[4:5], v2, off
	s_waitcnt vmcnt(0)
	v_cmp_eq_f32_e32 vcc, 0, v4
	v_cmp_eq_f32_e64 s[4:5], 0, v5
	s_and_b64 s[4:5], vcc, s[4:5]
	s_and_saveexec_b64 s[12:13], s[4:5]
	s_cbranch_execz .LBB96_10
; %bb.7:
	v_mov_b32_e32 v1, 0
	ds_read_b32 v4, v1 offset:264
	v_add_u32_e32 v3, 1, v0
	s_waitcnt lgkmcnt(0)
	v_readfirstlane_b32 s4, v4
	s_cmp_eq_u32 s4, 0
	s_cselect_b64 s[14:15], -1, 0
	v_cmp_gt_i32_e32 vcc, s4, v3
	s_or_b64 s[14:15], s[14:15], vcc
	s_and_b64 exec, exec, s[14:15]
	s_cbranch_execz .LBB96_10
; %bb.8:
	s_mov_b64 s[14:15], 0
	v_mov_b32_e32 v4, s4
.LBB96_9:                               ; =>This Inner Loop Header: Depth=1
	ds_cmpst_rtn_b32 v4, v1, v4, v3 offset:264
	s_waitcnt lgkmcnt(0)
	v_cmp_ne_u32_e32 vcc, 0, v4
	v_cmp_le_i32_e64 s[4:5], v4, v3
	s_and_b64 s[4:5], vcc, s[4:5]
	s_and_b64 s[4:5], exec, s[4:5]
	s_or_b64 s[14:15], s[4:5], s[14:15]
	s_andn2_b64 exec, exec, s[14:15]
	s_cbranch_execnz .LBB96_9
.LBB96_10:
	s_or_b64 exec, exec, s[12:13]
	v_mov_b32_e32 v3, 0
	; wave barrier
	ds_read_b32 v1, v3 offset:264
	s_and_saveexec_b64 s[4:5], s[0:1]
	s_cbranch_execz .LBB96_12
; %bb.11:
	s_lshl_b64 s[12:13], s[2:3], 2
	s_add_u32 s12, s6, s12
	s_addc_u32 s13, s7, s13
	s_waitcnt lgkmcnt(0)
	global_store_dword v3, v1, s[12:13]
.LBB96_12:
	s_or_b64 exec, exec, s[4:5]
	s_waitcnt lgkmcnt(0)
	v_cmp_ne_u32_e32 vcc, 0, v1
	s_mov_b64 s[4:5], 0
	s_cbranch_vccnz .LBB96_144
; %bb.13:
	v_mov_b32_e32 v3, v2
	scratch_load_dwordx2 v[4:5], v3, off
                                        ; implicit-def: $vgpr7
                                        ; implicit-def: $vgpr8
	s_waitcnt vmcnt(0)
	v_cmp_ngt_f32_e64 s[4:5], |v4|, |v5|
	s_and_saveexec_b64 s[12:13], s[4:5]
	s_xor_b64 s[4:5], exec, s[12:13]
	s_cbranch_execz .LBB96_15
; %bb.14:
	v_div_scale_f32 v1, s[12:13], v5, v5, v4
	v_rcp_f32_e32 v6, v1
	v_div_scale_f32 v7, vcc, v4, v5, v4
	v_fma_f32 v8, -v1, v6, 1.0
	v_fmac_f32_e32 v6, v8, v6
	v_mul_f32_e32 v8, v7, v6
	v_fma_f32 v9, -v1, v8, v7
	v_fmac_f32_e32 v8, v9, v6
	v_fma_f32 v1, -v1, v8, v7
	v_div_fmas_f32 v1, v1, v6, v8
	v_div_fixup_f32 v1, v1, v5, v4
	v_fmac_f32_e32 v5, v4, v1
	v_div_scale_f32 v4, s[12:13], v5, v5, -1.0
	v_rcp_f32_e32 v6, v4
	s_nop 0
	v_fma_f32 v7, -v4, v6, 1.0
	v_fmac_f32_e32 v6, v7, v6
	v_div_scale_f32 v7, vcc, -1.0, v5, -1.0
	v_mul_f32_e32 v8, v7, v6
	v_fma_f32 v9, -v4, v8, v7
	v_fmac_f32_e32 v8, v9, v6
	v_fma_f32 v4, -v4, v8, v7
	v_div_fmas_f32 v4, v4, v6, v8
	v_div_fixup_f32 v7, v4, v5, -1.0
	v_mul_f32_e32 v8, v1, v7
	v_xor_b32_e32 v6, 0x80000000, v8
                                        ; implicit-def: $vgpr4_vgpr5
.LBB96_15:
	s_andn2_saveexec_b64 s[4:5], s[4:5]
	s_cbranch_execz .LBB96_17
; %bb.16:
	v_div_scale_f32 v1, s[12:13], v4, v4, v5
	v_rcp_f32_e32 v6, v1
	v_div_scale_f32 v7, vcc, v5, v4, v5
	v_fma_f32 v8, -v1, v6, 1.0
	v_fmac_f32_e32 v6, v8, v6
	v_mul_f32_e32 v8, v7, v6
	v_fma_f32 v9, -v1, v8, v7
	v_fmac_f32_e32 v8, v9, v6
	v_fma_f32 v1, -v1, v8, v7
	v_div_fmas_f32 v1, v1, v6, v8
	v_div_fixup_f32 v1, v1, v4, v5
	v_fmac_f32_e32 v4, v5, v1
	v_div_scale_f32 v5, s[12:13], v4, v4, 1.0
	v_rcp_f32_e32 v6, v5
	s_nop 0
	v_fma_f32 v7, -v5, v6, 1.0
	v_fmac_f32_e32 v6, v7, v6
	v_div_scale_f32 v7, vcc, 1.0, v4, 1.0
	v_mul_f32_e32 v8, v7, v6
	v_fma_f32 v9, -v5, v8, v7
	v_fmac_f32_e32 v8, v9, v6
	v_fma_f32 v5, -v5, v8, v7
	v_div_fmas_f32 v5, v5, v6, v8
	v_div_fixup_f32 v6, v5, v4, 1.0
	v_xor_b32_e32 v8, 0x80000000, v6
	v_mul_f32_e64 v7, v1, -v6
.LBB96_17:
	s_or_b64 exec, exec, s[4:5]
	scratch_store_dwordx2 v3, v[6:7], off
	scratch_load_dwordx2 v[4:5], off, off offset:8
	v_xor_b32_e32 v9, 0x80000000, v7
	v_add_u32_e32 v1, 0x110, v2
	s_waitcnt vmcnt(0)
	ds_write2_b64 v2, v[8:9], v[4:5] offset1:34
	s_waitcnt lgkmcnt(0)
	; wave barrier
	s_and_saveexec_b64 s[4:5], s[0:1]
	s_cbranch_execz .LBB96_19
; %bb.18:
	scratch_load_dwordx2 v[4:5], v3, off
	ds_read_b64 v[6:7], v1
	v_mov_b32_e32 v8, 0
	ds_read_b64 v[8:9], v8 offset:8
	s_waitcnt vmcnt(0) lgkmcnt(1)
	v_pk_mul_f32 v[10:11], v[6:7], v[4:5] op_sel:[1,1] op_sel_hi:[0,1]
	v_pk_fma_f32 v[12:13], v[6:7], v[4:5], v[10:11] neg_lo:[0,0,1] neg_hi:[0,0,1]
	v_pk_fma_f32 v[4:5], v[6:7], v[4:5], v[10:11] op_sel_hi:[1,0,1]
	s_nop 0
	v_mov_b32_e32 v13, v5
	v_pk_add_f32 v[4:5], v[12:13], 0 op_sel_hi:[1,0]
	s_waitcnt lgkmcnt(0)
	v_pk_mul_f32 v[6:7], v[4:5], v[8:9] op_sel:[1,1] op_sel_hi:[0,1]
	v_pk_fma_f32 v[10:11], v[4:5], v[8:9], v[6:7] neg_lo:[0,0,1] neg_hi:[0,0,1]
	v_pk_fma_f32 v[4:5], v[4:5], v[8:9], v[6:7] op_sel_hi:[1,0,1]
	s_nop 0
	v_mov_b32_e32 v11, v5
	scratch_store_dwordx2 off, v[10:11], off offset:8
.LBB96_19:
	s_or_b64 exec, exec, s[4:5]
	; wave barrier
	scratch_load_dwordx2 v[4:5], off, off offset:16
	v_cmp_gt_u32_e32 vcc, 2, v0
	s_waitcnt vmcnt(0)
	ds_write_b64 v1, v[4:5]
	s_waitcnt lgkmcnt(0)
	; wave barrier
	s_and_saveexec_b64 s[4:5], vcc
	s_cbranch_execz .LBB96_23
; %bb.20:
	scratch_load_dwordx2 v[4:5], v3, off
	ds_read_b64 v[6:7], v1
	s_waitcnt vmcnt(0) lgkmcnt(0)
	v_pk_mul_f32 v[8:9], v[6:7], v[4:5] op_sel:[1,1] op_sel_hi:[0,1]
	v_pk_fma_f32 v[10:11], v[6:7], v[4:5], v[8:9] neg_lo:[0,0,1] neg_hi:[0,0,1]
	v_pk_fma_f32 v[4:5], v[6:7], v[4:5], v[8:9] op_sel_hi:[1,0,1]
	s_nop 0
	v_mov_b32_e32 v11, v5
	v_pk_add_f32 v[4:5], v[10:11], 0 op_sel_hi:[1,0]
	s_and_saveexec_b64 s[12:13], s[0:1]
	s_cbranch_execz .LBB96_22
; %bb.21:
	scratch_load_dwordx2 v[6:7], off, off offset:8
	v_mov_b32_e32 v3, 0
	ds_read_b64 v[8:9], v3 offset:280
	s_waitcnt vmcnt(0) lgkmcnt(0)
	v_pk_mul_f32 v[10:11], v[8:9], v[6:7] op_sel:[1,1] op_sel_hi:[0,1]
	v_pk_fma_f32 v[12:13], v[8:9], v[6:7], v[10:11] neg_lo:[0,0,1] neg_hi:[0,0,1]
	v_pk_fma_f32 v[6:7], v[8:9], v[6:7], v[10:11] op_sel_hi:[1,0,1]
	s_nop 0
	v_mov_b32_e32 v13, v7
	v_pk_add_f32 v[4:5], v[4:5], v[12:13]
.LBB96_22:
	s_or_b64 exec, exec, s[12:13]
	v_mov_b32_e32 v3, 0
	ds_read_b64 v[6:7], v3 offset:16
	s_waitcnt lgkmcnt(0)
	v_pk_mul_f32 v[8:9], v[4:5], v[6:7] op_sel:[1,1] op_sel_hi:[0,1]
	v_pk_fma_f32 v[10:11], v[4:5], v[6:7], v[8:9] neg_lo:[0,0,1] neg_hi:[0,0,1]
	v_pk_fma_f32 v[4:5], v[4:5], v[6:7], v[8:9] op_sel_hi:[1,0,1]
	s_nop 0
	v_mov_b32_e32 v11, v5
	scratch_store_dwordx2 off, v[10:11], off offset:16
.LBB96_23:
	s_or_b64 exec, exec, s[4:5]
	; wave barrier
	scratch_load_dwordx2 v[4:5], off, off offset:24
	v_cmp_gt_u32_e32 vcc, 3, v0
	v_add_u32_e32 v6, -1, v0
	s_waitcnt vmcnt(0)
	ds_write_b64 v1, v[4:5]
	s_waitcnt lgkmcnt(0)
	; wave barrier
	s_and_saveexec_b64 s[0:1], vcc
	s_cbranch_execz .LBB96_27
; %bb.24:
	v_mov_b32_e32 v4, 0
	v_add_u32_e32 v3, -1, v0
	v_add_u32_e32 v7, 0x110, v2
	v_mov_b32_e32 v8, v2
	s_mov_b64 s[4:5], 0
	v_mov_b32_e32 v5, v4
.LBB96_25:                              ; =>This Inner Loop Header: Depth=1
	scratch_load_dwordx2 v[10:11], v8, off
	ds_read_b64 v[12:13], v7
	v_add_u32_e32 v3, 1, v3
	v_cmp_lt_u32_e32 vcc, 1, v3
	v_add_u32_e32 v7, 8, v7
	v_add_u32_e32 v8, 8, v8
	s_or_b64 s[4:5], vcc, s[4:5]
	s_waitcnt vmcnt(0) lgkmcnt(0)
	v_pk_mul_f32 v[14:15], v[12:13], v[10:11] op_sel:[1,1] op_sel_hi:[0,1]
	v_pk_fma_f32 v[16:17], v[12:13], v[10:11], v[14:15] neg_lo:[0,0,1] neg_hi:[0,0,1]
	v_pk_fma_f32 v[10:11], v[12:13], v[10:11], v[14:15] op_sel_hi:[1,0,1]
	s_nop 0
	v_mov_b32_e32 v17, v11
	v_pk_add_f32 v[4:5], v[4:5], v[16:17]
	s_andn2_b64 exec, exec, s[4:5]
	s_cbranch_execnz .LBB96_25
; %bb.26:
	s_or_b64 exec, exec, s[4:5]
	v_mov_b32_e32 v3, 0
	ds_read_b64 v[8:9], v3 offset:24
	s_waitcnt lgkmcnt(0)
	v_pk_mul_f32 v[10:11], v[4:5], v[8:9] op_sel:[1,1] op_sel_hi:[0,1]
	v_pk_fma_f32 v[12:13], v[4:5], v[8:9], v[10:11] neg_lo:[0,0,1] neg_hi:[0,0,1]
	v_pk_fma_f32 v[4:5], v[4:5], v[8:9], v[10:11] op_sel_hi:[1,0,1]
	s_nop 0
	v_mov_b32_e32 v13, v5
	scratch_store_dwordx2 off, v[12:13], off offset:24
.LBB96_27:
	s_or_b64 exec, exec, s[0:1]
	; wave barrier
	scratch_load_dwordx2 v[4:5], off, off offset:32
	v_cmp_gt_u32_e32 vcc, 4, v0
	s_waitcnt vmcnt(0)
	ds_write_b64 v1, v[4:5]
	s_waitcnt lgkmcnt(0)
	; wave barrier
	s_and_saveexec_b64 s[0:1], vcc
	s_cbranch_execz .LBB96_31
; %bb.28:
	v_mov_b32_e32 v4, 0
	v_add_u32_e32 v3, -1, v0
	v_add_u32_e32 v7, 0x110, v2
	v_mov_b32_e32 v8, v2
	s_mov_b64 s[4:5], 0
	v_mov_b32_e32 v5, v4
.LBB96_29:                              ; =>This Inner Loop Header: Depth=1
	scratch_load_dwordx2 v[10:11], v8, off
	ds_read_b64 v[12:13], v7
	v_add_u32_e32 v3, 1, v3
	v_cmp_lt_u32_e32 vcc, 2, v3
	v_add_u32_e32 v7, 8, v7
	v_add_u32_e32 v8, 8, v8
	s_or_b64 s[4:5], vcc, s[4:5]
	s_waitcnt vmcnt(0) lgkmcnt(0)
	v_pk_mul_f32 v[14:15], v[12:13], v[10:11] op_sel:[1,1] op_sel_hi:[0,1]
	v_pk_fma_f32 v[16:17], v[12:13], v[10:11], v[14:15] neg_lo:[0,0,1] neg_hi:[0,0,1]
	v_pk_fma_f32 v[10:11], v[12:13], v[10:11], v[14:15] op_sel_hi:[1,0,1]
	s_nop 0
	v_mov_b32_e32 v17, v11
	v_pk_add_f32 v[4:5], v[4:5], v[16:17]
	s_andn2_b64 exec, exec, s[4:5]
	s_cbranch_execnz .LBB96_29
; %bb.30:
	s_or_b64 exec, exec, s[4:5]
	v_mov_b32_e32 v3, 0
	ds_read_b64 v[8:9], v3 offset:32
	s_waitcnt lgkmcnt(0)
	v_pk_mul_f32 v[10:11], v[4:5], v[8:9] op_sel:[1,1] op_sel_hi:[0,1]
	v_pk_fma_f32 v[12:13], v[4:5], v[8:9], v[10:11] neg_lo:[0,0,1] neg_hi:[0,0,1]
	v_pk_fma_f32 v[4:5], v[4:5], v[8:9], v[10:11] op_sel_hi:[1,0,1]
	s_nop 0
	v_mov_b32_e32 v13, v5
	scratch_store_dwordx2 off, v[12:13], off offset:32
.LBB96_31:
	s_or_b64 exec, exec, s[0:1]
	; wave barrier
	scratch_load_dwordx2 v[4:5], off, off offset:40
	v_cmp_gt_u32_e32 vcc, 5, v0
	;; [unrolled: 46-line block ×19, first 2 shown]
	s_waitcnt vmcnt(0)
	ds_write_b64 v1, v[4:5]
	s_waitcnt lgkmcnt(0)
	; wave barrier
	s_and_saveexec_b64 s[0:1], vcc
	s_cbranch_execz .LBB96_103
; %bb.100:
	v_mov_b32_e32 v4, 0
	v_add_u32_e32 v3, -1, v0
	v_add_u32_e32 v7, 0x110, v2
	v_mov_b32_e32 v8, v2
	s_mov_b64 s[4:5], 0
	v_mov_b32_e32 v5, v4
.LBB96_101:                             ; =>This Inner Loop Header: Depth=1
	scratch_load_dwordx2 v[10:11], v8, off
	ds_read_b64 v[12:13], v7
	v_add_u32_e32 v3, 1, v3
	v_cmp_lt_u32_e32 vcc, 20, v3
	v_add_u32_e32 v7, 8, v7
	v_add_u32_e32 v8, 8, v8
	s_or_b64 s[4:5], vcc, s[4:5]
	s_waitcnt vmcnt(0) lgkmcnt(0)
	v_pk_mul_f32 v[14:15], v[12:13], v[10:11] op_sel:[1,1] op_sel_hi:[0,1]
	v_pk_fma_f32 v[16:17], v[12:13], v[10:11], v[14:15] neg_lo:[0,0,1] neg_hi:[0,0,1]
	v_pk_fma_f32 v[10:11], v[12:13], v[10:11], v[14:15] op_sel_hi:[1,0,1]
	s_nop 0
	v_mov_b32_e32 v17, v11
	v_pk_add_f32 v[4:5], v[4:5], v[16:17]
	s_andn2_b64 exec, exec, s[4:5]
	s_cbranch_execnz .LBB96_101
; %bb.102:
	s_or_b64 exec, exec, s[4:5]
	v_mov_b32_e32 v3, 0
	ds_read_b64 v[8:9], v3 offset:176
	s_waitcnt lgkmcnt(0)
	v_pk_mul_f32 v[10:11], v[4:5], v[8:9] op_sel:[1,1] op_sel_hi:[0,1]
	v_pk_fma_f32 v[12:13], v[4:5], v[8:9], v[10:11] neg_lo:[0,0,1] neg_hi:[0,0,1]
	v_pk_fma_f32 v[4:5], v[4:5], v[8:9], v[10:11] op_sel_hi:[1,0,1]
	s_nop 0
	v_mov_b32_e32 v13, v5
	scratch_store_dwordx2 off, v[12:13], off offset:176
.LBB96_103:
	s_or_b64 exec, exec, s[0:1]
	; wave barrier
	scratch_load_dwordx2 v[4:5], off, off offset:184
	v_cmp_gt_u32_e32 vcc, 23, v0
	s_waitcnt vmcnt(0)
	ds_write_b64 v1, v[4:5]
	s_waitcnt lgkmcnt(0)
	; wave barrier
	s_and_saveexec_b64 s[0:1], vcc
	s_cbranch_execz .LBB96_107
; %bb.104:
	v_mov_b32_e32 v4, 0
	v_add_u32_e32 v3, -1, v0
	v_add_u32_e32 v7, 0x110, v2
	v_mov_b32_e32 v8, v2
	s_mov_b64 s[4:5], 0
	v_mov_b32_e32 v5, v4
.LBB96_105:                             ; =>This Inner Loop Header: Depth=1
	scratch_load_dwordx2 v[10:11], v8, off
	ds_read_b64 v[12:13], v7
	v_add_u32_e32 v3, 1, v3
	v_cmp_lt_u32_e32 vcc, 21, v3
	v_add_u32_e32 v7, 8, v7
	v_add_u32_e32 v8, 8, v8
	s_or_b64 s[4:5], vcc, s[4:5]
	s_waitcnt vmcnt(0) lgkmcnt(0)
	v_pk_mul_f32 v[14:15], v[12:13], v[10:11] op_sel:[1,1] op_sel_hi:[0,1]
	v_pk_fma_f32 v[16:17], v[12:13], v[10:11], v[14:15] neg_lo:[0,0,1] neg_hi:[0,0,1]
	v_pk_fma_f32 v[10:11], v[12:13], v[10:11], v[14:15] op_sel_hi:[1,0,1]
	s_nop 0
	v_mov_b32_e32 v17, v11
	v_pk_add_f32 v[4:5], v[4:5], v[16:17]
	s_andn2_b64 exec, exec, s[4:5]
	s_cbranch_execnz .LBB96_105
; %bb.106:
	s_or_b64 exec, exec, s[4:5]
	v_mov_b32_e32 v3, 0
	ds_read_b64 v[8:9], v3 offset:184
	s_waitcnt lgkmcnt(0)
	v_pk_mul_f32 v[10:11], v[4:5], v[8:9] op_sel:[1,1] op_sel_hi:[0,1]
	v_pk_fma_f32 v[12:13], v[4:5], v[8:9], v[10:11] neg_lo:[0,0,1] neg_hi:[0,0,1]
	v_pk_fma_f32 v[4:5], v[4:5], v[8:9], v[10:11] op_sel_hi:[1,0,1]
	s_nop 0
	v_mov_b32_e32 v13, v5
	scratch_store_dwordx2 off, v[12:13], off offset:184
.LBB96_107:
	s_or_b64 exec, exec, s[0:1]
	; wave barrier
	scratch_load_dwordx2 v[4:5], off, off offset:192
	v_cmp_gt_u32_e32 vcc, 24, v0
	;; [unrolled: 46-line block ×9, first 2 shown]
	s_waitcnt vmcnt(0)
	ds_write_b64 v1, v[4:5]
	s_waitcnt lgkmcnt(0)
	; wave barrier
	s_and_saveexec_b64 s[0:1], vcc
	s_cbranch_execz .LBB96_139
; %bb.136:
	v_mov_b32_e32 v4, 0
	v_add_u32_e32 v3, -1, v0
	v_add_u32_e32 v7, 0x110, v2
	v_mov_b32_e32 v8, v2
	s_mov_b64 s[4:5], 0
	v_mov_b32_e32 v5, v4
.LBB96_137:                             ; =>This Inner Loop Header: Depth=1
	scratch_load_dwordx2 v[10:11], v8, off
	ds_read_b64 v[12:13], v7
	v_add_u32_e32 v3, 1, v3
	v_cmp_lt_u32_e32 vcc, 29, v3
	v_add_u32_e32 v7, 8, v7
	v_add_u32_e32 v8, 8, v8
	s_or_b64 s[4:5], vcc, s[4:5]
	s_waitcnt vmcnt(0) lgkmcnt(0)
	v_pk_mul_f32 v[14:15], v[12:13], v[10:11] op_sel:[1,1] op_sel_hi:[0,1]
	v_pk_fma_f32 v[16:17], v[12:13], v[10:11], v[14:15] neg_lo:[0,0,1] neg_hi:[0,0,1]
	v_pk_fma_f32 v[10:11], v[12:13], v[10:11], v[14:15] op_sel_hi:[1,0,1]
	s_nop 0
	v_mov_b32_e32 v17, v11
	v_pk_add_f32 v[4:5], v[4:5], v[16:17]
	s_andn2_b64 exec, exec, s[4:5]
	s_cbranch_execnz .LBB96_137
; %bb.138:
	s_or_b64 exec, exec, s[4:5]
	v_mov_b32_e32 v3, 0
	ds_read_b64 v[8:9], v3 offset:248
	s_waitcnt lgkmcnt(0)
	v_pk_mul_f32 v[10:11], v[4:5], v[8:9] op_sel:[1,1] op_sel_hi:[0,1]
	v_pk_fma_f32 v[12:13], v[4:5], v[8:9], v[10:11] neg_lo:[0,0,1] neg_hi:[0,0,1]
	v_pk_fma_f32 v[4:5], v[4:5], v[8:9], v[10:11] op_sel_hi:[1,0,1]
	s_nop 0
	v_mov_b32_e32 v13, v5
	scratch_store_dwordx2 off, v[12:13], off offset:248
.LBB96_139:
	s_or_b64 exec, exec, s[0:1]
	; wave barrier
	scratch_load_dwordx2 v[4:5], off, off offset:256
	v_cmp_ne_u32_e32 vcc, 32, v0
	s_waitcnt vmcnt(0)
	ds_write_b64 v1, v[4:5]
	s_waitcnt lgkmcnt(0)
	; wave barrier
	s_and_saveexec_b64 s[0:1], vcc
	s_cbranch_execz .LBB96_143
; %bb.140:
	v_add_u32_e32 v1, 0x110, v2
	v_mov_b32_e32 v4, v2
	v_mov_b32_e32 v2, 0
	s_mov_b64 s[4:5], 0
	v_mov_b32_e32 v3, v2
.LBB96_141:                             ; =>This Inner Loop Header: Depth=1
	scratch_load_dwordx2 v[8:9], v4, off
	ds_read_b64 v[10:11], v1
	v_add_u32_e32 v6, 1, v6
	v_cmp_lt_u32_e32 vcc, 30, v6
	v_add_u32_e32 v1, 8, v1
	v_add_u32_e32 v4, 8, v4
	s_or_b64 s[4:5], vcc, s[4:5]
	s_waitcnt vmcnt(0) lgkmcnt(0)
	v_pk_mul_f32 v[12:13], v[10:11], v[8:9] op_sel:[1,1] op_sel_hi:[0,1]
	v_pk_fma_f32 v[14:15], v[10:11], v[8:9], v[12:13] neg_lo:[0,0,1] neg_hi:[0,0,1]
	v_pk_fma_f32 v[8:9], v[10:11], v[8:9], v[12:13] op_sel_hi:[1,0,1]
	s_nop 0
	v_mov_b32_e32 v15, v9
	v_pk_add_f32 v[2:3], v[2:3], v[14:15]
	s_andn2_b64 exec, exec, s[4:5]
	s_cbranch_execnz .LBB96_141
; %bb.142:
	s_or_b64 exec, exec, s[4:5]
	v_mov_b32_e32 v1, 0
	ds_read_b64 v[4:5], v1 offset:256
	s_waitcnt lgkmcnt(0)
	v_pk_mul_f32 v[6:7], v[2:3], v[4:5] op_sel:[1,1] op_sel_hi:[0,1]
	v_pk_fma_f32 v[8:9], v[2:3], v[4:5], v[6:7] neg_lo:[0,0,1] neg_hi:[0,0,1]
	v_pk_fma_f32 v[2:3], v[2:3], v[4:5], v[6:7] op_sel_hi:[1,0,1]
	s_nop 0
	v_mov_b32_e32 v9, v3
	scratch_store_dwordx2 off, v[8:9], off offset:256
.LBB96_143:
	s_or_b64 exec, exec, s[0:1]
	s_mov_b64 s[4:5], -1
	; wave barrier
.LBB96_144:
	s_and_b64 vcc, exec, s[4:5]
	s_cbranch_vccz .LBB96_146
; %bb.145:
	s_lshl_b64 s[0:1], s[2:3], 2
	s_add_u32 s0, s6, s0
	s_addc_u32 s1, s7, s1
	v_mov_b32_e32 v1, 0
	global_load_dword v1, v1, s[0:1]
	s_waitcnt vmcnt(0)
	v_cmp_ne_u32_e32 vcc, 0, v1
	s_cbranch_vccz .LBB96_147
.LBB96_146:
	s_endpgm
.LBB96_147:
	v_mov_b32_e32 v1, 0x110
	v_lshl_add_u32 v1, v0, 3, v1
	v_cmp_eq_u32_e32 vcc, 32, v0
	s_and_saveexec_b64 s[0:1], vcc
	s_cbranch_execz .LBB96_149
; %bb.148:
	scratch_load_dwordx2 v[2:3], off, off offset:248
	v_mov_b32_e32 v4, 0
	v_mov_b32_e32 v5, v4
	scratch_store_dwordx2 off, v[4:5], off offset:248
	s_waitcnt vmcnt(1)
	ds_write_b64 v1, v[2:3]
.LBB96_149:
	s_or_b64 exec, exec, s[0:1]
	s_waitcnt lgkmcnt(0)
	; wave barrier
	scratch_load_dwordx2 v[4:5], off, off offset:256
	scratch_load_dwordx2 v[6:7], off, off offset:248
	v_mov_b32_e32 v2, 0
	ds_read_b64 v[8:9], v2 offset:528
	v_cmp_lt_u32_e32 vcc, 30, v0
	s_waitcnt vmcnt(1) lgkmcnt(0)
	v_pk_mul_f32 v[10:11], v[8:9], v[4:5] op_sel:[1,1] op_sel_hi:[0,1]
	v_pk_fma_f32 v[12:13], v[8:9], v[4:5], v[10:11] neg_lo:[0,0,1] neg_hi:[0,0,1]
	v_pk_fma_f32 v[4:5], v[8:9], v[4:5], v[10:11] op_sel_hi:[1,0,1]
	s_nop 0
	v_mov_b32_e32 v13, v5
	v_pk_add_f32 v[4:5], v[12:13], 0 op_sel_hi:[1,0]
	s_waitcnt vmcnt(0)
	v_pk_add_f32 v[4:5], v[6:7], v[4:5] neg_lo:[0,1] neg_hi:[0,1]
	scratch_store_dwordx2 off, v[4:5], off offset:248
	s_and_saveexec_b64 s[0:1], vcc
	s_cbranch_execz .LBB96_151
; %bb.150:
	scratch_load_dwordx2 v[4:5], off, off offset:240
	v_mov_b32_e32 v3, v2
	scratch_store_dwordx2 off, v[2:3], off offset:240
	s_waitcnt vmcnt(1)
	ds_write_b64 v1, v[4:5]
.LBB96_151:
	s_or_b64 exec, exec, s[0:1]
	s_waitcnt lgkmcnt(0)
	; wave barrier
	scratch_load_dwordx4 v[4:7], off, off offset:248
	scratch_load_dwordx2 v[12:13], off, off offset:240
	ds_read2_b64 v[8:11], v2 offset0:65 offset1:66
	v_cmp_lt_u32_e32 vcc, 29, v0
	s_waitcnt vmcnt(1) lgkmcnt(0)
	v_pk_mul_f32 v[2:3], v[8:9], v[4:5] op_sel:[1,1] op_sel_hi:[0,1]
	v_mov_b32_e32 v14, v7
	v_pk_fma_f32 v[16:17], v[8:9], v[4:5], v[2:3] neg_lo:[0,0,1] neg_hi:[0,0,1]
	v_pk_fma_f32 v[2:3], v[8:9], v[4:5], v[2:3] op_sel_hi:[1,0,1]
	v_pk_mul_f32 v[4:5], v[10:11], v[14:15] op_sel:[1,0] op_sel_hi:[0,0]
	v_mov_b32_e32 v17, v3
	v_pk_fma_f32 v[2:3], v[10:11], v[6:7], v[4:5] neg_lo:[0,0,1] neg_hi:[0,0,1]
	v_pk_fma_f32 v[4:5], v[10:11], v[6:7], v[4:5] op_sel_hi:[1,0,1]
	v_pk_add_f32 v[6:7], v[16:17], 0 op_sel_hi:[1,0]
	v_mov_b32_e32 v3, v5
	v_pk_add_f32 v[2:3], v[6:7], v[2:3]
	s_waitcnt vmcnt(0)
	v_pk_add_f32 v[2:3], v[12:13], v[2:3] neg_lo:[0,1] neg_hi:[0,1]
	scratch_store_dwordx2 off, v[2:3], off offset:240
	s_and_saveexec_b64 s[0:1], vcc
	s_cbranch_execz .LBB96_153
; %bb.152:
	scratch_load_dwordx2 v[2:3], off, off offset:232
	v_mov_b32_e32 v4, 0
	v_mov_b32_e32 v5, v4
	scratch_store_dwordx2 off, v[4:5], off offset:232
	s_waitcnt vmcnt(1)
	ds_write_b64 v1, v[2:3]
.LBB96_153:
	s_or_b64 exec, exec, s[0:1]
	s_waitcnt lgkmcnt(0)
	; wave barrier
	scratch_load_dwordx4 v[4:7], off, off offset:240
	scratch_load_dwordx2 v[12:13], off, off offset:256
	scratch_load_dwordx2 v[14:15], off, off offset:232
	v_mov_b32_e32 v2, 0
	ds_read_b128 v[8:11], v2 offset:512
	ds_read_b64 v[16:17], v2 offset:528
	v_cmp_lt_u32_e32 vcc, 28, v0
	s_waitcnt vmcnt(2) lgkmcnt(1)
	v_pk_mul_f32 v[18:19], v[8:9], v[4:5] op_sel:[1,1] op_sel_hi:[0,1]
	v_mov_b32_e32 v20, v7
	v_pk_fma_f32 v[24:25], v[8:9], v[4:5], v[18:19] neg_lo:[0,0,1] neg_hi:[0,0,1]
	v_pk_fma_f32 v[4:5], v[8:9], v[4:5], v[18:19] op_sel_hi:[1,0,1]
	v_pk_mul_f32 v[8:9], v[10:11], v[20:21] op_sel:[1,0] op_sel_hi:[0,0]
	s_waitcnt vmcnt(1) lgkmcnt(0)
	v_pk_mul_f32 v[22:23], v[16:17], v[12:13] op_sel:[1,1] op_sel_hi:[0,1]
	v_mov_b32_e32 v25, v5
	v_pk_fma_f32 v[4:5], v[10:11], v[6:7], v[8:9] neg_lo:[0,0,1] neg_hi:[0,0,1]
	v_pk_fma_f32 v[6:7], v[10:11], v[6:7], v[8:9] op_sel_hi:[1,0,1]
	v_pk_fma_f32 v[18:19], v[16:17], v[12:13], v[22:23] neg_lo:[0,0,1] neg_hi:[0,0,1]
	v_pk_fma_f32 v[12:13], v[16:17], v[12:13], v[22:23] op_sel_hi:[1,0,1]
	v_pk_add_f32 v[8:9], v[24:25], 0 op_sel_hi:[1,0]
	v_mov_b32_e32 v5, v7
	v_mov_b32_e32 v19, v13
	v_pk_add_f32 v[4:5], v[8:9], v[4:5]
	s_nop 0
	v_pk_add_f32 v[4:5], v[4:5], v[18:19]
	s_waitcnt vmcnt(0)
	v_pk_add_f32 v[4:5], v[14:15], v[4:5] neg_lo:[0,1] neg_hi:[0,1]
	scratch_store_dwordx2 off, v[4:5], off offset:232
	s_and_saveexec_b64 s[0:1], vcc
	s_cbranch_execz .LBB96_155
; %bb.154:
	scratch_load_dwordx2 v[4:5], off, off offset:224
	v_mov_b32_e32 v3, v2
	scratch_store_dwordx2 off, v[2:3], off offset:224
	s_waitcnt vmcnt(1)
	ds_write_b64 v1, v[4:5]
.LBB96_155:
	s_or_b64 exec, exec, s[0:1]
	s_waitcnt lgkmcnt(0)
	; wave barrier
	scratch_load_dwordx4 v[4:7], off, off offset:232
	scratch_load_dwordx4 v[8:11], off, off offset:248
	scratch_load_dwordx2 v[20:21], off, off offset:224
	ds_read2_b64 v[12:15], v2 offset0:63 offset1:64
	ds_read2_b64 v[16:19], v2 offset0:65 offset1:66
	v_cmp_lt_u32_e32 vcc, 27, v0
	s_waitcnt vmcnt(2) lgkmcnt(1)
	v_pk_mul_f32 v[2:3], v[12:13], v[4:5] op_sel:[1,1] op_sel_hi:[0,1]
	v_mov_b32_e32 v22, v7
	s_waitcnt vmcnt(1) lgkmcnt(0)
	v_pk_mul_f32 v[24:25], v[16:17], v[8:9] op_sel:[1,1] op_sel_hi:[0,1]
	v_mov_b32_e32 v26, v11
	v_pk_fma_f32 v[28:29], v[12:13], v[4:5], v[2:3] neg_lo:[0,0,1] neg_hi:[0,0,1]
	v_pk_fma_f32 v[2:3], v[12:13], v[4:5], v[2:3] op_sel_hi:[1,0,1]
	v_pk_mul_f32 v[4:5], v[14:15], v[22:23] op_sel:[1,0] op_sel_hi:[0,0]
	v_pk_fma_f32 v[12:13], v[16:17], v[8:9], v[24:25] neg_lo:[0,0,1] neg_hi:[0,0,1]
	v_pk_fma_f32 v[8:9], v[16:17], v[8:9], v[24:25] op_sel_hi:[1,0,1]
	v_pk_mul_f32 v[16:17], v[18:19], v[26:27] op_sel:[1,0] op_sel_hi:[0,0]
	v_mov_b32_e32 v29, v3
	v_pk_fma_f32 v[2:3], v[14:15], v[6:7], v[4:5] neg_lo:[0,0,1] neg_hi:[0,0,1]
	v_pk_fma_f32 v[4:5], v[14:15], v[6:7], v[4:5] op_sel_hi:[1,0,1]
	v_mov_b32_e32 v13, v9
	v_pk_fma_f32 v[6:7], v[18:19], v[10:11], v[16:17] neg_lo:[0,0,1] neg_hi:[0,0,1]
	v_pk_fma_f32 v[8:9], v[18:19], v[10:11], v[16:17] op_sel_hi:[1,0,1]
	v_pk_add_f32 v[10:11], v[28:29], 0 op_sel_hi:[1,0]
	v_mov_b32_e32 v3, v5
	v_pk_add_f32 v[2:3], v[10:11], v[2:3]
	v_mov_b32_e32 v7, v9
	v_pk_add_f32 v[2:3], v[2:3], v[12:13]
	s_nop 0
	v_pk_add_f32 v[2:3], v[2:3], v[6:7]
	s_waitcnt vmcnt(0)
	v_pk_add_f32 v[2:3], v[20:21], v[2:3] neg_lo:[0,1] neg_hi:[0,1]
	scratch_store_dwordx2 off, v[2:3], off offset:224
	s_and_saveexec_b64 s[0:1], vcc
	s_cbranch_execz .LBB96_157
; %bb.156:
	scratch_load_dwordx2 v[2:3], off, off offset:216
	v_mov_b32_e32 v4, 0
	v_mov_b32_e32 v5, v4
	scratch_store_dwordx2 off, v[4:5], off offset:216
	s_waitcnt vmcnt(1)
	ds_write_b64 v1, v[2:3]
.LBB96_157:
	s_or_b64 exec, exec, s[0:1]
	s_waitcnt lgkmcnt(0)
	; wave barrier
	scratch_load_dwordx4 v[4:7], off, off offset:224
	scratch_load_dwordx4 v[8:11], off, off offset:240
	scratch_load_dwordx2 v[20:21], off, off offset:256
	scratch_load_dwordx2 v[22:23], off, off offset:216
	v_mov_b32_e32 v2, 0
	ds_read_b128 v[12:15], v2 offset:496
	ds_read_b128 v[16:19], v2 offset:512
	ds_read_b64 v[24:25], v2 offset:528
	v_cmp_lt_u32_e32 vcc, 26, v0
	s_waitcnt vmcnt(3) lgkmcnt(2)
	v_pk_mul_f32 v[26:27], v[12:13], v[4:5] op_sel:[1,1] op_sel_hi:[0,1]
	v_mov_b32_e32 v28, v7
	v_pk_fma_f32 v[36:37], v[12:13], v[4:5], v[26:27] neg_lo:[0,0,1] neg_hi:[0,0,1]
	v_pk_fma_f32 v[4:5], v[12:13], v[4:5], v[26:27] op_sel_hi:[1,0,1]
	v_pk_mul_f32 v[12:13], v[14:15], v[28:29] op_sel:[1,0] op_sel_hi:[0,0]
	s_waitcnt vmcnt(2) lgkmcnt(1)
	v_pk_mul_f32 v[30:31], v[16:17], v[8:9] op_sel:[1,1] op_sel_hi:[0,1]
	v_mov_b32_e32 v32, v11
	v_mov_b32_e32 v37, v5
	v_pk_fma_f32 v[4:5], v[14:15], v[6:7], v[12:13] neg_lo:[0,0,1] neg_hi:[0,0,1]
	v_pk_fma_f32 v[6:7], v[14:15], v[6:7], v[12:13] op_sel_hi:[1,0,1]
	v_pk_fma_f32 v[26:27], v[16:17], v[8:9], v[30:31] neg_lo:[0,0,1] neg_hi:[0,0,1]
	v_pk_fma_f32 v[8:9], v[16:17], v[8:9], v[30:31] op_sel_hi:[1,0,1]
	v_pk_mul_f32 v[16:17], v[18:19], v[32:33] op_sel:[1,0] op_sel_hi:[0,0]
	v_pk_add_f32 v[12:13], v[36:37], 0 op_sel_hi:[1,0]
	v_mov_b32_e32 v5, v7
	s_waitcnt vmcnt(1) lgkmcnt(0)
	v_pk_mul_f32 v[34:35], v[24:25], v[20:21] op_sel:[1,1] op_sel_hi:[0,1]
	v_mov_b32_e32 v27, v9
	v_pk_fma_f32 v[8:9], v[18:19], v[10:11], v[16:17] neg_lo:[0,0,1] neg_hi:[0,0,1]
	v_pk_fma_f32 v[10:11], v[18:19], v[10:11], v[16:17] op_sel_hi:[1,0,1]
	v_pk_add_f32 v[4:5], v[12:13], v[4:5]
	v_pk_fma_f32 v[28:29], v[24:25], v[20:21], v[34:35] neg_lo:[0,0,1] neg_hi:[0,0,1]
	v_pk_fma_f32 v[20:21], v[24:25], v[20:21], v[34:35] op_sel_hi:[1,0,1]
	v_mov_b32_e32 v9, v11
	v_pk_add_f32 v[4:5], v[4:5], v[26:27]
	v_mov_b32_e32 v29, v21
	v_pk_add_f32 v[4:5], v[4:5], v[8:9]
	s_nop 0
	v_pk_add_f32 v[4:5], v[4:5], v[28:29]
	s_waitcnt vmcnt(0)
	v_pk_add_f32 v[4:5], v[22:23], v[4:5] neg_lo:[0,1] neg_hi:[0,1]
	scratch_store_dwordx2 off, v[4:5], off offset:216
	s_and_saveexec_b64 s[0:1], vcc
	s_cbranch_execz .LBB96_159
; %bb.158:
	scratch_load_dwordx2 v[4:5], off, off offset:208
	v_mov_b32_e32 v3, v2
	scratch_store_dwordx2 off, v[2:3], off offset:208
	s_waitcnt vmcnt(1)
	ds_write_b64 v1, v[4:5]
.LBB96_159:
	s_or_b64 exec, exec, s[0:1]
	s_waitcnt lgkmcnt(0)
	; wave barrier
	scratch_load_dwordx4 v[4:7], off, off offset:216
	scratch_load_dwordx4 v[8:11], off, off offset:232
	scratch_load_dwordx4 v[12:15], off, off offset:248
	scratch_load_dwordx2 v[28:29], off, off offset:208
	ds_read2_b64 v[16:19], v2 offset0:61 offset1:62
	ds_read2_b64 v[20:23], v2 offset0:63 offset1:64
	;; [unrolled: 1-line block ×3, first 2 shown]
	v_cmp_lt_u32_e32 vcc, 25, v0
	s_waitcnt vmcnt(3) lgkmcnt(2)
	v_pk_mul_f32 v[2:3], v[16:17], v[4:5] op_sel:[1,1] op_sel_hi:[0,1]
	v_mov_b32_e32 v30, v7
	s_waitcnt vmcnt(2) lgkmcnt(1)
	v_pk_mul_f32 v[32:33], v[20:21], v[8:9] op_sel:[1,1] op_sel_hi:[0,1]
	v_mov_b32_e32 v34, v11
	;; [unrolled: 3-line block ×3, first 2 shown]
	v_pk_fma_f32 v[40:41], v[16:17], v[4:5], v[2:3] neg_lo:[0,0,1] neg_hi:[0,0,1]
	v_pk_fma_f32 v[2:3], v[16:17], v[4:5], v[2:3] op_sel_hi:[1,0,1]
	v_pk_mul_f32 v[4:5], v[18:19], v[30:31] op_sel:[1,0] op_sel_hi:[0,0]
	v_pk_fma_f32 v[16:17], v[20:21], v[8:9], v[32:33] neg_lo:[0,0,1] neg_hi:[0,0,1]
	v_pk_fma_f32 v[8:9], v[20:21], v[8:9], v[32:33] op_sel_hi:[1,0,1]
	v_pk_mul_f32 v[20:21], v[22:23], v[34:35] op_sel:[1,0] op_sel_hi:[0,0]
	v_pk_fma_f32 v[30:31], v[24:25], v[12:13], v[36:37] neg_lo:[0,0,1] neg_hi:[0,0,1]
	v_pk_fma_f32 v[12:13], v[24:25], v[12:13], v[36:37] op_sel_hi:[1,0,1]
	v_pk_mul_f32 v[24:25], v[26:27], v[38:39] op_sel:[1,0] op_sel_hi:[0,0]
	v_mov_b32_e32 v41, v3
	v_pk_fma_f32 v[2:3], v[18:19], v[6:7], v[4:5] neg_lo:[0,0,1] neg_hi:[0,0,1]
	v_pk_fma_f32 v[4:5], v[18:19], v[6:7], v[4:5] op_sel_hi:[1,0,1]
	v_mov_b32_e32 v17, v9
	v_pk_fma_f32 v[6:7], v[22:23], v[10:11], v[20:21] neg_lo:[0,0,1] neg_hi:[0,0,1]
	v_pk_fma_f32 v[8:9], v[22:23], v[10:11], v[20:21] op_sel_hi:[1,0,1]
	;; [unrolled: 3-line block ×3, first 2 shown]
	v_pk_add_f32 v[14:15], v[40:41], 0 op_sel_hi:[1,0]
	v_mov_b32_e32 v3, v5
	v_pk_add_f32 v[2:3], v[14:15], v[2:3]
	v_mov_b32_e32 v7, v9
	v_pk_add_f32 v[2:3], v[2:3], v[16:17]
	;; [unrolled: 2-line block ×3, first 2 shown]
	s_nop 0
	v_pk_add_f32 v[2:3], v[2:3], v[30:31]
	s_nop 0
	v_pk_add_f32 v[2:3], v[2:3], v[10:11]
	s_waitcnt vmcnt(0)
	v_pk_add_f32 v[2:3], v[28:29], v[2:3] neg_lo:[0,1] neg_hi:[0,1]
	scratch_store_dwordx2 off, v[2:3], off offset:208
	s_and_saveexec_b64 s[0:1], vcc
	s_cbranch_execz .LBB96_161
; %bb.160:
	scratch_load_dwordx2 v[2:3], off, off offset:200
	v_mov_b32_e32 v4, 0
	v_mov_b32_e32 v5, v4
	scratch_store_dwordx2 off, v[4:5], off offset:200
	s_waitcnt vmcnt(1)
	ds_write_b64 v1, v[2:3]
.LBB96_161:
	s_or_b64 exec, exec, s[0:1]
	s_waitcnt lgkmcnt(0)
	; wave barrier
	scratch_load_dwordx4 v[4:7], off, off offset:208
	scratch_load_dwordx4 v[8:11], off, off offset:224
	;; [unrolled: 1-line block ×3, first 2 shown]
	scratch_load_dwordx2 v[28:29], off, off offset:256
	scratch_load_dwordx2 v[30:31], off, off offset:200
	v_mov_b32_e32 v2, 0
	ds_read_b128 v[16:19], v2 offset:480
	ds_read_b128 v[20:23], v2 offset:496
	;; [unrolled: 1-line block ×3, first 2 shown]
	ds_read_b64 v[32:33], v2 offset:528
	v_cmp_lt_u32_e32 vcc, 24, v0
	s_waitcnt vmcnt(4) lgkmcnt(3)
	v_pk_mul_f32 v[34:35], v[16:17], v[4:5] op_sel:[1,1] op_sel_hi:[0,1]
	v_mov_b32_e32 v36, v7
	v_pk_fma_f32 v[48:49], v[16:17], v[4:5], v[34:35] neg_lo:[0,0,1] neg_hi:[0,0,1]
	v_pk_fma_f32 v[4:5], v[16:17], v[4:5], v[34:35] op_sel_hi:[1,0,1]
	v_pk_mul_f32 v[16:17], v[18:19], v[36:37] op_sel:[1,0] op_sel_hi:[0,0]
	s_waitcnt vmcnt(3) lgkmcnt(2)
	v_pk_mul_f32 v[38:39], v[20:21], v[8:9] op_sel:[1,1] op_sel_hi:[0,1]
	v_mov_b32_e32 v40, v11
	v_mov_b32_e32 v49, v5
	v_pk_fma_f32 v[4:5], v[18:19], v[6:7], v[16:17] neg_lo:[0,0,1] neg_hi:[0,0,1]
	v_pk_fma_f32 v[6:7], v[18:19], v[6:7], v[16:17] op_sel_hi:[1,0,1]
	v_pk_fma_f32 v[34:35], v[20:21], v[8:9], v[38:39] neg_lo:[0,0,1] neg_hi:[0,0,1]
	v_pk_fma_f32 v[8:9], v[20:21], v[8:9], v[38:39] op_sel_hi:[1,0,1]
	v_pk_mul_f32 v[20:21], v[22:23], v[40:41] op_sel:[1,0] op_sel_hi:[0,0]
	v_pk_add_f32 v[16:17], v[48:49], 0 op_sel_hi:[1,0]
	v_mov_b32_e32 v5, v7
	s_waitcnt vmcnt(2) lgkmcnt(1)
	v_pk_mul_f32 v[42:43], v[24:25], v[12:13] op_sel:[1,1] op_sel_hi:[0,1]
	v_mov_b32_e32 v44, v15
	v_mov_b32_e32 v35, v9
	v_pk_fma_f32 v[8:9], v[22:23], v[10:11], v[20:21] neg_lo:[0,0,1] neg_hi:[0,0,1]
	v_pk_fma_f32 v[10:11], v[22:23], v[10:11], v[20:21] op_sel_hi:[1,0,1]
	v_pk_add_f32 v[4:5], v[16:17], v[4:5]
	v_pk_fma_f32 v[36:37], v[24:25], v[12:13], v[42:43] neg_lo:[0,0,1] neg_hi:[0,0,1]
	v_pk_fma_f32 v[12:13], v[24:25], v[12:13], v[42:43] op_sel_hi:[1,0,1]
	v_pk_mul_f32 v[24:25], v[26:27], v[44:45] op_sel:[1,0] op_sel_hi:[0,0]
	v_mov_b32_e32 v9, v11
	v_pk_add_f32 v[4:5], v[4:5], v[34:35]
	s_waitcnt vmcnt(1) lgkmcnt(0)
	v_pk_mul_f32 v[46:47], v[32:33], v[28:29] op_sel:[1,1] op_sel_hi:[0,1]
	v_mov_b32_e32 v37, v13
	v_pk_fma_f32 v[12:13], v[26:27], v[14:15], v[24:25] neg_lo:[0,0,1] neg_hi:[0,0,1]
	v_pk_fma_f32 v[14:15], v[26:27], v[14:15], v[24:25] op_sel_hi:[1,0,1]
	v_pk_add_f32 v[4:5], v[4:5], v[8:9]
	v_pk_fma_f32 v[38:39], v[32:33], v[28:29], v[46:47] neg_lo:[0,0,1] neg_hi:[0,0,1]
	v_pk_fma_f32 v[28:29], v[32:33], v[28:29], v[46:47] op_sel_hi:[1,0,1]
	v_mov_b32_e32 v13, v15
	v_pk_add_f32 v[4:5], v[4:5], v[36:37]
	v_mov_b32_e32 v39, v29
	v_pk_add_f32 v[4:5], v[4:5], v[12:13]
	s_nop 0
	v_pk_add_f32 v[4:5], v[4:5], v[38:39]
	s_waitcnt vmcnt(0)
	v_pk_add_f32 v[4:5], v[30:31], v[4:5] neg_lo:[0,1] neg_hi:[0,1]
	scratch_store_dwordx2 off, v[4:5], off offset:200
	s_and_saveexec_b64 s[0:1], vcc
	s_cbranch_execz .LBB96_163
; %bb.162:
	scratch_load_dwordx2 v[4:5], off, off offset:192
	v_mov_b32_e32 v3, v2
	scratch_store_dwordx2 off, v[2:3], off offset:192
	s_waitcnt vmcnt(1)
	ds_write_b64 v1, v[4:5]
.LBB96_163:
	s_or_b64 exec, exec, s[0:1]
	s_waitcnt lgkmcnt(0)
	; wave barrier
	scratch_load_dwordx4 v[4:7], off, off offset:200
	scratch_load_dwordx4 v[8:11], off, off offset:216
	scratch_load_dwordx4 v[12:15], off, off offset:232
	scratch_load_dwordx4 v[16:19], off, off offset:248
	scratch_load_dwordx2 v[36:37], off, off offset:192
	ds_read2_b64 v[20:23], v2 offset0:59 offset1:60
	ds_read2_b64 v[24:27], v2 offset0:61 offset1:62
	;; [unrolled: 1-line block ×4, first 2 shown]
	v_cmp_lt_u32_e32 vcc, 23, v0
	s_waitcnt vmcnt(4) lgkmcnt(3)
	v_pk_mul_f32 v[2:3], v[20:21], v[4:5] op_sel:[1,1] op_sel_hi:[0,1]
	v_mov_b32_e32 v38, v7
	s_waitcnt vmcnt(3) lgkmcnt(2)
	v_pk_mul_f32 v[40:41], v[24:25], v[8:9] op_sel:[1,1] op_sel_hi:[0,1]
	v_mov_b32_e32 v42, v11
	;; [unrolled: 3-line block ×4, first 2 shown]
	v_pk_fma_f32 v[52:53], v[20:21], v[4:5], v[2:3] neg_lo:[0,0,1] neg_hi:[0,0,1]
	v_pk_fma_f32 v[2:3], v[20:21], v[4:5], v[2:3] op_sel_hi:[1,0,1]
	v_pk_mul_f32 v[4:5], v[22:23], v[38:39] op_sel:[1,0] op_sel_hi:[0,0]
	v_pk_fma_f32 v[20:21], v[24:25], v[8:9], v[40:41] neg_lo:[0,0,1] neg_hi:[0,0,1]
	v_pk_fma_f32 v[8:9], v[24:25], v[8:9], v[40:41] op_sel_hi:[1,0,1]
	v_pk_mul_f32 v[24:25], v[26:27], v[42:43] op_sel:[1,0] op_sel_hi:[0,0]
	;; [unrolled: 3-line block ×4, first 2 shown]
	v_mov_b32_e32 v53, v3
	v_pk_fma_f32 v[2:3], v[22:23], v[6:7], v[4:5] neg_lo:[0,0,1] neg_hi:[0,0,1]
	v_pk_fma_f32 v[4:5], v[22:23], v[6:7], v[4:5] op_sel_hi:[1,0,1]
	v_mov_b32_e32 v21, v9
	v_pk_fma_f32 v[6:7], v[26:27], v[10:11], v[24:25] neg_lo:[0,0,1] neg_hi:[0,0,1]
	v_pk_fma_f32 v[8:9], v[26:27], v[10:11], v[24:25] op_sel_hi:[1,0,1]
	v_mov_b32_e32 v39, v13
	v_pk_fma_f32 v[10:11], v[30:31], v[14:15], v[28:29] neg_lo:[0,0,1] neg_hi:[0,0,1]
	v_pk_fma_f32 v[12:13], v[30:31], v[14:15], v[28:29] op_sel_hi:[1,0,1]
	v_mov_b32_e32 v41, v17
	v_pk_fma_f32 v[14:15], v[34:35], v[18:19], v[32:33] neg_lo:[0,0,1] neg_hi:[0,0,1]
	v_pk_fma_f32 v[16:17], v[34:35], v[18:19], v[32:33] op_sel_hi:[1,0,1]
	v_pk_add_f32 v[18:19], v[52:53], 0 op_sel_hi:[1,0]
	v_mov_b32_e32 v3, v5
	v_pk_add_f32 v[2:3], v[18:19], v[2:3]
	v_mov_b32_e32 v7, v9
	v_pk_add_f32 v[2:3], v[2:3], v[20:21]
	;; [unrolled: 2-line block ×4, first 2 shown]
	s_nop 0
	v_pk_add_f32 v[2:3], v[2:3], v[10:11]
	s_nop 0
	v_pk_add_f32 v[2:3], v[2:3], v[40:41]
	;; [unrolled: 2-line block ×3, first 2 shown]
	s_waitcnt vmcnt(0)
	v_pk_add_f32 v[2:3], v[36:37], v[2:3] neg_lo:[0,1] neg_hi:[0,1]
	scratch_store_dwordx2 off, v[2:3], off offset:192
	s_and_saveexec_b64 s[0:1], vcc
	s_cbranch_execz .LBB96_165
; %bb.164:
	scratch_load_dwordx2 v[2:3], off, off offset:184
	v_mov_b32_e32 v4, 0
	v_mov_b32_e32 v5, v4
	scratch_store_dwordx2 off, v[4:5], off offset:184
	s_waitcnt vmcnt(1)
	ds_write_b64 v1, v[2:3]
.LBB96_165:
	s_or_b64 exec, exec, s[0:1]
	s_waitcnt lgkmcnt(0)
	; wave barrier
	scratch_load_dwordx4 v[4:7], off, off offset:192
	scratch_load_dwordx4 v[8:11], off, off offset:208
	;; [unrolled: 1-line block ×4, first 2 shown]
	scratch_load_dwordx2 v[36:37], off, off offset:256
	scratch_load_dwordx2 v[38:39], off, off offset:184
	v_mov_b32_e32 v2, 0
	ds_read_b128 v[20:23], v2 offset:464
	ds_read_b128 v[24:27], v2 offset:480
	;; [unrolled: 1-line block ×4, first 2 shown]
	ds_read_b64 v[40:41], v2 offset:528
	v_cmp_lt_u32_e32 vcc, 22, v0
	s_waitcnt vmcnt(5) lgkmcnt(4)
	v_mul_f32_e32 v43, v20, v5
	v_mul_f32_e32 v3, v21, v5
	v_mov_b32_e32 v44, v7
	s_waitcnt vmcnt(4) lgkmcnt(3)
	v_pk_mul_f32 v[46:47], v[24:25], v[8:9] op_sel:[1,1] op_sel_hi:[0,1]
	v_mov_b32_e32 v48, v11
	s_waitcnt vmcnt(1) lgkmcnt(0)
	v_pk_mul_f32 v[58:59], v[40:41], v[36:37] op_sel:[1,1] op_sel_hi:[0,1]
	v_fmac_f32_e32 v43, v21, v4
	v_fma_f32 v42, v20, v4, -v3
	v_pk_mul_f32 v[4:5], v[22:23], v[44:45] op_sel:[1,0] op_sel_hi:[0,0]
	v_pk_fma_f32 v[20:21], v[24:25], v[8:9], v[46:47] neg_lo:[0,0,1] neg_hi:[0,0,1]
	v_pk_fma_f32 v[8:9], v[24:25], v[8:9], v[46:47] op_sel_hi:[1,0,1]
	v_pk_mul_f32 v[24:25], v[26:27], v[48:49] op_sel:[1,0] op_sel_hi:[0,0]
	v_pk_fma_f32 v[48:49], v[40:41], v[36:37], v[58:59] neg_lo:[0,0,1] neg_hi:[0,0,1]
	v_pk_fma_f32 v[36:37], v[40:41], v[36:37], v[58:59] op_sel_hi:[1,0,1]
	v_pk_add_f32 v[40:41], v[42:43], 0 op_sel_hi:[1,0]
	v_pk_fma_f32 v[42:43], v[22:23], v[6:7], v[4:5] neg_lo:[0,0,1] neg_hi:[0,0,1]
	v_pk_fma_f32 v[4:5], v[22:23], v[6:7], v[4:5] op_sel_hi:[1,0,1]
	v_pk_mul_f32 v[50:51], v[28:29], v[12:13] op_sel:[1,1] op_sel_hi:[0,1]
	v_mov_b32_e32 v43, v5
	v_mov_b32_e32 v52, v15
	v_mov_b32_e32 v21, v9
	v_pk_fma_f32 v[6:7], v[26:27], v[10:11], v[24:25] neg_lo:[0,0,1] neg_hi:[0,0,1]
	v_pk_fma_f32 v[8:9], v[26:27], v[10:11], v[24:25] op_sel_hi:[1,0,1]
	v_pk_add_f32 v[4:5], v[40:41], v[42:43]
	v_pk_fma_f32 v[44:45], v[28:29], v[12:13], v[50:51] neg_lo:[0,0,1] neg_hi:[0,0,1]
	v_pk_fma_f32 v[12:13], v[28:29], v[12:13], v[50:51] op_sel_hi:[1,0,1]
	v_pk_mul_f32 v[28:29], v[30:31], v[52:53] op_sel:[1,0] op_sel_hi:[0,0]
	v_mov_b32_e32 v7, v9
	v_pk_add_f32 v[4:5], v[4:5], v[20:21]
	v_pk_mul_f32 v[54:55], v[32:33], v[16:17] op_sel:[1,1] op_sel_hi:[0,1]
	v_mov_b32_e32 v56, v19
	v_mov_b32_e32 v45, v13
	v_pk_fma_f32 v[10:11], v[30:31], v[14:15], v[28:29] neg_lo:[0,0,1] neg_hi:[0,0,1]
	v_pk_fma_f32 v[12:13], v[30:31], v[14:15], v[28:29] op_sel_hi:[1,0,1]
	v_pk_add_f32 v[4:5], v[4:5], v[6:7]
	v_pk_fma_f32 v[46:47], v[32:33], v[16:17], v[54:55] neg_lo:[0,0,1] neg_hi:[0,0,1]
	v_pk_fma_f32 v[16:17], v[32:33], v[16:17], v[54:55] op_sel_hi:[1,0,1]
	v_pk_mul_f32 v[32:33], v[34:35], v[56:57] op_sel:[1,0] op_sel_hi:[0,0]
	v_mov_b32_e32 v11, v13
	v_pk_add_f32 v[4:5], v[4:5], v[44:45]
	v_mov_b32_e32 v47, v17
	v_pk_fma_f32 v[14:15], v[34:35], v[18:19], v[32:33] neg_lo:[0,0,1] neg_hi:[0,0,1]
	v_pk_fma_f32 v[16:17], v[34:35], v[18:19], v[32:33] op_sel_hi:[1,0,1]
	v_pk_add_f32 v[4:5], v[4:5], v[10:11]
	v_mov_b32_e32 v15, v17
	v_pk_add_f32 v[4:5], v[4:5], v[46:47]
	v_mov_b32_e32 v49, v37
	v_pk_add_f32 v[4:5], v[4:5], v[14:15]
	s_nop 0
	v_pk_add_f32 v[4:5], v[4:5], v[48:49]
	s_waitcnt vmcnt(0)
	v_pk_add_f32 v[4:5], v[38:39], v[4:5] neg_lo:[0,1] neg_hi:[0,1]
	scratch_store_dwordx2 off, v[4:5], off offset:184
	s_and_saveexec_b64 s[0:1], vcc
	s_cbranch_execz .LBB96_167
; %bb.166:
	scratch_load_dwordx2 v[4:5], off, off offset:176
	v_mov_b32_e32 v3, v2
	scratch_store_dwordx2 off, v[2:3], off offset:176
	s_waitcnt vmcnt(1)
	ds_write_b64 v1, v[4:5]
.LBB96_167:
	s_or_b64 exec, exec, s[0:1]
	s_waitcnt lgkmcnt(0)
	; wave barrier
	scratch_load_dwordx4 v[4:7], off, off offset:184
	scratch_load_dwordx4 v[8:11], off, off offset:200
	;; [unrolled: 1-line block ×5, first 2 shown]
	scratch_load_dwordx2 v[44:45], off, off offset:176
	ds_read2_b64 v[24:27], v2 offset0:57 offset1:58
	ds_read2_b64 v[28:31], v2 offset0:59 offset1:60
	;; [unrolled: 1-line block ×5, first 2 shown]
	v_cmp_lt_u32_e32 vcc, 21, v0
	s_waitcnt vmcnt(5) lgkmcnt(4)
	v_mul_f32_e32 v3, v24, v5
	v_mul_f32_e32 v2, v25, v5
	;; [unrolled: 1-line block ×4, first 2 shown]
	s_waitcnt vmcnt(4) lgkmcnt(3)
	v_pk_mul_f32 v[48:49], v[28:29], v[8:9] op_sel:[1,1] op_sel_hi:[0,1]
	v_mov_b32_e32 v50, v11
	v_fmac_f32_e32 v3, v25, v4
	v_fma_f32 v2, v24, v4, -v2
	v_fmac_f32_e32 v47, v27, v6
	v_fma_f32 v46, v26, v6, -v5
	v_pk_fma_f32 v[4:5], v[28:29], v[8:9], v[48:49] neg_lo:[0,0,1] neg_hi:[0,0,1]
	v_pk_fma_f32 v[6:7], v[28:29], v[8:9], v[48:49] op_sel_hi:[1,0,1]
	v_pk_mul_f32 v[8:9], v[30:31], v[50:51] op_sel:[1,0] op_sel_hi:[0,0]
	v_pk_add_f32 v[2:3], v[2:3], 0 op_sel_hi:[1,0]
	s_waitcnt vmcnt(3) lgkmcnt(2)
	v_pk_mul_f32 v[52:53], v[32:33], v[12:13] op_sel:[1,1] op_sel_hi:[0,1]
	v_mov_b32_e32 v54, v15
	v_mov_b32_e32 v5, v7
	v_pk_fma_f32 v[6:7], v[30:31], v[10:11], v[8:9] neg_lo:[0,0,1] neg_hi:[0,0,1]
	v_pk_fma_f32 v[8:9], v[30:31], v[10:11], v[8:9] op_sel_hi:[1,0,1]
	v_pk_add_f32 v[2:3], v[2:3], v[46:47]
	v_pk_fma_f32 v[24:25], v[32:33], v[12:13], v[52:53] neg_lo:[0,0,1] neg_hi:[0,0,1]
	v_pk_fma_f32 v[12:13], v[32:33], v[12:13], v[52:53] op_sel_hi:[1,0,1]
	v_pk_mul_f32 v[26:27], v[34:35], v[54:55] op_sel:[1,0] op_sel_hi:[0,0]
	v_mov_b32_e32 v7, v9
	v_pk_add_f32 v[2:3], v[2:3], v[4:5]
	s_waitcnt vmcnt(2) lgkmcnt(1)
	v_pk_mul_f32 v[56:57], v[36:37], v[16:17] op_sel:[1,1] op_sel_hi:[0,1]
	v_mov_b32_e32 v58, v19
	v_mov_b32_e32 v25, v13
	v_pk_fma_f32 v[10:11], v[34:35], v[14:15], v[26:27] neg_lo:[0,0,1] neg_hi:[0,0,1]
	v_pk_fma_f32 v[12:13], v[34:35], v[14:15], v[26:27] op_sel_hi:[1,0,1]
	v_pk_add_f32 v[2:3], v[2:3], v[6:7]
	v_pk_fma_f32 v[28:29], v[36:37], v[16:17], v[56:57] neg_lo:[0,0,1] neg_hi:[0,0,1]
	v_pk_fma_f32 v[16:17], v[36:37], v[16:17], v[56:57] op_sel_hi:[1,0,1]
	v_pk_mul_f32 v[32:33], v[38:39], v[58:59] op_sel:[1,0] op_sel_hi:[0,0]
	v_mov_b32_e32 v11, v13
	v_pk_add_f32 v[2:3], v[2:3], v[24:25]
	;; [unrolled: 12-line block ×3, first 2 shown]
	v_mov_b32_e32 v37, v21
	v_pk_fma_f32 v[18:19], v[42:43], v[22:23], v[40:41] neg_lo:[0,0,1] neg_hi:[0,0,1]
	v_pk_fma_f32 v[20:21], v[42:43], v[22:23], v[40:41] op_sel_hi:[1,0,1]
	v_pk_add_f32 v[2:3], v[2:3], v[14:15]
	v_mov_b32_e32 v19, v21
	v_pk_add_f32 v[2:3], v[2:3], v[36:37]
	s_nop 0
	v_pk_add_f32 v[2:3], v[2:3], v[18:19]
	s_waitcnt vmcnt(0)
	v_pk_add_f32 v[2:3], v[44:45], v[2:3] neg_lo:[0,1] neg_hi:[0,1]
	scratch_store_dwordx2 off, v[2:3], off offset:176
	s_and_saveexec_b64 s[0:1], vcc
	s_cbranch_execz .LBB96_169
; %bb.168:
	scratch_load_dwordx2 v[2:3], off, off offset:168
	v_mov_b32_e32 v4, 0
	v_mov_b32_e32 v5, v4
	scratch_store_dwordx2 off, v[4:5], off offset:168
	s_waitcnt vmcnt(1)
	ds_write_b64 v1, v[2:3]
.LBB96_169:
	s_or_b64 exec, exec, s[0:1]
	v_mov_b32_e32 v2, 0
	s_waitcnt lgkmcnt(0)
	; wave barrier
	ds_read_b128 v[4:7], v2 offset:448
	ds_read_b128 v[8:11], v2 offset:464
	;; [unrolled: 1-line block ×4, first 2 shown]
	scratch_load_dwordx4 v[20:23], off, off offset:176
	scratch_load_dwordx4 v[24:27], off, off offset:192
	;; [unrolled: 1-line block ×5, first 2 shown]
	scratch_load_dwordx2 v[46:47], off, off offset:256
	v_cmp_lt_u32_e32 vcc, 20, v0
	s_waitcnt vmcnt(5) lgkmcnt(3)
	v_mul_f32_e32 v3, v4, v21
	v_fmac_f32_e32 v3, v5, v20
	v_add_f32_e32 v41, 0, v3
	v_mul_f32_e32 v3, v5, v21
	v_fma_f32 v3, v4, v20, -v3
	v_mul_f32_e32 v43, v6, v23
	v_add_f32_e32 v40, 0, v3
	v_mul_f32_e32 v3, v7, v23
	v_fmac_f32_e32 v43, v7, v22
	v_fma_f32 v42, v6, v22, -v3
	s_waitcnt vmcnt(4)
	v_mov_b32_e32 v22, v27
	s_waitcnt lgkmcnt(2)
	v_mul_f32_e32 v45, v8, v25
	v_mul_f32_e32 v3, v9, v25
	v_pk_mul_f32 v[22:23], v[10:11], v[22:23] op_sel:[1,0] op_sel_hi:[0,0]
	v_fmac_f32_e32 v45, v9, v24
	v_fma_f32 v44, v8, v24, -v3
	v_pk_add_f32 v[20:21], v[40:41], v[42:43]
	v_pk_fma_f32 v[24:25], v[10:11], v[26:27], v[22:23] neg_lo:[0,0,1] neg_hi:[0,0,1]
	v_pk_fma_f32 v[10:11], v[10:11], v[26:27], v[22:23] op_sel_hi:[1,0,1]
	v_pk_add_f32 v[20:21], v[20:21], v[44:45]
	v_mov_b32_e32 v25, v11
	v_pk_add_f32 v[10:11], v[20:21], v[24:25]
	s_waitcnt vmcnt(3) lgkmcnt(1)
	v_pk_mul_f32 v[20:21], v[12:13], v[28:29] op_sel:[1,1] op_sel_hi:[0,1]
	v_pk_fma_f32 v[22:23], v[12:13], v[28:29], v[20:21] neg_lo:[0,0,1] neg_hi:[0,0,1]
	v_pk_fma_f32 v[12:13], v[12:13], v[28:29], v[20:21] op_sel_hi:[1,0,1]
	ds_read_b128 v[4:7], v2 offset:512
	ds_read_b64 v[8:9], v2 offset:528
	v_mov_b32_e32 v12, v31
	v_mov_b32_e32 v23, v13
	v_pk_mul_f32 v[12:13], v[14:15], v[12:13] op_sel:[1,0] op_sel_hi:[0,0]
	v_pk_fma_f32 v[20:21], v[14:15], v[30:31], v[12:13] neg_lo:[0,0,1] neg_hi:[0,0,1]
	v_pk_fma_f32 v[12:13], v[14:15], v[30:31], v[12:13] op_sel_hi:[1,0,1]
	v_pk_add_f32 v[10:11], v[10:11], v[22:23]
	v_mov_b32_e32 v21, v13
	s_waitcnt vmcnt(2) lgkmcnt(2)
	v_pk_mul_f32 v[12:13], v[16:17], v[32:33] op_sel:[1,1] op_sel_hi:[0,1]
	v_pk_fma_f32 v[14:15], v[16:17], v[32:33], v[12:13] neg_lo:[0,0,1] neg_hi:[0,0,1]
	v_pk_fma_f32 v[12:13], v[16:17], v[32:33], v[12:13] op_sel_hi:[1,0,1]
	v_pk_add_f32 v[10:11], v[10:11], v[20:21]
	v_mov_b32_e32 v12, v35
	v_mov_b32_e32 v15, v13
	v_pk_mul_f32 v[12:13], v[18:19], v[12:13] op_sel:[1,0] op_sel_hi:[0,0]
	v_pk_add_f32 v[10:11], v[10:11], v[14:15]
	v_pk_fma_f32 v[14:15], v[18:19], v[34:35], v[12:13] neg_lo:[0,0,1] neg_hi:[0,0,1]
	v_pk_fma_f32 v[12:13], v[18:19], v[34:35], v[12:13] op_sel_hi:[1,0,1]
	s_nop 0
	v_mov_b32_e32 v15, v13
	s_waitcnt vmcnt(1) lgkmcnt(1)
	v_pk_mul_f32 v[12:13], v[4:5], v[36:37] op_sel:[1,1] op_sel_hi:[0,1]
	v_pk_add_f32 v[10:11], v[10:11], v[14:15]
	v_pk_fma_f32 v[14:15], v[4:5], v[36:37], v[12:13] neg_lo:[0,0,1] neg_hi:[0,0,1]
	v_pk_fma_f32 v[4:5], v[4:5], v[36:37], v[12:13] op_sel_hi:[1,0,1]
	s_nop 0
	v_mov_b32_e32 v15, v5
	v_pk_add_f32 v[4:5], v[10:11], v[14:15]
	v_mov_b32_e32 v10, v39
	v_pk_mul_f32 v[10:11], v[6:7], v[10:11] op_sel:[1,0] op_sel_hi:[0,0]
	v_pk_fma_f32 v[12:13], v[6:7], v[38:39], v[10:11] neg_lo:[0,0,1] neg_hi:[0,0,1]
	v_pk_fma_f32 v[6:7], v[6:7], v[38:39], v[10:11] op_sel_hi:[1,0,1]
	s_nop 0
	v_mov_b32_e32 v13, v7
	s_waitcnt vmcnt(0) lgkmcnt(0)
	v_pk_mul_f32 v[6:7], v[8:9], v[46:47] op_sel:[1,1] op_sel_hi:[0,1]
	v_pk_fma_f32 v[10:11], v[8:9], v[46:47], v[6:7] neg_lo:[0,0,1] neg_hi:[0,0,1]
	v_pk_fma_f32 v[6:7], v[8:9], v[46:47], v[6:7] op_sel_hi:[1,0,1]
	v_pk_add_f32 v[4:5], v[4:5], v[12:13]
	v_mov_b32_e32 v11, v7
	scratch_load_dwordx2 v[6:7], off, off offset:168
	v_pk_add_f32 v[4:5], v[4:5], v[10:11]
	s_waitcnt vmcnt(0)
	v_pk_add_f32 v[4:5], v[6:7], v[4:5] neg_lo:[0,1] neg_hi:[0,1]
	scratch_store_dwordx2 off, v[4:5], off offset:168
	s_and_saveexec_b64 s[0:1], vcc
	s_cbranch_execz .LBB96_171
; %bb.170:
	scratch_load_dwordx2 v[4:5], off, off offset:160
	v_mov_b32_e32 v3, v2
	scratch_store_dwordx2 off, v[2:3], off offset:160
	s_waitcnt vmcnt(1)
	ds_write_b64 v1, v[4:5]
.LBB96_171:
	s_or_b64 exec, exec, s[0:1]
	s_waitcnt lgkmcnt(0)
	; wave barrier
	scratch_load_dwordx4 v[8:11], off, off offset:168
	scratch_load_dwordx4 v[16:19], off, off offset:184
	ds_read2_b64 v[4:7], v2 offset0:55 offset1:56
	v_cmp_lt_u32_e32 vcc, 19, v0
	s_waitcnt vmcnt(1) lgkmcnt(0)
	v_mul_f32_e32 v3, v4, v9
	v_fmac_f32_e32 v3, v5, v8
	v_mul_f32_e32 v12, v6, v11
	v_add_f32_e32 v3, 0, v3
	v_fmac_f32_e32 v12, v7, v10
	v_add_f32_e32 v37, v3, v12
	ds_read2_b64 v[12:15], v2 offset0:57 offset1:58
	scratch_load_dwordx4 v[20:23], off, off offset:200
	scratch_load_dwordx4 v[24:27], off, off offset:216
	;; [unrolled: 1-line block ×4, first 2 shown]
	v_mul_f32_e32 v3, v5, v9
	v_fma_f32 v3, v4, v8, -v3
	v_mul_f32_e32 v4, v7, v11
	v_add_f32_e32 v3, 0, v3
	v_fma_f32 v4, v6, v10, -v4
	v_add_f32_e32 v36, v3, v4
	s_waitcnt vmcnt(4) lgkmcnt(0)
	v_mul_f32_e32 v3, v13, v17
	v_mul_f32_e32 v39, v12, v17
	;; [unrolled: 1-line block ×3, first 2 shown]
	v_fma_f32 v38, v12, v16, -v3
	v_mul_f32_e32 v3, v15, v19
	v_fmac_f32_e32 v39, v13, v16
	v_fmac_f32_e32 v41, v15, v18
	v_fma_f32 v40, v14, v18, -v3
	ds_read2_b64 v[4:7], v2 offset0:59 offset1:60
	ds_read2_b64 v[8:11], v2 offset0:61 offset1:62
	;; [unrolled: 1-line block ×4, first 2 shown]
	v_pk_add_f32 v[2:3], v[36:37], v[38:39]
	s_waitcnt vmcnt(3) lgkmcnt(3)
	v_pk_mul_f32 v[36:37], v[4:5], v[20:21] op_sel:[1,1] op_sel_hi:[0,1]
	v_pk_fma_f32 v[38:39], v[4:5], v[20:21], v[36:37] neg_lo:[0,0,1] neg_hi:[0,0,1]
	v_pk_fma_f32 v[4:5], v[4:5], v[20:21], v[36:37] op_sel_hi:[1,0,1]
	v_pk_add_f32 v[2:3], v[2:3], v[40:41]
	v_mov_b32_e32 v4, v23
	v_mov_b32_e32 v39, v5
	v_pk_mul_f32 v[4:5], v[6:7], v[4:5] op_sel:[1,0] op_sel_hi:[0,0]
	v_pk_fma_f32 v[20:21], v[6:7], v[22:23], v[4:5] neg_lo:[0,0,1] neg_hi:[0,0,1]
	v_pk_fma_f32 v[4:5], v[6:7], v[22:23], v[4:5] op_sel_hi:[1,0,1]
	v_pk_add_f32 v[2:3], v[2:3], v[38:39]
	v_mov_b32_e32 v21, v5
	s_waitcnt vmcnt(2) lgkmcnt(2)
	v_pk_mul_f32 v[4:5], v[8:9], v[24:25] op_sel:[1,1] op_sel_hi:[0,1]
	v_pk_fma_f32 v[6:7], v[8:9], v[24:25], v[4:5] neg_lo:[0,0,1] neg_hi:[0,0,1]
	v_pk_fma_f32 v[4:5], v[8:9], v[24:25], v[4:5] op_sel_hi:[1,0,1]
	v_pk_add_f32 v[2:3], v[2:3], v[20:21]
	v_mov_b32_e32 v4, v27
	v_mov_b32_e32 v7, v5
	v_pk_mul_f32 v[4:5], v[10:11], v[4:5] op_sel:[1,0] op_sel_hi:[0,0]
	v_pk_add_f32 v[2:3], v[2:3], v[6:7]
	v_pk_fma_f32 v[6:7], v[10:11], v[26:27], v[4:5] neg_lo:[0,0,1] neg_hi:[0,0,1]
	v_pk_fma_f32 v[4:5], v[10:11], v[26:27], v[4:5] op_sel_hi:[1,0,1]
	s_nop 0
	v_mov_b32_e32 v7, v5
	s_waitcnt vmcnt(1) lgkmcnt(1)
	v_pk_mul_f32 v[4:5], v[12:13], v[28:29] op_sel:[1,1] op_sel_hi:[0,1]
	v_pk_add_f32 v[2:3], v[2:3], v[6:7]
	v_pk_fma_f32 v[6:7], v[12:13], v[28:29], v[4:5] neg_lo:[0,0,1] neg_hi:[0,0,1]
	v_pk_fma_f32 v[4:5], v[12:13], v[28:29], v[4:5] op_sel_hi:[1,0,1]
	s_nop 0
	v_mov_b32_e32 v4, v31
	v_mov_b32_e32 v7, v5
	v_pk_mul_f32 v[4:5], v[14:15], v[4:5] op_sel:[1,0] op_sel_hi:[0,0]
	v_pk_add_f32 v[2:3], v[2:3], v[6:7]
	v_pk_fma_f32 v[6:7], v[14:15], v[30:31], v[4:5] neg_lo:[0,0,1] neg_hi:[0,0,1]
	v_pk_fma_f32 v[4:5], v[14:15], v[30:31], v[4:5] op_sel_hi:[1,0,1]
	s_nop 0
	v_mov_b32_e32 v7, v5
	s_waitcnt vmcnt(0) lgkmcnt(0)
	v_pk_mul_f32 v[4:5], v[16:17], v[32:33] op_sel:[1,1] op_sel_hi:[0,1]
	v_pk_add_f32 v[2:3], v[2:3], v[6:7]
	v_pk_fma_f32 v[6:7], v[16:17], v[32:33], v[4:5] neg_lo:[0,0,1] neg_hi:[0,0,1]
	v_pk_fma_f32 v[4:5], v[16:17], v[32:33], v[4:5] op_sel_hi:[1,0,1]
	s_nop 0
	v_mov_b32_e32 v4, v35
	v_mov_b32_e32 v7, v5
	v_pk_mul_f32 v[4:5], v[18:19], v[4:5] op_sel:[1,0] op_sel_hi:[0,0]
	v_pk_add_f32 v[2:3], v[2:3], v[6:7]
	v_pk_fma_f32 v[6:7], v[18:19], v[34:35], v[4:5] neg_lo:[0,0,1] neg_hi:[0,0,1]
	v_pk_fma_f32 v[4:5], v[18:19], v[34:35], v[4:5] op_sel_hi:[1,0,1]
	s_nop 0
	v_mov_b32_e32 v7, v5
	scratch_load_dwordx2 v[4:5], off, off offset:160
	v_pk_add_f32 v[2:3], v[2:3], v[6:7]
	s_waitcnt vmcnt(0)
	v_pk_add_f32 v[2:3], v[4:5], v[2:3] neg_lo:[0,1] neg_hi:[0,1]
	scratch_store_dwordx2 off, v[2:3], off offset:160
	s_and_saveexec_b64 s[0:1], vcc
	s_cbranch_execz .LBB96_173
; %bb.172:
	scratch_load_dwordx2 v[2:3], off, off offset:152
	v_mov_b32_e32 v4, 0
	v_mov_b32_e32 v5, v4
	scratch_store_dwordx2 off, v[4:5], off offset:152
	s_waitcnt vmcnt(1)
	ds_write_b64 v1, v[2:3]
.LBB96_173:
	s_or_b64 exec, exec, s[0:1]
	v_mov_b32_e32 v2, 0
	s_waitcnt lgkmcnt(0)
	; wave barrier
	ds_read_b128 v[4:7], v2 offset:432
	ds_read_b128 v[8:11], v2 offset:448
	;; [unrolled: 1-line block ×4, first 2 shown]
	scratch_load_dwordx4 v[20:23], off, off offset:160
	v_cmp_lt_u32_e32 vcc, 18, v0
	s_waitcnt vmcnt(0) lgkmcnt(3)
	v_mul_f32_e32 v3, v4, v21
	v_fmac_f32_e32 v3, v5, v20
	v_mul_f32_e32 v24, v6, v23
	v_add_f32_e32 v3, 0, v3
	v_fmac_f32_e32 v24, v7, v22
	v_add_f32_e32 v3, v3, v24
	scratch_load_dwordx4 v[24:27], off, off offset:176
	s_waitcnt vmcnt(0) lgkmcnt(2)
	v_mul_f32_e32 v28, v8, v25
	v_fmac_f32_e32 v28, v9, v24
	v_add_f32_e32 v45, v3, v28
	scratch_load_dwordx4 v[28:31], off, off offset:192
	scratch_load_dwordx4 v[32:35], off, off offset:208
	;; [unrolled: 1-line block ×4, first 2 shown]
	scratch_load_dwordx2 v[50:51], off, off offset:256
	v_mul_f32_e32 v3, v5, v21
	v_fma_f32 v3, v4, v20, -v3
	v_mul_f32_e32 v4, v7, v23
	v_add_f32_e32 v3, 0, v3
	v_fma_f32 v4, v6, v22, -v4
	v_add_f32_e32 v3, v3, v4
	v_mul_f32_e32 v4, v9, v25
	v_fma_f32 v4, v8, v24, -v4
	v_mul_f32_e32 v47, v10, v27
	v_add_f32_e32 v44, v3, v4
	v_mul_f32_e32 v3, v11, v27
	v_fmac_f32_e32 v47, v11, v26
	v_fma_f32 v46, v10, v26, -v3
	v_pk_add_f32 v[20:21], v[44:45], v[46:47]
	s_waitcnt vmcnt(4)
	v_mov_b32_e32 v22, v31
	s_waitcnt lgkmcnt(1)
	v_mul_f32_e32 v49, v12, v29
	v_mul_f32_e32 v3, v13, v29
	v_pk_mul_f32 v[22:23], v[14:15], v[22:23] op_sel:[1,0] op_sel_hi:[0,0]
	v_fmac_f32_e32 v49, v13, v28
	v_fma_f32 v48, v12, v28, -v3
	v_pk_fma_f32 v[24:25], v[14:15], v[30:31], v[22:23] neg_lo:[0,0,1] neg_hi:[0,0,1]
	v_pk_fma_f32 v[14:15], v[14:15], v[30:31], v[22:23] op_sel_hi:[1,0,1]
	v_pk_add_f32 v[20:21], v[20:21], v[48:49]
	v_mov_b32_e32 v25, v15
	v_pk_add_f32 v[14:15], v[20:21], v[24:25]
	s_waitcnt vmcnt(3) lgkmcnt(0)
	v_pk_mul_f32 v[20:21], v[16:17], v[32:33] op_sel:[1,1] op_sel_hi:[0,1]
	v_pk_fma_f32 v[22:23], v[16:17], v[32:33], v[20:21] neg_lo:[0,0,1] neg_hi:[0,0,1]
	v_pk_fma_f32 v[16:17], v[16:17], v[32:33], v[20:21] op_sel_hi:[1,0,1]
	ds_read_b128 v[4:7], v2 offset:496
	ds_read_b128 v[8:11], v2 offset:512
	ds_read_b64 v[12:13], v2 offset:528
	v_mov_b32_e32 v16, v35
	v_mov_b32_e32 v23, v17
	v_pk_mul_f32 v[16:17], v[18:19], v[16:17] op_sel:[1,0] op_sel_hi:[0,0]
	v_pk_fma_f32 v[20:21], v[18:19], v[34:35], v[16:17] neg_lo:[0,0,1] neg_hi:[0,0,1]
	v_pk_fma_f32 v[16:17], v[18:19], v[34:35], v[16:17] op_sel_hi:[1,0,1]
	v_pk_add_f32 v[14:15], v[14:15], v[22:23]
	v_mov_b32_e32 v21, v17
	s_waitcnt vmcnt(2) lgkmcnt(2)
	v_pk_mul_f32 v[16:17], v[4:5], v[36:37] op_sel:[1,1] op_sel_hi:[0,1]
	v_pk_fma_f32 v[18:19], v[4:5], v[36:37], v[16:17] neg_lo:[0,0,1] neg_hi:[0,0,1]
	v_pk_fma_f32 v[4:5], v[4:5], v[36:37], v[16:17] op_sel_hi:[1,0,1]
	v_pk_add_f32 v[14:15], v[14:15], v[20:21]
	v_mov_b32_e32 v19, v5
	v_pk_add_f32 v[4:5], v[14:15], v[18:19]
	v_mov_b32_e32 v14, v39
	v_pk_mul_f32 v[14:15], v[6:7], v[14:15] op_sel:[1,0] op_sel_hi:[0,0]
	v_pk_fma_f32 v[16:17], v[6:7], v[38:39], v[14:15] neg_lo:[0,0,1] neg_hi:[0,0,1]
	v_pk_fma_f32 v[6:7], v[6:7], v[38:39], v[14:15] op_sel_hi:[1,0,1]
	s_nop 0
	v_mov_b32_e32 v17, v7
	s_waitcnt vmcnt(1) lgkmcnt(1)
	v_pk_mul_f32 v[6:7], v[8:9], v[40:41] op_sel:[1,1] op_sel_hi:[0,1]
	v_pk_fma_f32 v[14:15], v[8:9], v[40:41], v[6:7] neg_lo:[0,0,1] neg_hi:[0,0,1]
	v_pk_fma_f32 v[6:7], v[8:9], v[40:41], v[6:7] op_sel_hi:[1,0,1]
	v_pk_add_f32 v[4:5], v[4:5], v[16:17]
	v_mov_b32_e32 v6, v43
	v_mov_b32_e32 v15, v7
	v_pk_mul_f32 v[6:7], v[10:11], v[6:7] op_sel:[1,0] op_sel_hi:[0,0]
	v_pk_fma_f32 v[8:9], v[10:11], v[42:43], v[6:7] neg_lo:[0,0,1] neg_hi:[0,0,1]
	v_pk_fma_f32 v[6:7], v[10:11], v[42:43], v[6:7] op_sel_hi:[1,0,1]
	v_pk_add_f32 v[4:5], v[4:5], v[14:15]
	v_mov_b32_e32 v9, v7
	s_waitcnt vmcnt(0) lgkmcnt(0)
	v_pk_mul_f32 v[6:7], v[12:13], v[50:51] op_sel:[1,1] op_sel_hi:[0,1]
	v_pk_add_f32 v[4:5], v[4:5], v[8:9]
	v_pk_fma_f32 v[8:9], v[12:13], v[50:51], v[6:7] neg_lo:[0,0,1] neg_hi:[0,0,1]
	v_pk_fma_f32 v[6:7], v[12:13], v[50:51], v[6:7] op_sel_hi:[1,0,1]
	s_nop 0
	v_mov_b32_e32 v9, v7
	scratch_load_dwordx2 v[6:7], off, off offset:152
	v_pk_add_f32 v[4:5], v[4:5], v[8:9]
	s_waitcnt vmcnt(0)
	v_pk_add_f32 v[4:5], v[6:7], v[4:5] neg_lo:[0,1] neg_hi:[0,1]
	scratch_store_dwordx2 off, v[4:5], off offset:152
	s_and_saveexec_b64 s[0:1], vcc
	s_cbranch_execz .LBB96_175
; %bb.174:
	scratch_load_dwordx2 v[4:5], off, off offset:144
	v_mov_b32_e32 v3, v2
	scratch_store_dwordx2 off, v[2:3], off offset:144
	s_waitcnt vmcnt(1)
	ds_write_b64 v1, v[4:5]
.LBB96_175:
	s_or_b64 exec, exec, s[0:1]
	s_waitcnt lgkmcnt(0)
	; wave barrier
	scratch_load_dwordx4 v[8:11], off, off offset:152
	scratch_load_dwordx4 v[16:19], off, off offset:168
	ds_read2_b64 v[4:7], v2 offset0:53 offset1:54
	scratch_load_dwordx4 v[24:27], off, off offset:184
	v_cmp_lt_u32_e32 vcc, 17, v0
	s_waitcnt vmcnt(2) lgkmcnt(0)
	v_mul_f32_e32 v3, v4, v9
	v_fmac_f32_e32 v3, v5, v8
	v_mul_f32_e32 v12, v6, v11
	v_add_f32_e32 v3, 0, v3
	v_fmac_f32_e32 v12, v7, v10
	v_add_f32_e32 v3, v3, v12
	ds_read2_b64 v[12:15], v2 offset0:55 offset1:56
	s_waitcnt vmcnt(1) lgkmcnt(0)
	v_mul_f32_e32 v20, v12, v17
	v_fmac_f32_e32 v20, v13, v16
	v_add_f32_e32 v3, v3, v20
	v_mul_f32_e32 v20, v14, v19
	v_fmac_f32_e32 v20, v15, v18
	v_add_f32_e32 v45, v3, v20
	ds_read2_b64 v[20:23], v2 offset0:57 offset1:58
	scratch_load_dwordx4 v[28:31], off, off offset:200
	scratch_load_dwordx4 v[32:35], off, off offset:216
	;; [unrolled: 1-line block ×4, first 2 shown]
	v_mul_f32_e32 v3, v5, v9
	v_fma_f32 v3, v4, v8, -v3
	v_mul_f32_e32 v4, v7, v11
	v_add_f32_e32 v3, 0, v3
	v_fma_f32 v4, v6, v10, -v4
	v_add_f32_e32 v3, v3, v4
	v_mul_f32_e32 v4, v13, v17
	v_fma_f32 v4, v12, v16, -v4
	v_add_f32_e32 v3, v3, v4
	v_mul_f32_e32 v4, v15, v19
	v_fma_f32 v4, v14, v18, -v4
	v_add_f32_e32 v44, v3, v4
	ds_read2_b64 v[4:7], v2 offset0:59 offset1:60
	ds_read2_b64 v[8:11], v2 offset0:61 offset1:62
	;; [unrolled: 1-line block ×4, first 2 shown]
	s_waitcnt vmcnt(4) lgkmcnt(4)
	v_mul_f32_e32 v47, v20, v25
	v_mul_f32_e32 v3, v21, v25
	v_fmac_f32_e32 v47, v21, v24
	v_mul_f32_e32 v49, v22, v27
	v_fma_f32 v46, v20, v24, -v3
	v_mul_f32_e32 v3, v23, v27
	v_fmac_f32_e32 v49, v23, v26
	v_fma_f32 v48, v22, v26, -v3
	v_pk_add_f32 v[2:3], v[44:45], v[46:47]
	s_waitcnt vmcnt(3) lgkmcnt(3)
	v_pk_mul_f32 v[20:21], v[4:5], v[28:29] op_sel:[1,1] op_sel_hi:[0,1]
	v_pk_fma_f32 v[22:23], v[4:5], v[28:29], v[20:21] neg_lo:[0,0,1] neg_hi:[0,0,1]
	v_pk_fma_f32 v[4:5], v[4:5], v[28:29], v[20:21] op_sel_hi:[1,0,1]
	v_pk_add_f32 v[2:3], v[2:3], v[48:49]
	v_mov_b32_e32 v4, v31
	v_mov_b32_e32 v23, v5
	v_pk_mul_f32 v[4:5], v[6:7], v[4:5] op_sel:[1,0] op_sel_hi:[0,0]
	v_pk_fma_f32 v[20:21], v[6:7], v[30:31], v[4:5] neg_lo:[0,0,1] neg_hi:[0,0,1]
	v_pk_fma_f32 v[4:5], v[6:7], v[30:31], v[4:5] op_sel_hi:[1,0,1]
	v_pk_add_f32 v[2:3], v[2:3], v[22:23]
	v_mov_b32_e32 v21, v5
	s_waitcnt vmcnt(2) lgkmcnt(2)
	v_pk_mul_f32 v[4:5], v[8:9], v[32:33] op_sel:[1,1] op_sel_hi:[0,1]
	v_pk_fma_f32 v[6:7], v[8:9], v[32:33], v[4:5] neg_lo:[0,0,1] neg_hi:[0,0,1]
	v_pk_fma_f32 v[4:5], v[8:9], v[32:33], v[4:5] op_sel_hi:[1,0,1]
	v_pk_add_f32 v[2:3], v[2:3], v[20:21]
	v_mov_b32_e32 v4, v35
	v_mov_b32_e32 v7, v5
	v_pk_mul_f32 v[4:5], v[10:11], v[4:5] op_sel:[1,0] op_sel_hi:[0,0]
	v_pk_add_f32 v[2:3], v[2:3], v[6:7]
	v_pk_fma_f32 v[6:7], v[10:11], v[34:35], v[4:5] neg_lo:[0,0,1] neg_hi:[0,0,1]
	v_pk_fma_f32 v[4:5], v[10:11], v[34:35], v[4:5] op_sel_hi:[1,0,1]
	s_nop 0
	v_mov_b32_e32 v7, v5
	s_waitcnt vmcnt(1) lgkmcnt(1)
	v_pk_mul_f32 v[4:5], v[12:13], v[36:37] op_sel:[1,1] op_sel_hi:[0,1]
	v_pk_add_f32 v[2:3], v[2:3], v[6:7]
	v_pk_fma_f32 v[6:7], v[12:13], v[36:37], v[4:5] neg_lo:[0,0,1] neg_hi:[0,0,1]
	v_pk_fma_f32 v[4:5], v[12:13], v[36:37], v[4:5] op_sel_hi:[1,0,1]
	s_nop 0
	v_mov_b32_e32 v4, v39
	v_mov_b32_e32 v7, v5
	v_pk_mul_f32 v[4:5], v[14:15], v[4:5] op_sel:[1,0] op_sel_hi:[0,0]
	v_pk_add_f32 v[2:3], v[2:3], v[6:7]
	v_pk_fma_f32 v[6:7], v[14:15], v[38:39], v[4:5] neg_lo:[0,0,1] neg_hi:[0,0,1]
	v_pk_fma_f32 v[4:5], v[14:15], v[38:39], v[4:5] op_sel_hi:[1,0,1]
	s_nop 0
	v_mov_b32_e32 v7, v5
	s_waitcnt vmcnt(0) lgkmcnt(0)
	v_pk_mul_f32 v[4:5], v[16:17], v[40:41] op_sel:[1,1] op_sel_hi:[0,1]
	v_pk_add_f32 v[2:3], v[2:3], v[6:7]
	v_pk_fma_f32 v[6:7], v[16:17], v[40:41], v[4:5] neg_lo:[0,0,1] neg_hi:[0,0,1]
	v_pk_fma_f32 v[4:5], v[16:17], v[40:41], v[4:5] op_sel_hi:[1,0,1]
	s_nop 0
	v_mov_b32_e32 v4, v43
	v_mov_b32_e32 v7, v5
	v_pk_mul_f32 v[4:5], v[18:19], v[4:5] op_sel:[1,0] op_sel_hi:[0,0]
	v_pk_add_f32 v[2:3], v[2:3], v[6:7]
	v_pk_fma_f32 v[6:7], v[18:19], v[42:43], v[4:5] neg_lo:[0,0,1] neg_hi:[0,0,1]
	v_pk_fma_f32 v[4:5], v[18:19], v[42:43], v[4:5] op_sel_hi:[1,0,1]
	s_nop 0
	v_mov_b32_e32 v7, v5
	scratch_load_dwordx2 v[4:5], off, off offset:144
	v_pk_add_f32 v[2:3], v[2:3], v[6:7]
	s_waitcnt vmcnt(0)
	v_pk_add_f32 v[2:3], v[4:5], v[2:3] neg_lo:[0,1] neg_hi:[0,1]
	scratch_store_dwordx2 off, v[2:3], off offset:144
	s_and_saveexec_b64 s[0:1], vcc
	s_cbranch_execz .LBB96_177
; %bb.176:
	scratch_load_dwordx2 v[2:3], off, off offset:136
	v_mov_b32_e32 v4, 0
	v_mov_b32_e32 v5, v4
	scratch_store_dwordx2 off, v[4:5], off offset:136
	s_waitcnt vmcnt(1)
	ds_write_b64 v1, v[2:3]
.LBB96_177:
	s_or_b64 exec, exec, s[0:1]
	v_mov_b32_e32 v2, 0
	s_waitcnt lgkmcnt(0)
	; wave barrier
	ds_read_b128 v[4:7], v2 offset:416
	ds_read_b128 v[8:11], v2 offset:432
	;; [unrolled: 1-line block ×4, first 2 shown]
	scratch_load_dwordx4 v[20:23], off, off offset:144
	v_cmp_lt_u32_e32 vcc, 16, v0
	s_waitcnt vmcnt(0) lgkmcnt(3)
	v_mul_f32_e32 v3, v4, v21
	v_fmac_f32_e32 v3, v5, v20
	v_mul_f32_e32 v24, v6, v23
	v_add_f32_e32 v3, 0, v3
	v_fmac_f32_e32 v24, v7, v22
	v_add_f32_e32 v3, v3, v24
	scratch_load_dwordx4 v[24:27], off, off offset:160
	s_waitcnt vmcnt(0) lgkmcnt(2)
	v_mul_f32_e32 v28, v8, v25
	v_fmac_f32_e32 v28, v9, v24
	v_add_f32_e32 v3, v3, v28
	v_mul_f32_e32 v28, v10, v27
	v_fmac_f32_e32 v28, v11, v26
	v_add_f32_e32 v3, v3, v28
	scratch_load_dwordx4 v[28:31], off, off offset:176
	s_waitcnt vmcnt(0) lgkmcnt(1)
	v_mul_f32_e32 v32, v12, v29
	v_fmac_f32_e32 v32, v13, v28
	v_add_f32_e32 v49, v3, v32
	scratch_load_dwordx4 v[32:35], off, off offset:192
	scratch_load_dwordx4 v[36:39], off, off offset:208
	;; [unrolled: 1-line block ×4, first 2 shown]
	scratch_load_dwordx2 v[54:55], off, off offset:256
	v_mul_f32_e32 v3, v5, v21
	v_fma_f32 v3, v4, v20, -v3
	v_mul_f32_e32 v4, v7, v23
	v_add_f32_e32 v3, 0, v3
	v_fma_f32 v4, v6, v22, -v4
	v_add_f32_e32 v3, v3, v4
	v_mul_f32_e32 v4, v9, v25
	v_fma_f32 v4, v8, v24, -v4
	v_add_f32_e32 v3, v3, v4
	v_mul_f32_e32 v4, v11, v27
	;; [unrolled: 3-line block ×3, first 2 shown]
	v_fma_f32 v4, v12, v28, -v4
	v_mul_f32_e32 v51, v14, v31
	v_add_f32_e32 v48, v3, v4
	v_mul_f32_e32 v3, v15, v31
	v_fmac_f32_e32 v51, v15, v30
	v_fma_f32 v50, v14, v30, -v3
	v_pk_add_f32 v[20:21], v[48:49], v[50:51]
	s_waitcnt vmcnt(4)
	v_mov_b32_e32 v22, v35
	s_waitcnt lgkmcnt(0)
	v_mul_f32_e32 v53, v16, v33
	v_mul_f32_e32 v3, v17, v33
	v_pk_mul_f32 v[22:23], v[18:19], v[22:23] op_sel:[1,0] op_sel_hi:[0,0]
	v_fmac_f32_e32 v53, v17, v32
	v_fma_f32 v52, v16, v32, -v3
	ds_read_b128 v[4:7], v2 offset:480
	ds_read_b128 v[8:11], v2 offset:496
	;; [unrolled: 1-line block ×3, first 2 shown]
	ds_read_b64 v[16:17], v2 offset:528
	v_pk_fma_f32 v[24:25], v[18:19], v[34:35], v[22:23] neg_lo:[0,0,1] neg_hi:[0,0,1]
	v_pk_fma_f32 v[18:19], v[18:19], v[34:35], v[22:23] op_sel_hi:[1,0,1]
	v_pk_add_f32 v[20:21], v[20:21], v[52:53]
	v_mov_b32_e32 v25, v19
	v_pk_add_f32 v[18:19], v[20:21], v[24:25]
	s_waitcnt vmcnt(3) lgkmcnt(3)
	v_pk_mul_f32 v[20:21], v[4:5], v[36:37] op_sel:[1,1] op_sel_hi:[0,1]
	v_pk_fma_f32 v[22:23], v[4:5], v[36:37], v[20:21] neg_lo:[0,0,1] neg_hi:[0,0,1]
	v_pk_fma_f32 v[4:5], v[4:5], v[36:37], v[20:21] op_sel_hi:[1,0,1]
	s_nop 0
	v_mov_b32_e32 v23, v5
	v_pk_add_f32 v[4:5], v[18:19], v[22:23]
	v_mov_b32_e32 v18, v39
	v_pk_mul_f32 v[18:19], v[6:7], v[18:19] op_sel:[1,0] op_sel_hi:[0,0]
	v_pk_fma_f32 v[20:21], v[6:7], v[38:39], v[18:19] neg_lo:[0,0,1] neg_hi:[0,0,1]
	v_pk_fma_f32 v[6:7], v[6:7], v[38:39], v[18:19] op_sel_hi:[1,0,1]
	s_nop 0
	v_mov_b32_e32 v21, v7
	s_waitcnt vmcnt(2) lgkmcnt(2)
	v_pk_mul_f32 v[6:7], v[8:9], v[40:41] op_sel:[1,1] op_sel_hi:[0,1]
	v_pk_fma_f32 v[18:19], v[8:9], v[40:41], v[6:7] neg_lo:[0,0,1] neg_hi:[0,0,1]
	v_pk_fma_f32 v[6:7], v[8:9], v[40:41], v[6:7] op_sel_hi:[1,0,1]
	v_pk_add_f32 v[4:5], v[4:5], v[20:21]
	v_mov_b32_e32 v6, v43
	v_mov_b32_e32 v19, v7
	v_pk_mul_f32 v[6:7], v[10:11], v[6:7] op_sel:[1,0] op_sel_hi:[0,0]
	v_pk_fma_f32 v[8:9], v[10:11], v[42:43], v[6:7] neg_lo:[0,0,1] neg_hi:[0,0,1]
	v_pk_fma_f32 v[6:7], v[10:11], v[42:43], v[6:7] op_sel_hi:[1,0,1]
	v_pk_add_f32 v[4:5], v[4:5], v[18:19]
	v_mov_b32_e32 v9, v7
	s_waitcnt vmcnt(1) lgkmcnt(1)
	v_pk_mul_f32 v[6:7], v[12:13], v[44:45] op_sel:[1,1] op_sel_hi:[0,1]
	v_pk_add_f32 v[4:5], v[4:5], v[8:9]
	v_pk_fma_f32 v[8:9], v[12:13], v[44:45], v[6:7] neg_lo:[0,0,1] neg_hi:[0,0,1]
	v_pk_fma_f32 v[6:7], v[12:13], v[44:45], v[6:7] op_sel_hi:[1,0,1]
	s_nop 0
	v_mov_b32_e32 v6, v47
	v_mov_b32_e32 v9, v7
	v_pk_mul_f32 v[6:7], v[14:15], v[6:7] op_sel:[1,0] op_sel_hi:[0,0]
	v_pk_add_f32 v[4:5], v[4:5], v[8:9]
	v_pk_fma_f32 v[8:9], v[14:15], v[46:47], v[6:7] neg_lo:[0,0,1] neg_hi:[0,0,1]
	v_pk_fma_f32 v[6:7], v[14:15], v[46:47], v[6:7] op_sel_hi:[1,0,1]
	s_nop 0
	v_mov_b32_e32 v9, v7
	s_waitcnt vmcnt(0) lgkmcnt(0)
	v_pk_mul_f32 v[6:7], v[16:17], v[54:55] op_sel:[1,1] op_sel_hi:[0,1]
	v_pk_add_f32 v[4:5], v[4:5], v[8:9]
	v_pk_fma_f32 v[8:9], v[16:17], v[54:55], v[6:7] neg_lo:[0,0,1] neg_hi:[0,0,1]
	v_pk_fma_f32 v[6:7], v[16:17], v[54:55], v[6:7] op_sel_hi:[1,0,1]
	s_nop 0
	v_mov_b32_e32 v9, v7
	scratch_load_dwordx2 v[6:7], off, off offset:136
	v_pk_add_f32 v[4:5], v[4:5], v[8:9]
	s_waitcnt vmcnt(0)
	v_pk_add_f32 v[4:5], v[6:7], v[4:5] neg_lo:[0,1] neg_hi:[0,1]
	scratch_store_dwordx2 off, v[4:5], off offset:136
	s_and_saveexec_b64 s[0:1], vcc
	s_cbranch_execz .LBB96_179
; %bb.178:
	scratch_load_dwordx2 v[4:5], off, off offset:128
	v_mov_b32_e32 v3, v2
	scratch_store_dwordx2 off, v[2:3], off offset:128
	s_waitcnt vmcnt(1)
	ds_write_b64 v1, v[4:5]
.LBB96_179:
	s_or_b64 exec, exec, s[0:1]
	s_waitcnt lgkmcnt(0)
	; wave barrier
	scratch_load_dwordx4 v[8:11], off, off offset:136
	scratch_load_dwordx4 v[16:19], off, off offset:152
	;; [unrolled: 1-line block ×4, first 2 shown]
	ds_read2_b64 v[4:7], v2 offset0:51 offset1:52
	v_cmp_lt_u32_e32 vcc, 15, v0
	s_waitcnt vmcnt(3) lgkmcnt(0)
	v_mul_f32_e32 v3, v4, v9
	v_fmac_f32_e32 v3, v5, v8
	v_mul_f32_e32 v12, v6, v11
	v_add_f32_e32 v3, 0, v3
	v_fmac_f32_e32 v12, v7, v10
	v_add_f32_e32 v3, v3, v12
	ds_read2_b64 v[12:15], v2 offset0:53 offset1:54
	s_waitcnt vmcnt(2) lgkmcnt(0)
	v_mul_f32_e32 v20, v12, v17
	v_fmac_f32_e32 v20, v13, v16
	v_add_f32_e32 v3, v3, v20
	v_mul_f32_e32 v20, v14, v19
	v_fmac_f32_e32 v20, v15, v18
	v_add_f32_e32 v3, v3, v20
	ds_read2_b64 v[20:23], v2 offset0:55 offset1:56
	s_waitcnt vmcnt(1) lgkmcnt(0)
	v_mul_f32_e32 v28, v20, v25
	v_fmac_f32_e32 v28, v21, v24
	v_add_f32_e32 v3, v3, v28
	v_mul_f32_e32 v28, v22, v27
	v_fmac_f32_e32 v28, v23, v26
	v_add_f32_e32 v53, v3, v28
	ds_read2_b64 v[28:31], v2 offset0:57 offset1:58
	scratch_load_dwordx4 v[36:39], off, off offset:200
	scratch_load_dwordx4 v[40:43], off, off offset:216
	;; [unrolled: 1-line block ×4, first 2 shown]
	v_mul_f32_e32 v3, v5, v9
	v_fma_f32 v3, v4, v8, -v3
	v_mul_f32_e32 v4, v7, v11
	v_add_f32_e32 v3, 0, v3
	v_fma_f32 v4, v6, v10, -v4
	v_add_f32_e32 v3, v3, v4
	v_mul_f32_e32 v4, v13, v17
	v_fma_f32 v4, v12, v16, -v4
	v_add_f32_e32 v3, v3, v4
	v_mul_f32_e32 v4, v15, v19
	;; [unrolled: 3-line block ×4, first 2 shown]
	v_fma_f32 v4, v22, v26, -v4
	v_add_f32_e32 v52, v3, v4
	ds_read2_b64 v[4:7], v2 offset0:59 offset1:60
	ds_read2_b64 v[8:11], v2 offset0:61 offset1:62
	;; [unrolled: 1-line block ×4, first 2 shown]
	s_waitcnt vmcnt(4) lgkmcnt(4)
	v_mul_f32_e32 v55, v28, v33
	v_mul_f32_e32 v3, v29, v33
	v_fmac_f32_e32 v55, v29, v32
	v_mul_f32_e32 v57, v30, v35
	v_fma_f32 v54, v28, v32, -v3
	v_mul_f32_e32 v3, v31, v35
	v_fmac_f32_e32 v57, v31, v34
	v_fma_f32 v56, v30, v34, -v3
	v_pk_add_f32 v[2:3], v[52:53], v[54:55]
	s_waitcnt vmcnt(3) lgkmcnt(3)
	v_pk_mul_f32 v[20:21], v[4:5], v[36:37] op_sel:[1,1] op_sel_hi:[0,1]
	v_pk_fma_f32 v[22:23], v[4:5], v[36:37], v[20:21] neg_lo:[0,0,1] neg_hi:[0,0,1]
	v_pk_fma_f32 v[4:5], v[4:5], v[36:37], v[20:21] op_sel_hi:[1,0,1]
	v_pk_add_f32 v[2:3], v[2:3], v[56:57]
	v_mov_b32_e32 v4, v39
	v_mov_b32_e32 v23, v5
	v_pk_mul_f32 v[4:5], v[6:7], v[4:5] op_sel:[1,0] op_sel_hi:[0,0]
	v_pk_fma_f32 v[20:21], v[6:7], v[38:39], v[4:5] neg_lo:[0,0,1] neg_hi:[0,0,1]
	v_pk_fma_f32 v[4:5], v[6:7], v[38:39], v[4:5] op_sel_hi:[1,0,1]
	v_pk_add_f32 v[2:3], v[2:3], v[22:23]
	v_mov_b32_e32 v21, v5
	s_waitcnt vmcnt(2) lgkmcnt(2)
	v_pk_mul_f32 v[4:5], v[8:9], v[40:41] op_sel:[1,1] op_sel_hi:[0,1]
	v_pk_fma_f32 v[6:7], v[8:9], v[40:41], v[4:5] neg_lo:[0,0,1] neg_hi:[0,0,1]
	v_pk_fma_f32 v[4:5], v[8:9], v[40:41], v[4:5] op_sel_hi:[1,0,1]
	v_pk_add_f32 v[2:3], v[2:3], v[20:21]
	v_mov_b32_e32 v4, v43
	v_mov_b32_e32 v7, v5
	v_pk_mul_f32 v[4:5], v[10:11], v[4:5] op_sel:[1,0] op_sel_hi:[0,0]
	v_pk_add_f32 v[2:3], v[2:3], v[6:7]
	v_pk_fma_f32 v[6:7], v[10:11], v[42:43], v[4:5] neg_lo:[0,0,1] neg_hi:[0,0,1]
	v_pk_fma_f32 v[4:5], v[10:11], v[42:43], v[4:5] op_sel_hi:[1,0,1]
	s_nop 0
	v_mov_b32_e32 v7, v5
	s_waitcnt vmcnt(1) lgkmcnt(1)
	v_pk_mul_f32 v[4:5], v[12:13], v[44:45] op_sel:[1,1] op_sel_hi:[0,1]
	v_pk_add_f32 v[2:3], v[2:3], v[6:7]
	v_pk_fma_f32 v[6:7], v[12:13], v[44:45], v[4:5] neg_lo:[0,0,1] neg_hi:[0,0,1]
	v_pk_fma_f32 v[4:5], v[12:13], v[44:45], v[4:5] op_sel_hi:[1,0,1]
	s_nop 0
	v_mov_b32_e32 v4, v47
	v_mov_b32_e32 v7, v5
	v_pk_mul_f32 v[4:5], v[14:15], v[4:5] op_sel:[1,0] op_sel_hi:[0,0]
	v_pk_add_f32 v[2:3], v[2:3], v[6:7]
	v_pk_fma_f32 v[6:7], v[14:15], v[46:47], v[4:5] neg_lo:[0,0,1] neg_hi:[0,0,1]
	v_pk_fma_f32 v[4:5], v[14:15], v[46:47], v[4:5] op_sel_hi:[1,0,1]
	s_nop 0
	v_mov_b32_e32 v7, v5
	s_waitcnt vmcnt(0) lgkmcnt(0)
	v_pk_mul_f32 v[4:5], v[16:17], v[48:49] op_sel:[1,1] op_sel_hi:[0,1]
	v_pk_add_f32 v[2:3], v[2:3], v[6:7]
	v_pk_fma_f32 v[6:7], v[16:17], v[48:49], v[4:5] neg_lo:[0,0,1] neg_hi:[0,0,1]
	v_pk_fma_f32 v[4:5], v[16:17], v[48:49], v[4:5] op_sel_hi:[1,0,1]
	s_nop 0
	v_mov_b32_e32 v4, v51
	v_mov_b32_e32 v7, v5
	v_pk_mul_f32 v[4:5], v[18:19], v[4:5] op_sel:[1,0] op_sel_hi:[0,0]
	v_pk_add_f32 v[2:3], v[2:3], v[6:7]
	v_pk_fma_f32 v[6:7], v[18:19], v[50:51], v[4:5] neg_lo:[0,0,1] neg_hi:[0,0,1]
	v_pk_fma_f32 v[4:5], v[18:19], v[50:51], v[4:5] op_sel_hi:[1,0,1]
	s_nop 0
	v_mov_b32_e32 v7, v5
	scratch_load_dwordx2 v[4:5], off, off offset:128
	v_pk_add_f32 v[2:3], v[2:3], v[6:7]
	s_waitcnt vmcnt(0)
	v_pk_add_f32 v[2:3], v[4:5], v[2:3] neg_lo:[0,1] neg_hi:[0,1]
	scratch_store_dwordx2 off, v[2:3], off offset:128
	s_and_saveexec_b64 s[0:1], vcc
	s_cbranch_execz .LBB96_181
; %bb.180:
	scratch_load_dwordx2 v[2:3], off, off offset:120
	v_mov_b32_e32 v4, 0
	v_mov_b32_e32 v5, v4
	scratch_store_dwordx2 off, v[4:5], off offset:120
	s_waitcnt vmcnt(1)
	ds_write_b64 v1, v[2:3]
.LBB96_181:
	s_or_b64 exec, exec, s[0:1]
	v_mov_b32_e32 v2, 0
	s_waitcnt lgkmcnt(0)
	; wave barrier
	ds_read_b128 v[4:7], v2 offset:400
	ds_read_b128 v[8:11], v2 offset:416
	;; [unrolled: 1-line block ×4, first 2 shown]
	scratch_load_dwordx4 v[20:23], off, off offset:128
	scratch_load_dwordx4 v[40:43], off, off offset:192
	v_cmp_lt_u32_e32 vcc, 14, v0
	s_waitcnt vmcnt(1) lgkmcnt(3)
	v_mul_f32_e32 v3, v4, v21
	v_fmac_f32_e32 v3, v5, v20
	v_mul_f32_e32 v24, v6, v23
	v_add_f32_e32 v3, 0, v3
	v_fmac_f32_e32 v24, v7, v22
	v_add_f32_e32 v3, v3, v24
	scratch_load_dwordx4 v[24:27], off, off offset:144
	s_waitcnt vmcnt(0) lgkmcnt(2)
	v_mul_f32_e32 v28, v8, v25
	v_fmac_f32_e32 v28, v9, v24
	v_add_f32_e32 v3, v3, v28
	v_mul_f32_e32 v28, v10, v27
	v_fmac_f32_e32 v28, v11, v26
	v_add_f32_e32 v3, v3, v28
	scratch_load_dwordx4 v[28:31], off, off offset:160
	s_waitcnt vmcnt(0) lgkmcnt(1)
	v_mul_f32_e32 v32, v12, v29
	v_fmac_f32_e32 v32, v13, v28
	v_add_f32_e32 v3, v3, v32
	v_mul_f32_e32 v32, v14, v31
	v_fmac_f32_e32 v32, v15, v30
	v_add_f32_e32 v3, v3, v32
	scratch_load_dwordx4 v[32:35], off, off offset:176
	s_waitcnt vmcnt(0) lgkmcnt(0)
	v_mul_f32_e32 v36, v16, v33
	v_fmac_f32_e32 v36, v17, v32
	v_add_f32_e32 v57, v3, v36
	ds_read_b128 v[36:39], v2 offset:464
	scratch_load_dwordx4 v[44:47], off, off offset:208
	scratch_load_dwordx4 v[48:51], off, off offset:224
	;; [unrolled: 1-line block ×3, first 2 shown]
	scratch_load_dwordx2 v[62:63], off, off offset:256
	v_mul_f32_e32 v3, v5, v21
	v_fma_f32 v3, v4, v20, -v3
	v_mul_f32_e32 v4, v7, v23
	v_add_f32_e32 v3, 0, v3
	v_fma_f32 v4, v6, v22, -v4
	v_add_f32_e32 v3, v3, v4
	v_mul_f32_e32 v4, v9, v25
	v_fma_f32 v4, v8, v24, -v4
	v_add_f32_e32 v3, v3, v4
	v_mul_f32_e32 v4, v11, v27
	;; [unrolled: 3-line block ×5, first 2 shown]
	v_fma_f32 v4, v16, v32, -v4
	v_mul_f32_e32 v59, v18, v35
	v_add_f32_e32 v56, v3, v4
	v_mul_f32_e32 v3, v19, v35
	v_mov_b32_e32 v20, v43
	v_fmac_f32_e32 v59, v19, v34
	s_waitcnt lgkmcnt(0)
	v_mul_f32_e32 v61, v36, v41
	v_fma_f32 v58, v18, v34, -v3
	v_mul_f32_e32 v3, v37, v41
	ds_read_b128 v[4:7], v2 offset:480
	ds_read_b128 v[8:11], v2 offset:496
	;; [unrolled: 1-line block ×3, first 2 shown]
	ds_read_b64 v[16:17], v2 offset:528
	v_pk_mul_f32 v[20:21], v[38:39], v[20:21] op_sel:[1,0] op_sel_hi:[0,0]
	v_fmac_f32_e32 v61, v37, v40
	v_fma_f32 v60, v36, v40, -v3
	v_pk_add_f32 v[18:19], v[56:57], v[58:59]
	v_pk_fma_f32 v[22:23], v[38:39], v[42:43], v[20:21] neg_lo:[0,0,1] neg_hi:[0,0,1]
	v_pk_fma_f32 v[20:21], v[38:39], v[42:43], v[20:21] op_sel_hi:[1,0,1]
	v_pk_add_f32 v[18:19], v[18:19], v[60:61]
	v_mov_b32_e32 v23, v21
	v_pk_add_f32 v[18:19], v[18:19], v[22:23]
	s_waitcnt vmcnt(3) lgkmcnt(3)
	v_pk_mul_f32 v[20:21], v[4:5], v[44:45] op_sel:[1,1] op_sel_hi:[0,1]
	v_pk_fma_f32 v[22:23], v[4:5], v[44:45], v[20:21] neg_lo:[0,0,1] neg_hi:[0,0,1]
	v_pk_fma_f32 v[4:5], v[4:5], v[44:45], v[20:21] op_sel_hi:[1,0,1]
	s_nop 0
	v_mov_b32_e32 v23, v5
	v_pk_add_f32 v[4:5], v[18:19], v[22:23]
	v_mov_b32_e32 v18, v47
	v_pk_mul_f32 v[18:19], v[6:7], v[18:19] op_sel:[1,0] op_sel_hi:[0,0]
	v_pk_fma_f32 v[20:21], v[6:7], v[46:47], v[18:19] neg_lo:[0,0,1] neg_hi:[0,0,1]
	v_pk_fma_f32 v[6:7], v[6:7], v[46:47], v[18:19] op_sel_hi:[1,0,1]
	s_nop 0
	v_mov_b32_e32 v21, v7
	s_waitcnt vmcnt(2) lgkmcnt(2)
	v_pk_mul_f32 v[6:7], v[8:9], v[48:49] op_sel:[1,1] op_sel_hi:[0,1]
	v_pk_fma_f32 v[18:19], v[8:9], v[48:49], v[6:7] neg_lo:[0,0,1] neg_hi:[0,0,1]
	v_pk_fma_f32 v[6:7], v[8:9], v[48:49], v[6:7] op_sel_hi:[1,0,1]
	v_pk_add_f32 v[4:5], v[4:5], v[20:21]
	v_mov_b32_e32 v6, v51
	v_mov_b32_e32 v19, v7
	v_pk_mul_f32 v[6:7], v[10:11], v[6:7] op_sel:[1,0] op_sel_hi:[0,0]
	v_pk_fma_f32 v[8:9], v[10:11], v[50:51], v[6:7] neg_lo:[0,0,1] neg_hi:[0,0,1]
	v_pk_fma_f32 v[6:7], v[10:11], v[50:51], v[6:7] op_sel_hi:[1,0,1]
	v_pk_add_f32 v[4:5], v[4:5], v[18:19]
	v_mov_b32_e32 v9, v7
	s_waitcnt vmcnt(1) lgkmcnt(1)
	v_pk_mul_f32 v[6:7], v[12:13], v[52:53] op_sel:[1,1] op_sel_hi:[0,1]
	v_pk_add_f32 v[4:5], v[4:5], v[8:9]
	v_pk_fma_f32 v[8:9], v[12:13], v[52:53], v[6:7] neg_lo:[0,0,1] neg_hi:[0,0,1]
	v_pk_fma_f32 v[6:7], v[12:13], v[52:53], v[6:7] op_sel_hi:[1,0,1]
	s_nop 0
	v_mov_b32_e32 v6, v55
	v_mov_b32_e32 v9, v7
	v_pk_mul_f32 v[6:7], v[14:15], v[6:7] op_sel:[1,0] op_sel_hi:[0,0]
	v_pk_add_f32 v[4:5], v[4:5], v[8:9]
	v_pk_fma_f32 v[8:9], v[14:15], v[54:55], v[6:7] neg_lo:[0,0,1] neg_hi:[0,0,1]
	v_pk_fma_f32 v[6:7], v[14:15], v[54:55], v[6:7] op_sel_hi:[1,0,1]
	s_nop 0
	v_mov_b32_e32 v9, v7
	s_waitcnt vmcnt(0) lgkmcnt(0)
	v_pk_mul_f32 v[6:7], v[16:17], v[62:63] op_sel:[1,1] op_sel_hi:[0,1]
	v_pk_add_f32 v[4:5], v[4:5], v[8:9]
	v_pk_fma_f32 v[8:9], v[16:17], v[62:63], v[6:7] neg_lo:[0,0,1] neg_hi:[0,0,1]
	v_pk_fma_f32 v[6:7], v[16:17], v[62:63], v[6:7] op_sel_hi:[1,0,1]
	s_nop 0
	v_mov_b32_e32 v9, v7
	scratch_load_dwordx2 v[6:7], off, off offset:120
	v_pk_add_f32 v[4:5], v[4:5], v[8:9]
	s_waitcnt vmcnt(0)
	v_pk_add_f32 v[4:5], v[6:7], v[4:5] neg_lo:[0,1] neg_hi:[0,1]
	scratch_store_dwordx2 off, v[4:5], off offset:120
	s_and_saveexec_b64 s[0:1], vcc
	s_cbranch_execz .LBB96_183
; %bb.182:
	scratch_load_dwordx2 v[4:5], off, off offset:112
	v_mov_b32_e32 v3, v2
	scratch_store_dwordx2 off, v[2:3], off offset:112
	s_waitcnt vmcnt(1)
	ds_write_b64 v1, v[4:5]
.LBB96_183:
	s_or_b64 exec, exec, s[0:1]
	s_waitcnt lgkmcnt(0)
	; wave barrier
	scratch_load_dwordx4 v[4:7], off, off offset:120
	scratch_load_dwordx4 v[8:11], off, off offset:136
	;; [unrolled: 1-line block ×7, first 2 shown]
	ds_read2_b64 v[32:35], v2 offset0:49 offset1:50
	ds_read2_b64 v[36:39], v2 offset0:51 offset1:52
	;; [unrolled: 1-line block ×4, first 2 shown]
	scratch_load_dwordx4 v[48:51], off, off offset:232
	scratch_load_dwordx4 v[52:55], off, off offset:248
	ds_read2_b64 v[56:59], v2 offset0:57 offset1:58
	ds_read2_b64 v[60:63], v2 offset0:59 offset1:60
	ds_read2_b64 v[64:67], v2 offset0:61 offset1:62
	ds_read2_b64 v[68:71], v2 offset0:63 offset1:64
	ds_read2_b64 v[72:75], v2 offset0:65 offset1:66
	scratch_load_dwordx2 v[2:3], off, off offset:112
	v_cmp_lt_u32_e32 vcc, 13, v0
	s_waitcnt vmcnt(9) lgkmcnt(8)
	v_mul_f32_e32 v83, v32, v5
	v_mul_f32_e32 v86, v34, v7
	s_waitcnt vmcnt(8) lgkmcnt(7)
	v_mul_f32_e32 v87, v36, v9
	s_waitcnt vmcnt(7) lgkmcnt(6)
	v_mul_f32_e32 v89, v40, v13
	v_mul_f32_e32 v5, v33, v5
	;; [unrolled: 1-line block ×5, first 2 shown]
	s_waitcnt vmcnt(4) lgkmcnt(3)
	v_pk_mul_f32 v[80:81], v[60:61], v[24:25] op_sel:[1,1] op_sel_hi:[0,1]
	v_mov_b32_e32 v82, v27
	s_waitcnt vmcnt(3) lgkmcnt(2)
	v_pk_mul_f32 v[84:85], v[64:65], v[28:29] op_sel:[1,1] op_sel_hi:[0,1]
	v_fmac_f32_e32 v83, v33, v4
	v_mul_f32_e32 v90, v42, v15
	v_mul_f32_e32 v91, v44, v17
	;; [unrolled: 1-line block ×4, first 2 shown]
	v_fmac_f32_e32 v86, v35, v6
	v_fmac_f32_e32 v87, v37, v8
	v_fmac_f32_e32 v89, v41, v12
	v_fma_f32 v32, v32, v4, -v5
	v_fma_f32 v33, v34, v6, -v7
	;; [unrolled: 1-line block ×4, first 2 shown]
	v_pk_fma_f32 v[4:5], v[60:61], v[24:25], v[80:81] neg_lo:[0,0,1] neg_hi:[0,0,1]
	v_pk_fma_f32 v[6:7], v[60:61], v[24:25], v[80:81] op_sel_hi:[1,0,1]
	v_pk_mul_f32 v[8:9], v[62:63], v[82:83] op_sel:[1,0] op_sel_hi:[0,0]
	v_pk_fma_f32 v[12:13], v[64:65], v[28:29], v[84:85] op_sel_hi:[1,0,1]
	v_fmac_f32_e32 v90, v43, v14
	v_fma_f32 v14, v42, v14, -v15
	v_fma_f32 v15, v44, v16, -v17
	v_add_f32_e32 v12, 0, v83
	v_add_f32_e32 v17, 0, v32
	v_mov_b32_e32 v5, v7
	v_pk_fma_f32 v[6:7], v[62:63], v[26:27], v[8:9] neg_lo:[0,0,1] neg_hi:[0,0,1]
	v_pk_fma_f32 v[8:9], v[62:63], v[26:27], v[8:9] op_sel_hi:[1,0,1]
	v_mul_f32_e32 v88, v38, v11
	v_mul_f32_e32 v11, v39, v11
	v_add_f32_e32 v8, v12, v86
	v_add_f32_e32 v12, v17, v33
	v_fmac_f32_e32 v88, v39, v10
	v_fma_f32 v35, v38, v10, -v11
	v_mov_b32_e32 v7, v9
	v_add_f32_e32 v8, v8, v87
	v_add_f32_e32 v9, v12, v34
	;; [unrolled: 1-line block ×6, first 2 shown]
	v_mul_f32_e32 v92, v46, v19
	v_mul_f32_e32 v19, v47, v19
	v_fmac_f32_e32 v91, v45, v16
	v_add_f32_e32 v8, v8, v90
	v_add_f32_e32 v9, v9, v14
	v_mul_f32_e32 v77, v56, v21
	v_mul_f32_e32 v21, v57, v21
	v_fmac_f32_e32 v92, v47, v18
	v_fma_f32 v16, v46, v18, -v19
	v_add_f32_e32 v8, v8, v91
	v_add_f32_e32 v12, v9, v15
	v_mul_f32_e32 v79, v58, v23
	v_mul_f32_e32 v23, v59, v23
	v_fmac_f32_e32 v77, v57, v20
	v_fma_f32 v76, v56, v20, -v21
	v_add_f32_e32 v9, v8, v92
	v_add_f32_e32 v8, v12, v16
	v_fmac_f32_e32 v79, v59, v22
	v_fma_f32 v78, v58, v22, -v23
	v_pk_add_f32 v[8:9], v[8:9], v[76:77]
	v_pk_fma_f32 v[10:11], v[64:65], v[28:29], v[84:85] neg_lo:[0,0,1] neg_hi:[0,0,1]
	v_pk_add_f32 v[8:9], v[8:9], v[78:79]
	v_mov_b32_e32 v11, v13
	v_pk_add_f32 v[4:5], v[8:9], v[4:5]
	s_nop 0
	v_pk_add_f32 v[4:5], v[4:5], v[6:7]
	v_mov_b32_e32 v6, v31
	v_pk_mul_f32 v[6:7], v[66:67], v[6:7] op_sel:[1,0] op_sel_hi:[0,0]
	v_pk_fma_f32 v[8:9], v[66:67], v[30:31], v[6:7] neg_lo:[0,0,1] neg_hi:[0,0,1]
	v_pk_fma_f32 v[6:7], v[66:67], v[30:31], v[6:7] op_sel_hi:[1,0,1]
	v_pk_add_f32 v[4:5], v[4:5], v[10:11]
	v_mov_b32_e32 v9, v7
	s_waitcnt vmcnt(2) lgkmcnt(1)
	v_pk_mul_f32 v[6:7], v[68:69], v[48:49] op_sel:[1,1] op_sel_hi:[0,1]
	v_pk_add_f32 v[4:5], v[4:5], v[8:9]
	v_pk_fma_f32 v[8:9], v[68:69], v[48:49], v[6:7] neg_lo:[0,0,1] neg_hi:[0,0,1]
	v_pk_fma_f32 v[6:7], v[68:69], v[48:49], v[6:7] op_sel_hi:[1,0,1]
	s_nop 0
	v_mov_b32_e32 v6, v51
	v_mov_b32_e32 v9, v7
	v_pk_mul_f32 v[6:7], v[70:71], v[6:7] op_sel:[1,0] op_sel_hi:[0,0]
	v_pk_add_f32 v[4:5], v[4:5], v[8:9]
	v_pk_fma_f32 v[8:9], v[70:71], v[50:51], v[6:7] neg_lo:[0,0,1] neg_hi:[0,0,1]
	v_pk_fma_f32 v[6:7], v[70:71], v[50:51], v[6:7] op_sel_hi:[1,0,1]
	s_nop 0
	v_mov_b32_e32 v9, v7
	s_waitcnt vmcnt(1) lgkmcnt(0)
	v_pk_mul_f32 v[6:7], v[72:73], v[52:53] op_sel:[1,1] op_sel_hi:[0,1]
	v_pk_add_f32 v[4:5], v[4:5], v[8:9]
	v_pk_fma_f32 v[8:9], v[72:73], v[52:53], v[6:7] neg_lo:[0,0,1] neg_hi:[0,0,1]
	v_pk_fma_f32 v[6:7], v[72:73], v[52:53], v[6:7] op_sel_hi:[1,0,1]
	s_nop 0
	v_mov_b32_e32 v6, v55
	v_mov_b32_e32 v9, v7
	v_pk_mul_f32 v[6:7], v[74:75], v[6:7] op_sel:[1,0] op_sel_hi:[0,0]
	v_pk_add_f32 v[4:5], v[4:5], v[8:9]
	v_pk_fma_f32 v[8:9], v[74:75], v[54:55], v[6:7] neg_lo:[0,0,1] neg_hi:[0,0,1]
	v_pk_fma_f32 v[6:7], v[74:75], v[54:55], v[6:7] op_sel_hi:[1,0,1]
	s_nop 0
	v_mov_b32_e32 v9, v7
	v_pk_add_f32 v[4:5], v[4:5], v[8:9]
	s_waitcnt vmcnt(0)
	v_pk_add_f32 v[2:3], v[2:3], v[4:5] neg_lo:[0,1] neg_hi:[0,1]
	scratch_store_dwordx2 off, v[2:3], off offset:112
	s_and_saveexec_b64 s[0:1], vcc
	s_cbranch_execz .LBB96_185
; %bb.184:
	scratch_load_dwordx2 v[2:3], off, off offset:104
	v_mov_b32_e32 v4, 0
	v_mov_b32_e32 v5, v4
	scratch_store_dwordx2 off, v[4:5], off offset:104
	s_waitcnt vmcnt(1)
	ds_write_b64 v1, v[2:3]
.LBB96_185:
	s_or_b64 exec, exec, s[0:1]
	s_waitcnt lgkmcnt(0)
	; wave barrier
	scratch_load_dwordx4 v[4:7], off, off offset:112
	scratch_load_dwordx4 v[8:11], off, off offset:128
	scratch_load_dwordx4 v[12:15], off, off offset:144
	scratch_load_dwordx4 v[16:19], off, off offset:160
	scratch_load_dwordx4 v[20:23], off, off offset:176
	scratch_load_dwordx4 v[24:27], off, off offset:192
	scratch_load_dwordx4 v[28:31], off, off offset:208
	scratch_load_dwordx4 v[32:35], off, off offset:224
	scratch_load_dwordx4 v[36:39], off, off offset:240
	scratch_load_dwordx2 v[76:77], off, off offset:256
	scratch_load_dwordx2 v[78:79], off, off offset:104
	v_mov_b32_e32 v2, 0
	ds_read_b128 v[40:43], v2 offset:384
	ds_read_b128 v[44:47], v2 offset:400
	;; [unrolled: 1-line block ×9, first 2 shown]
	ds_read_b64 v[80:81], v2 offset:528
	v_cmp_lt_u32_e32 vcc, 12, v0
	s_waitcnt vmcnt(10) lgkmcnt(9)
	v_mul_f32_e32 v87, v42, v7
	v_mul_f32_e32 v3, v40, v5
	;; [unrolled: 1-line block ×3, first 2 shown]
	v_fmac_f32_e32 v87, v43, v6
	s_waitcnt vmcnt(9) lgkmcnt(8)
	v_mul_f32_e32 v88, v44, v9
	s_waitcnt vmcnt(5)
	v_mov_b32_e32 v86, v27
	v_mul_f32_e32 v89, v46, v11
	s_waitcnt lgkmcnt(7)
	v_mul_f32_e32 v91, v50, v15
	v_mul_f32_e32 v7, v43, v7
	;; [unrolled: 1-line block ×5, first 2 shown]
	v_fmac_f32_e32 v3, v41, v4
	v_fma_f32 v40, v40, v4, -v5
	s_waitcnt lgkmcnt(4)
	v_pk_mul_f32 v[4:5], v[62:63], v[86:87] op_sel:[1,0] op_sel_hi:[0,0]
	v_fmac_f32_e32 v88, v45, v8
	v_fma_f32 v41, v42, v6, -v7
	v_fma_f32 v8, v44, v8, -v9
	;; [unrolled: 1-line block ×4, first 2 shown]
	v_add_f32_e32 v3, 0, v3
	v_add_f32_e32 v15, 0, v40
	v_pk_fma_f32 v[6:7], v[62:63], v[26:27], v[4:5] neg_lo:[0,0,1] neg_hi:[0,0,1]
	v_pk_fma_f32 v[4:5], v[62:63], v[26:27], v[4:5] op_sel_hi:[1,0,1]
	v_add_f32_e32 v3, v3, v87
	v_add_f32_e32 v4, v15, v41
	v_mul_f32_e32 v90, v48, v13
	v_mul_f32_e32 v13, v49, v13
	v_fmac_f32_e32 v89, v47, v10
	v_add_f32_e32 v3, v3, v88
	v_add_f32_e32 v4, v4, v8
	v_fmac_f32_e32 v90, v49, v12
	v_fma_f32 v10, v48, v12, -v13
	v_add_f32_e32 v3, v3, v89
	v_add_f32_e32 v4, v4, v9
	v_mul_f32_e32 v92, v52, v17
	v_mul_f32_e32 v17, v53, v17
	v_fmac_f32_e32 v91, v51, v14
	v_add_f32_e32 v3, v3, v90
	v_add_f32_e32 v4, v4, v10
	v_mul_f32_e32 v93, v54, v19
	v_mul_f32_e32 v19, v55, v19
	v_fmac_f32_e32 v92, v53, v16
	v_fma_f32 v12, v52, v16, -v17
	v_add_f32_e32 v3, v3, v91
	v_add_f32_e32 v4, v4, v11
	v_mul_f32_e32 v94, v56, v21
	v_mul_f32_e32 v21, v57, v21
	v_fmac_f32_e32 v93, v55, v18
	v_fma_f32 v13, v54, v18, -v19
	v_add_f32_e32 v3, v3, v92
	v_add_f32_e32 v4, v4, v12
	v_mul_f32_e32 v83, v58, v23
	v_mul_f32_e32 v23, v59, v23
	v_fmac_f32_e32 v94, v57, v20
	v_fma_f32 v14, v56, v20, -v21
	v_add_f32_e32 v3, v3, v93
	v_add_f32_e32 v4, v4, v13
	v_mul_f32_e32 v85, v60, v25
	v_mul_f32_e32 v25, v61, v25
	v_fmac_f32_e32 v83, v59, v22
	v_fma_f32 v82, v58, v22, -v23
	v_mov_b32_e32 v7, v5
	v_add_f32_e32 v5, v3, v94
	v_add_f32_e32 v4, v4, v14
	v_fmac_f32_e32 v85, v61, v24
	v_fma_f32 v84, v60, v24, -v25
	v_pk_add_f32 v[4:5], v[4:5], v[82:83]
	s_nop 0
	v_pk_add_f32 v[4:5], v[4:5], v[84:85]
	s_nop 0
	v_pk_add_f32 v[4:5], v[4:5], v[6:7]
	s_waitcnt vmcnt(4) lgkmcnt(3)
	v_pk_mul_f32 v[6:7], v[64:65], v[28:29] op_sel:[1,1] op_sel_hi:[0,1]
	v_pk_fma_f32 v[8:9], v[64:65], v[28:29], v[6:7] neg_lo:[0,0,1] neg_hi:[0,0,1]
	v_pk_fma_f32 v[6:7], v[64:65], v[28:29], v[6:7] op_sel_hi:[1,0,1]
	s_nop 0
	v_mov_b32_e32 v6, v31
	v_mov_b32_e32 v9, v7
	v_pk_mul_f32 v[6:7], v[66:67], v[6:7] op_sel:[1,0] op_sel_hi:[0,0]
	v_pk_add_f32 v[4:5], v[4:5], v[8:9]
	v_pk_fma_f32 v[8:9], v[66:67], v[30:31], v[6:7] neg_lo:[0,0,1] neg_hi:[0,0,1]
	v_pk_fma_f32 v[6:7], v[66:67], v[30:31], v[6:7] op_sel_hi:[1,0,1]
	s_nop 0
	v_mov_b32_e32 v9, v7
	s_waitcnt vmcnt(3) lgkmcnt(2)
	v_pk_mul_f32 v[6:7], v[68:69], v[32:33] op_sel:[1,1] op_sel_hi:[0,1]
	v_pk_add_f32 v[4:5], v[4:5], v[8:9]
	v_pk_fma_f32 v[8:9], v[68:69], v[32:33], v[6:7] neg_lo:[0,0,1] neg_hi:[0,0,1]
	v_pk_fma_f32 v[6:7], v[68:69], v[32:33], v[6:7] op_sel_hi:[1,0,1]
	s_nop 0
	v_mov_b32_e32 v6, v35
	v_mov_b32_e32 v9, v7
	v_pk_mul_f32 v[6:7], v[70:71], v[6:7] op_sel:[1,0] op_sel_hi:[0,0]
	v_pk_add_f32 v[4:5], v[4:5], v[8:9]
	v_pk_fma_f32 v[8:9], v[70:71], v[34:35], v[6:7] neg_lo:[0,0,1] neg_hi:[0,0,1]
	v_pk_fma_f32 v[6:7], v[70:71], v[34:35], v[6:7] op_sel_hi:[1,0,1]
	s_nop 0
	v_mov_b32_e32 v9, v7
	s_waitcnt vmcnt(2) lgkmcnt(1)
	v_pk_mul_f32 v[6:7], v[72:73], v[36:37] op_sel:[1,1] op_sel_hi:[0,1]
	v_pk_add_f32 v[4:5], v[4:5], v[8:9]
	;; [unrolled: 14-line block ×3, first 2 shown]
	v_pk_fma_f32 v[8:9], v[80:81], v[76:77], v[6:7] neg_lo:[0,0,1] neg_hi:[0,0,1]
	v_pk_fma_f32 v[6:7], v[80:81], v[76:77], v[6:7] op_sel_hi:[1,0,1]
	s_nop 0
	v_mov_b32_e32 v9, v7
	v_pk_add_f32 v[4:5], v[4:5], v[8:9]
	s_waitcnt vmcnt(0)
	v_pk_add_f32 v[4:5], v[78:79], v[4:5] neg_lo:[0,1] neg_hi:[0,1]
	scratch_store_dwordx2 off, v[4:5], off offset:104
	s_and_saveexec_b64 s[0:1], vcc
	s_cbranch_execz .LBB96_187
; %bb.186:
	scratch_load_dwordx2 v[4:5], off, off offset:96
	v_mov_b32_e32 v3, v2
	scratch_store_dwordx2 off, v[2:3], off offset:96
	s_waitcnt vmcnt(1)
	ds_write_b64 v1, v[4:5]
.LBB96_187:
	s_or_b64 exec, exec, s[0:1]
	s_waitcnt lgkmcnt(0)
	; wave barrier
	scratch_load_dwordx4 v[4:7], off, off offset:104
	scratch_load_dwordx4 v[8:11], off, off offset:120
	;; [unrolled: 1-line block ×7, first 2 shown]
	ds_read2_b64 v[32:35], v2 offset0:47 offset1:48
	ds_read2_b64 v[36:39], v2 offset0:49 offset1:50
	;; [unrolled: 1-line block ×6, first 2 shown]
	scratch_load_dwordx4 v[56:59], off, off offset:216
	scratch_load_dwordx4 v[60:63], off, off offset:232
	;; [unrolled: 1-line block ×3, first 2 shown]
	ds_read2_b64 v[68:71], v2 offset0:59 offset1:60
	ds_read2_b64 v[72:75], v2 offset0:61 offset1:62
	;; [unrolled: 1-line block ×4, first 2 shown]
	scratch_load_dwordx2 v[2:3], off, off offset:96
	v_cmp_lt_u32_e32 vcc, 11, v0
	s_waitcnt vmcnt(10) lgkmcnt(9)
	v_mul_f32_e32 v90, v32, v5
	v_mul_f32_e32 v5, v33, v5
	;; [unrolled: 1-line block ×3, first 2 shown]
	s_waitcnt vmcnt(9) lgkmcnt(8)
	v_mul_f32_e32 v92, v36, v9
	s_waitcnt vmcnt(8) lgkmcnt(7)
	v_mul_f32_e32 v95, v42, v15
	v_mul_f32_e32 v7, v35, v7
	;; [unrolled: 1-line block ×4, first 2 shown]
	v_fmac_f32_e32 v90, v33, v4
	v_fma_f32 v4, v32, v4, -v5
	v_fmac_f32_e32 v91, v35, v6
	v_fmac_f32_e32 v95, v43, v14
	v_fma_f32 v5, v34, v6, -v7
	v_fma_f32 v6, v36, v8, -v9
	;; [unrolled: 1-line block ×3, first 2 shown]
	v_add_f32_e32 v14, 0, v90
	v_add_f32_e32 v4, 0, v4
	v_mul_f32_e32 v93, v38, v11
	v_mul_f32_e32 v11, v39, v11
	v_fmac_f32_e32 v92, v37, v8
	v_add_f32_e32 v14, v14, v91
	v_add_f32_e32 v4, v4, v5
	v_mul_f32_e32 v94, v40, v13
	v_mul_f32_e32 v13, v41, v13
	v_fmac_f32_e32 v93, v39, v10
	v_fma_f32 v7, v38, v10, -v11
	v_add_f32_e32 v5, v14, v92
	v_add_f32_e32 v4, v4, v6
	v_fmac_f32_e32 v94, v41, v12
	v_fma_f32 v8, v40, v12, -v13
	v_add_f32_e32 v5, v5, v93
	v_add_f32_e32 v4, v4, v7
	s_waitcnt vmcnt(7) lgkmcnt(6)
	v_mul_f32_e32 v96, v44, v17
	v_mul_f32_e32 v17, v45, v17
	v_add_f32_e32 v5, v5, v94
	v_add_f32_e32 v4, v4, v8
	v_mul_f32_e32 v97, v46, v19
	v_mul_f32_e32 v19, v47, v19
	v_fmac_f32_e32 v96, v45, v16
	v_fma_f32 v10, v44, v16, -v17
	v_add_f32_e32 v5, v5, v95
	v_add_f32_e32 v4, v4, v9
	s_waitcnt vmcnt(6) lgkmcnt(5)
	v_mul_f32_e32 v98, v48, v21
	v_mul_f32_e32 v21, v49, v21
	v_fmac_f32_e32 v97, v47, v18
	v_fma_f32 v11, v46, v18, -v19
	v_add_f32_e32 v5, v5, v96
	v_add_f32_e32 v4, v4, v10
	v_mul_f32_e32 v99, v50, v23
	v_mul_f32_e32 v23, v51, v23
	v_fmac_f32_e32 v98, v49, v20
	v_fma_f32 v12, v48, v20, -v21
	v_add_f32_e32 v5, v5, v97
	v_add_f32_e32 v4, v4, v11
	s_waitcnt vmcnt(5) lgkmcnt(4)
	v_mul_f32_e32 v85, v52, v25
	v_mul_f32_e32 v25, v53, v25
	v_fmac_f32_e32 v99, v51, v22
	v_fma_f32 v13, v50, v22, -v23
	v_add_f32_e32 v5, v5, v98
	v_add_f32_e32 v4, v4, v12
	v_mul_f32_e32 v87, v54, v27
	v_mul_f32_e32 v27, v55, v27
	s_waitcnt vmcnt(4) lgkmcnt(3)
	v_pk_mul_f32 v[88:89], v[68:69], v[28:29] op_sel:[1,1] op_sel_hi:[0,1]
	v_fmac_f32_e32 v85, v53, v24
	v_fma_f32 v84, v52, v24, -v25
	v_add_f32_e32 v5, v5, v99
	v_add_f32_e32 v4, v4, v13
	v_fmac_f32_e32 v87, v55, v26
	v_fma_f32 v86, v54, v26, -v27
	v_pk_add_f32 v[4:5], v[4:5], v[84:85]
	v_pk_fma_f32 v[6:7], v[68:69], v[28:29], v[88:89] neg_lo:[0,0,1] neg_hi:[0,0,1]
	v_pk_fma_f32 v[8:9], v[68:69], v[28:29], v[88:89] op_sel_hi:[1,0,1]
	v_pk_add_f32 v[4:5], v[4:5], v[86:87]
	v_mov_b32_e32 v7, v9
	v_pk_add_f32 v[4:5], v[4:5], v[6:7]
	v_mov_b32_e32 v6, v31
	v_pk_mul_f32 v[6:7], v[70:71], v[6:7] op_sel:[1,0] op_sel_hi:[0,0]
	v_pk_fma_f32 v[8:9], v[70:71], v[30:31], v[6:7] neg_lo:[0,0,1] neg_hi:[0,0,1]
	v_pk_fma_f32 v[6:7], v[70:71], v[30:31], v[6:7] op_sel_hi:[1,0,1]
	s_nop 0
	v_mov_b32_e32 v9, v7
	s_waitcnt vmcnt(3) lgkmcnt(2)
	v_pk_mul_f32 v[6:7], v[72:73], v[56:57] op_sel:[1,1] op_sel_hi:[0,1]
	v_pk_add_f32 v[4:5], v[4:5], v[8:9]
	v_pk_fma_f32 v[8:9], v[72:73], v[56:57], v[6:7] neg_lo:[0,0,1] neg_hi:[0,0,1]
	v_pk_fma_f32 v[6:7], v[72:73], v[56:57], v[6:7] op_sel_hi:[1,0,1]
	s_nop 0
	v_mov_b32_e32 v6, v59
	v_mov_b32_e32 v9, v7
	v_pk_mul_f32 v[6:7], v[74:75], v[6:7] op_sel:[1,0] op_sel_hi:[0,0]
	v_pk_add_f32 v[4:5], v[4:5], v[8:9]
	v_pk_fma_f32 v[8:9], v[74:75], v[58:59], v[6:7] neg_lo:[0,0,1] neg_hi:[0,0,1]
	v_pk_fma_f32 v[6:7], v[74:75], v[58:59], v[6:7] op_sel_hi:[1,0,1]
	s_nop 0
	v_mov_b32_e32 v9, v7
	s_waitcnt vmcnt(2) lgkmcnt(1)
	v_pk_mul_f32 v[6:7], v[76:77], v[60:61] op_sel:[1,1] op_sel_hi:[0,1]
	v_pk_add_f32 v[4:5], v[4:5], v[8:9]
	v_pk_fma_f32 v[8:9], v[76:77], v[60:61], v[6:7] neg_lo:[0,0,1] neg_hi:[0,0,1]
	v_pk_fma_f32 v[6:7], v[76:77], v[60:61], v[6:7] op_sel_hi:[1,0,1]
	s_nop 0
	v_mov_b32_e32 v6, v63
	v_mov_b32_e32 v9, v7
	v_pk_mul_f32 v[6:7], v[78:79], v[6:7] op_sel:[1,0] op_sel_hi:[0,0]
	v_pk_add_f32 v[4:5], v[4:5], v[8:9]
	;; [unrolled: 14-line block ×3, first 2 shown]
	v_pk_fma_f32 v[8:9], v[82:83], v[66:67], v[6:7] neg_lo:[0,0,1] neg_hi:[0,0,1]
	v_pk_fma_f32 v[6:7], v[82:83], v[66:67], v[6:7] op_sel_hi:[1,0,1]
	s_nop 0
	v_mov_b32_e32 v9, v7
	v_pk_add_f32 v[4:5], v[4:5], v[8:9]
	s_waitcnt vmcnt(0)
	v_pk_add_f32 v[2:3], v[2:3], v[4:5] neg_lo:[0,1] neg_hi:[0,1]
	scratch_store_dwordx2 off, v[2:3], off offset:96
	s_and_saveexec_b64 s[0:1], vcc
	s_cbranch_execz .LBB96_189
; %bb.188:
	scratch_load_dwordx2 v[2:3], off, off offset:88
	v_mov_b32_e32 v4, 0
	v_mov_b32_e32 v5, v4
	scratch_store_dwordx2 off, v[4:5], off offset:88
	s_waitcnt vmcnt(1)
	ds_write_b64 v1, v[2:3]
.LBB96_189:
	s_or_b64 exec, exec, s[0:1]
	s_waitcnt lgkmcnt(0)
	; wave barrier
	scratch_load_dwordx4 v[2:5], off, off offset:96
	scratch_load_dwordx4 v[6:9], off, off offset:112
	;; [unrolled: 1-line block ×10, first 2 shown]
	scratch_load_dwordx2 v[76:77], off, off offset:256
	scratch_load_dwordx2 v[78:79], off, off offset:88
	v_mov_b32_e32 v10, 0
	ds_read_b128 v[44:47], v10 offset:368
	ds_read_b128 v[48:51], v10 offset:384
	;; [unrolled: 1-line block ×8, first 2 shown]
	v_cmp_lt_u32_e32 vcc, 10, v0
	s_waitcnt vmcnt(11) lgkmcnt(7)
	v_mul_f32_e32 v11, v44, v3
	v_mul_f32_e32 v3, v45, v3
	;; [unrolled: 1-line block ×4, first 2 shown]
	v_fmac_f32_e32 v11, v45, v2
	v_fma_f32 v2, v44, v2, -v3
	s_waitcnt vmcnt(10) lgkmcnt(6)
	v_mul_f32_e32 v82, v48, v7
	v_mul_f32_e32 v7, v49, v7
	v_fma_f32 v3, v46, v4, -v5
	v_add_f32_e32 v2, 0, v2
	v_mul_f32_e32 v84, v50, v9
	v_mul_f32_e32 v9, v51, v9
	v_fmac_f32_e32 v80, v47, v4
	v_fma_f32 v4, v48, v6, -v7
	v_add_f32_e32 v11, 0, v11
	v_add_f32_e32 v2, v2, v3
	s_waitcnt vmcnt(9) lgkmcnt(5)
	v_mul_f32_e32 v85, v52, v13
	v_mul_f32_e32 v13, v53, v13
	v_fmac_f32_e32 v82, v49, v6
	v_fma_f32 v5, v50, v8, -v9
	v_add_f32_e32 v11, v11, v80
	v_add_f32_e32 v2, v2, v4
	v_mul_f32_e32 v86, v54, v15
	v_mul_f32_e32 v15, v55, v15
	v_fmac_f32_e32 v84, v51, v8
	v_fma_f32 v6, v52, v12, -v13
	v_add_f32_e32 v3, v11, v82
	v_add_f32_e32 v2, v2, v5
	s_waitcnt vmcnt(8) lgkmcnt(4)
	v_mul_f32_e32 v87, v56, v17
	v_mul_f32_e32 v17, v57, v17
	v_fmac_f32_e32 v85, v53, v12
	v_fma_f32 v7, v54, v14, -v15
	v_add_f32_e32 v3, v3, v84
	;; [unrolled: 13-line block ×4, first 2 shown]
	v_add_f32_e32 v2, v2, v12
	v_fmac_f32_e32 v90, v63, v22
	v_fma_f32 v14, v64, v24, -v25
	v_add_f32_e32 v3, v3, v89
	v_add_f32_e32 v2, v2, v13
	v_mul_f32_e32 v81, v66, v27
	v_fmac_f32_e32 v91, v65, v24
	v_add_f32_e32 v3, v3, v90
	v_add_f32_e32 v12, v2, v14
	v_mul_f32_e32 v2, v67, v27
	s_waitcnt vmcnt(5)
	v_mov_b32_e32 v16, v31
	s_waitcnt lgkmcnt(1)
	v_mul_f32_e32 v83, v68, v29
	v_fmac_f32_e32 v81, v67, v26
	v_add_f32_e32 v13, v3, v91
	v_fma_f32 v80, v66, v26, -v2
	v_mul_f32_e32 v2, v69, v29
	v_pk_mul_f32 v[16:17], v[70:71], v[16:17] op_sel:[1,0] op_sel_hi:[0,0]
	v_fmac_f32_e32 v83, v69, v28
	v_fma_f32 v82, v68, v28, -v2
	v_pk_add_f32 v[12:13], v[12:13], v[80:81]
	v_pk_fma_f32 v[18:19], v[70:71], v[30:31], v[16:17] neg_lo:[0,0,1] neg_hi:[0,0,1]
	v_pk_fma_f32 v[16:17], v[70:71], v[30:31], v[16:17] op_sel_hi:[1,0,1]
	v_pk_add_f32 v[12:13], v[12:13], v[82:83]
	v_mov_b32_e32 v19, v17
	s_waitcnt vmcnt(4) lgkmcnt(0)
	v_pk_mul_f32 v[16:17], v[72:73], v[32:33] op_sel:[1,1] op_sel_hi:[0,1]
	v_pk_add_f32 v[12:13], v[12:13], v[18:19]
	v_pk_fma_f32 v[18:19], v[72:73], v[32:33], v[16:17] neg_lo:[0,0,1] neg_hi:[0,0,1]
	v_pk_fma_f32 v[16:17], v[72:73], v[32:33], v[16:17] op_sel_hi:[1,0,1]
	ds_read_b128 v[2:5], v10 offset:496
	ds_read_b128 v[6:9], v10 offset:512
	ds_read_b64 v[14:15], v10 offset:528
	v_mov_b32_e32 v16, v35
	v_mov_b32_e32 v19, v17
	v_pk_mul_f32 v[16:17], v[74:75], v[16:17] op_sel:[1,0] op_sel_hi:[0,0]
	v_pk_add_f32 v[12:13], v[12:13], v[18:19]
	v_pk_fma_f32 v[18:19], v[74:75], v[34:35], v[16:17] neg_lo:[0,0,1] neg_hi:[0,0,1]
	v_pk_fma_f32 v[16:17], v[74:75], v[34:35], v[16:17] op_sel_hi:[1,0,1]
	s_nop 0
	v_mov_b32_e32 v19, v17
	s_waitcnt vmcnt(3) lgkmcnt(2)
	v_pk_mul_f32 v[16:17], v[2:3], v[36:37] op_sel:[1,1] op_sel_hi:[0,1]
	v_pk_add_f32 v[12:13], v[12:13], v[18:19]
	v_pk_fma_f32 v[18:19], v[2:3], v[36:37], v[16:17] neg_lo:[0,0,1] neg_hi:[0,0,1]
	v_pk_fma_f32 v[2:3], v[2:3], v[36:37], v[16:17] op_sel_hi:[1,0,1]
	s_nop 0
	v_mov_b32_e32 v19, v3
	v_pk_add_f32 v[2:3], v[12:13], v[18:19]
	v_mov_b32_e32 v12, v39
	v_pk_mul_f32 v[12:13], v[4:5], v[12:13] op_sel:[1,0] op_sel_hi:[0,0]
	v_pk_fma_f32 v[16:17], v[4:5], v[38:39], v[12:13] neg_lo:[0,0,1] neg_hi:[0,0,1]
	v_pk_fma_f32 v[4:5], v[4:5], v[38:39], v[12:13] op_sel_hi:[1,0,1]
	s_nop 0
	v_mov_b32_e32 v17, v5
	s_waitcnt vmcnt(2) lgkmcnt(1)
	v_pk_mul_f32 v[4:5], v[6:7], v[40:41] op_sel:[1,1] op_sel_hi:[0,1]
	v_pk_fma_f32 v[12:13], v[6:7], v[40:41], v[4:5] neg_lo:[0,0,1] neg_hi:[0,0,1]
	v_pk_fma_f32 v[4:5], v[6:7], v[40:41], v[4:5] op_sel_hi:[1,0,1]
	v_pk_add_f32 v[2:3], v[2:3], v[16:17]
	v_mov_b32_e32 v4, v43
	v_mov_b32_e32 v13, v5
	v_pk_mul_f32 v[4:5], v[8:9], v[4:5] op_sel:[1,0] op_sel_hi:[0,0]
	v_pk_fma_f32 v[6:7], v[8:9], v[42:43], v[4:5] neg_lo:[0,0,1] neg_hi:[0,0,1]
	v_pk_fma_f32 v[4:5], v[8:9], v[42:43], v[4:5] op_sel_hi:[1,0,1]
	v_pk_add_f32 v[2:3], v[2:3], v[12:13]
	v_mov_b32_e32 v7, v5
	s_waitcnt vmcnt(1) lgkmcnt(0)
	v_pk_mul_f32 v[4:5], v[14:15], v[76:77] op_sel:[1,1] op_sel_hi:[0,1]
	v_pk_add_f32 v[2:3], v[2:3], v[6:7]
	v_pk_fma_f32 v[6:7], v[14:15], v[76:77], v[4:5] neg_lo:[0,0,1] neg_hi:[0,0,1]
	v_pk_fma_f32 v[4:5], v[14:15], v[76:77], v[4:5] op_sel_hi:[1,0,1]
	s_nop 0
	v_mov_b32_e32 v7, v5
	v_pk_add_f32 v[2:3], v[2:3], v[6:7]
	s_waitcnt vmcnt(0)
	v_pk_add_f32 v[2:3], v[78:79], v[2:3] neg_lo:[0,1] neg_hi:[0,1]
	scratch_store_dwordx2 off, v[2:3], off offset:88
	s_and_saveexec_b64 s[0:1], vcc
	s_cbranch_execz .LBB96_191
; %bb.190:
	scratch_load_dwordx2 v[2:3], off, off offset:80
	v_mov_b32_e32 v11, v10
	scratch_store_dwordx2 off, v[10:11], off offset:80
	s_waitcnt vmcnt(1)
	ds_write_b64 v1, v[2:3]
.LBB96_191:
	s_or_b64 exec, exec, s[0:1]
	s_waitcnt lgkmcnt(0)
	; wave barrier
	scratch_load_dwordx4 v[6:9], off, off offset:88
	scratch_load_dwordx4 v[12:15], off, off offset:104
	;; [unrolled: 1-line block ×7, first 2 shown]
	ds_read2_b64 v[36:39], v10 offset0:45 offset1:46
	ds_read2_b64 v[40:43], v10 offset0:47 offset1:48
	;; [unrolled: 1-line block ×6, first 2 shown]
	scratch_load_dwordx4 v[60:63], off, off offset:200
	scratch_load_dwordx4 v[64:67], off, off offset:216
	;; [unrolled: 1-line block ×4, first 2 shown]
	ds_read2_b64 v[72:75], v10 offset0:57 offset1:58
	ds_read2_b64 v[76:79], v10 offset0:59 offset1:60
	scratch_load_dwordx2 v[80:81], off, off offset:80
	v_cmp_lt_u32_e32 vcc, 9, v0
	s_waitcnt vmcnt(11) lgkmcnt(7)
	v_mul_f32_e32 v11, v36, v7
	v_mul_f32_e32 v82, v38, v9
	v_mul_f32_e32 v7, v37, v7
	v_fmac_f32_e32 v11, v37, v6
	s_waitcnt vmcnt(10) lgkmcnt(6)
	v_mul_f32_e32 v84, v40, v13
	v_mul_f32_e32 v9, v39, v9
	v_fmac_f32_e32 v82, v39, v8
	v_fma_f32 v6, v36, v6, -v7
	v_add_f32_e32 v11, 0, v11
	v_mul_f32_e32 v86, v42, v15
	v_fmac_f32_e32 v84, v41, v12
	v_fma_f32 v7, v38, v8, -v9
	v_add_f32_e32 v6, 0, v6
	v_add_f32_e32 v11, v11, v82
	s_waitcnt vmcnt(9) lgkmcnt(5)
	v_mul_f32_e32 v87, v44, v17
	v_mul_f32_e32 v13, v41, v13
	v_fmac_f32_e32 v86, v43, v14
	v_add_f32_e32 v6, v6, v7
	v_add_f32_e32 v7, v11, v84
	v_mul_f32_e32 v88, v46, v19
	v_mul_f32_e32 v15, v43, v15
	v_fmac_f32_e32 v87, v45, v16
	v_fma_f32 v8, v40, v12, -v13
	v_add_f32_e32 v7, v7, v86
	s_waitcnt vmcnt(8) lgkmcnt(4)
	v_mul_f32_e32 v89, v48, v21
	v_mul_f32_e32 v17, v45, v17
	v_fmac_f32_e32 v88, v47, v18
	v_fma_f32 v9, v42, v14, -v15
	v_add_f32_e32 v6, v6, v8
	v_add_f32_e32 v7, v7, v87
	v_mul_f32_e32 v90, v50, v23
	v_mul_f32_e32 v19, v47, v19
	v_fmac_f32_e32 v89, v49, v20
	v_fma_f32 v12, v44, v16, -v17
	v_add_f32_e32 v6, v6, v9
	v_add_f32_e32 v7, v7, v88
	s_waitcnt vmcnt(7) lgkmcnt(3)
	v_mul_f32_e32 v91, v52, v25
	v_mul_f32_e32 v21, v49, v21
	v_fmac_f32_e32 v90, v51, v22
	v_fma_f32 v13, v46, v18, -v19
	v_add_f32_e32 v6, v6, v12
	v_add_f32_e32 v7, v7, v89
	v_mul_f32_e32 v92, v54, v27
	v_mul_f32_e32 v23, v51, v23
	v_fmac_f32_e32 v91, v53, v24
	v_fma_f32 v14, v48, v20, -v21
	v_add_f32_e32 v6, v6, v13
	;; [unrolled: 13-line block ×3, first 2 shown]
	v_add_f32_e32 v7, v7, v92
	v_mul_f32_e32 v29, v57, v29
	v_fmac_f32_e32 v94, v59, v30
	v_fma_f32 v17, v54, v26, -v27
	v_add_f32_e32 v6, v6, v16
	v_add_f32_e32 v7, v7, v93
	v_fma_f32 v18, v56, v28, -v29
	v_add_f32_e32 v6, v6, v17
	v_add_f32_e32 v21, v7, v94
	v_mul_f32_e32 v7, v59, v31
	v_add_f32_e32 v6, v6, v18
	v_fma_f32 v7, v58, v30, -v7
	s_waitcnt vmcnt(5) lgkmcnt(1)
	v_mul_f32_e32 v83, v72, v33
	v_add_f32_e32 v20, v6, v7
	v_mul_f32_e32 v6, v73, v33
	v_fmac_f32_e32 v83, v73, v32
	v_fma_f32 v82, v72, v32, -v6
	v_mul_f32_e32 v6, v75, v35
	v_fma_f32 v84, v74, v34, -v6
	ds_read2_b64 v[6:9], v10 offset0:61 offset1:62
	ds_read2_b64 v[12:15], v10 offset0:63 offset1:64
	ds_read2_b64 v[16:19], v10 offset0:65 offset1:66
	v_pk_add_f32 v[10:11], v[20:21], v[82:83]
	s_waitcnt vmcnt(4) lgkmcnt(3)
	v_pk_mul_f32 v[20:21], v[76:77], v[60:61] op_sel:[1,1] op_sel_hi:[0,1]
	v_mul_f32_e32 v85, v74, v35
	v_pk_fma_f32 v[22:23], v[76:77], v[60:61], v[20:21] neg_lo:[0,0,1] neg_hi:[0,0,1]
	v_pk_fma_f32 v[20:21], v[76:77], v[60:61], v[20:21] op_sel_hi:[1,0,1]
	v_fmac_f32_e32 v85, v75, v34
	v_mov_b32_e32 v20, v63
	v_pk_add_f32 v[10:11], v[10:11], v[84:85]
	v_mov_b32_e32 v23, v21
	v_pk_mul_f32 v[20:21], v[78:79], v[20:21] op_sel:[1,0] op_sel_hi:[0,0]
	v_pk_add_f32 v[10:11], v[10:11], v[22:23]
	v_pk_fma_f32 v[22:23], v[78:79], v[62:63], v[20:21] neg_lo:[0,0,1] neg_hi:[0,0,1]
	v_pk_fma_f32 v[20:21], v[78:79], v[62:63], v[20:21] op_sel_hi:[1,0,1]
	s_nop 0
	v_mov_b32_e32 v23, v21
	s_waitcnt vmcnt(3) lgkmcnt(2)
	v_pk_mul_f32 v[20:21], v[6:7], v[64:65] op_sel:[1,1] op_sel_hi:[0,1]
	v_pk_add_f32 v[10:11], v[10:11], v[22:23]
	v_pk_fma_f32 v[22:23], v[6:7], v[64:65], v[20:21] neg_lo:[0,0,1] neg_hi:[0,0,1]
	v_pk_fma_f32 v[6:7], v[6:7], v[64:65], v[20:21] op_sel_hi:[1,0,1]
	s_nop 0
	v_mov_b32_e32 v23, v7
	v_pk_add_f32 v[6:7], v[10:11], v[22:23]
	v_mov_b32_e32 v10, v67
	v_pk_mul_f32 v[10:11], v[8:9], v[10:11] op_sel:[1,0] op_sel_hi:[0,0]
	v_pk_fma_f32 v[20:21], v[8:9], v[66:67], v[10:11] neg_lo:[0,0,1] neg_hi:[0,0,1]
	v_pk_fma_f32 v[8:9], v[8:9], v[66:67], v[10:11] op_sel_hi:[1,0,1]
	s_nop 0
	v_mov_b32_e32 v21, v9
	s_waitcnt vmcnt(2) lgkmcnt(1)
	v_pk_mul_f32 v[8:9], v[12:13], v[68:69] op_sel:[1,1] op_sel_hi:[0,1]
	v_pk_fma_f32 v[10:11], v[12:13], v[68:69], v[8:9] neg_lo:[0,0,1] neg_hi:[0,0,1]
	v_pk_fma_f32 v[8:9], v[12:13], v[68:69], v[8:9] op_sel_hi:[1,0,1]
	v_pk_add_f32 v[6:7], v[6:7], v[20:21]
	v_mov_b32_e32 v8, v71
	v_mov_b32_e32 v11, v9
	v_pk_mul_f32 v[8:9], v[14:15], v[8:9] op_sel:[1,0] op_sel_hi:[0,0]
	v_pk_add_f32 v[6:7], v[6:7], v[10:11]
	v_pk_fma_f32 v[10:11], v[14:15], v[70:71], v[8:9] neg_lo:[0,0,1] neg_hi:[0,0,1]
	v_pk_fma_f32 v[8:9], v[14:15], v[70:71], v[8:9] op_sel_hi:[1,0,1]
	s_nop 0
	v_mov_b32_e32 v11, v9
	s_waitcnt vmcnt(1) lgkmcnt(0)
	v_pk_mul_f32 v[8:9], v[16:17], v[2:3] op_sel:[1,1] op_sel_hi:[0,1]
	v_pk_add_f32 v[6:7], v[6:7], v[10:11]
	v_pk_fma_f32 v[10:11], v[16:17], v[2:3], v[8:9] neg_lo:[0,0,1] neg_hi:[0,0,1]
	v_pk_fma_f32 v[2:3], v[16:17], v[2:3], v[8:9] op_sel_hi:[1,0,1]
	s_nop 0
	v_mov_b32_e32 v11, v3
	v_pk_add_f32 v[2:3], v[6:7], v[10:11]
	v_mov_b32_e32 v6, v5
	v_pk_mul_f32 v[6:7], v[18:19], v[6:7] op_sel:[1,0] op_sel_hi:[0,0]
	v_pk_fma_f32 v[8:9], v[18:19], v[4:5], v[6:7] neg_lo:[0,0,1] neg_hi:[0,0,1]
	v_pk_fma_f32 v[4:5], v[18:19], v[4:5], v[6:7] op_sel_hi:[1,0,1]
	s_nop 0
	v_mov_b32_e32 v9, v5
	v_pk_add_f32 v[2:3], v[2:3], v[8:9]
	s_waitcnt vmcnt(0)
	v_pk_add_f32 v[2:3], v[80:81], v[2:3] neg_lo:[0,1] neg_hi:[0,1]
	scratch_store_dwordx2 off, v[2:3], off offset:80
	s_and_saveexec_b64 s[0:1], vcc
	s_cbranch_execz .LBB96_193
; %bb.192:
	scratch_load_dwordx2 v[2:3], off, off offset:72
	v_mov_b32_e32 v4, 0
	v_mov_b32_e32 v5, v4
	scratch_store_dwordx2 off, v[4:5], off offset:72
	s_waitcnt vmcnt(1)
	ds_write_b64 v1, v[2:3]
.LBB96_193:
	s_or_b64 exec, exec, s[0:1]
	s_waitcnt lgkmcnt(0)
	; wave barrier
	scratch_load_dwordx4 v[6:9], off, off offset:80
	scratch_load_dwordx4 v[14:17], off, off offset:96
	;; [unrolled: 1-line block ×11, first 2 shown]
	scratch_load_dwordx2 v[22:23], off, off offset:256
	scratch_load_dwordx2 v[36:37], off, off offset:72
	v_mov_b32_e32 v38, 0
	ds_read_b128 v[52:55], v38 offset:352
	ds_read_b128 v[56:59], v38 offset:368
	;; [unrolled: 1-line block ×8, first 2 shown]
	v_cmp_lt_u32_e32 vcc, 8, v0
	s_waitcnt vmcnt(12) lgkmcnt(7)
	v_mul_f32_e32 v39, v52, v7
	v_mul_f32_e32 v84, v54, v9
	;; [unrolled: 1-line block ×3, first 2 shown]
	v_fmac_f32_e32 v39, v53, v6
	s_waitcnt vmcnt(8) lgkmcnt(3)
	v_mul_f32_e32 v93, v68, v19
	v_mul_f32_e32 v19, v69, v19
	;; [unrolled: 1-line block ×4, first 2 shown]
	v_fmac_f32_e32 v84, v55, v8
	v_fmac_f32_e32 v93, v69, v18
	v_fma_f32 v6, v52, v6, -v7
	v_fma_f32 v18, v68, v18, -v19
	v_add_f32_e32 v19, 0, v39
	v_mul_f32_e32 v88, v58, v17
	v_fmac_f32_e32 v86, v57, v14
	v_fma_f32 v7, v54, v8, -v9
	v_add_f32_e32 v6, 0, v6
	v_add_f32_e32 v19, v19, v84
	v_mul_f32_e32 v89, v60, v25
	v_fmac_f32_e32 v88, v59, v16
	v_add_f32_e32 v6, v6, v7
	v_add_f32_e32 v7, v19, v86
	v_mul_f32_e32 v90, v62, v27
	v_fmac_f32_e32 v89, v61, v24
	v_add_f32_e32 v7, v7, v88
	v_mul_f32_e32 v91, v64, v29
	v_mul_f32_e32 v15, v57, v15
	v_fmac_f32_e32 v90, v63, v26
	v_add_f32_e32 v7, v7, v89
	v_mul_f32_e32 v92, v66, v31
	v_mul_f32_e32 v17, v59, v17
	v_fmac_f32_e32 v91, v65, v28
	v_fma_f32 v8, v56, v14, -v15
	v_add_f32_e32 v7, v7, v90
	v_mul_f32_e32 v25, v61, v25
	v_fmac_f32_e32 v92, v67, v30
	v_fma_f32 v9, v58, v16, -v17
	v_add_f32_e32 v6, v6, v8
	v_add_f32_e32 v7, v7, v91
	v_mul_f32_e32 v94, v70, v21
	v_mul_f32_e32 v27, v63, v27
	v_fma_f32 v14, v60, v24, -v25
	v_add_f32_e32 v6, v6, v9
	v_add_f32_e32 v7, v7, v92
	s_waitcnt vmcnt(7) lgkmcnt(2)
	v_mul_f32_e32 v95, v72, v33
	v_mul_f32_e32 v29, v65, v29
	v_fmac_f32_e32 v94, v71, v20
	v_fma_f32 v15, v62, v26, -v27
	v_add_f32_e32 v6, v6, v14
	v_add_f32_e32 v7, v7, v93
	v_mul_f32_e32 v96, v74, v35
	v_mul_f32_e32 v31, v67, v31
	v_fmac_f32_e32 v95, v73, v32
	v_fma_f32 v16, v64, v28, -v29
	v_add_f32_e32 v6, v6, v15
	v_add_f32_e32 v7, v7, v94
	s_waitcnt vmcnt(6) lgkmcnt(1)
	v_mul_f32_e32 v97, v76, v41
	v_fmac_f32_e32 v96, v75, v34
	v_fma_f32 v17, v66, v30, -v31
	v_add_f32_e32 v6, v6, v16
	v_add_f32_e32 v7, v7, v95
	v_mul_f32_e32 v21, v71, v21
	v_fmac_f32_e32 v97, v77, v40
	v_add_f32_e32 v6, v6, v17
	v_add_f32_e32 v7, v7, v96
	;; [unrolled: 1-line block ×4, first 2 shown]
	v_fma_f32 v7, v70, v20, -v21
	v_add_f32_e32 v6, v6, v7
	v_mul_f32_e32 v7, v73, v33
	v_fma_f32 v7, v72, v32, -v7
	v_add_f32_e32 v6, v6, v7
	v_mul_f32_e32 v7, v75, v35
	;; [unrolled: 3-line block ×4, first 2 shown]
	v_mul_f32_e32 v85, v78, v43
	v_fma_f32 v84, v78, v42, -v6
	s_waitcnt vmcnt(5) lgkmcnt(0)
	v_mul_f32_e32 v6, v81, v45
	v_mov_b32_e32 v28, v47
	v_mul_f32_e32 v87, v80, v45
	v_fmac_f32_e32 v85, v79, v42
	v_fma_f32 v86, v80, v44, -v6
	ds_read_b128 v[6:9], v38 offset:480
	ds_read_b128 v[14:17], v38 offset:496
	;; [unrolled: 1-line block ×3, first 2 shown]
	ds_read_b64 v[26:27], v38 offset:528
	v_pk_mul_f32 v[28:29], v[82:83], v[28:29] op_sel:[1,0] op_sel_hi:[0,0]
	v_fmac_f32_e32 v87, v81, v44
	v_pk_add_f32 v[24:25], v[24:25], v[84:85]
	v_pk_fma_f32 v[30:31], v[82:83], v[46:47], v[28:29] neg_lo:[0,0,1] neg_hi:[0,0,1]
	v_pk_fma_f32 v[28:29], v[82:83], v[46:47], v[28:29] op_sel_hi:[1,0,1]
	v_pk_add_f32 v[24:25], v[24:25], v[86:87]
	v_mov_b32_e32 v31, v29
	s_waitcnt vmcnt(4) lgkmcnt(3)
	v_pk_mul_f32 v[28:29], v[6:7], v[48:49] op_sel:[1,1] op_sel_hi:[0,1]
	v_pk_add_f32 v[24:25], v[24:25], v[30:31]
	v_pk_fma_f32 v[30:31], v[6:7], v[48:49], v[28:29] neg_lo:[0,0,1] neg_hi:[0,0,1]
	v_pk_fma_f32 v[6:7], v[6:7], v[48:49], v[28:29] op_sel_hi:[1,0,1]
	s_nop 0
	v_mov_b32_e32 v31, v7
	v_pk_add_f32 v[6:7], v[24:25], v[30:31]
	v_mov_b32_e32 v24, v51
	v_pk_mul_f32 v[24:25], v[8:9], v[24:25] op_sel:[1,0] op_sel_hi:[0,0]
	v_pk_fma_f32 v[28:29], v[8:9], v[50:51], v[24:25] neg_lo:[0,0,1] neg_hi:[0,0,1]
	v_pk_fma_f32 v[8:9], v[8:9], v[50:51], v[24:25] op_sel_hi:[1,0,1]
	s_nop 0
	v_mov_b32_e32 v29, v9
	s_waitcnt vmcnt(3) lgkmcnt(2)
	v_pk_mul_f32 v[8:9], v[14:15], v[10:11] op_sel:[1,1] op_sel_hi:[0,1]
	v_pk_fma_f32 v[24:25], v[14:15], v[10:11], v[8:9] neg_lo:[0,0,1] neg_hi:[0,0,1]
	v_pk_fma_f32 v[8:9], v[14:15], v[10:11], v[8:9] op_sel_hi:[1,0,1]
	v_pk_add_f32 v[6:7], v[6:7], v[28:29]
	v_mov_b32_e32 v8, v13
	v_mov_b32_e32 v25, v9
	v_pk_mul_f32 v[8:9], v[16:17], v[8:9] op_sel:[1,0] op_sel_hi:[0,0]
	v_pk_fma_f32 v[10:11], v[16:17], v[12:13], v[8:9] neg_lo:[0,0,1] neg_hi:[0,0,1]
	v_pk_fma_f32 v[8:9], v[16:17], v[12:13], v[8:9] op_sel_hi:[1,0,1]
	v_pk_add_f32 v[6:7], v[6:7], v[24:25]
	v_mov_b32_e32 v11, v9
	s_waitcnt vmcnt(2) lgkmcnt(1)
	v_pk_mul_f32 v[8:9], v[18:19], v[2:3] op_sel:[1,1] op_sel_hi:[0,1]
	v_pk_add_f32 v[6:7], v[6:7], v[10:11]
	v_pk_fma_f32 v[10:11], v[18:19], v[2:3], v[8:9] neg_lo:[0,0,1] neg_hi:[0,0,1]
	v_pk_fma_f32 v[2:3], v[18:19], v[2:3], v[8:9] op_sel_hi:[1,0,1]
	s_nop 0
	v_mov_b32_e32 v11, v3
	v_pk_add_f32 v[2:3], v[6:7], v[10:11]
	v_mov_b32_e32 v6, v5
	v_pk_mul_f32 v[6:7], v[20:21], v[6:7] op_sel:[1,0] op_sel_hi:[0,0]
	v_pk_fma_f32 v[8:9], v[20:21], v[4:5], v[6:7] neg_lo:[0,0,1] neg_hi:[0,0,1]
	v_pk_fma_f32 v[4:5], v[20:21], v[4:5], v[6:7] op_sel_hi:[1,0,1]
	s_nop 0
	v_mov_b32_e32 v9, v5
	s_waitcnt vmcnt(1) lgkmcnt(0)
	v_pk_mul_f32 v[4:5], v[26:27], v[22:23] op_sel:[1,1] op_sel_hi:[0,1]
	v_pk_fma_f32 v[6:7], v[26:27], v[22:23], v[4:5] neg_lo:[0,0,1] neg_hi:[0,0,1]
	v_pk_fma_f32 v[4:5], v[26:27], v[22:23], v[4:5] op_sel_hi:[1,0,1]
	v_pk_add_f32 v[2:3], v[2:3], v[8:9]
	v_mov_b32_e32 v7, v5
	v_pk_add_f32 v[2:3], v[2:3], v[6:7]
	s_waitcnt vmcnt(0)
	v_pk_add_f32 v[2:3], v[36:37], v[2:3] neg_lo:[0,1] neg_hi:[0,1]
	scratch_store_dwordx2 off, v[2:3], off offset:72
	s_and_saveexec_b64 s[0:1], vcc
	s_cbranch_execz .LBB96_195
; %bb.194:
	scratch_load_dwordx2 v[2:3], off, off offset:64
	v_mov_b32_e32 v39, v38
	scratch_store_dwordx2 off, v[38:39], off offset:64
	s_waitcnt vmcnt(1)
	ds_write_b64 v1, v[2:3]
.LBB96_195:
	s_or_b64 exec, exec, s[0:1]
	s_waitcnt lgkmcnt(0)
	; wave barrier
	scratch_load_dwordx4 v[2:5], off, off offset:72
	scratch_load_dwordx4 v[14:17], off, off offset:88
	;; [unrolled: 1-line block ×8, first 2 shown]
	ds_read2_b64 v[48:51], v38 offset0:43 offset1:44
	ds_read2_b64 v[52:55], v38 offset0:45 offset1:46
	;; [unrolled: 1-line block ×8, first 2 shown]
	scratch_load_dwordx4 v[80:83], off, off offset:200
	scratch_load_dwordx4 v[26:29], off, off offset:216
	;; [unrolled: 1-line block ×4, first 2 shown]
	scratch_load_dwordx2 v[84:85], off, off offset:64
	v_cmp_lt_u32_e32 vcc, 7, v0
	s_waitcnt vmcnt(12) lgkmcnt(7)
	v_mul_f32_e32 v39, v48, v3
	v_mul_f32_e32 v86, v50, v5
	;; [unrolled: 1-line block ×3, first 2 shown]
	v_fmac_f32_e32 v39, v49, v2
	s_waitcnt vmcnt(8) lgkmcnt(3)
	v_mul_f32_e32 v95, v64, v19
	v_mul_f32_e32 v19, v65, v19
	;; [unrolled: 1-line block ×4, first 2 shown]
	v_fmac_f32_e32 v86, v51, v4
	v_fmac_f32_e32 v95, v65, v18
	v_fma_f32 v2, v48, v2, -v3
	v_fma_f32 v18, v64, v18, -v19
	v_add_f32_e32 v19, 0, v39
	v_mul_f32_e32 v90, v54, v17
	v_fmac_f32_e32 v88, v53, v14
	v_fma_f32 v3, v50, v4, -v5
	v_add_f32_e32 v2, 0, v2
	v_add_f32_e32 v19, v19, v86
	v_mul_f32_e32 v91, v56, v31
	v_fmac_f32_e32 v90, v55, v16
	v_add_f32_e32 v2, v2, v3
	v_add_f32_e32 v3, v19, v88
	v_mul_f32_e32 v92, v58, v33
	v_fmac_f32_e32 v91, v57, v30
	v_add_f32_e32 v3, v3, v90
	v_mul_f32_e32 v93, v60, v41
	v_fmac_f32_e32 v92, v59, v32
	;; [unrolled: 3-line block ×4, first 2 shown]
	v_add_f32_e32 v3, v3, v93
	v_mul_f32_e32 v96, v66, v21
	v_mul_f32_e32 v17, v55, v17
	v_fma_f32 v4, v52, v14, -v15
	v_add_f32_e32 v3, v3, v94
	s_waitcnt vmcnt(7) lgkmcnt(2)
	v_mul_f32_e32 v97, v68, v23
	v_mul_f32_e32 v31, v57, v31
	v_fmac_f32_e32 v96, v67, v20
	v_fma_f32 v5, v54, v16, -v17
	v_add_f32_e32 v2, v2, v4
	v_add_f32_e32 v3, v3, v95
	v_mul_f32_e32 v98, v70, v25
	v_mul_f32_e32 v33, v59, v33
	v_fmac_f32_e32 v97, v69, v22
	v_fma_f32 v14, v56, v30, -v31
	v_add_f32_e32 v2, v2, v5
	v_add_f32_e32 v3, v3, v96
	s_waitcnt vmcnt(6) lgkmcnt(1)
	v_mul_f32_e32 v99, v72, v35
	v_mul_f32_e32 v41, v61, v41
	v_fmac_f32_e32 v98, v71, v24
	v_fma_f32 v15, v58, v32, -v33
	v_add_f32_e32 v2, v2, v14
	v_add_f32_e32 v3, v3, v97
	v_mul_f32_e32 v100, v74, v37
	v_mul_f32_e32 v43, v63, v43
	v_fmac_f32_e32 v99, v73, v34
	v_fma_f32 v16, v60, v40, -v41
	v_add_f32_e32 v2, v2, v15
	v_add_f32_e32 v3, v3, v98
	v_fmac_f32_e32 v100, v75, v36
	v_fma_f32 v17, v62, v42, -v43
	v_add_f32_e32 v2, v2, v16
	v_add_f32_e32 v3, v3, v99
	;; [unrolled: 1-line block ×4, first 2 shown]
	v_mul_f32_e32 v3, v67, v21
	v_add_f32_e32 v2, v2, v18
	v_fma_f32 v3, v66, v20, -v3
	v_add_f32_e32 v2, v2, v3
	v_mul_f32_e32 v3, v69, v23
	v_fma_f32 v3, v68, v22, -v3
	v_add_f32_e32 v2, v2, v3
	v_mul_f32_e32 v3, v71, v25
	;; [unrolled: 3-line block ×4, first 2 shown]
	v_fma_f32 v3, v74, v36, -v3
	v_add_f32_e32 v30, v2, v3
	s_waitcnt vmcnt(5) lgkmcnt(0)
	v_mul_f32_e32 v2, v77, v45
	v_fma_f32 v86, v76, v44, -v2
	v_mul_f32_e32 v2, v79, v47
	v_fma_f32 v88, v78, v46, -v2
	ds_read2_b64 v[2:5], v38 offset0:59 offset1:60
	ds_read2_b64 v[14:17], v38 offset0:61 offset1:62
	;; [unrolled: 1-line block ×4, first 2 shown]
	v_mul_f32_e32 v87, v76, v45
	v_mul_f32_e32 v89, v78, v47
	v_fmac_f32_e32 v87, v77, v44
	s_waitcnt vmcnt(4) lgkmcnt(3)
	v_pk_mul_f32 v[32:33], v[2:3], v[80:81] op_sel:[1,1] op_sel_hi:[0,1]
	v_fmac_f32_e32 v89, v79, v46
	v_pk_add_f32 v[30:31], v[30:31], v[86:87]
	v_pk_fma_f32 v[34:35], v[2:3], v[80:81], v[32:33] neg_lo:[0,0,1] neg_hi:[0,0,1]
	v_pk_fma_f32 v[2:3], v[2:3], v[80:81], v[32:33] op_sel_hi:[1,0,1]
	v_pk_add_f32 v[30:31], v[30:31], v[88:89]
	v_mov_b32_e32 v35, v3
	v_pk_add_f32 v[2:3], v[30:31], v[34:35]
	v_mov_b32_e32 v30, v83
	v_pk_mul_f32 v[30:31], v[4:5], v[30:31] op_sel:[1,0] op_sel_hi:[0,0]
	v_pk_fma_f32 v[32:33], v[4:5], v[82:83], v[30:31] neg_lo:[0,0,1] neg_hi:[0,0,1]
	v_pk_fma_f32 v[4:5], v[4:5], v[82:83], v[30:31] op_sel_hi:[1,0,1]
	s_nop 0
	v_mov_b32_e32 v33, v5
	s_waitcnt vmcnt(3) lgkmcnt(2)
	v_pk_mul_f32 v[4:5], v[14:15], v[26:27] op_sel:[1,1] op_sel_hi:[0,1]
	v_pk_fma_f32 v[30:31], v[14:15], v[26:27], v[4:5] neg_lo:[0,0,1] neg_hi:[0,0,1]
	v_pk_fma_f32 v[4:5], v[14:15], v[26:27], v[4:5] op_sel_hi:[1,0,1]
	v_pk_add_f32 v[2:3], v[2:3], v[32:33]
	v_mov_b32_e32 v4, v29
	v_mov_b32_e32 v31, v5
	v_pk_mul_f32 v[4:5], v[16:17], v[4:5] op_sel:[1,0] op_sel_hi:[0,0]
	v_pk_fma_f32 v[14:15], v[16:17], v[28:29], v[4:5] neg_lo:[0,0,1] neg_hi:[0,0,1]
	v_pk_fma_f32 v[4:5], v[16:17], v[28:29], v[4:5] op_sel_hi:[1,0,1]
	v_pk_add_f32 v[2:3], v[2:3], v[30:31]
	v_mov_b32_e32 v15, v5
	s_waitcnt vmcnt(2) lgkmcnt(1)
	v_pk_mul_f32 v[4:5], v[18:19], v[10:11] op_sel:[1,1] op_sel_hi:[0,1]
	v_pk_add_f32 v[2:3], v[2:3], v[14:15]
	v_pk_fma_f32 v[14:15], v[18:19], v[10:11], v[4:5] neg_lo:[0,0,1] neg_hi:[0,0,1]
	v_pk_fma_f32 v[4:5], v[18:19], v[10:11], v[4:5] op_sel_hi:[1,0,1]
	s_nop 0
	v_mov_b32_e32 v4, v13
	v_mov_b32_e32 v15, v5
	v_pk_mul_f32 v[4:5], v[20:21], v[4:5] op_sel:[1,0] op_sel_hi:[0,0]
	v_pk_fma_f32 v[10:11], v[20:21], v[12:13], v[4:5] neg_lo:[0,0,1] neg_hi:[0,0,1]
	v_pk_fma_f32 v[4:5], v[20:21], v[12:13], v[4:5] op_sel_hi:[1,0,1]
	v_pk_add_f32 v[2:3], v[2:3], v[14:15]
	v_mov_b32_e32 v11, v5
	s_waitcnt vmcnt(1) lgkmcnt(0)
	v_pk_mul_f32 v[4:5], v[22:23], v[6:7] op_sel:[1,1] op_sel_hi:[0,1]
	v_pk_add_f32 v[2:3], v[2:3], v[10:11]
	v_pk_fma_f32 v[10:11], v[22:23], v[6:7], v[4:5] neg_lo:[0,0,1] neg_hi:[0,0,1]
	v_pk_fma_f32 v[4:5], v[22:23], v[6:7], v[4:5] op_sel_hi:[1,0,1]
	s_nop 0
	v_mov_b32_e32 v4, v9
	v_mov_b32_e32 v11, v5
	v_pk_mul_f32 v[4:5], v[24:25], v[4:5] op_sel:[1,0] op_sel_hi:[0,0]
	v_pk_fma_f32 v[6:7], v[24:25], v[8:9], v[4:5] neg_lo:[0,0,1] neg_hi:[0,0,1]
	v_pk_fma_f32 v[4:5], v[24:25], v[8:9], v[4:5] op_sel_hi:[1,0,1]
	v_pk_add_f32 v[2:3], v[2:3], v[10:11]
	v_mov_b32_e32 v7, v5
	v_pk_add_f32 v[2:3], v[2:3], v[6:7]
	s_waitcnt vmcnt(0)
	v_pk_add_f32 v[2:3], v[84:85], v[2:3] neg_lo:[0,1] neg_hi:[0,1]
	scratch_store_dwordx2 off, v[2:3], off offset:64
	s_and_saveexec_b64 s[0:1], vcc
	s_cbranch_execz .LBB96_197
; %bb.196:
	scratch_load_dwordx2 v[2:3], off, off offset:56
	v_mov_b32_e32 v4, 0
	v_mov_b32_e32 v5, v4
	scratch_store_dwordx2 off, v[4:5], off offset:56
	s_waitcnt vmcnt(1)
	ds_write_b64 v1, v[2:3]
.LBB96_197:
	s_or_b64 exec, exec, s[0:1]
	v_mov_b32_e32 v2, 0
	s_waitcnt lgkmcnt(0)
	; wave barrier
	ds_read_b128 v[4:7], v2 offset:336
	ds_read_b128 v[8:11], v2 offset:352
	;; [unrolled: 1-line block ×4, first 2 shown]
	scratch_load_dwordx4 v[20:23], off, off offset:64
	scratch_load_dwordx4 v[40:43], off, off offset:128
	;; [unrolled: 1-line block ×3, first 2 shown]
	v_cmp_lt_u32_e32 vcc, 6, v0
	scratch_load_dwordx4 v[48:51], off, off offset:144
	scratch_load_dwordx4 v[56:59], off, off offset:160
	;; [unrolled: 1-line block ×3, first 2 shown]
	s_waitcnt vmcnt(5) lgkmcnt(3)
	v_mul_f32_e32 v3, v4, v21
	v_fmac_f32_e32 v3, v5, v20
	v_mul_f32_e32 v24, v6, v23
	v_add_f32_e32 v3, 0, v3
	v_fmac_f32_e32 v24, v7, v22
	v_add_f32_e32 v3, v3, v24
	scratch_load_dwordx4 v[24:27], off, off offset:80
	s_waitcnt vmcnt(0) lgkmcnt(2)
	v_mul_f32_e32 v28, v8, v25
	v_fmac_f32_e32 v28, v9, v24
	v_add_f32_e32 v3, v3, v28
	v_mul_f32_e32 v28, v10, v27
	v_fmac_f32_e32 v28, v11, v26
	v_add_f32_e32 v3, v3, v28
	scratch_load_dwordx4 v[28:31], off, off offset:96
	s_waitcnt vmcnt(0) lgkmcnt(1)
	v_mul_f32_e32 v32, v12, v29
	v_fmac_f32_e32 v32, v13, v28
	v_add_f32_e32 v3, v3, v32
	v_mul_f32_e32 v32, v14, v31
	v_fmac_f32_e32 v32, v15, v30
	v_add_f32_e32 v3, v3, v32
	scratch_load_dwordx4 v[32:35], off, off offset:112
	s_waitcnt vmcnt(0) lgkmcnt(0)
	v_mul_f32_e32 v36, v16, v33
	v_fmac_f32_e32 v36, v17, v32
	v_add_f32_e32 v3, v3, v36
	v_mul_f32_e32 v36, v18, v35
	v_fmac_f32_e32 v36, v19, v34
	v_add_f32_e32 v3, v3, v36
	ds_read_b128 v[36:39], v2 offset:400
	s_waitcnt lgkmcnt(0)
	v_mul_f32_e32 v44, v36, v41
	v_fmac_f32_e32 v44, v37, v40
	v_add_f32_e32 v3, v3, v44
	v_mul_f32_e32 v44, v38, v43
	v_fmac_f32_e32 v44, v39, v42
	v_add_f32_e32 v3, v3, v44
	ds_read_b128 v[44:47], v2 offset:416
	s_waitcnt lgkmcnt(0)
	v_mul_f32_e32 v52, v44, v49
	v_fmac_f32_e32 v52, v45, v48
	v_add_f32_e32 v3, v3, v52
	v_mul_f32_e32 v52, v46, v51
	;; [unrolled: 8-line block ×3, first 2 shown]
	v_fmac_f32_e32 v60, v55, v58
	v_add_f32_e32 v3, v3, v60
	ds_read_b128 v[60:63], v2 offset:448
	s_waitcnt lgkmcnt(0)
	v_mul_f32_e32 v68, v60, v65
	v_fmac_f32_e32 v68, v61, v64
	v_add_f32_e32 v89, v3, v68
	ds_read_b128 v[68:71], v2 offset:464
	scratch_load_dwordx4 v[76:79], off, off offset:208
	scratch_load_dwordx4 v[80:83], off, off offset:224
	;; [unrolled: 1-line block ×3, first 2 shown]
	scratch_load_dwordx2 v[94:95], off, off offset:256
	v_mul_f32_e32 v3, v5, v21
	v_fma_f32 v3, v4, v20, -v3
	v_mul_f32_e32 v4, v7, v23
	v_add_f32_e32 v3, 0, v3
	v_fma_f32 v4, v6, v22, -v4
	v_add_f32_e32 v3, v3, v4
	v_mul_f32_e32 v4, v9, v25
	v_fma_f32 v4, v8, v24, -v4
	v_add_f32_e32 v3, v3, v4
	v_mul_f32_e32 v4, v11, v27
	;; [unrolled: 3-line block ×13, first 2 shown]
	v_fma_f32 v4, v60, v64, -v4
	v_mul_f32_e32 v91, v62, v67
	v_add_f32_e32 v88, v3, v4
	v_mul_f32_e32 v3, v63, v67
	v_mov_b32_e32 v20, v75
	v_fmac_f32_e32 v91, v63, v66
	s_waitcnt lgkmcnt(0)
	v_mul_f32_e32 v93, v68, v73
	v_fma_f32 v90, v62, v66, -v3
	v_mul_f32_e32 v3, v69, v73
	ds_read_b128 v[4:7], v2 offset:480
	ds_read_b128 v[8:11], v2 offset:496
	;; [unrolled: 1-line block ×3, first 2 shown]
	ds_read_b64 v[16:17], v2 offset:528
	v_pk_mul_f32 v[20:21], v[70:71], v[20:21] op_sel:[1,0] op_sel_hi:[0,0]
	v_fmac_f32_e32 v93, v69, v72
	v_fma_f32 v92, v68, v72, -v3
	v_pk_add_f32 v[18:19], v[88:89], v[90:91]
	v_pk_fma_f32 v[22:23], v[70:71], v[74:75], v[20:21] neg_lo:[0,0,1] neg_hi:[0,0,1]
	v_pk_fma_f32 v[20:21], v[70:71], v[74:75], v[20:21] op_sel_hi:[1,0,1]
	v_pk_add_f32 v[18:19], v[18:19], v[92:93]
	v_mov_b32_e32 v23, v21
	v_pk_add_f32 v[18:19], v[18:19], v[22:23]
	s_waitcnt vmcnt(3) lgkmcnt(3)
	v_pk_mul_f32 v[20:21], v[4:5], v[76:77] op_sel:[1,1] op_sel_hi:[0,1]
	v_pk_fma_f32 v[22:23], v[4:5], v[76:77], v[20:21] neg_lo:[0,0,1] neg_hi:[0,0,1]
	v_pk_fma_f32 v[4:5], v[4:5], v[76:77], v[20:21] op_sel_hi:[1,0,1]
	s_nop 0
	v_mov_b32_e32 v23, v5
	v_pk_add_f32 v[4:5], v[18:19], v[22:23]
	v_mov_b32_e32 v18, v79
	v_pk_mul_f32 v[18:19], v[6:7], v[18:19] op_sel:[1,0] op_sel_hi:[0,0]
	v_pk_fma_f32 v[20:21], v[6:7], v[78:79], v[18:19] neg_lo:[0,0,1] neg_hi:[0,0,1]
	v_pk_fma_f32 v[6:7], v[6:7], v[78:79], v[18:19] op_sel_hi:[1,0,1]
	s_nop 0
	v_mov_b32_e32 v21, v7
	s_waitcnt vmcnt(2) lgkmcnt(2)
	v_pk_mul_f32 v[6:7], v[8:9], v[80:81] op_sel:[1,1] op_sel_hi:[0,1]
	v_pk_fma_f32 v[18:19], v[8:9], v[80:81], v[6:7] neg_lo:[0,0,1] neg_hi:[0,0,1]
	v_pk_fma_f32 v[6:7], v[8:9], v[80:81], v[6:7] op_sel_hi:[1,0,1]
	v_pk_add_f32 v[4:5], v[4:5], v[20:21]
	v_mov_b32_e32 v6, v83
	v_mov_b32_e32 v19, v7
	v_pk_mul_f32 v[6:7], v[10:11], v[6:7] op_sel:[1,0] op_sel_hi:[0,0]
	v_pk_fma_f32 v[8:9], v[10:11], v[82:83], v[6:7] neg_lo:[0,0,1] neg_hi:[0,0,1]
	v_pk_fma_f32 v[6:7], v[10:11], v[82:83], v[6:7] op_sel_hi:[1,0,1]
	v_pk_add_f32 v[4:5], v[4:5], v[18:19]
	v_mov_b32_e32 v9, v7
	s_waitcnt vmcnt(1) lgkmcnt(1)
	v_pk_mul_f32 v[6:7], v[12:13], v[84:85] op_sel:[1,1] op_sel_hi:[0,1]
	v_pk_add_f32 v[4:5], v[4:5], v[8:9]
	v_pk_fma_f32 v[8:9], v[12:13], v[84:85], v[6:7] neg_lo:[0,0,1] neg_hi:[0,0,1]
	v_pk_fma_f32 v[6:7], v[12:13], v[84:85], v[6:7] op_sel_hi:[1,0,1]
	s_nop 0
	v_mov_b32_e32 v6, v87
	v_mov_b32_e32 v9, v7
	v_pk_mul_f32 v[6:7], v[14:15], v[6:7] op_sel:[1,0] op_sel_hi:[0,0]
	v_pk_add_f32 v[4:5], v[4:5], v[8:9]
	v_pk_fma_f32 v[8:9], v[14:15], v[86:87], v[6:7] neg_lo:[0,0,1] neg_hi:[0,0,1]
	v_pk_fma_f32 v[6:7], v[14:15], v[86:87], v[6:7] op_sel_hi:[1,0,1]
	s_nop 0
	v_mov_b32_e32 v9, v7
	s_waitcnt vmcnt(0) lgkmcnt(0)
	v_pk_mul_f32 v[6:7], v[16:17], v[94:95] op_sel:[1,1] op_sel_hi:[0,1]
	v_pk_add_f32 v[4:5], v[4:5], v[8:9]
	v_pk_fma_f32 v[8:9], v[16:17], v[94:95], v[6:7] neg_lo:[0,0,1] neg_hi:[0,0,1]
	v_pk_fma_f32 v[6:7], v[16:17], v[94:95], v[6:7] op_sel_hi:[1,0,1]
	s_nop 0
	v_mov_b32_e32 v9, v7
	scratch_load_dwordx2 v[6:7], off, off offset:56
	v_pk_add_f32 v[4:5], v[4:5], v[8:9]
	s_waitcnt vmcnt(0)
	v_pk_add_f32 v[4:5], v[6:7], v[4:5] neg_lo:[0,1] neg_hi:[0,1]
	scratch_store_dwordx2 off, v[4:5], off offset:56
	s_and_saveexec_b64 s[0:1], vcc
	s_cbranch_execz .LBB96_199
; %bb.198:
	scratch_load_dwordx2 v[4:5], off, off offset:48
	v_mov_b32_e32 v3, v2
	scratch_store_dwordx2 off, v[2:3], off offset:48
	s_waitcnt vmcnt(1)
	ds_write_b64 v1, v[4:5]
.LBB96_199:
	s_or_b64 exec, exec, s[0:1]
	s_waitcnt lgkmcnt(0)
	; wave barrier
	scratch_load_dwordx4 v[8:11], off, off offset:56
	scratch_load_dwordx4 v[16:19], off, off offset:72
	scratch_load_dwordx4 v[24:27], off, off offset:88
	scratch_load_dwordx4 v[32:35], off, off offset:104
	scratch_load_dwordx4 v[40:43], off, off offset:120
	scratch_load_dwordx4 v[48:51], off, off offset:136
	scratch_load_dwordx4 v[56:59], off, off offset:152
	scratch_load_dwordx4 v[64:67], off, off offset:168
	ds_read2_b64 v[4:7], v2 offset0:41 offset1:42
	scratch_load_dwordx4 v[72:75], off, off offset:184
	v_cmp_lt_u32_e32 vcc, 5, v0
	s_waitcnt vmcnt(8) lgkmcnt(0)
	v_mul_f32_e32 v3, v4, v9
	v_fmac_f32_e32 v3, v5, v8
	v_mul_f32_e32 v12, v6, v11
	v_add_f32_e32 v3, 0, v3
	v_fmac_f32_e32 v12, v7, v10
	v_add_f32_e32 v3, v3, v12
	ds_read2_b64 v[12:15], v2 offset0:43 offset1:44
	s_waitcnt vmcnt(7) lgkmcnt(0)
	v_mul_f32_e32 v20, v12, v17
	v_fmac_f32_e32 v20, v13, v16
	v_add_f32_e32 v3, v3, v20
	v_mul_f32_e32 v20, v14, v19
	v_fmac_f32_e32 v20, v15, v18
	v_add_f32_e32 v3, v3, v20
	ds_read2_b64 v[20:23], v2 offset0:45 offset1:46
	s_waitcnt vmcnt(6) lgkmcnt(0)
	v_mul_f32_e32 v28, v20, v25
	v_fmac_f32_e32 v28, v21, v24
	v_add_f32_e32 v3, v3, v28
	v_mul_f32_e32 v28, v22, v27
	v_fmac_f32_e32 v28, v23, v26
	v_add_f32_e32 v3, v3, v28
	ds_read2_b64 v[28:31], v2 offset0:47 offset1:48
	s_waitcnt vmcnt(5) lgkmcnt(0)
	v_mul_f32_e32 v36, v28, v33
	v_fmac_f32_e32 v36, v29, v32
	v_add_f32_e32 v3, v3, v36
	v_mul_f32_e32 v36, v30, v35
	v_fmac_f32_e32 v36, v31, v34
	v_add_f32_e32 v3, v3, v36
	ds_read2_b64 v[36:39], v2 offset0:49 offset1:50
	s_waitcnt vmcnt(4) lgkmcnt(0)
	v_mul_f32_e32 v44, v36, v41
	v_fmac_f32_e32 v44, v37, v40
	v_add_f32_e32 v3, v3, v44
	v_mul_f32_e32 v44, v38, v43
	v_fmac_f32_e32 v44, v39, v42
	v_add_f32_e32 v3, v3, v44
	ds_read2_b64 v[44:47], v2 offset0:51 offset1:52
	s_waitcnt vmcnt(3) lgkmcnt(0)
	v_mul_f32_e32 v52, v44, v49
	v_fmac_f32_e32 v52, v45, v48
	v_add_f32_e32 v3, v3, v52
	v_mul_f32_e32 v52, v46, v51
	v_fmac_f32_e32 v52, v47, v50
	v_add_f32_e32 v3, v3, v52
	ds_read2_b64 v[52:55], v2 offset0:53 offset1:54
	s_waitcnt vmcnt(2) lgkmcnt(0)
	v_mul_f32_e32 v60, v52, v57
	v_fmac_f32_e32 v60, v53, v56
	v_add_f32_e32 v3, v3, v60
	v_mul_f32_e32 v60, v54, v59
	v_fmac_f32_e32 v60, v55, v58
	v_add_f32_e32 v3, v3, v60
	ds_read2_b64 v[60:63], v2 offset0:55 offset1:56
	s_waitcnt vmcnt(1) lgkmcnt(0)
	v_mul_f32_e32 v68, v60, v65
	v_fmac_f32_e32 v68, v61, v64
	v_add_f32_e32 v3, v3, v68
	v_mul_f32_e32 v68, v62, v67
	v_fmac_f32_e32 v68, v63, v66
	v_add_f32_e32 v93, v3, v68
	ds_read2_b64 v[68:71], v2 offset0:57 offset1:58
	scratch_load_dwordx4 v[76:79], off, off offset:200
	scratch_load_dwordx4 v[80:83], off, off offset:216
	;; [unrolled: 1-line block ×4, first 2 shown]
	v_mul_f32_e32 v3, v5, v9
	v_fma_f32 v3, v4, v8, -v3
	v_mul_f32_e32 v4, v7, v11
	v_add_f32_e32 v3, 0, v3
	v_fma_f32 v4, v6, v10, -v4
	v_add_f32_e32 v3, v3, v4
	v_mul_f32_e32 v4, v13, v17
	v_fma_f32 v4, v12, v16, -v4
	v_add_f32_e32 v3, v3, v4
	v_mul_f32_e32 v4, v15, v19
	v_fma_f32 v4, v14, v18, -v4
	v_add_f32_e32 v3, v3, v4
	v_mul_f32_e32 v4, v21, v25
	v_fma_f32 v4, v20, v24, -v4
	v_add_f32_e32 v3, v3, v4
	v_mul_f32_e32 v4, v23, v27
	v_fma_f32 v4, v22, v26, -v4
	v_add_f32_e32 v3, v3, v4
	v_mul_f32_e32 v4, v29, v33
	v_fma_f32 v4, v28, v32, -v4
	v_add_f32_e32 v3, v3, v4
	v_mul_f32_e32 v4, v31, v35
	v_fma_f32 v4, v30, v34, -v4
	v_add_f32_e32 v3, v3, v4
	v_mul_f32_e32 v4, v37, v41
	v_fma_f32 v4, v36, v40, -v4
	v_add_f32_e32 v3, v3, v4
	v_mul_f32_e32 v4, v39, v43
	v_fma_f32 v4, v38, v42, -v4
	v_add_f32_e32 v3, v3, v4
	v_mul_f32_e32 v4, v45, v49
	v_fma_f32 v4, v44, v48, -v4
	v_add_f32_e32 v3, v3, v4
	v_mul_f32_e32 v4, v47, v51
	v_fma_f32 v4, v46, v50, -v4
	v_add_f32_e32 v3, v3, v4
	v_mul_f32_e32 v4, v53, v57
	v_fma_f32 v4, v52, v56, -v4
	v_add_f32_e32 v3, v3, v4
	v_mul_f32_e32 v4, v55, v59
	v_fma_f32 v4, v54, v58, -v4
	v_add_f32_e32 v3, v3, v4
	v_mul_f32_e32 v4, v61, v65
	v_fma_f32 v4, v60, v64, -v4
	v_add_f32_e32 v3, v3, v4
	v_mul_f32_e32 v4, v63, v67
	v_fma_f32 v4, v62, v66, -v4
	v_add_f32_e32 v92, v3, v4
	ds_read2_b64 v[4:7], v2 offset0:59 offset1:60
	ds_read2_b64 v[8:11], v2 offset0:61 offset1:62
	;; [unrolled: 1-line block ×4, first 2 shown]
	s_waitcnt vmcnt(4) lgkmcnt(4)
	v_mul_f32_e32 v95, v68, v73
	v_mul_f32_e32 v3, v69, v73
	v_fmac_f32_e32 v95, v69, v72
	v_mul_f32_e32 v97, v70, v75
	v_fma_f32 v94, v68, v72, -v3
	v_mul_f32_e32 v3, v71, v75
	v_fmac_f32_e32 v97, v71, v74
	v_fma_f32 v96, v70, v74, -v3
	v_pk_add_f32 v[2:3], v[92:93], v[94:95]
	s_waitcnt vmcnt(3) lgkmcnt(3)
	v_pk_mul_f32 v[20:21], v[4:5], v[76:77] op_sel:[1,1] op_sel_hi:[0,1]
	v_pk_fma_f32 v[22:23], v[4:5], v[76:77], v[20:21] neg_lo:[0,0,1] neg_hi:[0,0,1]
	v_pk_fma_f32 v[4:5], v[4:5], v[76:77], v[20:21] op_sel_hi:[1,0,1]
	v_pk_add_f32 v[2:3], v[2:3], v[96:97]
	v_mov_b32_e32 v4, v79
	v_mov_b32_e32 v23, v5
	v_pk_mul_f32 v[4:5], v[6:7], v[4:5] op_sel:[1,0] op_sel_hi:[0,0]
	v_pk_fma_f32 v[20:21], v[6:7], v[78:79], v[4:5] neg_lo:[0,0,1] neg_hi:[0,0,1]
	v_pk_fma_f32 v[4:5], v[6:7], v[78:79], v[4:5] op_sel_hi:[1,0,1]
	v_pk_add_f32 v[2:3], v[2:3], v[22:23]
	v_mov_b32_e32 v21, v5
	s_waitcnt vmcnt(2) lgkmcnt(2)
	v_pk_mul_f32 v[4:5], v[8:9], v[80:81] op_sel:[1,1] op_sel_hi:[0,1]
	v_pk_fma_f32 v[6:7], v[8:9], v[80:81], v[4:5] neg_lo:[0,0,1] neg_hi:[0,0,1]
	v_pk_fma_f32 v[4:5], v[8:9], v[80:81], v[4:5] op_sel_hi:[1,0,1]
	v_pk_add_f32 v[2:3], v[2:3], v[20:21]
	v_mov_b32_e32 v4, v83
	v_mov_b32_e32 v7, v5
	v_pk_mul_f32 v[4:5], v[10:11], v[4:5] op_sel:[1,0] op_sel_hi:[0,0]
	v_pk_add_f32 v[2:3], v[2:3], v[6:7]
	v_pk_fma_f32 v[6:7], v[10:11], v[82:83], v[4:5] neg_lo:[0,0,1] neg_hi:[0,0,1]
	v_pk_fma_f32 v[4:5], v[10:11], v[82:83], v[4:5] op_sel_hi:[1,0,1]
	s_nop 0
	v_mov_b32_e32 v7, v5
	s_waitcnt vmcnt(1) lgkmcnt(1)
	v_pk_mul_f32 v[4:5], v[12:13], v[84:85] op_sel:[1,1] op_sel_hi:[0,1]
	v_pk_add_f32 v[2:3], v[2:3], v[6:7]
	v_pk_fma_f32 v[6:7], v[12:13], v[84:85], v[4:5] neg_lo:[0,0,1] neg_hi:[0,0,1]
	v_pk_fma_f32 v[4:5], v[12:13], v[84:85], v[4:5] op_sel_hi:[1,0,1]
	s_nop 0
	v_mov_b32_e32 v4, v87
	v_mov_b32_e32 v7, v5
	v_pk_mul_f32 v[4:5], v[14:15], v[4:5] op_sel:[1,0] op_sel_hi:[0,0]
	v_pk_add_f32 v[2:3], v[2:3], v[6:7]
	v_pk_fma_f32 v[6:7], v[14:15], v[86:87], v[4:5] neg_lo:[0,0,1] neg_hi:[0,0,1]
	v_pk_fma_f32 v[4:5], v[14:15], v[86:87], v[4:5] op_sel_hi:[1,0,1]
	s_nop 0
	v_mov_b32_e32 v7, v5
	s_waitcnt vmcnt(0) lgkmcnt(0)
	v_pk_mul_f32 v[4:5], v[16:17], v[88:89] op_sel:[1,1] op_sel_hi:[0,1]
	v_pk_add_f32 v[2:3], v[2:3], v[6:7]
	v_pk_fma_f32 v[6:7], v[16:17], v[88:89], v[4:5] neg_lo:[0,0,1] neg_hi:[0,0,1]
	v_pk_fma_f32 v[4:5], v[16:17], v[88:89], v[4:5] op_sel_hi:[1,0,1]
	s_nop 0
	v_mov_b32_e32 v4, v91
	v_mov_b32_e32 v7, v5
	v_pk_mul_f32 v[4:5], v[18:19], v[4:5] op_sel:[1,0] op_sel_hi:[0,0]
	v_pk_add_f32 v[2:3], v[2:3], v[6:7]
	v_pk_fma_f32 v[6:7], v[18:19], v[90:91], v[4:5] neg_lo:[0,0,1] neg_hi:[0,0,1]
	v_pk_fma_f32 v[4:5], v[18:19], v[90:91], v[4:5] op_sel_hi:[1,0,1]
	s_nop 0
	v_mov_b32_e32 v7, v5
	scratch_load_dwordx2 v[4:5], off, off offset:48
	v_pk_add_f32 v[2:3], v[2:3], v[6:7]
	s_waitcnt vmcnt(0)
	v_pk_add_f32 v[2:3], v[4:5], v[2:3] neg_lo:[0,1] neg_hi:[0,1]
	scratch_store_dwordx2 off, v[2:3], off offset:48
	s_and_saveexec_b64 s[0:1], vcc
	s_cbranch_execz .LBB96_201
; %bb.200:
	scratch_load_dwordx2 v[2:3], off, off offset:40
	v_mov_b32_e32 v4, 0
	v_mov_b32_e32 v5, v4
	scratch_store_dwordx2 off, v[4:5], off offset:40
	s_waitcnt vmcnt(1)
	ds_write_b64 v1, v[2:3]
.LBB96_201:
	s_or_b64 exec, exec, s[0:1]
	v_mov_b32_e32 v82, 0
	s_waitcnt lgkmcnt(0)
	; wave barrier
	ds_read_b128 v[2:5], v82 offset:320
	ds_read_b128 v[6:9], v82 offset:336
	;; [unrolled: 1-line block ×4, first 2 shown]
	scratch_load_dwordx4 v[18:21], off, off offset:48
	scratch_load_dwordx4 v[38:41], off, off offset:112
	;; [unrolled: 1-line block ×4, first 2 shown]
	v_cmp_lt_u32_e32 vcc, 4, v0
	scratch_load_dwordx4 v[46:49], off, off offset:128
	scratch_load_dwordx4 v[54:57], off, off offset:144
	;; [unrolled: 1-line block ×3, first 2 shown]
	s_waitcnt vmcnt(6) lgkmcnt(3)
	v_mul_f32_e32 v22, v2, v19
	v_fmac_f32_e32 v22, v3, v18
	v_mul_f32_e32 v23, v4, v21
	v_add_f32_e32 v22, 0, v22
	v_fmac_f32_e32 v23, v5, v20
	v_add_f32_e32 v26, v22, v23
	scratch_load_dwordx4 v[22:25], off, off offset:64
	v_mul_f32_e32 v3, v3, v19
	v_fma_f32 v2, v2, v18, -v3
	v_mul_f32_e32 v3, v5, v21
	v_add_f32_e32 v2, 0, v2
	v_fma_f32 v3, v4, v20, -v3
	v_add_f32_e32 v2, v2, v3
	s_waitcnt vmcnt(4)
	v_mov_b32_e32 v18, v81
	s_waitcnt vmcnt(0) lgkmcnt(2)
	v_mul_f32_e32 v27, v6, v23
	v_fmac_f32_e32 v27, v7, v22
	v_add_f32_e32 v26, v26, v27
	v_mul_f32_e32 v27, v8, v25
	v_fmac_f32_e32 v27, v9, v24
	v_add_f32_e32 v30, v26, v27
	scratch_load_dwordx4 v[26:29], off, off offset:80
	v_mul_f32_e32 v3, v7, v23
	v_fma_f32 v3, v6, v22, -v3
	v_add_f32_e32 v2, v2, v3
	v_mul_f32_e32 v3, v9, v25
	v_fma_f32 v3, v8, v24, -v3
	v_add_f32_e32 v2, v2, v3
	s_waitcnt vmcnt(0) lgkmcnt(1)
	v_mul_f32_e32 v31, v10, v27
	v_fmac_f32_e32 v31, v11, v26
	v_add_f32_e32 v30, v30, v31
	v_mul_f32_e32 v31, v12, v29
	v_fmac_f32_e32 v31, v13, v28
	v_add_f32_e32 v34, v30, v31
	scratch_load_dwordx4 v[30:33], off, off offset:96
	v_mul_f32_e32 v3, v11, v27
	v_fma_f32 v3, v10, v26, -v3
	v_add_f32_e32 v2, v2, v3
	v_mul_f32_e32 v3, v13, v29
	v_fma_f32 v3, v12, v28, -v3
	v_add_f32_e32 v2, v2, v3
	s_waitcnt vmcnt(0) lgkmcnt(0)
	v_mul_f32_e32 v35, v14, v31
	v_fmac_f32_e32 v35, v15, v30
	v_add_f32_e32 v34, v34, v35
	v_mul_f32_e32 v35, v16, v33
	v_fmac_f32_e32 v35, v17, v32
	v_add_f32_e32 v42, v34, v35
	ds_read_b128 v[34:37], v82 offset:384
	v_mul_f32_e32 v3, v15, v31
	v_fma_f32 v3, v14, v30, -v3
	v_add_f32_e32 v2, v2, v3
	v_mul_f32_e32 v3, v17, v33
	s_waitcnt lgkmcnt(0)
	v_mul_f32_e32 v43, v34, v39
	v_fmac_f32_e32 v43, v35, v38
	v_add_f32_e32 v42, v42, v43
	v_mul_f32_e32 v43, v36, v41
	v_fmac_f32_e32 v43, v37, v40
	v_add_f32_e32 v50, v42, v43
	ds_read_b128 v[42:45], v82 offset:400
	v_fma_f32 v3, v16, v32, -v3
	v_add_f32_e32 v2, v2, v3
	v_mul_f32_e32 v3, v35, v39
	v_fma_f32 v3, v34, v38, -v3
	s_waitcnt lgkmcnt(0)
	v_mul_f32_e32 v51, v42, v47
	v_fmac_f32_e32 v51, v43, v46
	v_add_f32_e32 v50, v50, v51
	v_mul_f32_e32 v51, v44, v49
	v_fmac_f32_e32 v51, v45, v48
	v_add_f32_e32 v58, v50, v51
	ds_read_b128 v[50:53], v82 offset:416
	v_add_f32_e32 v2, v2, v3
	v_mul_f32_e32 v3, v37, v41
	v_fma_f32 v3, v36, v40, -v3
	v_add_f32_e32 v2, v2, v3
	s_waitcnt lgkmcnt(0)
	v_mul_f32_e32 v59, v50, v55
	v_fmac_f32_e32 v59, v51, v54
	v_add_f32_e32 v58, v58, v59
	v_mul_f32_e32 v59, v52, v57
	v_fmac_f32_e32 v59, v53, v56
	v_add_f32_e32 v66, v58, v59
	ds_read_b128 v[58:61], v82 offset:432
	v_mul_f32_e32 v3, v43, v47
	v_fma_f32 v3, v42, v46, -v3
	v_add_f32_e32 v2, v2, v3
	v_mul_f32_e32 v3, v45, v49
	s_waitcnt lgkmcnt(0)
	v_mul_f32_e32 v67, v58, v63
	v_fmac_f32_e32 v67, v59, v62
	v_add_f32_e32 v66, v66, v67
	v_mul_f32_e32 v67, v60, v65
	v_fmac_f32_e32 v67, v61, v64
	v_add_f32_e32 v74, v66, v67
	ds_read_b128 v[66:69], v82 offset:448
	v_fma_f32 v3, v44, v48, -v3
	v_add_f32_e32 v2, v2, v3
	v_mul_f32_e32 v3, v51, v55
	v_fma_f32 v3, v50, v54, -v3
	s_waitcnt lgkmcnt(0)
	v_mul_f32_e32 v75, v66, v71
	v_fmac_f32_e32 v75, v67, v70
	v_add_f32_e32 v97, v74, v75
	ds_read_b128 v[74:77], v82 offset:464
	scratch_load_dwordx4 v[84:87], off, off offset:208
	scratch_load_dwordx4 v[88:91], off, off offset:224
	;; [unrolled: 1-line block ×3, first 2 shown]
	scratch_load_dwordx2 v[102:103], off, off offset:256
	v_add_f32_e32 v2, v2, v3
	v_mul_f32_e32 v3, v53, v57
	v_fma_f32 v3, v52, v56, -v3
	v_add_f32_e32 v2, v2, v3
	v_mul_f32_e32 v3, v59, v63
	v_fma_f32 v3, v58, v62, -v3
	;; [unrolled: 3-line block ×4, first 2 shown]
	v_add_f32_e32 v96, v2, v3
	v_mul_f32_e32 v2, v69, v73
	v_mul_f32_e32 v99, v68, v73
	v_fma_f32 v98, v68, v72, -v2
	s_waitcnt lgkmcnt(0)
	v_mul_f32_e32 v2, v75, v79
	v_fmac_f32_e32 v99, v69, v72
	v_mul_f32_e32 v101, v74, v79
	v_fma_f32 v100, v74, v78, -v2
	ds_read_b128 v[2:5], v82 offset:480
	ds_read_b128 v[6:9], v82 offset:496
	;; [unrolled: 1-line block ×3, first 2 shown]
	ds_read_b64 v[14:15], v82 offset:528
	v_pk_mul_f32 v[18:19], v[76:77], v[18:19] op_sel:[1,0] op_sel_hi:[0,0]
	v_fmac_f32_e32 v101, v75, v78
	v_pk_add_f32 v[16:17], v[96:97], v[98:99]
	v_pk_fma_f32 v[20:21], v[76:77], v[80:81], v[18:19] neg_lo:[0,0,1] neg_hi:[0,0,1]
	v_pk_fma_f32 v[18:19], v[76:77], v[80:81], v[18:19] op_sel_hi:[1,0,1]
	v_pk_add_f32 v[16:17], v[16:17], v[100:101]
	v_mov_b32_e32 v21, v19
	v_pk_add_f32 v[16:17], v[16:17], v[20:21]
	s_waitcnt vmcnt(3) lgkmcnt(3)
	v_pk_mul_f32 v[18:19], v[2:3], v[84:85] op_sel:[1,1] op_sel_hi:[0,1]
	v_pk_fma_f32 v[20:21], v[2:3], v[84:85], v[18:19] neg_lo:[0,0,1] neg_hi:[0,0,1]
	v_pk_fma_f32 v[2:3], v[2:3], v[84:85], v[18:19] op_sel_hi:[1,0,1]
	s_nop 0
	v_mov_b32_e32 v21, v3
	v_pk_add_f32 v[2:3], v[16:17], v[20:21]
	v_mov_b32_e32 v16, v87
	v_pk_mul_f32 v[16:17], v[4:5], v[16:17] op_sel:[1,0] op_sel_hi:[0,0]
	v_pk_fma_f32 v[18:19], v[4:5], v[86:87], v[16:17] neg_lo:[0,0,1] neg_hi:[0,0,1]
	v_pk_fma_f32 v[4:5], v[4:5], v[86:87], v[16:17] op_sel_hi:[1,0,1]
	s_nop 0
	v_mov_b32_e32 v19, v5
	s_waitcnt vmcnt(2) lgkmcnt(2)
	v_pk_mul_f32 v[4:5], v[6:7], v[88:89] op_sel:[1,1] op_sel_hi:[0,1]
	v_pk_fma_f32 v[16:17], v[6:7], v[88:89], v[4:5] neg_lo:[0,0,1] neg_hi:[0,0,1]
	v_pk_fma_f32 v[4:5], v[6:7], v[88:89], v[4:5] op_sel_hi:[1,0,1]
	v_pk_add_f32 v[2:3], v[2:3], v[18:19]
	v_mov_b32_e32 v4, v91
	v_mov_b32_e32 v17, v5
	v_pk_mul_f32 v[4:5], v[8:9], v[4:5] op_sel:[1,0] op_sel_hi:[0,0]
	v_pk_fma_f32 v[6:7], v[8:9], v[90:91], v[4:5] neg_lo:[0,0,1] neg_hi:[0,0,1]
	v_pk_fma_f32 v[4:5], v[8:9], v[90:91], v[4:5] op_sel_hi:[1,0,1]
	v_pk_add_f32 v[2:3], v[2:3], v[16:17]
	v_mov_b32_e32 v7, v5
	s_waitcnt vmcnt(1) lgkmcnt(1)
	v_pk_mul_f32 v[4:5], v[10:11], v[92:93] op_sel:[1,1] op_sel_hi:[0,1]
	v_pk_add_f32 v[2:3], v[2:3], v[6:7]
	v_pk_fma_f32 v[6:7], v[10:11], v[92:93], v[4:5] neg_lo:[0,0,1] neg_hi:[0,0,1]
	v_pk_fma_f32 v[4:5], v[10:11], v[92:93], v[4:5] op_sel_hi:[1,0,1]
	s_nop 0
	v_mov_b32_e32 v4, v95
	v_mov_b32_e32 v7, v5
	v_pk_mul_f32 v[4:5], v[12:13], v[4:5] op_sel:[1,0] op_sel_hi:[0,0]
	v_pk_add_f32 v[2:3], v[2:3], v[6:7]
	v_pk_fma_f32 v[6:7], v[12:13], v[94:95], v[4:5] neg_lo:[0,0,1] neg_hi:[0,0,1]
	v_pk_fma_f32 v[4:5], v[12:13], v[94:95], v[4:5] op_sel_hi:[1,0,1]
	s_nop 0
	v_mov_b32_e32 v7, v5
	s_waitcnt vmcnt(0) lgkmcnt(0)
	v_pk_mul_f32 v[4:5], v[14:15], v[102:103] op_sel:[1,1] op_sel_hi:[0,1]
	v_pk_add_f32 v[2:3], v[2:3], v[6:7]
	v_pk_fma_f32 v[6:7], v[14:15], v[102:103], v[4:5] neg_lo:[0,0,1] neg_hi:[0,0,1]
	v_pk_fma_f32 v[4:5], v[14:15], v[102:103], v[4:5] op_sel_hi:[1,0,1]
	s_nop 0
	v_mov_b32_e32 v7, v5
	scratch_load_dwordx2 v[4:5], off, off offset:40
	v_pk_add_f32 v[2:3], v[2:3], v[6:7]
	s_waitcnt vmcnt(0)
	v_pk_add_f32 v[2:3], v[4:5], v[2:3] neg_lo:[0,1] neg_hi:[0,1]
	scratch_store_dwordx2 off, v[2:3], off offset:40
	s_and_saveexec_b64 s[0:1], vcc
	s_cbranch_execz .LBB96_203
; %bb.202:
	scratch_load_dwordx2 v[2:3], off, off offset:32
	v_mov_b32_e32 v83, v82
	scratch_store_dwordx2 off, v[82:83], off offset:32
	s_waitcnt vmcnt(1)
	ds_write_b64 v1, v[2:3]
.LBB96_203:
	s_or_b64 exec, exec, s[0:1]
	s_waitcnt lgkmcnt(0)
	; wave barrier
	scratch_load_dwordx4 v[10:13], off, off offset:40
	scratch_load_dwordx4 v[26:29], off, off offset:56
	;; [unrolled: 1-line block ×10, first 2 shown]
	ds_read2_b64 v[84:87], v82 offset0:39 offset1:40
	ds_read2_b64 v[88:91], v82 offset0:41 offset1:42
	;; [unrolled: 1-line block ×10, first 2 shown]
	scratch_load_dwordx4 v[54:57], off, off offset:200
	scratch_load_dwordx4 v[46:49], off, off offset:216
	;; [unrolled: 1-line block ×4, first 2 shown]
	scratch_load_dwordx2 v[100:101], off, off offset:32
	v_cmp_lt_u32_e32 vcc, 3, v0
	s_waitcnt vmcnt(14) lgkmcnt(9)
	v_mul_f32_e32 v83, v84, v11
	v_mul_f32_e32 v102, v86, v13
	s_waitcnt vmcnt(12) lgkmcnt(7)
	v_mul_f32_e32 v107, v92, v3
	v_mul_f32_e32 v3, v93, v3
	v_fmac_f32_e32 v83, v85, v10
	v_mul_f32_e32 v104, v88, v27
	v_fmac_f32_e32 v102, v87, v12
	v_fmac_f32_e32 v107, v93, v2
	v_fma_f32 v2, v92, v2, -v3
	v_add_f32_e32 v3, 0, v83
	v_mul_f32_e32 v106, v90, v29
	v_fmac_f32_e32 v104, v89, v26
	v_add_f32_e32 v3, v3, v102
	v_fmac_f32_e32 v106, v91, v28
	v_add_f32_e32 v3, v3, v104
	v_mul_f32_e32 v108, v94, v5
	v_add_f32_e32 v3, v3, v106
	s_waitcnt vmcnt(11) lgkmcnt(6)
	v_mul_f32_e32 v109, v96, v7
	v_fmac_f32_e32 v108, v95, v4
	v_add_f32_e32 v3, v3, v107
	v_mul_f32_e32 v110, v98, v9
	v_fmac_f32_e32 v109, v97, v6
	v_add_f32_e32 v3, v3, v108
	s_waitcnt vmcnt(10) lgkmcnt(5)
	v_mul_f32_e32 v111, v78, v15
	v_fmac_f32_e32 v110, v99, v8
	v_add_f32_e32 v3, v3, v109
	v_mul_f32_e32 v178, v80, v17
	v_fmac_f32_e32 v111, v79, v14
	;; [unrolled: 7-line block ×4, first 2 shown]
	v_add_f32_e32 v3, v3, v180
	s_waitcnt vmcnt(7) lgkmcnt(2)
	v_mul_f32_e32 v183, v66, v39
	v_mul_f32_e32 v11, v85, v11
	v_fmac_f32_e32 v182, v73, v32
	v_add_f32_e32 v3, v3, v181
	v_mul_f32_e32 v184, v68, v41
	v_mul_f32_e32 v13, v87, v13
	v_fmac_f32_e32 v183, v67, v38
	v_fma_f32 v10, v84, v10, -v11
	v_add_f32_e32 v3, v3, v182
	s_waitcnt vmcnt(6) lgkmcnt(1)
	v_mul_f32_e32 v185, v62, v43
	v_mul_f32_e32 v27, v89, v27
	v_fmac_f32_e32 v184, v69, v40
	v_fma_f32 v11, v86, v12, -v13
	v_add_f32_e32 v10, 0, v10
	v_add_f32_e32 v3, v3, v183
	v_mul_f32_e32 v186, v64, v45
	v_mul_f32_e32 v29, v91, v29
	v_fmac_f32_e32 v185, v63, v42
	v_fma_f32 v12, v88, v26, -v27
	v_add_f32_e32 v10, v10, v11
	v_add_f32_e32 v3, v3, v184
	v_fmac_f32_e32 v186, v65, v44
	v_fma_f32 v13, v90, v28, -v29
	v_add_f32_e32 v10, v10, v12
	v_add_f32_e32 v3, v3, v185
	;; [unrolled: 1-line block ×4, first 2 shown]
	v_mul_f32_e32 v3, v95, v5
	v_add_f32_e32 v2, v10, v2
	v_fma_f32 v3, v94, v4, -v3
	v_add_f32_e32 v2, v2, v3
	v_mul_f32_e32 v3, v97, v7
	v_fma_f32 v3, v96, v6, -v3
	v_add_f32_e32 v2, v2, v3
	v_mul_f32_e32 v3, v99, v9
	v_fma_f32 v3, v98, v8, -v3
	v_add_f32_e32 v2, v2, v3
	v_mul_f32_e32 v3, v79, v15
	v_fma_f32 v3, v78, v14, -v3
	v_add_f32_e32 v2, v2, v3
	v_mul_f32_e32 v3, v81, v17
	v_fma_f32 v3, v80, v16, -v3
	v_add_f32_e32 v2, v2, v3
	v_mul_f32_e32 v3, v75, v23
	v_fma_f32 v3, v74, v22, -v3
	v_add_f32_e32 v2, v2, v3
	v_mul_f32_e32 v3, v77, v25
	v_fma_f32 v3, v76, v24, -v3
	v_add_f32_e32 v2, v2, v3
	v_mul_f32_e32 v3, v71, v31
	v_fma_f32 v3, v70, v30, -v3
	v_add_f32_e32 v2, v2, v3
	v_mul_f32_e32 v3, v73, v33
	v_fma_f32 v3, v72, v32, -v3
	v_add_f32_e32 v2, v2, v3
	v_mul_f32_e32 v3, v67, v39
	v_fma_f32 v3, v66, v38, -v3
	v_add_f32_e32 v2, v2, v3
	v_mul_f32_e32 v3, v69, v41
	v_fma_f32 v3, v68, v40, -v3
	v_add_f32_e32 v2, v2, v3
	v_mul_f32_e32 v3, v63, v43
	v_fma_f32 v3, v62, v42, -v3
	v_add_f32_e32 v2, v2, v3
	v_mul_f32_e32 v3, v65, v45
	v_fma_f32 v3, v64, v44, -v3
	v_add_f32_e32 v26, v2, v3
	s_waitcnt vmcnt(5) lgkmcnt(0)
	v_mul_f32_e32 v2, v59, v51
	v_fma_f32 v102, v58, v50, -v2
	v_mul_f32_e32 v2, v61, v53
	v_fma_f32 v104, v60, v52, -v2
	ds_read2_b64 v[2:5], v82 offset0:59 offset1:60
	ds_read2_b64 v[6:9], v82 offset0:61 offset1:62
	;; [unrolled: 1-line block ×4, first 2 shown]
	v_mul_f32_e32 v103, v58, v51
	v_mul_f32_e32 v105, v60, v53
	v_fmac_f32_e32 v103, v59, v50
	s_waitcnt vmcnt(4) lgkmcnt(3)
	v_pk_mul_f32 v[24:25], v[2:3], v[54:55] op_sel:[1,1] op_sel_hi:[0,1]
	v_fmac_f32_e32 v105, v61, v52
	v_pk_add_f32 v[22:23], v[26:27], v[102:103]
	v_pk_fma_f32 v[26:27], v[2:3], v[54:55], v[24:25] neg_lo:[0,0,1] neg_hi:[0,0,1]
	v_pk_fma_f32 v[2:3], v[2:3], v[54:55], v[24:25] op_sel_hi:[1,0,1]
	v_pk_add_f32 v[22:23], v[22:23], v[104:105]
	v_mov_b32_e32 v27, v3
	v_pk_add_f32 v[2:3], v[22:23], v[26:27]
	v_mov_b32_e32 v22, v57
	v_pk_mul_f32 v[22:23], v[4:5], v[22:23] op_sel:[1,0] op_sel_hi:[0,0]
	v_pk_fma_f32 v[24:25], v[4:5], v[56:57], v[22:23] neg_lo:[0,0,1] neg_hi:[0,0,1]
	v_pk_fma_f32 v[4:5], v[4:5], v[56:57], v[22:23] op_sel_hi:[1,0,1]
	s_nop 0
	v_mov_b32_e32 v25, v5
	s_waitcnt vmcnt(3) lgkmcnt(2)
	v_pk_mul_f32 v[4:5], v[6:7], v[46:47] op_sel:[1,1] op_sel_hi:[0,1]
	v_pk_fma_f32 v[22:23], v[6:7], v[46:47], v[4:5] neg_lo:[0,0,1] neg_hi:[0,0,1]
	v_pk_fma_f32 v[4:5], v[6:7], v[46:47], v[4:5] op_sel_hi:[1,0,1]
	v_pk_add_f32 v[2:3], v[2:3], v[24:25]
	v_mov_b32_e32 v4, v49
	v_mov_b32_e32 v23, v5
	v_pk_mul_f32 v[4:5], v[8:9], v[4:5] op_sel:[1,0] op_sel_hi:[0,0]
	v_pk_fma_f32 v[6:7], v[8:9], v[48:49], v[4:5] neg_lo:[0,0,1] neg_hi:[0,0,1]
	v_pk_fma_f32 v[4:5], v[8:9], v[48:49], v[4:5] op_sel_hi:[1,0,1]
	v_pk_add_f32 v[2:3], v[2:3], v[22:23]
	v_mov_b32_e32 v7, v5
	s_waitcnt vmcnt(2) lgkmcnt(1)
	v_pk_mul_f32 v[4:5], v[10:11], v[34:35] op_sel:[1,1] op_sel_hi:[0,1]
	v_pk_add_f32 v[2:3], v[2:3], v[6:7]
	v_pk_fma_f32 v[6:7], v[10:11], v[34:35], v[4:5] neg_lo:[0,0,1] neg_hi:[0,0,1]
	v_pk_fma_f32 v[4:5], v[10:11], v[34:35], v[4:5] op_sel_hi:[1,0,1]
	s_nop 0
	v_mov_b32_e32 v4, v37
	v_mov_b32_e32 v7, v5
	v_pk_mul_f32 v[4:5], v[12:13], v[4:5] op_sel:[1,0] op_sel_hi:[0,0]
	v_pk_add_f32 v[2:3], v[2:3], v[6:7]
	v_pk_fma_f32 v[6:7], v[12:13], v[36:37], v[4:5] neg_lo:[0,0,1] neg_hi:[0,0,1]
	v_pk_fma_f32 v[4:5], v[12:13], v[36:37], v[4:5] op_sel_hi:[1,0,1]
	s_nop 0
	v_mov_b32_e32 v7, v5
	s_waitcnt vmcnt(1) lgkmcnt(0)
	v_pk_mul_f32 v[4:5], v[14:15], v[18:19] op_sel:[1,1] op_sel_hi:[0,1]
	v_pk_add_f32 v[2:3], v[2:3], v[6:7]
	v_pk_fma_f32 v[6:7], v[14:15], v[18:19], v[4:5] neg_lo:[0,0,1] neg_hi:[0,0,1]
	v_pk_fma_f32 v[4:5], v[14:15], v[18:19], v[4:5] op_sel_hi:[1,0,1]
	s_nop 0
	v_mov_b32_e32 v4, v21
	v_mov_b32_e32 v7, v5
	v_pk_mul_f32 v[4:5], v[16:17], v[4:5] op_sel:[1,0] op_sel_hi:[0,0]
	v_pk_add_f32 v[2:3], v[2:3], v[6:7]
	v_pk_fma_f32 v[6:7], v[16:17], v[20:21], v[4:5] neg_lo:[0,0,1] neg_hi:[0,0,1]
	v_pk_fma_f32 v[4:5], v[16:17], v[20:21], v[4:5] op_sel_hi:[1,0,1]
	s_nop 0
	v_mov_b32_e32 v7, v5
	v_pk_add_f32 v[2:3], v[2:3], v[6:7]
	s_waitcnt vmcnt(0)
	v_pk_add_f32 v[2:3], v[100:101], v[2:3] neg_lo:[0,1] neg_hi:[0,1]
	scratch_store_dwordx2 off, v[2:3], off offset:32
	s_and_saveexec_b64 s[0:1], vcc
	s_cbranch_execz .LBB96_205
; %bb.204:
	scratch_load_dwordx2 v[2:3], off, off offset:24
	v_mov_b32_e32 v4, 0
	v_mov_b32_e32 v5, v4
	scratch_store_dwordx2 off, v[4:5], off offset:24
	s_waitcnt vmcnt(1)
	ds_write_b64 v1, v[2:3]
.LBB96_205:
	s_or_b64 exec, exec, s[0:1]
	s_waitcnt lgkmcnt(0)
	; wave barrier
	scratch_load_dwordx4 v[26:29], off, off offset:32
	scratch_load_dwordx4 v[2:5], off, off offset:48
	;; [unrolled: 1-line block ×14, first 2 shown]
	scratch_load_dwordx2 v[58:59], off, off offset:256
	scratch_load_dwordx2 v[100:101], off, off offset:24
	v_mov_b32_e32 v102, 0
	ds_read_b128 v[60:63], v102 offset:304
	ds_read_b128 v[64:67], v102 offset:320
	;; [unrolled: 1-line block ×12, first 2 shown]
	v_cmp_lt_u32_e32 vcc, 2, v0
	s_waitcnt vmcnt(15) lgkmcnt(11)
	v_mul_f32_e32 v103, v60, v27
	v_mul_f32_e32 v178, v62, v29
	s_waitcnt vmcnt(14) lgkmcnt(10)
	v_mul_f32_e32 v180, v64, v3
	v_mul_f32_e32 v3, v65, v3
	v_fmac_f32_e32 v103, v61, v26
	v_fmac_f32_e32 v178, v63, v28
	v_fmac_f32_e32 v180, v65, v2
	v_fma_f32 v2, v64, v2, -v3
	v_add_f32_e32 v3, 0, v103
	v_mul_f32_e32 v182, v66, v5
	v_add_f32_e32 v3, v3, v178
	s_waitcnt vmcnt(13) lgkmcnt(9)
	v_mul_f32_e32 v183, v68, v7
	v_fmac_f32_e32 v182, v67, v4
	v_add_f32_e32 v3, v3, v180
	v_mul_f32_e32 v184, v70, v9
	v_fmac_f32_e32 v183, v69, v6
	v_add_f32_e32 v3, v3, v182
	s_waitcnt vmcnt(12) lgkmcnt(8)
	v_mul_f32_e32 v185, v72, v11
	v_fmac_f32_e32 v184, v71, v8
	v_add_f32_e32 v3, v3, v183
	v_mul_f32_e32 v186, v74, v13
	v_fmac_f32_e32 v185, v73, v10
	;; [unrolled: 7-line block ×6, first 2 shown]
	v_add_f32_e32 v3, v3, v192
	s_waitcnt vmcnt(7) lgkmcnt(3)
	v_mul_f32_e32 v195, v92, v43
	v_fmac_f32_e32 v194, v91, v40
	v_add_f32_e32 v3, v3, v193
	v_mul_f32_e32 v196, v94, v45
	v_mul_f32_e32 v27, v61, v27
	v_fmac_f32_e32 v195, v93, v42
	v_add_f32_e32 v3, v3, v194
	s_waitcnt vmcnt(6) lgkmcnt(2)
	v_mul_f32_e32 v197, v96, v51
	v_mul_f32_e32 v29, v63, v29
	v_fmac_f32_e32 v196, v95, v44
	v_fma_f32 v26, v60, v26, -v27
	v_add_f32_e32 v3, v3, v195
	v_fmac_f32_e32 v197, v97, v50
	v_fma_f32 v27, v62, v28, -v29
	v_add_f32_e32 v26, 0, v26
	v_add_f32_e32 v3, v3, v196
	;; [unrolled: 1-line block ×4, first 2 shown]
	v_mul_f32_e32 v3, v67, v5
	v_add_f32_e32 v2, v26, v2
	v_fma_f32 v3, v66, v4, -v3
	v_add_f32_e32 v2, v2, v3
	v_mul_f32_e32 v3, v69, v7
	v_fma_f32 v3, v68, v6, -v3
	v_add_f32_e32 v2, v2, v3
	v_mul_f32_e32 v3, v71, v9
	;; [unrolled: 3-line block ×15, first 2 shown]
	v_fma_f32 v3, v96, v50, -v3
	v_mul_f32_e32 v179, v98, v53
	v_add_f32_e32 v26, v2, v3
	v_mul_f32_e32 v2, v99, v53
	s_waitcnt vmcnt(5)
	v_mov_b32_e32 v14, v57
	s_waitcnt lgkmcnt(1)
	v_mul_f32_e32 v181, v104, v55
	v_fmac_f32_e32 v179, v99, v52
	v_fma_f32 v178, v98, v52, -v2
	v_mul_f32_e32 v2, v105, v55
	v_pk_mul_f32 v[14:15], v[106:107], v[14:15] op_sel:[1,0] op_sel_hi:[0,0]
	v_fmac_f32_e32 v181, v105, v54
	v_fma_f32 v180, v104, v54, -v2
	v_pk_add_f32 v[12:13], v[26:27], v[178:179]
	v_pk_fma_f32 v[16:17], v[106:107], v[56:57], v[14:15] neg_lo:[0,0,1] neg_hi:[0,0,1]
	v_pk_fma_f32 v[14:15], v[106:107], v[56:57], v[14:15] op_sel_hi:[1,0,1]
	v_pk_add_f32 v[12:13], v[12:13], v[180:181]
	v_mov_b32_e32 v17, v15
	s_waitcnt vmcnt(4) lgkmcnt(0)
	v_pk_mul_f32 v[14:15], v[108:109], v[46:47] op_sel:[1,1] op_sel_hi:[0,1]
	v_pk_add_f32 v[12:13], v[12:13], v[16:17]
	v_pk_fma_f32 v[16:17], v[108:109], v[46:47], v[14:15] neg_lo:[0,0,1] neg_hi:[0,0,1]
	v_pk_fma_f32 v[14:15], v[108:109], v[46:47], v[14:15] op_sel_hi:[1,0,1]
	ds_read_b128 v[2:5], v102 offset:496
	ds_read_b128 v[6:9], v102 offset:512
	ds_read_b64 v[10:11], v102 offset:528
	v_mov_b32_e32 v14, v49
	v_mov_b32_e32 v17, v15
	v_pk_mul_f32 v[14:15], v[110:111], v[14:15] op_sel:[1,0] op_sel_hi:[0,0]
	v_pk_add_f32 v[12:13], v[12:13], v[16:17]
	v_pk_fma_f32 v[16:17], v[110:111], v[48:49], v[14:15] neg_lo:[0,0,1] neg_hi:[0,0,1]
	v_pk_fma_f32 v[14:15], v[110:111], v[48:49], v[14:15] op_sel_hi:[1,0,1]
	s_nop 0
	v_mov_b32_e32 v17, v15
	s_waitcnt vmcnt(3) lgkmcnt(2)
	v_pk_mul_f32 v[14:15], v[2:3], v[34:35] op_sel:[1,1] op_sel_hi:[0,1]
	v_pk_add_f32 v[12:13], v[12:13], v[16:17]
	v_pk_fma_f32 v[16:17], v[2:3], v[34:35], v[14:15] neg_lo:[0,0,1] neg_hi:[0,0,1]
	v_pk_fma_f32 v[2:3], v[2:3], v[34:35], v[14:15] op_sel_hi:[1,0,1]
	s_nop 0
	v_mov_b32_e32 v17, v3
	v_pk_add_f32 v[2:3], v[12:13], v[16:17]
	v_mov_b32_e32 v12, v37
	v_pk_mul_f32 v[12:13], v[4:5], v[12:13] op_sel:[1,0] op_sel_hi:[0,0]
	v_pk_fma_f32 v[14:15], v[4:5], v[36:37], v[12:13] neg_lo:[0,0,1] neg_hi:[0,0,1]
	v_pk_fma_f32 v[4:5], v[4:5], v[36:37], v[12:13] op_sel_hi:[1,0,1]
	s_nop 0
	v_mov_b32_e32 v15, v5
	s_waitcnt vmcnt(2) lgkmcnt(1)
	v_pk_mul_f32 v[4:5], v[6:7], v[18:19] op_sel:[1,1] op_sel_hi:[0,1]
	v_pk_fma_f32 v[12:13], v[6:7], v[18:19], v[4:5] neg_lo:[0,0,1] neg_hi:[0,0,1]
	v_pk_fma_f32 v[4:5], v[6:7], v[18:19], v[4:5] op_sel_hi:[1,0,1]
	v_pk_add_f32 v[2:3], v[2:3], v[14:15]
	v_mov_b32_e32 v4, v21
	v_mov_b32_e32 v13, v5
	v_pk_mul_f32 v[4:5], v[8:9], v[4:5] op_sel:[1,0] op_sel_hi:[0,0]
	v_pk_fma_f32 v[6:7], v[8:9], v[20:21], v[4:5] neg_lo:[0,0,1] neg_hi:[0,0,1]
	v_pk_fma_f32 v[4:5], v[8:9], v[20:21], v[4:5] op_sel_hi:[1,0,1]
	v_pk_add_f32 v[2:3], v[2:3], v[12:13]
	v_mov_b32_e32 v7, v5
	s_waitcnt vmcnt(1) lgkmcnt(0)
	v_pk_mul_f32 v[4:5], v[10:11], v[58:59] op_sel:[1,1] op_sel_hi:[0,1]
	v_pk_add_f32 v[2:3], v[2:3], v[6:7]
	v_pk_fma_f32 v[6:7], v[10:11], v[58:59], v[4:5] neg_lo:[0,0,1] neg_hi:[0,0,1]
	v_pk_fma_f32 v[4:5], v[10:11], v[58:59], v[4:5] op_sel_hi:[1,0,1]
	s_nop 0
	v_mov_b32_e32 v7, v5
	v_pk_add_f32 v[2:3], v[2:3], v[6:7]
	s_waitcnt vmcnt(0)
	v_pk_add_f32 v[2:3], v[100:101], v[2:3] neg_lo:[0,1] neg_hi:[0,1]
	scratch_store_dwordx2 off, v[2:3], off offset:24
	s_and_saveexec_b64 s[0:1], vcc
	s_cbranch_execz .LBB96_207
; %bb.206:
	scratch_load_dwordx2 v[2:3], off, off offset:16
	v_mov_b32_e32 v103, v102
	scratch_store_dwordx2 off, v[102:103], off offset:16
	s_waitcnt vmcnt(1)
	ds_write_b64 v1, v[2:3]
.LBB96_207:
	s_or_b64 exec, exec, s[0:1]
	s_waitcnt lgkmcnt(0)
	; wave barrier
	scratch_load_dwordx4 v[18:21], off, off offset:24
	scratch_load_dwordx4 v[2:5], off, off offset:40
	;; [unrolled: 1-line block ×11, first 2 shown]
	ds_read2_b64 v[104:107], v102 offset0:37 offset1:38
	ds_read2_b64 v[98:101], v102 offset0:39 offset1:40
	;; [unrolled: 1-line block ×10, first 2 shown]
	scratch_load_dwordx4 v[58:61], off, off offset:200
	scratch_load_dwordx4 v[50:53], off, off offset:216
	;; [unrolled: 1-line block ×4, first 2 shown]
	ds_read2_b64 v[78:81], v102 offset0:57 offset1:58
	ds_read2_b64 v[108:111], v102 offset0:59 offset1:60
	scratch_load_dwordx2 v[178:179], off, off offset:16
	v_cmp_lt_u32_e32 vcc, 1, v0
	s_waitcnt vmcnt(15) lgkmcnt(11)
	v_mul_f32_e32 v103, v104, v19
	v_mul_f32_e32 v180, v106, v21
	s_waitcnt vmcnt(14) lgkmcnt(10)
	v_mul_f32_e32 v182, v98, v3
	v_mul_f32_e32 v3, v99, v3
	v_fmac_f32_e32 v103, v105, v18
	v_fmac_f32_e32 v180, v107, v20
	;; [unrolled: 1-line block ×3, first 2 shown]
	v_fma_f32 v2, v98, v2, -v3
	v_add_f32_e32 v3, 0, v103
	v_mul_f32_e32 v184, v100, v5
	v_add_f32_e32 v3, v3, v180
	s_waitcnt vmcnt(13) lgkmcnt(9)
	v_mul_f32_e32 v185, v94, v7
	v_fmac_f32_e32 v184, v101, v4
	v_add_f32_e32 v3, v3, v182
	v_mul_f32_e32 v186, v96, v9
	v_fmac_f32_e32 v185, v95, v6
	v_add_f32_e32 v3, v3, v184
	s_waitcnt vmcnt(12) lgkmcnt(8)
	v_mul_f32_e32 v187, v90, v11
	v_fmac_f32_e32 v186, v97, v8
	v_add_f32_e32 v3, v3, v185
	v_mul_f32_e32 v188, v92, v13
	v_fmac_f32_e32 v187, v91, v10
	;; [unrolled: 7-line block ×7, first 2 shown]
	v_add_f32_e32 v3, v3, v196
	s_waitcnt vmcnt(6) lgkmcnt(2)
	v_mul_f32_e32 v199, v62, v47
	v_mul_f32_e32 v19, v105, v19
	v_fmac_f32_e32 v198, v69, v44
	v_add_f32_e32 v3, v3, v197
	v_mul_f32_e32 v200, v64, v49
	v_mul_f32_e32 v21, v107, v21
	v_fmac_f32_e32 v199, v63, v46
	v_fma_f32 v18, v104, v18, -v19
	v_add_f32_e32 v3, v3, v198
	v_fmac_f32_e32 v200, v65, v48
	v_fma_f32 v19, v106, v20, -v21
	v_add_f32_e32 v18, 0, v18
	v_add_f32_e32 v3, v3, v199
	;; [unrolled: 1-line block ×4, first 2 shown]
	v_mul_f32_e32 v3, v101, v5
	v_add_f32_e32 v2, v18, v2
	v_fma_f32 v3, v100, v4, -v3
	v_add_f32_e32 v2, v2, v3
	v_mul_f32_e32 v3, v95, v7
	v_fma_f32 v3, v94, v6, -v3
	v_add_f32_e32 v2, v2, v3
	v_mul_f32_e32 v3, v97, v9
	;; [unrolled: 3-line block ×16, first 2 shown]
	v_fma_f32 v3, v64, v48, -v3
	s_waitcnt vmcnt(5) lgkmcnt(1)
	v_mul_f32_e32 v181, v78, v55
	v_add_f32_e32 v18, v2, v3
	v_mul_f32_e32 v2, v79, v55
	v_fmac_f32_e32 v181, v79, v54
	v_fma_f32 v180, v78, v54, -v2
	s_waitcnt vmcnt(4) lgkmcnt(0)
	v_pk_mul_f32 v[16:17], v[108:109], v[58:59] op_sel:[1,1] op_sel_hi:[0,1]
	v_mul_f32_e32 v183, v80, v57
	v_mul_f32_e32 v2, v81, v57
	v_pk_add_f32 v[14:15], v[18:19], v[180:181]
	v_pk_fma_f32 v[18:19], v[108:109], v[58:59], v[16:17] neg_lo:[0,0,1] neg_hi:[0,0,1]
	v_pk_fma_f32 v[16:17], v[108:109], v[58:59], v[16:17] op_sel_hi:[1,0,1]
	v_fmac_f32_e32 v183, v81, v56
	v_fma_f32 v182, v80, v56, -v2
	ds_read2_b64 v[2:5], v102 offset0:61 offset1:62
	ds_read2_b64 v[6:9], v102 offset0:63 offset1:64
	;; [unrolled: 1-line block ×3, first 2 shown]
	v_mov_b32_e32 v16, v61
	v_pk_add_f32 v[14:15], v[14:15], v[182:183]
	v_mov_b32_e32 v19, v17
	v_pk_mul_f32 v[16:17], v[110:111], v[16:17] op_sel:[1,0] op_sel_hi:[0,0]
	v_pk_add_f32 v[14:15], v[14:15], v[18:19]
	v_pk_fma_f32 v[18:19], v[110:111], v[60:61], v[16:17] neg_lo:[0,0,1] neg_hi:[0,0,1]
	v_pk_fma_f32 v[16:17], v[110:111], v[60:61], v[16:17] op_sel_hi:[1,0,1]
	s_nop 0
	v_mov_b32_e32 v19, v17
	s_waitcnt vmcnt(3) lgkmcnt(2)
	v_pk_mul_f32 v[16:17], v[2:3], v[50:51] op_sel:[1,1] op_sel_hi:[0,1]
	v_pk_add_f32 v[14:15], v[14:15], v[18:19]
	v_pk_fma_f32 v[18:19], v[2:3], v[50:51], v[16:17] neg_lo:[0,0,1] neg_hi:[0,0,1]
	v_pk_fma_f32 v[2:3], v[2:3], v[50:51], v[16:17] op_sel_hi:[1,0,1]
	s_nop 0
	v_mov_b32_e32 v19, v3
	v_pk_add_f32 v[2:3], v[14:15], v[18:19]
	v_mov_b32_e32 v14, v53
	v_pk_mul_f32 v[14:15], v[4:5], v[14:15] op_sel:[1,0] op_sel_hi:[0,0]
	v_pk_fma_f32 v[16:17], v[4:5], v[52:53], v[14:15] neg_lo:[0,0,1] neg_hi:[0,0,1]
	v_pk_fma_f32 v[4:5], v[4:5], v[52:53], v[14:15] op_sel_hi:[1,0,1]
	s_nop 0
	v_mov_b32_e32 v17, v5
	s_waitcnt vmcnt(2) lgkmcnt(1)
	v_pk_mul_f32 v[4:5], v[6:7], v[38:39] op_sel:[1,1] op_sel_hi:[0,1]
	v_pk_fma_f32 v[14:15], v[6:7], v[38:39], v[4:5] neg_lo:[0,0,1] neg_hi:[0,0,1]
	v_pk_fma_f32 v[4:5], v[6:7], v[38:39], v[4:5] op_sel_hi:[1,0,1]
	v_pk_add_f32 v[2:3], v[2:3], v[16:17]
	v_mov_b32_e32 v4, v41
	v_mov_b32_e32 v15, v5
	v_pk_mul_f32 v[4:5], v[8:9], v[4:5] op_sel:[1,0] op_sel_hi:[0,0]
	v_pk_fma_f32 v[6:7], v[8:9], v[40:41], v[4:5] neg_lo:[0,0,1] neg_hi:[0,0,1]
	v_pk_fma_f32 v[4:5], v[8:9], v[40:41], v[4:5] op_sel_hi:[1,0,1]
	v_pk_add_f32 v[2:3], v[2:3], v[14:15]
	v_mov_b32_e32 v7, v5
	s_waitcnt vmcnt(1) lgkmcnt(0)
	v_pk_mul_f32 v[4:5], v[10:11], v[26:27] op_sel:[1,1] op_sel_hi:[0,1]
	v_pk_add_f32 v[2:3], v[2:3], v[6:7]
	v_pk_fma_f32 v[6:7], v[10:11], v[26:27], v[4:5] neg_lo:[0,0,1] neg_hi:[0,0,1]
	v_pk_fma_f32 v[4:5], v[10:11], v[26:27], v[4:5] op_sel_hi:[1,0,1]
	s_nop 0
	v_mov_b32_e32 v4, v29
	v_mov_b32_e32 v7, v5
	v_pk_mul_f32 v[4:5], v[12:13], v[4:5] op_sel:[1,0] op_sel_hi:[0,0]
	v_pk_add_f32 v[2:3], v[2:3], v[6:7]
	v_pk_fma_f32 v[6:7], v[12:13], v[28:29], v[4:5] neg_lo:[0,0,1] neg_hi:[0,0,1]
	v_pk_fma_f32 v[4:5], v[12:13], v[28:29], v[4:5] op_sel_hi:[1,0,1]
	s_nop 0
	v_mov_b32_e32 v7, v5
	v_pk_add_f32 v[2:3], v[2:3], v[6:7]
	s_waitcnt vmcnt(0)
	v_pk_add_f32 v[2:3], v[178:179], v[2:3] neg_lo:[0,1] neg_hi:[0,1]
	scratch_store_dwordx2 off, v[2:3], off offset:16
	s_and_saveexec_b64 s[0:1], vcc
	s_cbranch_execz .LBB96_209
; %bb.208:
	scratch_load_dwordx2 v[2:3], off, off offset:8
	v_mov_b32_e32 v4, 0
	v_mov_b32_e32 v5, v4
	scratch_store_dwordx2 off, v[4:5], off offset:8
	s_waitcnt vmcnt(1)
	ds_write_b64 v1, v[2:3]
.LBB96_209:
	s_or_b64 exec, exec, s[0:1]
	s_waitcnt lgkmcnt(0)
	; wave barrier
	scratch_load_dwordx4 v[2:5], off, off offset:16
	scratch_load_dwordx4 v[6:9], off, off offset:32
	scratch_load_dwordx4 v[10:13], off, off offset:48
	scratch_load_dwordx4 v[14:17], off, off offset:64
	scratch_load_dwordx4 v[18:21], off, off offset:80
	scratch_load_dwordx4 v[22:25], off, off offset:96
	scratch_load_dwordx4 v[30:33], off, off offset:112
	scratch_load_dwordx4 v[34:37], off, off offset:128
	scratch_load_dwordx4 v[42:45], off, off offset:144
	scratch_load_dwordx4 v[46:49], off, off offset:160
	scratch_load_dwordx4 v[58:61], off, off offset:176
	scratch_load_dwordx4 v[54:57], off, off offset:192
	scratch_load_dwordx4 v[50:53], off, off offset:208
	scratch_load_dwordx4 v[38:41], off, off offset:224
	scratch_load_dwordx4 v[26:29], off, off offset:240
	scratch_load_dwordx2 v[62:63], off, off offset:256
	scratch_load_dwordx2 v[180:181], off, off offset:8
	v_mov_b32_e32 v178, 0
	ds_read_b128 v[64:67], v178 offset:288
	ds_read_b128 v[68:71], v178 offset:304
	;; [unrolled: 1-line block ×12, first 2 shown]
	v_cmp_ne_u32_e32 vcc, 0, v0
	s_waitcnt vmcnt(16) lgkmcnt(11)
	v_mul_f32_e32 v179, v64, v3
	v_mul_f32_e32 v182, v66, v5
	;; [unrolled: 1-line block ×3, first 2 shown]
	v_fmac_f32_e32 v179, v65, v2
	s_waitcnt vmcnt(15) lgkmcnt(10)
	v_mul_f32_e32 v184, v68, v7
	v_fmac_f32_e32 v182, v67, v4
	v_fma_f32 v2, v64, v2, -v3
	v_add_f32_e32 v3, 0, v179
	v_mul_f32_e32 v186, v70, v9
	v_fmac_f32_e32 v184, v69, v6
	v_add_f32_e32 v3, v3, v182
	s_waitcnt vmcnt(14) lgkmcnt(9)
	v_mul_f32_e32 v187, v72, v11
	v_fmac_f32_e32 v186, v71, v8
	v_add_f32_e32 v3, v3, v184
	v_mul_f32_e32 v188, v74, v13
	v_fmac_f32_e32 v187, v73, v10
	v_add_f32_e32 v3, v3, v186
	s_waitcnt vmcnt(13) lgkmcnt(8)
	v_mul_f32_e32 v189, v76, v15
	v_fmac_f32_e32 v188, v75, v12
	;; [unrolled: 7-line block ×9, first 2 shown]
	v_add_f32_e32 v3, v3, v201
	v_mul_f32_e32 v5, v67, v5
	v_fmac_f32_e32 v203, v105, v58
	v_add_f32_e32 v3, v3, v202
	v_add_f32_e32 v2, 0, v2
	v_add_f32_e32 v65, v3, v203
	v_fma_f32 v3, v66, v4, -v5
	v_add_f32_e32 v2, v2, v3
	v_mul_f32_e32 v3, v69, v7
	v_fma_f32 v3, v68, v6, -v3
	v_add_f32_e32 v2, v2, v3
	v_mul_f32_e32 v3, v71, v9
	;; [unrolled: 3-line block ×20, first 2 shown]
	v_mul_f32_e32 v183, v106, v61
	v_fma_f32 v182, v106, v60, -v2
	s_waitcnt vmcnt(5) lgkmcnt(0)
	v_mul_f32_e32 v2, v109, v55
	v_mov_b32_e32 v18, v57
	v_mul_f32_e32 v185, v108, v55
	v_fmac_f32_e32 v183, v107, v60
	v_fma_f32 v184, v108, v54, -v2
	ds_read_b128 v[2:5], v178 offset:480
	ds_read_b128 v[6:9], v178 offset:496
	;; [unrolled: 1-line block ×3, first 2 shown]
	ds_read_b64 v[14:15], v178 offset:528
	v_pk_mul_f32 v[18:19], v[110:111], v[18:19] op_sel:[1,0] op_sel_hi:[0,0]
	v_fmac_f32_e32 v185, v109, v54
	v_pk_add_f32 v[16:17], v[64:65], v[182:183]
	v_pk_fma_f32 v[20:21], v[110:111], v[56:57], v[18:19] neg_lo:[0,0,1] neg_hi:[0,0,1]
	v_pk_fma_f32 v[18:19], v[110:111], v[56:57], v[18:19] op_sel_hi:[1,0,1]
	v_pk_add_f32 v[16:17], v[16:17], v[184:185]
	v_mov_b32_e32 v21, v19
	s_waitcnt vmcnt(4) lgkmcnt(3)
	v_pk_mul_f32 v[18:19], v[2:3], v[50:51] op_sel:[1,1] op_sel_hi:[0,1]
	v_pk_add_f32 v[16:17], v[16:17], v[20:21]
	v_pk_fma_f32 v[20:21], v[2:3], v[50:51], v[18:19] neg_lo:[0,0,1] neg_hi:[0,0,1]
	v_pk_fma_f32 v[2:3], v[2:3], v[50:51], v[18:19] op_sel_hi:[1,0,1]
	s_nop 0
	v_mov_b32_e32 v21, v3
	v_pk_add_f32 v[2:3], v[16:17], v[20:21]
	v_mov_b32_e32 v16, v53
	v_pk_mul_f32 v[16:17], v[4:5], v[16:17] op_sel:[1,0] op_sel_hi:[0,0]
	v_pk_fma_f32 v[18:19], v[4:5], v[52:53], v[16:17] neg_lo:[0,0,1] neg_hi:[0,0,1]
	v_pk_fma_f32 v[4:5], v[4:5], v[52:53], v[16:17] op_sel_hi:[1,0,1]
	s_nop 0
	v_mov_b32_e32 v19, v5
	s_waitcnt vmcnt(3) lgkmcnt(2)
	v_pk_mul_f32 v[4:5], v[6:7], v[38:39] op_sel:[1,1] op_sel_hi:[0,1]
	v_pk_fma_f32 v[16:17], v[6:7], v[38:39], v[4:5] neg_lo:[0,0,1] neg_hi:[0,0,1]
	v_pk_fma_f32 v[4:5], v[6:7], v[38:39], v[4:5] op_sel_hi:[1,0,1]
	v_pk_add_f32 v[2:3], v[2:3], v[18:19]
	v_mov_b32_e32 v4, v41
	v_mov_b32_e32 v17, v5
	v_pk_mul_f32 v[4:5], v[8:9], v[4:5] op_sel:[1,0] op_sel_hi:[0,0]
	v_pk_fma_f32 v[6:7], v[8:9], v[40:41], v[4:5] neg_lo:[0,0,1] neg_hi:[0,0,1]
	v_pk_fma_f32 v[4:5], v[8:9], v[40:41], v[4:5] op_sel_hi:[1,0,1]
	v_pk_add_f32 v[2:3], v[2:3], v[16:17]
	v_mov_b32_e32 v7, v5
	s_waitcnt vmcnt(2) lgkmcnt(1)
	v_pk_mul_f32 v[4:5], v[10:11], v[26:27] op_sel:[1,1] op_sel_hi:[0,1]
	v_pk_add_f32 v[2:3], v[2:3], v[6:7]
	v_pk_fma_f32 v[6:7], v[10:11], v[26:27], v[4:5] neg_lo:[0,0,1] neg_hi:[0,0,1]
	v_pk_fma_f32 v[4:5], v[10:11], v[26:27], v[4:5] op_sel_hi:[1,0,1]
	s_nop 0
	v_mov_b32_e32 v4, v29
	v_mov_b32_e32 v7, v5
	v_pk_mul_f32 v[4:5], v[12:13], v[4:5] op_sel:[1,0] op_sel_hi:[0,0]
	v_pk_add_f32 v[2:3], v[2:3], v[6:7]
	v_pk_fma_f32 v[6:7], v[12:13], v[28:29], v[4:5] neg_lo:[0,0,1] neg_hi:[0,0,1]
	v_pk_fma_f32 v[4:5], v[12:13], v[28:29], v[4:5] op_sel_hi:[1,0,1]
	s_nop 0
	v_mov_b32_e32 v7, v5
	s_waitcnt vmcnt(1) lgkmcnt(0)
	v_pk_mul_f32 v[4:5], v[14:15], v[62:63] op_sel:[1,1] op_sel_hi:[0,1]
	v_pk_add_f32 v[2:3], v[2:3], v[6:7]
	v_pk_fma_f32 v[6:7], v[14:15], v[62:63], v[4:5] neg_lo:[0,0,1] neg_hi:[0,0,1]
	v_pk_fma_f32 v[4:5], v[14:15], v[62:63], v[4:5] op_sel_hi:[1,0,1]
	s_nop 0
	v_mov_b32_e32 v7, v5
	v_pk_add_f32 v[2:3], v[2:3], v[6:7]
	s_waitcnt vmcnt(0)
	v_pk_add_f32 v[2:3], v[180:181], v[2:3] neg_lo:[0,1] neg_hi:[0,1]
	scratch_store_dwordx2 off, v[2:3], off offset:8
	s_and_saveexec_b64 s[0:1], vcc
	s_cbranch_execz .LBB96_211
; %bb.210:
	scratch_load_dwordx2 v[2:3], off, off
	v_mov_b32_e32 v179, v178
	scratch_store_dwordx2 off, v[178:179], off
	s_waitcnt vmcnt(1)
	ds_write_b64 v1, v[2:3]
.LBB96_211:
	s_or_b64 exec, exec, s[0:1]
	s_waitcnt lgkmcnt(0)
	; wave barrier
	scratch_load_dwordx4 v[0:3], off, off offset:8
	scratch_load_dwordx4 v[4:7], off, off offset:24
	;; [unrolled: 1-line block ×12, first 2 shown]
	ds_read2_b64 v[108:111], v178 offset0:35 offset1:36
	ds_read2_b64 v[104:107], v178 offset0:37 offset1:38
	;; [unrolled: 1-line block ×12, first 2 shown]
	scratch_load_dwordx4 v[60:63], off, off offset:200
	scratch_load_dwordx4 v[52:55], off, off offset:216
	;; [unrolled: 1-line block ×4, first 2 shown]
	scratch_load_dwordx2 v[180:181], off, off
	s_and_b64 vcc, exec, s[10:11]
	s_waitcnt vmcnt(16) lgkmcnt(11)
	v_mul_f32_e32 v179, v108, v1
	v_mul_f32_e32 v182, v110, v3
	;; [unrolled: 1-line block ×3, first 2 shown]
	v_fmac_f32_e32 v179, v109, v0
	s_waitcnt vmcnt(15) lgkmcnt(10)
	v_mul_f32_e32 v184, v104, v5
	v_fmac_f32_e32 v182, v111, v2
	v_fma_f32 v0, v108, v0, -v1
	v_add_f32_e32 v1, 0, v179
	v_mul_f32_e32 v186, v106, v7
	v_fmac_f32_e32 v184, v105, v4
	v_add_f32_e32 v1, v1, v182
	s_waitcnt vmcnt(14) lgkmcnt(9)
	v_mul_f32_e32 v187, v100, v9
	v_fmac_f32_e32 v186, v107, v6
	v_add_f32_e32 v1, v1, v184
	v_mul_f32_e32 v188, v102, v11
	v_fmac_f32_e32 v187, v101, v8
	v_add_f32_e32 v1, v1, v186
	s_waitcnt vmcnt(13) lgkmcnt(8)
	v_mul_f32_e32 v189, v96, v13
	v_fmac_f32_e32 v188, v103, v10
	;; [unrolled: 7-line block ×9, first 2 shown]
	v_add_f32_e32 v1, v1, v201
	v_mul_f32_e32 v204, v70, v51
	v_fmac_f32_e32 v203, v69, v48
	v_add_f32_e32 v1, v1, v202
	v_fmac_f32_e32 v204, v71, v50
	v_add_f32_e32 v1, v1, v203
	v_add_f32_e32 v109, v1, v204
	v_mul_f32_e32 v1, v111, v3
	v_add_f32_e32 v0, 0, v0
	v_fma_f32 v1, v110, v2, -v1
	v_add_f32_e32 v0, v0, v1
	v_mul_f32_e32 v1, v105, v5
	v_fma_f32 v1, v104, v4, -v1
	v_add_f32_e32 v0, v0, v1
	v_mul_f32_e32 v1, v107, v7
	;; [unrolled: 3-line block ×20, first 2 shown]
	v_fma_f32 v1, v70, v50, -v1
	v_add_f32_e32 v108, v0, v1
	s_waitcnt vmcnt(5) lgkmcnt(0)
	v_mul_f32_e32 v0, v65, v57
	v_fma_f32 v182, v64, v56, -v0
	v_mul_f32_e32 v0, v67, v59
	v_fma_f32 v184, v66, v58, -v0
	ds_read2_b64 v[0:3], v178 offset0:59 offset1:60
	ds_read2_b64 v[4:7], v178 offset0:61 offset1:62
	;; [unrolled: 1-line block ×4, first 2 shown]
	v_mul_f32_e32 v183, v64, v57
	v_mul_f32_e32 v185, v66, v59
	v_fmac_f32_e32 v183, v65, v56
	s_waitcnt vmcnt(4) lgkmcnt(3)
	v_pk_mul_f32 v[18:19], v[0:1], v[60:61] op_sel:[1,1] op_sel_hi:[0,1]
	v_fmac_f32_e32 v185, v67, v58
	v_pk_add_f32 v[16:17], v[108:109], v[182:183]
	v_pk_fma_f32 v[20:21], v[0:1], v[60:61], v[18:19] neg_lo:[0,0,1] neg_hi:[0,0,1]
	v_pk_fma_f32 v[0:1], v[0:1], v[60:61], v[18:19] op_sel_hi:[1,0,1]
	v_pk_add_f32 v[16:17], v[16:17], v[184:185]
	v_mov_b32_e32 v21, v1
	v_pk_add_f32 v[0:1], v[16:17], v[20:21]
	v_mov_b32_e32 v16, v63
	v_pk_mul_f32 v[16:17], v[2:3], v[16:17] op_sel:[1,0] op_sel_hi:[0,0]
	v_pk_fma_f32 v[18:19], v[2:3], v[62:63], v[16:17] neg_lo:[0,0,1] neg_hi:[0,0,1]
	v_pk_fma_f32 v[2:3], v[2:3], v[62:63], v[16:17] op_sel_hi:[1,0,1]
	s_nop 0
	v_mov_b32_e32 v19, v3
	s_waitcnt vmcnt(3) lgkmcnt(2)
	v_pk_mul_f32 v[2:3], v[4:5], v[52:53] op_sel:[1,1] op_sel_hi:[0,1]
	v_pk_fma_f32 v[16:17], v[4:5], v[52:53], v[2:3] neg_lo:[0,0,1] neg_hi:[0,0,1]
	v_pk_fma_f32 v[2:3], v[4:5], v[52:53], v[2:3] op_sel_hi:[1,0,1]
	v_pk_add_f32 v[0:1], v[0:1], v[18:19]
	v_mov_b32_e32 v2, v55
	v_mov_b32_e32 v17, v3
	v_pk_mul_f32 v[2:3], v[6:7], v[2:3] op_sel:[1,0] op_sel_hi:[0,0]
	v_pk_fma_f32 v[4:5], v[6:7], v[54:55], v[2:3] neg_lo:[0,0,1] neg_hi:[0,0,1]
	v_pk_fma_f32 v[2:3], v[6:7], v[54:55], v[2:3] op_sel_hi:[1,0,1]
	v_pk_add_f32 v[0:1], v[0:1], v[16:17]
	v_mov_b32_e32 v5, v3
	s_waitcnt vmcnt(2) lgkmcnt(1)
	v_pk_mul_f32 v[2:3], v[8:9], v[40:41] op_sel:[1,1] op_sel_hi:[0,1]
	v_pk_add_f32 v[0:1], v[0:1], v[4:5]
	v_pk_fma_f32 v[4:5], v[8:9], v[40:41], v[2:3] neg_lo:[0,0,1] neg_hi:[0,0,1]
	v_pk_fma_f32 v[2:3], v[8:9], v[40:41], v[2:3] op_sel_hi:[1,0,1]
	s_nop 0
	v_mov_b32_e32 v2, v43
	v_mov_b32_e32 v5, v3
	v_pk_mul_f32 v[2:3], v[10:11], v[2:3] op_sel:[1,0] op_sel_hi:[0,0]
	v_pk_add_f32 v[0:1], v[0:1], v[4:5]
	v_pk_fma_f32 v[4:5], v[10:11], v[42:43], v[2:3] neg_lo:[0,0,1] neg_hi:[0,0,1]
	v_pk_fma_f32 v[2:3], v[10:11], v[42:43], v[2:3] op_sel_hi:[1,0,1]
	s_nop 0
	v_mov_b32_e32 v5, v3
	s_waitcnt vmcnt(1) lgkmcnt(0)
	v_pk_mul_f32 v[2:3], v[12:13], v[32:33] op_sel:[1,1] op_sel_hi:[0,1]
	v_pk_add_f32 v[0:1], v[0:1], v[4:5]
	v_pk_fma_f32 v[4:5], v[12:13], v[32:33], v[2:3] neg_lo:[0,0,1] neg_hi:[0,0,1]
	v_pk_fma_f32 v[2:3], v[12:13], v[32:33], v[2:3] op_sel_hi:[1,0,1]
	s_nop 0
	v_mov_b32_e32 v2, v35
	v_mov_b32_e32 v5, v3
	v_pk_mul_f32 v[2:3], v[14:15], v[2:3] op_sel:[1,0] op_sel_hi:[0,0]
	v_pk_add_f32 v[0:1], v[0:1], v[4:5]
	v_pk_fma_f32 v[4:5], v[14:15], v[34:35], v[2:3] neg_lo:[0,0,1] neg_hi:[0,0,1]
	v_pk_fma_f32 v[2:3], v[14:15], v[34:35], v[2:3] op_sel_hi:[1,0,1]
	s_nop 0
	v_mov_b32_e32 v5, v3
	v_pk_add_f32 v[0:1], v[0:1], v[4:5]
	s_waitcnt vmcnt(0)
	v_pk_add_f32 v[0:1], v[180:181], v[0:1] neg_lo:[0,1] neg_hi:[0,1]
	scratch_store_dwordx2 off, v[0:1], off
	s_cbranch_vccz .LBB96_276
; %bb.212:
	v_mov_b32_e32 v0, 0
	global_load_dword v1, v0, s[8:9] offset:124
	s_waitcnt vmcnt(0)
	v_readfirstlane_b32 s0, v1
	s_add_i32 s0, s0, -1
	s_cmp_lg_u32 s0, 31
	s_cbranch_scc0 .LBB96_214
; %bb.213:
	s_lshl_b32 s0, s0, 3
	s_nop 0
	scratch_load_dwordx2 v[2:3], off, s0
	scratch_load_dwordx2 v[4:5], off, off offset:248
	s_waitcnt vmcnt(1)
	scratch_store_dwordx2 off, v[2:3], off offset:248
	s_waitcnt vmcnt(1)
	scratch_store_dwordx2 off, v[4:5], s0
.LBB96_214:
	global_load_dword v0, v0, s[8:9] offset:120
	s_waitcnt vmcnt(0)
	v_readfirstlane_b32 s0, v0
	s_add_i32 s0, s0, -1
	s_cmp_eq_u32 s0, 30
	s_cbranch_scc1 .LBB96_216
; %bb.215:
	s_lshl_b32 s0, s0, 3
	s_nop 0
	scratch_load_dwordx2 v[0:1], off, s0
	scratch_load_dwordx2 v[2:3], off, off offset:240
	s_waitcnt vmcnt(1)
	scratch_store_dwordx2 off, v[0:1], off offset:240
	s_waitcnt vmcnt(1)
	scratch_store_dwordx2 off, v[2:3], s0
.LBB96_216:
	v_mov_b32_e32 v0, 0
	global_load_dword v1, v0, s[8:9] offset:116
	s_waitcnt vmcnt(0)
	v_readfirstlane_b32 s0, v1
	s_add_i32 s0, s0, -1
	s_cmp_eq_u32 s0, 29
	s_cbranch_scc1 .LBB96_218
; %bb.217:
	s_lshl_b32 s0, s0, 3
	s_nop 0
	scratch_load_dwordx2 v[2:3], off, s0
	scratch_load_dwordx2 v[4:5], off, off offset:232
	s_waitcnt vmcnt(1)
	scratch_store_dwordx2 off, v[2:3], off offset:232
	s_waitcnt vmcnt(1)
	scratch_store_dwordx2 off, v[4:5], s0
.LBB96_218:
	global_load_dword v0, v0, s[8:9] offset:112
	s_waitcnt vmcnt(0)
	v_readfirstlane_b32 s0, v0
	s_add_i32 s0, s0, -1
	s_cmp_eq_u32 s0, 28
	s_cbranch_scc1 .LBB96_220
; %bb.219:
	s_lshl_b32 s0, s0, 3
	s_nop 0
	scratch_load_dwordx2 v[0:1], off, s0
	scratch_load_dwordx2 v[2:3], off, off offset:224
	s_waitcnt vmcnt(1)
	scratch_store_dwordx2 off, v[0:1], off offset:224
	s_waitcnt vmcnt(1)
	scratch_store_dwordx2 off, v[2:3], s0
.LBB96_220:
	v_mov_b32_e32 v0, 0
	global_load_dword v1, v0, s[8:9] offset:108
	s_waitcnt vmcnt(0)
	v_readfirstlane_b32 s0, v1
	s_add_i32 s0, s0, -1
	s_cmp_eq_u32 s0, 27
	s_cbranch_scc1 .LBB96_222
; %bb.221:
	s_lshl_b32 s0, s0, 3
	s_nop 0
	scratch_load_dwordx2 v[2:3], off, s0
	scratch_load_dwordx2 v[4:5], off, off offset:216
	s_waitcnt vmcnt(1)
	scratch_store_dwordx2 off, v[2:3], off offset:216
	s_waitcnt vmcnt(1)
	scratch_store_dwordx2 off, v[4:5], s0
.LBB96_222:
	;; [unrolled: 33-line block ×15, first 2 shown]
	global_load_dword v2, v0, s[8:9]
	s_nop 0
	scratch_load_dwordx2 v[0:1], off, off
	s_waitcnt vmcnt(1)
	v_readfirstlane_b32 s0, v2
	s_add_i32 s0, s0, -1
	s_cmp_eq_u32 s0, 0
	s_cbranch_scc1 .LBB96_276
; %bb.275:
	s_lshl_b32 s0, s0, 3
	s_nop 0
	scratch_load_dwordx2 v[2:3], off, s0
	s_waitcnt vmcnt(0)
	scratch_store_dwordx2 off, v[2:3], off
	scratch_store_dwordx2 off, v[0:1], s0
	scratch_load_dwordx2 v[0:1], off, off
.LBB96_276:
	s_waitcnt vmcnt(0)
	flat_store_dwordx2 v[112:113], v[0:1]
	scratch_load_dwordx2 v[0:1], off, off offset:8
	s_waitcnt vmcnt(0)
	flat_store_dwordx2 v[114:115], v[0:1]
	scratch_load_dwordx2 v[0:1], off, off offset:16
	;; [unrolled: 3-line block ×32, first 2 shown]
	s_waitcnt vmcnt(0)
	flat_store_dwordx2 v[176:177], v[0:1]
	s_endpgm
	.section	.rodata,"a",@progbits
	.p2align	6, 0x0
	.amdhsa_kernel _ZN9rocsolver6v33100L18getri_kernel_smallILi33E19rocblas_complex_numIfEPKPS3_EEvT1_iilPiilS8_bb
		.amdhsa_group_segment_fixed_size 536
		.amdhsa_private_segment_fixed_size 272
		.amdhsa_kernarg_size 60
		.amdhsa_user_sgpr_count 2
		.amdhsa_user_sgpr_dispatch_ptr 0
		.amdhsa_user_sgpr_queue_ptr 0
		.amdhsa_user_sgpr_kernarg_segment_ptr 1
		.amdhsa_user_sgpr_dispatch_id 0
		.amdhsa_user_sgpr_kernarg_preload_length 0
		.amdhsa_user_sgpr_kernarg_preload_offset 0
		.amdhsa_user_sgpr_private_segment_size 0
		.amdhsa_uses_dynamic_stack 0
		.amdhsa_enable_private_segment 1
		.amdhsa_system_sgpr_workgroup_id_x 1
		.amdhsa_system_sgpr_workgroup_id_y 0
		.amdhsa_system_sgpr_workgroup_id_z 0
		.amdhsa_system_sgpr_workgroup_info 0
		.amdhsa_system_vgpr_workitem_id 0
		.amdhsa_next_free_vgpr 205
		.amdhsa_next_free_sgpr 17
		.amdhsa_accum_offset 208
		.amdhsa_reserve_vcc 1
		.amdhsa_float_round_mode_32 0
		.amdhsa_float_round_mode_16_64 0
		.amdhsa_float_denorm_mode_32 3
		.amdhsa_float_denorm_mode_16_64 3
		.amdhsa_dx10_clamp 1
		.amdhsa_ieee_mode 1
		.amdhsa_fp16_overflow 0
		.amdhsa_tg_split 0
		.amdhsa_exception_fp_ieee_invalid_op 0
		.amdhsa_exception_fp_denorm_src 0
		.amdhsa_exception_fp_ieee_div_zero 0
		.amdhsa_exception_fp_ieee_overflow 0
		.amdhsa_exception_fp_ieee_underflow 0
		.amdhsa_exception_fp_ieee_inexact 0
		.amdhsa_exception_int_div_zero 0
	.end_amdhsa_kernel
	.section	.text._ZN9rocsolver6v33100L18getri_kernel_smallILi33E19rocblas_complex_numIfEPKPS3_EEvT1_iilPiilS8_bb,"axG",@progbits,_ZN9rocsolver6v33100L18getri_kernel_smallILi33E19rocblas_complex_numIfEPKPS3_EEvT1_iilPiilS8_bb,comdat
.Lfunc_end96:
	.size	_ZN9rocsolver6v33100L18getri_kernel_smallILi33E19rocblas_complex_numIfEPKPS3_EEvT1_iilPiilS8_bb, .Lfunc_end96-_ZN9rocsolver6v33100L18getri_kernel_smallILi33E19rocblas_complex_numIfEPKPS3_EEvT1_iilPiilS8_bb
                                        ; -- End function
	.set _ZN9rocsolver6v33100L18getri_kernel_smallILi33E19rocblas_complex_numIfEPKPS3_EEvT1_iilPiilS8_bb.num_vgpr, 205
	.set _ZN9rocsolver6v33100L18getri_kernel_smallILi33E19rocblas_complex_numIfEPKPS3_EEvT1_iilPiilS8_bb.num_agpr, 0
	.set _ZN9rocsolver6v33100L18getri_kernel_smallILi33E19rocblas_complex_numIfEPKPS3_EEvT1_iilPiilS8_bb.numbered_sgpr, 17
	.set _ZN9rocsolver6v33100L18getri_kernel_smallILi33E19rocblas_complex_numIfEPKPS3_EEvT1_iilPiilS8_bb.num_named_barrier, 0
	.set _ZN9rocsolver6v33100L18getri_kernel_smallILi33E19rocblas_complex_numIfEPKPS3_EEvT1_iilPiilS8_bb.private_seg_size, 272
	.set _ZN9rocsolver6v33100L18getri_kernel_smallILi33E19rocblas_complex_numIfEPKPS3_EEvT1_iilPiilS8_bb.uses_vcc, 1
	.set _ZN9rocsolver6v33100L18getri_kernel_smallILi33E19rocblas_complex_numIfEPKPS3_EEvT1_iilPiilS8_bb.uses_flat_scratch, 0
	.set _ZN9rocsolver6v33100L18getri_kernel_smallILi33E19rocblas_complex_numIfEPKPS3_EEvT1_iilPiilS8_bb.has_dyn_sized_stack, 0
	.set _ZN9rocsolver6v33100L18getri_kernel_smallILi33E19rocblas_complex_numIfEPKPS3_EEvT1_iilPiilS8_bb.has_recursion, 0
	.set _ZN9rocsolver6v33100L18getri_kernel_smallILi33E19rocblas_complex_numIfEPKPS3_EEvT1_iilPiilS8_bb.has_indirect_call, 0
	.section	.AMDGPU.csdata,"",@progbits
; Kernel info:
; codeLenInByte = 37780
; TotalNumSgprs: 23
; NumVgprs: 205
; NumAgprs: 0
; TotalNumVgprs: 205
; ScratchSize: 272
; MemoryBound: 0
; FloatMode: 240
; IeeeMode: 1
; LDSByteSize: 536 bytes/workgroup (compile time only)
; SGPRBlocks: 2
; VGPRBlocks: 25
; NumSGPRsForWavesPerEU: 23
; NumVGPRsForWavesPerEU: 205
; AccumOffset: 208
; Occupancy: 2
; WaveLimiterHint : 1
; COMPUTE_PGM_RSRC2:SCRATCH_EN: 1
; COMPUTE_PGM_RSRC2:USER_SGPR: 2
; COMPUTE_PGM_RSRC2:TRAP_HANDLER: 0
; COMPUTE_PGM_RSRC2:TGID_X_EN: 1
; COMPUTE_PGM_RSRC2:TGID_Y_EN: 0
; COMPUTE_PGM_RSRC2:TGID_Z_EN: 0
; COMPUTE_PGM_RSRC2:TIDIG_COMP_CNT: 0
; COMPUTE_PGM_RSRC3_GFX90A:ACCUM_OFFSET: 51
; COMPUTE_PGM_RSRC3_GFX90A:TG_SPLIT: 0
	.section	.text._ZN9rocsolver6v33100L18getri_kernel_smallILi34E19rocblas_complex_numIfEPKPS3_EEvT1_iilPiilS8_bb,"axG",@progbits,_ZN9rocsolver6v33100L18getri_kernel_smallILi34E19rocblas_complex_numIfEPKPS3_EEvT1_iilPiilS8_bb,comdat
	.globl	_ZN9rocsolver6v33100L18getri_kernel_smallILi34E19rocblas_complex_numIfEPKPS3_EEvT1_iilPiilS8_bb ; -- Begin function _ZN9rocsolver6v33100L18getri_kernel_smallILi34E19rocblas_complex_numIfEPKPS3_EEvT1_iilPiilS8_bb
	.p2align	8
	.type	_ZN9rocsolver6v33100L18getri_kernel_smallILi34E19rocblas_complex_numIfEPKPS3_EEvT1_iilPiilS8_bb,@function
_ZN9rocsolver6v33100L18getri_kernel_smallILi34E19rocblas_complex_numIfEPKPS3_EEvT1_iilPiilS8_bb: ; @_ZN9rocsolver6v33100L18getri_kernel_smallILi34E19rocblas_complex_numIfEPKPS3_EEvT1_iilPiilS8_bb
; %bb.0:
	v_cmp_gt_u32_e32 vcc, 34, v0
	s_and_saveexec_b64 s[4:5], vcc
	s_cbranch_execz .LBB97_150
; %bb.1:
	s_load_dword s14, s[0:1], 0x38
	s_load_dwordx2 s[8:9], s[0:1], 0x0
	s_load_dwordx4 s[4:7], s[0:1], 0x28
	s_waitcnt lgkmcnt(0)
	s_bitcmp1_b32 s14, 8
	s_cselect_b64 s[10:11], -1, 0
	s_ashr_i32 s3, s2, 31
	s_lshl_b64 s[12:13], s[2:3], 3
	s_add_u32 s8, s8, s12
	s_addc_u32 s9, s9, s13
	s_load_dwordx2 s[12:13], s[8:9], 0x0
	s_bfe_u32 s8, s14, 0x10008
	s_cmp_eq_u32 s8, 0
                                        ; implicit-def: $sgpr8_sgpr9
	s_cbranch_scc1 .LBB97_3
; %bb.2:
	s_load_dword s8, s[0:1], 0x20
	s_load_dwordx2 s[14:15], s[0:1], 0x18
	s_mul_i32 s9, s4, s3
	s_mul_hi_u32 s16, s4, s2
	s_add_i32 s16, s16, s9
	s_mul_i32 s5, s5, s2
	s_add_i32 s5, s16, s5
	s_mul_i32 s4, s4, s2
	s_waitcnt lgkmcnt(0)
	s_ashr_i32 s9, s8, 31
	s_lshl_b64 s[4:5], s[4:5], 2
	s_add_u32 s14, s14, s4
	s_addc_u32 s15, s15, s5
	s_lshl_b64 s[4:5], s[8:9], 2
	s_add_u32 s8, s14, s4
	s_addc_u32 s9, s15, s5
.LBB97_3:
	s_load_dwordx2 s[4:5], s[0:1], 0x8
	s_load_dword s14, s[0:1], 0x38
	v_lshlrev_b32_e32 v2, 3, v0
	v_mov_b32_e32 v3, 0
	s_waitcnt lgkmcnt(0)
	s_ashr_i32 s1, s4, 31
	s_mov_b32 s0, s4
	s_lshl_b64 s[0:1], s[0:1], 3
	s_add_u32 s0, s12, s0
	s_addc_u32 s1, s13, s1
	v_lshl_add_u64 v[114:115], s[0:1], 0, v[2:3]
	flat_load_dwordx2 v[4:5], v[114:115]
	s_mov_b32 s12, s5
	s_ashr_i32 s13, s5, 31
	v_lshl_add_u64 v[116:117], s[12:13], 3, v[114:115]
	s_add_i32 s4, s5, s5
	v_add_u32_e32 v6, s4, v0
	v_ashrrev_i32_e32 v7, 31, v6
	v_lshl_add_u64 v[118:119], v[6:7], 3, s[0:1]
	v_add_u32_e32 v6, s5, v6
	v_ashrrev_i32_e32 v7, 31, v6
	v_lshl_add_u64 v[120:121], v[6:7], 3, s[0:1]
	;; [unrolled: 3-line block ×25, first 2 shown]
	s_waitcnt vmcnt(0) lgkmcnt(0)
	scratch_store_dwordx2 off, v[4:5], off
	flat_load_dwordx2 v[4:5], v[116:117]
	v_add_u32_e32 v6, s5, v6
	v_ashrrev_i32_e32 v7, 31, v6
	v_lshl_add_u64 v[168:169], v[6:7], 3, s[0:1]
	v_add_u32_e32 v6, s5, v6
	v_ashrrev_i32_e32 v7, 31, v6
	v_lshl_add_u64 v[170:171], v[6:7], 3, s[0:1]
	;; [unrolled: 3-line block ×7, first 2 shown]
	s_bitcmp0_b32 s14, 0
	s_mov_b64 s[4:5], -1
	s_waitcnt vmcnt(0) lgkmcnt(0)
	scratch_store_dwordx2 off, v[4:5], off offset:8
	flat_load_dwordx2 v[4:5], v[118:119]
	s_waitcnt vmcnt(0) lgkmcnt(0)
	scratch_store_dwordx2 off, v[4:5], off offset:16
	flat_load_dwordx2 v[4:5], v[120:121]
	;; [unrolled: 3-line block ×32, first 2 shown]
	s_waitcnt vmcnt(0) lgkmcnt(0)
	scratch_store_dwordx2 off, v[4:5], off offset:264
	s_cbranch_scc1 .LBB97_148
; %bb.4:
	v_cmp_eq_u32_e64 s[0:1], 0, v0
	s_and_saveexec_b64 s[4:5], s[0:1]
; %bb.5:
	v_mov_b32_e32 v1, 0
	ds_write_b32 v1, v1 offset:544
; %bb.6:
	s_or_b64 exec, exec, s[4:5]
	s_waitcnt lgkmcnt(0)
	; wave barrier
	scratch_load_dwordx2 v[4:5], v2, off
	s_waitcnt vmcnt(0)
	v_cmp_eq_f32_e32 vcc, 0, v4
	v_cmp_eq_f32_e64 s[4:5], 0, v5
	s_and_b64 s[4:5], vcc, s[4:5]
	s_and_saveexec_b64 s[12:13], s[4:5]
	s_cbranch_execz .LBB97_10
; %bb.7:
	v_mov_b32_e32 v1, 0
	ds_read_b32 v4, v1 offset:544
	v_add_u32_e32 v3, 1, v0
	s_waitcnt lgkmcnt(0)
	v_readfirstlane_b32 s4, v4
	s_cmp_eq_u32 s4, 0
	s_cselect_b64 s[14:15], -1, 0
	v_cmp_gt_i32_e32 vcc, s4, v3
	s_or_b64 s[14:15], s[14:15], vcc
	s_and_b64 exec, exec, s[14:15]
	s_cbranch_execz .LBB97_10
; %bb.8:
	s_mov_b64 s[14:15], 0
	v_mov_b32_e32 v4, s4
.LBB97_9:                               ; =>This Inner Loop Header: Depth=1
	ds_cmpst_rtn_b32 v4, v1, v4, v3 offset:544
	s_waitcnt lgkmcnt(0)
	v_cmp_ne_u32_e32 vcc, 0, v4
	v_cmp_le_i32_e64 s[4:5], v4, v3
	s_and_b64 s[4:5], vcc, s[4:5]
	s_and_b64 s[4:5], exec, s[4:5]
	s_or_b64 s[14:15], s[4:5], s[14:15]
	s_andn2_b64 exec, exec, s[14:15]
	s_cbranch_execnz .LBB97_9
.LBB97_10:
	s_or_b64 exec, exec, s[12:13]
	v_mov_b32_e32 v3, 0
	; wave barrier
	ds_read_b32 v1, v3 offset:544
	s_and_saveexec_b64 s[4:5], s[0:1]
	s_cbranch_execz .LBB97_12
; %bb.11:
	s_lshl_b64 s[12:13], s[2:3], 2
	s_add_u32 s12, s6, s12
	s_addc_u32 s13, s7, s13
	s_waitcnt lgkmcnt(0)
	global_store_dword v3, v1, s[12:13]
.LBB97_12:
	s_or_b64 exec, exec, s[4:5]
	s_waitcnt lgkmcnt(0)
	v_cmp_ne_u32_e32 vcc, 0, v1
	s_mov_b64 s[4:5], 0
	s_cbranch_vccnz .LBB97_148
; %bb.13:
	v_mov_b32_e32 v3, v2
	scratch_load_dwordx2 v[4:5], v3, off
                                        ; implicit-def: $vgpr7
                                        ; implicit-def: $vgpr8
	s_waitcnt vmcnt(0)
	v_cmp_ngt_f32_e64 s[4:5], |v4|, |v5|
	s_and_saveexec_b64 s[12:13], s[4:5]
	s_xor_b64 s[4:5], exec, s[12:13]
	s_cbranch_execz .LBB97_15
; %bb.14:
	v_div_scale_f32 v1, s[12:13], v5, v5, v4
	v_rcp_f32_e32 v6, v1
	v_div_scale_f32 v7, vcc, v4, v5, v4
	v_fma_f32 v8, -v1, v6, 1.0
	v_fmac_f32_e32 v6, v8, v6
	v_mul_f32_e32 v8, v7, v6
	v_fma_f32 v9, -v1, v8, v7
	v_fmac_f32_e32 v8, v9, v6
	v_fma_f32 v1, -v1, v8, v7
	v_div_fmas_f32 v1, v1, v6, v8
	v_div_fixup_f32 v1, v1, v5, v4
	v_fmac_f32_e32 v5, v4, v1
	v_div_scale_f32 v4, s[12:13], v5, v5, -1.0
	v_rcp_f32_e32 v6, v4
	s_nop 0
	v_fma_f32 v7, -v4, v6, 1.0
	v_fmac_f32_e32 v6, v7, v6
	v_div_scale_f32 v7, vcc, -1.0, v5, -1.0
	v_mul_f32_e32 v8, v7, v6
	v_fma_f32 v9, -v4, v8, v7
	v_fmac_f32_e32 v8, v9, v6
	v_fma_f32 v4, -v4, v8, v7
	v_div_fmas_f32 v4, v4, v6, v8
	v_div_fixup_f32 v7, v4, v5, -1.0
	v_mul_f32_e32 v8, v1, v7
	v_xor_b32_e32 v6, 0x80000000, v8
                                        ; implicit-def: $vgpr4_vgpr5
.LBB97_15:
	s_andn2_saveexec_b64 s[4:5], s[4:5]
	s_cbranch_execz .LBB97_17
; %bb.16:
	v_div_scale_f32 v1, s[12:13], v4, v4, v5
	v_rcp_f32_e32 v6, v1
	v_div_scale_f32 v7, vcc, v5, v4, v5
	v_fma_f32 v8, -v1, v6, 1.0
	v_fmac_f32_e32 v6, v8, v6
	v_mul_f32_e32 v8, v7, v6
	v_fma_f32 v9, -v1, v8, v7
	v_fmac_f32_e32 v8, v9, v6
	v_fma_f32 v1, -v1, v8, v7
	v_div_fmas_f32 v1, v1, v6, v8
	v_div_fixup_f32 v1, v1, v4, v5
	v_fmac_f32_e32 v4, v5, v1
	v_div_scale_f32 v5, s[12:13], v4, v4, 1.0
	v_rcp_f32_e32 v6, v5
	s_nop 0
	v_fma_f32 v7, -v5, v6, 1.0
	v_fmac_f32_e32 v6, v7, v6
	v_div_scale_f32 v7, vcc, 1.0, v4, 1.0
	v_mul_f32_e32 v8, v7, v6
	v_fma_f32 v9, -v5, v8, v7
	v_fmac_f32_e32 v8, v9, v6
	v_fma_f32 v5, -v5, v8, v7
	v_div_fmas_f32 v5, v5, v6, v8
	v_div_fixup_f32 v6, v5, v4, 1.0
	v_xor_b32_e32 v8, 0x80000000, v6
	v_mul_f32_e64 v7, v1, -v6
.LBB97_17:
	s_or_b64 exec, exec, s[4:5]
	scratch_store_dwordx2 v3, v[6:7], off
	scratch_load_dwordx2 v[4:5], off, off offset:8
	v_xor_b32_e32 v9, 0x80000000, v7
	v_add_u32_e32 v1, 0x110, v2
	s_waitcnt vmcnt(0)
	ds_write2_b64 v2, v[8:9], v[4:5] offset1:34
	s_waitcnt lgkmcnt(0)
	; wave barrier
	s_and_saveexec_b64 s[4:5], s[0:1]
	s_cbranch_execz .LBB97_19
; %bb.18:
	scratch_load_dwordx2 v[4:5], v3, off
	ds_read_b64 v[6:7], v1
	v_mov_b32_e32 v8, 0
	ds_read_b64 v[8:9], v8 offset:8
	s_waitcnt vmcnt(0) lgkmcnt(1)
	v_pk_mul_f32 v[10:11], v[6:7], v[4:5] op_sel:[1,1] op_sel_hi:[0,1]
	v_pk_fma_f32 v[12:13], v[6:7], v[4:5], v[10:11] neg_lo:[0,0,1] neg_hi:[0,0,1]
	v_pk_fma_f32 v[4:5], v[6:7], v[4:5], v[10:11] op_sel_hi:[1,0,1]
	s_nop 0
	v_mov_b32_e32 v13, v5
	v_pk_add_f32 v[4:5], v[12:13], 0 op_sel_hi:[1,0]
	s_waitcnt lgkmcnt(0)
	v_pk_mul_f32 v[6:7], v[4:5], v[8:9] op_sel:[1,1] op_sel_hi:[0,1]
	v_pk_fma_f32 v[10:11], v[4:5], v[8:9], v[6:7] neg_lo:[0,0,1] neg_hi:[0,0,1]
	v_pk_fma_f32 v[4:5], v[4:5], v[8:9], v[6:7] op_sel_hi:[1,0,1]
	s_nop 0
	v_mov_b32_e32 v11, v5
	scratch_store_dwordx2 off, v[10:11], off offset:8
.LBB97_19:
	s_or_b64 exec, exec, s[4:5]
	; wave barrier
	scratch_load_dwordx2 v[4:5], off, off offset:16
	v_cmp_gt_u32_e32 vcc, 2, v0
	s_waitcnt vmcnt(0)
	ds_write_b64 v1, v[4:5]
	s_waitcnt lgkmcnt(0)
	; wave barrier
	s_and_saveexec_b64 s[4:5], vcc
	s_cbranch_execz .LBB97_23
; %bb.20:
	scratch_load_dwordx2 v[4:5], v3, off
	ds_read_b64 v[6:7], v1
	s_waitcnt vmcnt(0) lgkmcnt(0)
	v_pk_mul_f32 v[8:9], v[6:7], v[4:5] op_sel:[1,1] op_sel_hi:[0,1]
	v_pk_fma_f32 v[10:11], v[6:7], v[4:5], v[8:9] neg_lo:[0,0,1] neg_hi:[0,0,1]
	v_pk_fma_f32 v[4:5], v[6:7], v[4:5], v[8:9] op_sel_hi:[1,0,1]
	s_nop 0
	v_mov_b32_e32 v11, v5
	v_pk_add_f32 v[4:5], v[10:11], 0 op_sel_hi:[1,0]
	s_and_saveexec_b64 s[12:13], s[0:1]
	s_cbranch_execz .LBB97_22
; %bb.21:
	scratch_load_dwordx2 v[6:7], off, off offset:8
	v_mov_b32_e32 v3, 0
	ds_read_b64 v[8:9], v3 offset:280
	s_waitcnt vmcnt(0) lgkmcnt(0)
	v_pk_mul_f32 v[10:11], v[8:9], v[6:7] op_sel:[1,1] op_sel_hi:[0,1]
	v_pk_fma_f32 v[12:13], v[8:9], v[6:7], v[10:11] neg_lo:[0,0,1] neg_hi:[0,0,1]
	v_pk_fma_f32 v[6:7], v[8:9], v[6:7], v[10:11] op_sel_hi:[1,0,1]
	s_nop 0
	v_mov_b32_e32 v13, v7
	v_pk_add_f32 v[4:5], v[4:5], v[12:13]
.LBB97_22:
	s_or_b64 exec, exec, s[12:13]
	v_mov_b32_e32 v3, 0
	ds_read_b64 v[6:7], v3 offset:16
	s_waitcnt lgkmcnt(0)
	v_pk_mul_f32 v[8:9], v[4:5], v[6:7] op_sel:[1,1] op_sel_hi:[0,1]
	v_pk_fma_f32 v[10:11], v[4:5], v[6:7], v[8:9] neg_lo:[0,0,1] neg_hi:[0,0,1]
	v_pk_fma_f32 v[4:5], v[4:5], v[6:7], v[8:9] op_sel_hi:[1,0,1]
	s_nop 0
	v_mov_b32_e32 v11, v5
	scratch_store_dwordx2 off, v[10:11], off offset:16
.LBB97_23:
	s_or_b64 exec, exec, s[4:5]
	; wave barrier
	scratch_load_dwordx2 v[4:5], off, off offset:24
	v_cmp_gt_u32_e32 vcc, 3, v0
	v_add_u32_e32 v6, -1, v0
	s_waitcnt vmcnt(0)
	ds_write_b64 v1, v[4:5]
	s_waitcnt lgkmcnt(0)
	; wave barrier
	s_and_saveexec_b64 s[0:1], vcc
	s_cbranch_execz .LBB97_27
; %bb.24:
	v_mov_b32_e32 v4, 0
	v_add_u32_e32 v3, -1, v0
	v_add_u32_e32 v7, 0x110, v2
	v_mov_b32_e32 v8, v2
	s_mov_b64 s[4:5], 0
	v_mov_b32_e32 v5, v4
.LBB97_25:                              ; =>This Inner Loop Header: Depth=1
	scratch_load_dwordx2 v[10:11], v8, off
	ds_read_b64 v[12:13], v7
	v_add_u32_e32 v3, 1, v3
	v_cmp_lt_u32_e32 vcc, 1, v3
	v_add_u32_e32 v7, 8, v7
	v_add_u32_e32 v8, 8, v8
	s_or_b64 s[4:5], vcc, s[4:5]
	s_waitcnt vmcnt(0) lgkmcnt(0)
	v_pk_mul_f32 v[14:15], v[12:13], v[10:11] op_sel:[1,1] op_sel_hi:[0,1]
	v_pk_fma_f32 v[16:17], v[12:13], v[10:11], v[14:15] neg_lo:[0,0,1] neg_hi:[0,0,1]
	v_pk_fma_f32 v[10:11], v[12:13], v[10:11], v[14:15] op_sel_hi:[1,0,1]
	s_nop 0
	v_mov_b32_e32 v17, v11
	v_pk_add_f32 v[4:5], v[4:5], v[16:17]
	s_andn2_b64 exec, exec, s[4:5]
	s_cbranch_execnz .LBB97_25
; %bb.26:
	s_or_b64 exec, exec, s[4:5]
	v_mov_b32_e32 v3, 0
	ds_read_b64 v[8:9], v3 offset:24
	s_waitcnt lgkmcnt(0)
	v_pk_mul_f32 v[10:11], v[4:5], v[8:9] op_sel:[1,1] op_sel_hi:[0,1]
	v_pk_fma_f32 v[12:13], v[4:5], v[8:9], v[10:11] neg_lo:[0,0,1] neg_hi:[0,0,1]
	v_pk_fma_f32 v[4:5], v[4:5], v[8:9], v[10:11] op_sel_hi:[1,0,1]
	s_nop 0
	v_mov_b32_e32 v13, v5
	scratch_store_dwordx2 off, v[12:13], off offset:24
.LBB97_27:
	s_or_b64 exec, exec, s[0:1]
	; wave barrier
	scratch_load_dwordx2 v[4:5], off, off offset:32
	v_cmp_gt_u32_e32 vcc, 4, v0
	s_waitcnt vmcnt(0)
	ds_write_b64 v1, v[4:5]
	s_waitcnt lgkmcnt(0)
	; wave barrier
	s_and_saveexec_b64 s[0:1], vcc
	s_cbranch_execz .LBB97_31
; %bb.28:
	v_mov_b32_e32 v4, 0
	v_add_u32_e32 v3, -1, v0
	v_add_u32_e32 v7, 0x110, v2
	v_mov_b32_e32 v8, v2
	s_mov_b64 s[4:5], 0
	v_mov_b32_e32 v5, v4
.LBB97_29:                              ; =>This Inner Loop Header: Depth=1
	scratch_load_dwordx2 v[10:11], v8, off
	ds_read_b64 v[12:13], v7
	v_add_u32_e32 v3, 1, v3
	v_cmp_lt_u32_e32 vcc, 2, v3
	v_add_u32_e32 v7, 8, v7
	v_add_u32_e32 v8, 8, v8
	s_or_b64 s[4:5], vcc, s[4:5]
	s_waitcnt vmcnt(0) lgkmcnt(0)
	v_pk_mul_f32 v[14:15], v[12:13], v[10:11] op_sel:[1,1] op_sel_hi:[0,1]
	v_pk_fma_f32 v[16:17], v[12:13], v[10:11], v[14:15] neg_lo:[0,0,1] neg_hi:[0,0,1]
	v_pk_fma_f32 v[10:11], v[12:13], v[10:11], v[14:15] op_sel_hi:[1,0,1]
	s_nop 0
	v_mov_b32_e32 v17, v11
	v_pk_add_f32 v[4:5], v[4:5], v[16:17]
	s_andn2_b64 exec, exec, s[4:5]
	s_cbranch_execnz .LBB97_29
; %bb.30:
	s_or_b64 exec, exec, s[4:5]
	v_mov_b32_e32 v3, 0
	ds_read_b64 v[8:9], v3 offset:32
	s_waitcnt lgkmcnt(0)
	v_pk_mul_f32 v[10:11], v[4:5], v[8:9] op_sel:[1,1] op_sel_hi:[0,1]
	v_pk_fma_f32 v[12:13], v[4:5], v[8:9], v[10:11] neg_lo:[0,0,1] neg_hi:[0,0,1]
	v_pk_fma_f32 v[4:5], v[4:5], v[8:9], v[10:11] op_sel_hi:[1,0,1]
	s_nop 0
	v_mov_b32_e32 v13, v5
	scratch_store_dwordx2 off, v[12:13], off offset:32
.LBB97_31:
	s_or_b64 exec, exec, s[0:1]
	; wave barrier
	scratch_load_dwordx2 v[4:5], off, off offset:40
	v_cmp_gt_u32_e32 vcc, 5, v0
	;; [unrolled: 46-line block ×19, first 2 shown]
	s_waitcnt vmcnt(0)
	ds_write_b64 v1, v[4:5]
	s_waitcnt lgkmcnt(0)
	; wave barrier
	s_and_saveexec_b64 s[0:1], vcc
	s_cbranch_execz .LBB97_103
; %bb.100:
	v_mov_b32_e32 v4, 0
	v_add_u32_e32 v3, -1, v0
	v_add_u32_e32 v7, 0x110, v2
	v_mov_b32_e32 v8, v2
	s_mov_b64 s[4:5], 0
	v_mov_b32_e32 v5, v4
.LBB97_101:                             ; =>This Inner Loop Header: Depth=1
	scratch_load_dwordx2 v[10:11], v8, off
	ds_read_b64 v[12:13], v7
	v_add_u32_e32 v3, 1, v3
	v_cmp_lt_u32_e32 vcc, 20, v3
	v_add_u32_e32 v7, 8, v7
	v_add_u32_e32 v8, 8, v8
	s_or_b64 s[4:5], vcc, s[4:5]
	s_waitcnt vmcnt(0) lgkmcnt(0)
	v_pk_mul_f32 v[14:15], v[12:13], v[10:11] op_sel:[1,1] op_sel_hi:[0,1]
	v_pk_fma_f32 v[16:17], v[12:13], v[10:11], v[14:15] neg_lo:[0,0,1] neg_hi:[0,0,1]
	v_pk_fma_f32 v[10:11], v[12:13], v[10:11], v[14:15] op_sel_hi:[1,0,1]
	s_nop 0
	v_mov_b32_e32 v17, v11
	v_pk_add_f32 v[4:5], v[4:5], v[16:17]
	s_andn2_b64 exec, exec, s[4:5]
	s_cbranch_execnz .LBB97_101
; %bb.102:
	s_or_b64 exec, exec, s[4:5]
	v_mov_b32_e32 v3, 0
	ds_read_b64 v[8:9], v3 offset:176
	s_waitcnt lgkmcnt(0)
	v_pk_mul_f32 v[10:11], v[4:5], v[8:9] op_sel:[1,1] op_sel_hi:[0,1]
	v_pk_fma_f32 v[12:13], v[4:5], v[8:9], v[10:11] neg_lo:[0,0,1] neg_hi:[0,0,1]
	v_pk_fma_f32 v[4:5], v[4:5], v[8:9], v[10:11] op_sel_hi:[1,0,1]
	s_nop 0
	v_mov_b32_e32 v13, v5
	scratch_store_dwordx2 off, v[12:13], off offset:176
.LBB97_103:
	s_or_b64 exec, exec, s[0:1]
	; wave barrier
	scratch_load_dwordx2 v[4:5], off, off offset:184
	v_cmp_gt_u32_e32 vcc, 23, v0
	s_waitcnt vmcnt(0)
	ds_write_b64 v1, v[4:5]
	s_waitcnt lgkmcnt(0)
	; wave barrier
	s_and_saveexec_b64 s[0:1], vcc
	s_cbranch_execz .LBB97_107
; %bb.104:
	v_mov_b32_e32 v4, 0
	v_add_u32_e32 v3, -1, v0
	v_add_u32_e32 v7, 0x110, v2
	v_mov_b32_e32 v8, v2
	s_mov_b64 s[4:5], 0
	v_mov_b32_e32 v5, v4
.LBB97_105:                             ; =>This Inner Loop Header: Depth=1
	scratch_load_dwordx2 v[10:11], v8, off
	ds_read_b64 v[12:13], v7
	v_add_u32_e32 v3, 1, v3
	v_cmp_lt_u32_e32 vcc, 21, v3
	v_add_u32_e32 v7, 8, v7
	v_add_u32_e32 v8, 8, v8
	s_or_b64 s[4:5], vcc, s[4:5]
	s_waitcnt vmcnt(0) lgkmcnt(0)
	v_pk_mul_f32 v[14:15], v[12:13], v[10:11] op_sel:[1,1] op_sel_hi:[0,1]
	v_pk_fma_f32 v[16:17], v[12:13], v[10:11], v[14:15] neg_lo:[0,0,1] neg_hi:[0,0,1]
	v_pk_fma_f32 v[10:11], v[12:13], v[10:11], v[14:15] op_sel_hi:[1,0,1]
	s_nop 0
	v_mov_b32_e32 v17, v11
	v_pk_add_f32 v[4:5], v[4:5], v[16:17]
	s_andn2_b64 exec, exec, s[4:5]
	s_cbranch_execnz .LBB97_105
; %bb.106:
	s_or_b64 exec, exec, s[4:5]
	v_mov_b32_e32 v3, 0
	ds_read_b64 v[8:9], v3 offset:184
	s_waitcnt lgkmcnt(0)
	v_pk_mul_f32 v[10:11], v[4:5], v[8:9] op_sel:[1,1] op_sel_hi:[0,1]
	v_pk_fma_f32 v[12:13], v[4:5], v[8:9], v[10:11] neg_lo:[0,0,1] neg_hi:[0,0,1]
	v_pk_fma_f32 v[4:5], v[4:5], v[8:9], v[10:11] op_sel_hi:[1,0,1]
	s_nop 0
	v_mov_b32_e32 v13, v5
	scratch_store_dwordx2 off, v[12:13], off offset:184
.LBB97_107:
	s_or_b64 exec, exec, s[0:1]
	; wave barrier
	scratch_load_dwordx2 v[4:5], off, off offset:192
	v_cmp_gt_u32_e32 vcc, 24, v0
	;; [unrolled: 46-line block ×10, first 2 shown]
	s_waitcnt vmcnt(0)
	ds_write_b64 v1, v[4:5]
	s_waitcnt lgkmcnt(0)
	; wave barrier
	s_and_saveexec_b64 s[0:1], vcc
	s_cbranch_execz .LBB97_143
; %bb.140:
	v_mov_b32_e32 v4, 0
	v_add_u32_e32 v3, -1, v0
	v_add_u32_e32 v7, 0x110, v2
	v_mov_b32_e32 v8, v2
	s_mov_b64 s[4:5], 0
	v_mov_b32_e32 v5, v4
.LBB97_141:                             ; =>This Inner Loop Header: Depth=1
	scratch_load_dwordx2 v[10:11], v8, off
	ds_read_b64 v[12:13], v7
	v_add_u32_e32 v3, 1, v3
	v_cmp_lt_u32_e32 vcc, 30, v3
	v_add_u32_e32 v7, 8, v7
	v_add_u32_e32 v8, 8, v8
	s_or_b64 s[4:5], vcc, s[4:5]
	s_waitcnt vmcnt(0) lgkmcnt(0)
	v_pk_mul_f32 v[14:15], v[12:13], v[10:11] op_sel:[1,1] op_sel_hi:[0,1]
	v_pk_fma_f32 v[16:17], v[12:13], v[10:11], v[14:15] neg_lo:[0,0,1] neg_hi:[0,0,1]
	v_pk_fma_f32 v[10:11], v[12:13], v[10:11], v[14:15] op_sel_hi:[1,0,1]
	s_nop 0
	v_mov_b32_e32 v17, v11
	v_pk_add_f32 v[4:5], v[4:5], v[16:17]
	s_andn2_b64 exec, exec, s[4:5]
	s_cbranch_execnz .LBB97_141
; %bb.142:
	s_or_b64 exec, exec, s[4:5]
	v_mov_b32_e32 v3, 0
	ds_read_b64 v[8:9], v3 offset:256
	s_waitcnt lgkmcnt(0)
	v_pk_mul_f32 v[10:11], v[4:5], v[8:9] op_sel:[1,1] op_sel_hi:[0,1]
	v_pk_fma_f32 v[12:13], v[4:5], v[8:9], v[10:11] neg_lo:[0,0,1] neg_hi:[0,0,1]
	v_pk_fma_f32 v[4:5], v[4:5], v[8:9], v[10:11] op_sel_hi:[1,0,1]
	s_nop 0
	v_mov_b32_e32 v13, v5
	scratch_store_dwordx2 off, v[12:13], off offset:256
.LBB97_143:
	s_or_b64 exec, exec, s[0:1]
	; wave barrier
	scratch_load_dwordx2 v[4:5], off, off offset:264
	v_cmp_ne_u32_e32 vcc, 33, v0
	s_waitcnt vmcnt(0)
	ds_write_b64 v1, v[4:5]
	s_waitcnt lgkmcnt(0)
	; wave barrier
	s_and_saveexec_b64 s[0:1], vcc
	s_cbranch_execz .LBB97_147
; %bb.144:
	v_add_u32_e32 v1, 0x110, v2
	v_mov_b32_e32 v4, v2
	v_mov_b32_e32 v2, 0
	s_mov_b64 s[4:5], 0
	v_mov_b32_e32 v3, v2
.LBB97_145:                             ; =>This Inner Loop Header: Depth=1
	scratch_load_dwordx2 v[8:9], v4, off
	ds_read_b64 v[10:11], v1
	v_add_u32_e32 v6, 1, v6
	v_cmp_lt_u32_e32 vcc, 31, v6
	v_add_u32_e32 v1, 8, v1
	v_add_u32_e32 v4, 8, v4
	s_or_b64 s[4:5], vcc, s[4:5]
	s_waitcnt vmcnt(0) lgkmcnt(0)
	v_pk_mul_f32 v[12:13], v[10:11], v[8:9] op_sel:[1,1] op_sel_hi:[0,1]
	v_pk_fma_f32 v[14:15], v[10:11], v[8:9], v[12:13] neg_lo:[0,0,1] neg_hi:[0,0,1]
	v_pk_fma_f32 v[8:9], v[10:11], v[8:9], v[12:13] op_sel_hi:[1,0,1]
	s_nop 0
	v_mov_b32_e32 v15, v9
	v_pk_add_f32 v[2:3], v[2:3], v[14:15]
	s_andn2_b64 exec, exec, s[4:5]
	s_cbranch_execnz .LBB97_145
; %bb.146:
	s_or_b64 exec, exec, s[4:5]
	v_mov_b32_e32 v1, 0
	ds_read_b64 v[4:5], v1 offset:264
	s_waitcnt lgkmcnt(0)
	v_pk_mul_f32 v[6:7], v[2:3], v[4:5] op_sel:[1,1] op_sel_hi:[0,1]
	v_pk_fma_f32 v[8:9], v[2:3], v[4:5], v[6:7] neg_lo:[0,0,1] neg_hi:[0,0,1]
	v_pk_fma_f32 v[2:3], v[2:3], v[4:5], v[6:7] op_sel_hi:[1,0,1]
	s_nop 0
	v_mov_b32_e32 v9, v3
	scratch_store_dwordx2 off, v[8:9], off offset:264
.LBB97_147:
	s_or_b64 exec, exec, s[0:1]
	s_mov_b64 s[4:5], -1
	; wave barrier
.LBB97_148:
	s_and_b64 vcc, exec, s[4:5]
	s_cbranch_vccz .LBB97_150
; %bb.149:
	s_lshl_b64 s[0:1], s[2:3], 2
	s_add_u32 s0, s6, s0
	s_addc_u32 s1, s7, s1
	v_mov_b32_e32 v1, 0
	global_load_dword v1, v1, s[0:1]
	s_waitcnt vmcnt(0)
	v_cmp_ne_u32_e32 vcc, 0, v1
	s_cbranch_vccz .LBB97_151
.LBB97_150:
	s_endpgm
.LBB97_151:
	v_mov_b32_e32 v1, 0x110
	v_lshl_add_u32 v1, v0, 3, v1
	v_cmp_eq_u32_e32 vcc, 33, v0
	s_and_saveexec_b64 s[0:1], vcc
	s_cbranch_execz .LBB97_153
; %bb.152:
	scratch_load_dwordx2 v[2:3], off, off offset:256
	v_mov_b32_e32 v4, 0
	v_mov_b32_e32 v5, v4
	scratch_store_dwordx2 off, v[4:5], off offset:256
	s_waitcnt vmcnt(1)
	ds_write_b64 v1, v[2:3]
.LBB97_153:
	s_or_b64 exec, exec, s[0:1]
	s_waitcnt lgkmcnt(0)
	; wave barrier
	scratch_load_dwordx2 v[4:5], off, off offset:264
	scratch_load_dwordx2 v[6:7], off, off offset:256
	v_mov_b32_e32 v2, 0
	ds_read_b64 v[8:9], v2 offset:536
	v_cmp_lt_u32_e32 vcc, 31, v0
	s_waitcnt vmcnt(1) lgkmcnt(0)
	v_pk_mul_f32 v[10:11], v[8:9], v[4:5] op_sel:[1,1] op_sel_hi:[0,1]
	v_pk_fma_f32 v[12:13], v[8:9], v[4:5], v[10:11] neg_lo:[0,0,1] neg_hi:[0,0,1]
	v_pk_fma_f32 v[4:5], v[8:9], v[4:5], v[10:11] op_sel_hi:[1,0,1]
	s_nop 0
	v_mov_b32_e32 v13, v5
	v_pk_add_f32 v[4:5], v[12:13], 0 op_sel_hi:[1,0]
	s_waitcnt vmcnt(0)
	v_pk_add_f32 v[4:5], v[6:7], v[4:5] neg_lo:[0,1] neg_hi:[0,1]
	scratch_store_dwordx2 off, v[4:5], off offset:256
	s_and_saveexec_b64 s[0:1], vcc
	s_cbranch_execz .LBB97_155
; %bb.154:
	scratch_load_dwordx2 v[4:5], off, off offset:248
	v_mov_b32_e32 v3, v2
	scratch_store_dwordx2 off, v[2:3], off offset:248
	s_waitcnt vmcnt(1)
	ds_write_b64 v1, v[4:5]
.LBB97_155:
	s_or_b64 exec, exec, s[0:1]
	s_waitcnt lgkmcnt(0)
	; wave barrier
	scratch_load_dwordx4 v[4:7], off, off offset:256
	scratch_load_dwordx2 v[12:13], off, off offset:248
	ds_read_b128 v[8:11], v2 offset:528
	v_cmp_lt_u32_e32 vcc, 30, v0
	s_waitcnt vmcnt(1) lgkmcnt(0)
	v_pk_mul_f32 v[2:3], v[8:9], v[4:5] op_sel:[1,1] op_sel_hi:[0,1]
	v_mov_b32_e32 v14, v7
	v_pk_fma_f32 v[16:17], v[8:9], v[4:5], v[2:3] neg_lo:[0,0,1] neg_hi:[0,0,1]
	v_pk_fma_f32 v[2:3], v[8:9], v[4:5], v[2:3] op_sel_hi:[1,0,1]
	v_pk_mul_f32 v[4:5], v[10:11], v[14:15] op_sel:[1,0] op_sel_hi:[0,0]
	v_mov_b32_e32 v17, v3
	v_pk_fma_f32 v[2:3], v[10:11], v[6:7], v[4:5] neg_lo:[0,0,1] neg_hi:[0,0,1]
	v_pk_fma_f32 v[4:5], v[10:11], v[6:7], v[4:5] op_sel_hi:[1,0,1]
	v_pk_add_f32 v[6:7], v[16:17], 0 op_sel_hi:[1,0]
	v_mov_b32_e32 v3, v5
	v_pk_add_f32 v[2:3], v[6:7], v[2:3]
	s_waitcnt vmcnt(0)
	v_pk_add_f32 v[2:3], v[12:13], v[2:3] neg_lo:[0,1] neg_hi:[0,1]
	scratch_store_dwordx2 off, v[2:3], off offset:248
	s_and_saveexec_b64 s[0:1], vcc
	s_cbranch_execz .LBB97_157
; %bb.156:
	scratch_load_dwordx2 v[2:3], off, off offset:240
	v_mov_b32_e32 v4, 0
	v_mov_b32_e32 v5, v4
	scratch_store_dwordx2 off, v[4:5], off offset:240
	s_waitcnt vmcnt(1)
	ds_write_b64 v1, v[2:3]
.LBB97_157:
	s_or_b64 exec, exec, s[0:1]
	s_waitcnt lgkmcnt(0)
	; wave barrier
	scratch_load_dwordx4 v[4:7], off, off offset:248
	scratch_load_dwordx2 v[12:13], off, off offset:264
	scratch_load_dwordx2 v[14:15], off, off offset:240
	v_mov_b32_e32 v2, 0
	ds_read2_b64 v[8:11], v2 offset0:65 offset1:66
	ds_read_b64 v[16:17], v2 offset:536
	v_cmp_lt_u32_e32 vcc, 29, v0
	s_waitcnt vmcnt(2) lgkmcnt(1)
	v_pk_mul_f32 v[18:19], v[8:9], v[4:5] op_sel:[1,1] op_sel_hi:[0,1]
	v_mov_b32_e32 v20, v7
	v_pk_fma_f32 v[24:25], v[8:9], v[4:5], v[18:19] neg_lo:[0,0,1] neg_hi:[0,0,1]
	v_pk_fma_f32 v[4:5], v[8:9], v[4:5], v[18:19] op_sel_hi:[1,0,1]
	v_pk_mul_f32 v[8:9], v[10:11], v[20:21] op_sel:[1,0] op_sel_hi:[0,0]
	s_waitcnt vmcnt(1) lgkmcnt(0)
	v_pk_mul_f32 v[22:23], v[16:17], v[12:13] op_sel:[1,1] op_sel_hi:[0,1]
	v_mov_b32_e32 v25, v5
	v_pk_fma_f32 v[4:5], v[10:11], v[6:7], v[8:9] neg_lo:[0,0,1] neg_hi:[0,0,1]
	v_pk_fma_f32 v[6:7], v[10:11], v[6:7], v[8:9] op_sel_hi:[1,0,1]
	v_pk_fma_f32 v[18:19], v[16:17], v[12:13], v[22:23] neg_lo:[0,0,1] neg_hi:[0,0,1]
	v_pk_fma_f32 v[12:13], v[16:17], v[12:13], v[22:23] op_sel_hi:[1,0,1]
	v_pk_add_f32 v[8:9], v[24:25], 0 op_sel_hi:[1,0]
	v_mov_b32_e32 v5, v7
	v_mov_b32_e32 v19, v13
	v_pk_add_f32 v[4:5], v[8:9], v[4:5]
	s_nop 0
	v_pk_add_f32 v[4:5], v[4:5], v[18:19]
	s_waitcnt vmcnt(0)
	v_pk_add_f32 v[4:5], v[14:15], v[4:5] neg_lo:[0,1] neg_hi:[0,1]
	scratch_store_dwordx2 off, v[4:5], off offset:240
	s_and_saveexec_b64 s[0:1], vcc
	s_cbranch_execz .LBB97_159
; %bb.158:
	scratch_load_dwordx2 v[4:5], off, off offset:232
	v_mov_b32_e32 v3, v2
	scratch_store_dwordx2 off, v[2:3], off offset:232
	s_waitcnt vmcnt(1)
	ds_write_b64 v1, v[4:5]
.LBB97_159:
	s_or_b64 exec, exec, s[0:1]
	s_waitcnt lgkmcnt(0)
	; wave barrier
	scratch_load_dwordx4 v[4:7], off, off offset:240
	scratch_load_dwordx4 v[8:11], off, off offset:256
	scratch_load_dwordx2 v[20:21], off, off offset:232
	ds_read_b128 v[12:15], v2 offset:512
	ds_read_b128 v[16:19], v2 offset:528
	v_cmp_lt_u32_e32 vcc, 28, v0
	s_waitcnt vmcnt(2) lgkmcnt(1)
	v_pk_mul_f32 v[2:3], v[12:13], v[4:5] op_sel:[1,1] op_sel_hi:[0,1]
	v_mov_b32_e32 v22, v7
	s_waitcnt vmcnt(1) lgkmcnt(0)
	v_pk_mul_f32 v[24:25], v[16:17], v[8:9] op_sel:[1,1] op_sel_hi:[0,1]
	v_mov_b32_e32 v26, v11
	v_pk_fma_f32 v[28:29], v[12:13], v[4:5], v[2:3] neg_lo:[0,0,1] neg_hi:[0,0,1]
	v_pk_fma_f32 v[2:3], v[12:13], v[4:5], v[2:3] op_sel_hi:[1,0,1]
	v_pk_mul_f32 v[4:5], v[14:15], v[22:23] op_sel:[1,0] op_sel_hi:[0,0]
	v_pk_fma_f32 v[12:13], v[16:17], v[8:9], v[24:25] neg_lo:[0,0,1] neg_hi:[0,0,1]
	v_pk_fma_f32 v[8:9], v[16:17], v[8:9], v[24:25] op_sel_hi:[1,0,1]
	v_pk_mul_f32 v[16:17], v[18:19], v[26:27] op_sel:[1,0] op_sel_hi:[0,0]
	v_mov_b32_e32 v29, v3
	v_pk_fma_f32 v[2:3], v[14:15], v[6:7], v[4:5] neg_lo:[0,0,1] neg_hi:[0,0,1]
	v_pk_fma_f32 v[4:5], v[14:15], v[6:7], v[4:5] op_sel_hi:[1,0,1]
	v_mov_b32_e32 v13, v9
	v_pk_fma_f32 v[6:7], v[18:19], v[10:11], v[16:17] neg_lo:[0,0,1] neg_hi:[0,0,1]
	v_pk_fma_f32 v[8:9], v[18:19], v[10:11], v[16:17] op_sel_hi:[1,0,1]
	v_pk_add_f32 v[10:11], v[28:29], 0 op_sel_hi:[1,0]
	v_mov_b32_e32 v3, v5
	v_pk_add_f32 v[2:3], v[10:11], v[2:3]
	v_mov_b32_e32 v7, v9
	v_pk_add_f32 v[2:3], v[2:3], v[12:13]
	s_nop 0
	v_pk_add_f32 v[2:3], v[2:3], v[6:7]
	s_waitcnt vmcnt(0)
	v_pk_add_f32 v[2:3], v[20:21], v[2:3] neg_lo:[0,1] neg_hi:[0,1]
	scratch_store_dwordx2 off, v[2:3], off offset:232
	s_and_saveexec_b64 s[0:1], vcc
	s_cbranch_execz .LBB97_161
; %bb.160:
	scratch_load_dwordx2 v[2:3], off, off offset:224
	v_mov_b32_e32 v4, 0
	v_mov_b32_e32 v5, v4
	scratch_store_dwordx2 off, v[4:5], off offset:224
	s_waitcnt vmcnt(1)
	ds_write_b64 v1, v[2:3]
.LBB97_161:
	s_or_b64 exec, exec, s[0:1]
	s_waitcnt lgkmcnt(0)
	; wave barrier
	scratch_load_dwordx4 v[4:7], off, off offset:232
	scratch_load_dwordx4 v[8:11], off, off offset:248
	scratch_load_dwordx2 v[20:21], off, off offset:264
	scratch_load_dwordx2 v[22:23], off, off offset:224
	v_mov_b32_e32 v2, 0
	ds_read2_b64 v[12:15], v2 offset0:63 offset1:64
	ds_read2_b64 v[16:19], v2 offset0:65 offset1:66
	ds_read_b64 v[24:25], v2 offset:536
	v_cmp_lt_u32_e32 vcc, 27, v0
	s_waitcnt vmcnt(3) lgkmcnt(2)
	v_pk_mul_f32 v[26:27], v[12:13], v[4:5] op_sel:[1,1] op_sel_hi:[0,1]
	v_mov_b32_e32 v28, v7
	v_pk_fma_f32 v[36:37], v[12:13], v[4:5], v[26:27] neg_lo:[0,0,1] neg_hi:[0,0,1]
	v_pk_fma_f32 v[4:5], v[12:13], v[4:5], v[26:27] op_sel_hi:[1,0,1]
	v_pk_mul_f32 v[12:13], v[14:15], v[28:29] op_sel:[1,0] op_sel_hi:[0,0]
	s_waitcnt vmcnt(2) lgkmcnt(1)
	v_pk_mul_f32 v[30:31], v[16:17], v[8:9] op_sel:[1,1] op_sel_hi:[0,1]
	v_mov_b32_e32 v32, v11
	v_mov_b32_e32 v37, v5
	v_pk_fma_f32 v[4:5], v[14:15], v[6:7], v[12:13] neg_lo:[0,0,1] neg_hi:[0,0,1]
	v_pk_fma_f32 v[6:7], v[14:15], v[6:7], v[12:13] op_sel_hi:[1,0,1]
	v_pk_fma_f32 v[26:27], v[16:17], v[8:9], v[30:31] neg_lo:[0,0,1] neg_hi:[0,0,1]
	v_pk_fma_f32 v[8:9], v[16:17], v[8:9], v[30:31] op_sel_hi:[1,0,1]
	v_pk_mul_f32 v[16:17], v[18:19], v[32:33] op_sel:[1,0] op_sel_hi:[0,0]
	v_pk_add_f32 v[12:13], v[36:37], 0 op_sel_hi:[1,0]
	v_mov_b32_e32 v5, v7
	s_waitcnt vmcnt(1) lgkmcnt(0)
	v_pk_mul_f32 v[34:35], v[24:25], v[20:21] op_sel:[1,1] op_sel_hi:[0,1]
	v_mov_b32_e32 v27, v9
	v_pk_fma_f32 v[8:9], v[18:19], v[10:11], v[16:17] neg_lo:[0,0,1] neg_hi:[0,0,1]
	v_pk_fma_f32 v[10:11], v[18:19], v[10:11], v[16:17] op_sel_hi:[1,0,1]
	v_pk_add_f32 v[4:5], v[12:13], v[4:5]
	v_pk_fma_f32 v[28:29], v[24:25], v[20:21], v[34:35] neg_lo:[0,0,1] neg_hi:[0,0,1]
	v_pk_fma_f32 v[20:21], v[24:25], v[20:21], v[34:35] op_sel_hi:[1,0,1]
	v_mov_b32_e32 v9, v11
	v_pk_add_f32 v[4:5], v[4:5], v[26:27]
	v_mov_b32_e32 v29, v21
	v_pk_add_f32 v[4:5], v[4:5], v[8:9]
	s_nop 0
	v_pk_add_f32 v[4:5], v[4:5], v[28:29]
	s_waitcnt vmcnt(0)
	v_pk_add_f32 v[4:5], v[22:23], v[4:5] neg_lo:[0,1] neg_hi:[0,1]
	scratch_store_dwordx2 off, v[4:5], off offset:224
	s_and_saveexec_b64 s[0:1], vcc
	s_cbranch_execz .LBB97_163
; %bb.162:
	scratch_load_dwordx2 v[4:5], off, off offset:216
	v_mov_b32_e32 v3, v2
	scratch_store_dwordx2 off, v[2:3], off offset:216
	s_waitcnt vmcnt(1)
	ds_write_b64 v1, v[4:5]
.LBB97_163:
	s_or_b64 exec, exec, s[0:1]
	s_waitcnt lgkmcnt(0)
	; wave barrier
	scratch_load_dwordx4 v[4:7], off, off offset:224
	scratch_load_dwordx4 v[8:11], off, off offset:240
	;; [unrolled: 1-line block ×3, first 2 shown]
	scratch_load_dwordx2 v[28:29], off, off offset:216
	ds_read_b128 v[16:19], v2 offset:496
	ds_read_b128 v[20:23], v2 offset:512
	;; [unrolled: 1-line block ×3, first 2 shown]
	v_cmp_lt_u32_e32 vcc, 26, v0
	s_waitcnt vmcnt(3) lgkmcnt(2)
	v_pk_mul_f32 v[2:3], v[16:17], v[4:5] op_sel:[1,1] op_sel_hi:[0,1]
	v_mov_b32_e32 v30, v7
	s_waitcnt vmcnt(2) lgkmcnt(1)
	v_pk_mul_f32 v[32:33], v[20:21], v[8:9] op_sel:[1,1] op_sel_hi:[0,1]
	v_mov_b32_e32 v34, v11
	;; [unrolled: 3-line block ×3, first 2 shown]
	v_pk_fma_f32 v[40:41], v[16:17], v[4:5], v[2:3] neg_lo:[0,0,1] neg_hi:[0,0,1]
	v_pk_fma_f32 v[2:3], v[16:17], v[4:5], v[2:3] op_sel_hi:[1,0,1]
	v_pk_mul_f32 v[4:5], v[18:19], v[30:31] op_sel:[1,0] op_sel_hi:[0,0]
	v_pk_fma_f32 v[16:17], v[20:21], v[8:9], v[32:33] neg_lo:[0,0,1] neg_hi:[0,0,1]
	v_pk_fma_f32 v[8:9], v[20:21], v[8:9], v[32:33] op_sel_hi:[1,0,1]
	v_pk_mul_f32 v[20:21], v[22:23], v[34:35] op_sel:[1,0] op_sel_hi:[0,0]
	;; [unrolled: 3-line block ×3, first 2 shown]
	v_mov_b32_e32 v41, v3
	v_pk_fma_f32 v[2:3], v[18:19], v[6:7], v[4:5] neg_lo:[0,0,1] neg_hi:[0,0,1]
	v_pk_fma_f32 v[4:5], v[18:19], v[6:7], v[4:5] op_sel_hi:[1,0,1]
	v_mov_b32_e32 v17, v9
	v_pk_fma_f32 v[6:7], v[22:23], v[10:11], v[20:21] neg_lo:[0,0,1] neg_hi:[0,0,1]
	v_pk_fma_f32 v[8:9], v[22:23], v[10:11], v[20:21] op_sel_hi:[1,0,1]
	v_mov_b32_e32 v31, v13
	v_pk_fma_f32 v[10:11], v[26:27], v[14:15], v[24:25] neg_lo:[0,0,1] neg_hi:[0,0,1]
	v_pk_fma_f32 v[12:13], v[26:27], v[14:15], v[24:25] op_sel_hi:[1,0,1]
	v_pk_add_f32 v[14:15], v[40:41], 0 op_sel_hi:[1,0]
	v_mov_b32_e32 v3, v5
	v_pk_add_f32 v[2:3], v[14:15], v[2:3]
	v_mov_b32_e32 v7, v9
	v_pk_add_f32 v[2:3], v[2:3], v[16:17]
	v_mov_b32_e32 v11, v13
	v_pk_add_f32 v[2:3], v[2:3], v[6:7]
	s_nop 0
	v_pk_add_f32 v[2:3], v[2:3], v[30:31]
	s_nop 0
	v_pk_add_f32 v[2:3], v[2:3], v[10:11]
	s_waitcnt vmcnt(0)
	v_pk_add_f32 v[2:3], v[28:29], v[2:3] neg_lo:[0,1] neg_hi:[0,1]
	scratch_store_dwordx2 off, v[2:3], off offset:216
	s_and_saveexec_b64 s[0:1], vcc
	s_cbranch_execz .LBB97_165
; %bb.164:
	scratch_load_dwordx2 v[2:3], off, off offset:208
	v_mov_b32_e32 v4, 0
	v_mov_b32_e32 v5, v4
	scratch_store_dwordx2 off, v[4:5], off offset:208
	s_waitcnt vmcnt(1)
	ds_write_b64 v1, v[2:3]
.LBB97_165:
	s_or_b64 exec, exec, s[0:1]
	s_waitcnt lgkmcnt(0)
	; wave barrier
	scratch_load_dwordx4 v[4:7], off, off offset:216
	scratch_load_dwordx4 v[8:11], off, off offset:232
	;; [unrolled: 1-line block ×3, first 2 shown]
	scratch_load_dwordx2 v[28:29], off, off offset:264
	scratch_load_dwordx2 v[30:31], off, off offset:208
	v_mov_b32_e32 v2, 0
	ds_read2_b64 v[16:19], v2 offset0:61 offset1:62
	ds_read2_b64 v[20:23], v2 offset0:63 offset1:64
	ds_read2_b64 v[24:27], v2 offset0:65 offset1:66
	ds_read_b64 v[32:33], v2 offset:536
	v_cmp_lt_u32_e32 vcc, 25, v0
	s_waitcnt vmcnt(4) lgkmcnt(3)
	v_pk_mul_f32 v[34:35], v[16:17], v[4:5] op_sel:[1,1] op_sel_hi:[0,1]
	v_mov_b32_e32 v36, v7
	v_pk_fma_f32 v[48:49], v[16:17], v[4:5], v[34:35] neg_lo:[0,0,1] neg_hi:[0,0,1]
	v_pk_fma_f32 v[4:5], v[16:17], v[4:5], v[34:35] op_sel_hi:[1,0,1]
	v_pk_mul_f32 v[16:17], v[18:19], v[36:37] op_sel:[1,0] op_sel_hi:[0,0]
	s_waitcnt vmcnt(3) lgkmcnt(2)
	v_pk_mul_f32 v[38:39], v[20:21], v[8:9] op_sel:[1,1] op_sel_hi:[0,1]
	v_mov_b32_e32 v40, v11
	v_mov_b32_e32 v49, v5
	v_pk_fma_f32 v[4:5], v[18:19], v[6:7], v[16:17] neg_lo:[0,0,1] neg_hi:[0,0,1]
	v_pk_fma_f32 v[6:7], v[18:19], v[6:7], v[16:17] op_sel_hi:[1,0,1]
	v_pk_fma_f32 v[34:35], v[20:21], v[8:9], v[38:39] neg_lo:[0,0,1] neg_hi:[0,0,1]
	v_pk_fma_f32 v[8:9], v[20:21], v[8:9], v[38:39] op_sel_hi:[1,0,1]
	v_pk_mul_f32 v[20:21], v[22:23], v[40:41] op_sel:[1,0] op_sel_hi:[0,0]
	v_pk_add_f32 v[16:17], v[48:49], 0 op_sel_hi:[1,0]
	v_mov_b32_e32 v5, v7
	s_waitcnt vmcnt(2) lgkmcnt(1)
	v_pk_mul_f32 v[42:43], v[24:25], v[12:13] op_sel:[1,1] op_sel_hi:[0,1]
	v_mov_b32_e32 v44, v15
	v_mov_b32_e32 v35, v9
	v_pk_fma_f32 v[8:9], v[22:23], v[10:11], v[20:21] neg_lo:[0,0,1] neg_hi:[0,0,1]
	v_pk_fma_f32 v[10:11], v[22:23], v[10:11], v[20:21] op_sel_hi:[1,0,1]
	v_pk_add_f32 v[4:5], v[16:17], v[4:5]
	v_pk_fma_f32 v[36:37], v[24:25], v[12:13], v[42:43] neg_lo:[0,0,1] neg_hi:[0,0,1]
	v_pk_fma_f32 v[12:13], v[24:25], v[12:13], v[42:43] op_sel_hi:[1,0,1]
	v_pk_mul_f32 v[24:25], v[26:27], v[44:45] op_sel:[1,0] op_sel_hi:[0,0]
	v_mov_b32_e32 v9, v11
	v_pk_add_f32 v[4:5], v[4:5], v[34:35]
	s_waitcnt vmcnt(1) lgkmcnt(0)
	v_pk_mul_f32 v[46:47], v[32:33], v[28:29] op_sel:[1,1] op_sel_hi:[0,1]
	v_mov_b32_e32 v37, v13
	v_pk_fma_f32 v[12:13], v[26:27], v[14:15], v[24:25] neg_lo:[0,0,1] neg_hi:[0,0,1]
	v_pk_fma_f32 v[14:15], v[26:27], v[14:15], v[24:25] op_sel_hi:[1,0,1]
	v_pk_add_f32 v[4:5], v[4:5], v[8:9]
	v_pk_fma_f32 v[38:39], v[32:33], v[28:29], v[46:47] neg_lo:[0,0,1] neg_hi:[0,0,1]
	v_pk_fma_f32 v[28:29], v[32:33], v[28:29], v[46:47] op_sel_hi:[1,0,1]
	v_mov_b32_e32 v13, v15
	v_pk_add_f32 v[4:5], v[4:5], v[36:37]
	v_mov_b32_e32 v39, v29
	v_pk_add_f32 v[4:5], v[4:5], v[12:13]
	s_nop 0
	v_pk_add_f32 v[4:5], v[4:5], v[38:39]
	s_waitcnt vmcnt(0)
	v_pk_add_f32 v[4:5], v[30:31], v[4:5] neg_lo:[0,1] neg_hi:[0,1]
	scratch_store_dwordx2 off, v[4:5], off offset:208
	s_and_saveexec_b64 s[0:1], vcc
	s_cbranch_execz .LBB97_167
; %bb.166:
	scratch_load_dwordx2 v[4:5], off, off offset:200
	v_mov_b32_e32 v3, v2
	scratch_store_dwordx2 off, v[2:3], off offset:200
	s_waitcnt vmcnt(1)
	ds_write_b64 v1, v[4:5]
.LBB97_167:
	s_or_b64 exec, exec, s[0:1]
	s_waitcnt lgkmcnt(0)
	; wave barrier
	scratch_load_dwordx4 v[4:7], off, off offset:208
	scratch_load_dwordx4 v[8:11], off, off offset:224
	;; [unrolled: 1-line block ×4, first 2 shown]
	scratch_load_dwordx2 v[36:37], off, off offset:200
	ds_read_b128 v[20:23], v2 offset:480
	ds_read_b128 v[24:27], v2 offset:496
	;; [unrolled: 1-line block ×4, first 2 shown]
	v_cmp_lt_u32_e32 vcc, 24, v0
	s_waitcnt vmcnt(4) lgkmcnt(3)
	v_pk_mul_f32 v[2:3], v[20:21], v[4:5] op_sel:[1,1] op_sel_hi:[0,1]
	v_mov_b32_e32 v38, v7
	s_waitcnt vmcnt(3) lgkmcnt(2)
	v_pk_mul_f32 v[40:41], v[24:25], v[8:9] op_sel:[1,1] op_sel_hi:[0,1]
	v_mov_b32_e32 v42, v11
	;; [unrolled: 3-line block ×4, first 2 shown]
	v_pk_fma_f32 v[52:53], v[20:21], v[4:5], v[2:3] neg_lo:[0,0,1] neg_hi:[0,0,1]
	v_pk_fma_f32 v[2:3], v[20:21], v[4:5], v[2:3] op_sel_hi:[1,0,1]
	v_pk_mul_f32 v[4:5], v[22:23], v[38:39] op_sel:[1,0] op_sel_hi:[0,0]
	v_pk_fma_f32 v[20:21], v[24:25], v[8:9], v[40:41] neg_lo:[0,0,1] neg_hi:[0,0,1]
	v_pk_fma_f32 v[8:9], v[24:25], v[8:9], v[40:41] op_sel_hi:[1,0,1]
	v_pk_mul_f32 v[24:25], v[26:27], v[42:43] op_sel:[1,0] op_sel_hi:[0,0]
	;; [unrolled: 3-line block ×4, first 2 shown]
	v_mov_b32_e32 v53, v3
	v_pk_fma_f32 v[2:3], v[22:23], v[6:7], v[4:5] neg_lo:[0,0,1] neg_hi:[0,0,1]
	v_pk_fma_f32 v[4:5], v[22:23], v[6:7], v[4:5] op_sel_hi:[1,0,1]
	v_mov_b32_e32 v21, v9
	v_pk_fma_f32 v[6:7], v[26:27], v[10:11], v[24:25] neg_lo:[0,0,1] neg_hi:[0,0,1]
	v_pk_fma_f32 v[8:9], v[26:27], v[10:11], v[24:25] op_sel_hi:[1,0,1]
	;; [unrolled: 3-line block ×4, first 2 shown]
	v_pk_add_f32 v[18:19], v[52:53], 0 op_sel_hi:[1,0]
	v_mov_b32_e32 v3, v5
	v_pk_add_f32 v[2:3], v[18:19], v[2:3]
	v_mov_b32_e32 v7, v9
	v_pk_add_f32 v[2:3], v[2:3], v[20:21]
	;; [unrolled: 2-line block ×4, first 2 shown]
	s_nop 0
	v_pk_add_f32 v[2:3], v[2:3], v[10:11]
	s_nop 0
	v_pk_add_f32 v[2:3], v[2:3], v[40:41]
	;; [unrolled: 2-line block ×3, first 2 shown]
	s_waitcnt vmcnt(0)
	v_pk_add_f32 v[2:3], v[36:37], v[2:3] neg_lo:[0,1] neg_hi:[0,1]
	scratch_store_dwordx2 off, v[2:3], off offset:200
	s_and_saveexec_b64 s[0:1], vcc
	s_cbranch_execz .LBB97_169
; %bb.168:
	scratch_load_dwordx2 v[2:3], off, off offset:192
	v_mov_b32_e32 v4, 0
	v_mov_b32_e32 v5, v4
	scratch_store_dwordx2 off, v[4:5], off offset:192
	s_waitcnt vmcnt(1)
	ds_write_b64 v1, v[2:3]
.LBB97_169:
	s_or_b64 exec, exec, s[0:1]
	s_waitcnt lgkmcnt(0)
	; wave barrier
	scratch_load_dwordx4 v[4:7], off, off offset:200
	scratch_load_dwordx4 v[8:11], off, off offset:216
	;; [unrolled: 1-line block ×4, first 2 shown]
	scratch_load_dwordx2 v[36:37], off, off offset:264
	scratch_load_dwordx2 v[38:39], off, off offset:192
	v_mov_b32_e32 v2, 0
	ds_read2_b64 v[20:23], v2 offset0:59 offset1:60
	ds_read2_b64 v[24:27], v2 offset0:61 offset1:62
	;; [unrolled: 1-line block ×4, first 2 shown]
	ds_read_b64 v[40:41], v2 offset:536
	v_cmp_lt_u32_e32 vcc, 23, v0
	s_waitcnt vmcnt(5) lgkmcnt(4)
	v_mul_f32_e32 v43, v20, v5
	v_mul_f32_e32 v3, v21, v5
	v_mov_b32_e32 v44, v7
	s_waitcnt vmcnt(4) lgkmcnt(3)
	v_pk_mul_f32 v[46:47], v[24:25], v[8:9] op_sel:[1,1] op_sel_hi:[0,1]
	v_mov_b32_e32 v48, v11
	s_waitcnt vmcnt(1) lgkmcnt(0)
	v_pk_mul_f32 v[58:59], v[40:41], v[36:37] op_sel:[1,1] op_sel_hi:[0,1]
	v_fmac_f32_e32 v43, v21, v4
	v_fma_f32 v42, v20, v4, -v3
	v_pk_mul_f32 v[4:5], v[22:23], v[44:45] op_sel:[1,0] op_sel_hi:[0,0]
	v_pk_fma_f32 v[20:21], v[24:25], v[8:9], v[46:47] neg_lo:[0,0,1] neg_hi:[0,0,1]
	v_pk_fma_f32 v[8:9], v[24:25], v[8:9], v[46:47] op_sel_hi:[1,0,1]
	v_pk_mul_f32 v[24:25], v[26:27], v[48:49] op_sel:[1,0] op_sel_hi:[0,0]
	v_pk_fma_f32 v[48:49], v[40:41], v[36:37], v[58:59] neg_lo:[0,0,1] neg_hi:[0,0,1]
	v_pk_fma_f32 v[36:37], v[40:41], v[36:37], v[58:59] op_sel_hi:[1,0,1]
	v_pk_add_f32 v[40:41], v[42:43], 0 op_sel_hi:[1,0]
	v_pk_fma_f32 v[42:43], v[22:23], v[6:7], v[4:5] neg_lo:[0,0,1] neg_hi:[0,0,1]
	v_pk_fma_f32 v[4:5], v[22:23], v[6:7], v[4:5] op_sel_hi:[1,0,1]
	v_pk_mul_f32 v[50:51], v[28:29], v[12:13] op_sel:[1,1] op_sel_hi:[0,1]
	v_mov_b32_e32 v43, v5
	v_mov_b32_e32 v52, v15
	;; [unrolled: 1-line block ×3, first 2 shown]
	v_pk_fma_f32 v[6:7], v[26:27], v[10:11], v[24:25] neg_lo:[0,0,1] neg_hi:[0,0,1]
	v_pk_fma_f32 v[8:9], v[26:27], v[10:11], v[24:25] op_sel_hi:[1,0,1]
	v_pk_add_f32 v[4:5], v[40:41], v[42:43]
	v_pk_fma_f32 v[44:45], v[28:29], v[12:13], v[50:51] neg_lo:[0,0,1] neg_hi:[0,0,1]
	v_pk_fma_f32 v[12:13], v[28:29], v[12:13], v[50:51] op_sel_hi:[1,0,1]
	v_pk_mul_f32 v[28:29], v[30:31], v[52:53] op_sel:[1,0] op_sel_hi:[0,0]
	v_mov_b32_e32 v7, v9
	v_pk_add_f32 v[4:5], v[4:5], v[20:21]
	v_pk_mul_f32 v[54:55], v[32:33], v[16:17] op_sel:[1,1] op_sel_hi:[0,1]
	v_mov_b32_e32 v56, v19
	v_mov_b32_e32 v45, v13
	v_pk_fma_f32 v[10:11], v[30:31], v[14:15], v[28:29] neg_lo:[0,0,1] neg_hi:[0,0,1]
	v_pk_fma_f32 v[12:13], v[30:31], v[14:15], v[28:29] op_sel_hi:[1,0,1]
	v_pk_add_f32 v[4:5], v[4:5], v[6:7]
	v_pk_fma_f32 v[46:47], v[32:33], v[16:17], v[54:55] neg_lo:[0,0,1] neg_hi:[0,0,1]
	v_pk_fma_f32 v[16:17], v[32:33], v[16:17], v[54:55] op_sel_hi:[1,0,1]
	v_pk_mul_f32 v[32:33], v[34:35], v[56:57] op_sel:[1,0] op_sel_hi:[0,0]
	v_mov_b32_e32 v11, v13
	v_pk_add_f32 v[4:5], v[4:5], v[44:45]
	v_mov_b32_e32 v47, v17
	v_pk_fma_f32 v[14:15], v[34:35], v[18:19], v[32:33] neg_lo:[0,0,1] neg_hi:[0,0,1]
	v_pk_fma_f32 v[16:17], v[34:35], v[18:19], v[32:33] op_sel_hi:[1,0,1]
	v_pk_add_f32 v[4:5], v[4:5], v[10:11]
	v_mov_b32_e32 v15, v17
	v_pk_add_f32 v[4:5], v[4:5], v[46:47]
	v_mov_b32_e32 v49, v37
	v_pk_add_f32 v[4:5], v[4:5], v[14:15]
	s_nop 0
	v_pk_add_f32 v[4:5], v[4:5], v[48:49]
	s_waitcnt vmcnt(0)
	v_pk_add_f32 v[4:5], v[38:39], v[4:5] neg_lo:[0,1] neg_hi:[0,1]
	scratch_store_dwordx2 off, v[4:5], off offset:192
	s_and_saveexec_b64 s[0:1], vcc
	s_cbranch_execz .LBB97_171
; %bb.170:
	scratch_load_dwordx2 v[4:5], off, off offset:184
	v_mov_b32_e32 v3, v2
	scratch_store_dwordx2 off, v[2:3], off offset:184
	s_waitcnt vmcnt(1)
	ds_write_b64 v1, v[4:5]
.LBB97_171:
	s_or_b64 exec, exec, s[0:1]
	s_waitcnt lgkmcnt(0)
	; wave barrier
	scratch_load_dwordx4 v[4:7], off, off offset:192
	scratch_load_dwordx4 v[8:11], off, off offset:208
	;; [unrolled: 1-line block ×5, first 2 shown]
	scratch_load_dwordx2 v[44:45], off, off offset:184
	ds_read_b128 v[24:27], v2 offset:464
	ds_read_b128 v[28:31], v2 offset:480
	;; [unrolled: 1-line block ×5, first 2 shown]
	v_cmp_lt_u32_e32 vcc, 22, v0
	s_waitcnt vmcnt(5) lgkmcnt(4)
	v_mul_f32_e32 v3, v24, v5
	v_mul_f32_e32 v2, v25, v5
	;; [unrolled: 1-line block ×4, first 2 shown]
	s_waitcnt vmcnt(4) lgkmcnt(3)
	v_pk_mul_f32 v[48:49], v[28:29], v[8:9] op_sel:[1,1] op_sel_hi:[0,1]
	v_mov_b32_e32 v50, v11
	v_fmac_f32_e32 v3, v25, v4
	v_fma_f32 v2, v24, v4, -v2
	v_fmac_f32_e32 v47, v27, v6
	v_fma_f32 v46, v26, v6, -v5
	v_pk_fma_f32 v[4:5], v[28:29], v[8:9], v[48:49] neg_lo:[0,0,1] neg_hi:[0,0,1]
	v_pk_fma_f32 v[6:7], v[28:29], v[8:9], v[48:49] op_sel_hi:[1,0,1]
	v_pk_mul_f32 v[8:9], v[30:31], v[50:51] op_sel:[1,0] op_sel_hi:[0,0]
	v_pk_add_f32 v[2:3], v[2:3], 0 op_sel_hi:[1,0]
	s_waitcnt vmcnt(3) lgkmcnt(2)
	v_pk_mul_f32 v[52:53], v[32:33], v[12:13] op_sel:[1,1] op_sel_hi:[0,1]
	v_mov_b32_e32 v54, v15
	v_mov_b32_e32 v5, v7
	v_pk_fma_f32 v[6:7], v[30:31], v[10:11], v[8:9] neg_lo:[0,0,1] neg_hi:[0,0,1]
	v_pk_fma_f32 v[8:9], v[30:31], v[10:11], v[8:9] op_sel_hi:[1,0,1]
	v_pk_add_f32 v[2:3], v[2:3], v[46:47]
	v_pk_fma_f32 v[24:25], v[32:33], v[12:13], v[52:53] neg_lo:[0,0,1] neg_hi:[0,0,1]
	v_pk_fma_f32 v[12:13], v[32:33], v[12:13], v[52:53] op_sel_hi:[1,0,1]
	v_pk_mul_f32 v[26:27], v[34:35], v[54:55] op_sel:[1,0] op_sel_hi:[0,0]
	v_mov_b32_e32 v7, v9
	v_pk_add_f32 v[2:3], v[2:3], v[4:5]
	s_waitcnt vmcnt(2) lgkmcnt(1)
	v_pk_mul_f32 v[56:57], v[36:37], v[16:17] op_sel:[1,1] op_sel_hi:[0,1]
	v_mov_b32_e32 v58, v19
	v_mov_b32_e32 v25, v13
	v_pk_fma_f32 v[10:11], v[34:35], v[14:15], v[26:27] neg_lo:[0,0,1] neg_hi:[0,0,1]
	v_pk_fma_f32 v[12:13], v[34:35], v[14:15], v[26:27] op_sel_hi:[1,0,1]
	v_pk_add_f32 v[2:3], v[2:3], v[6:7]
	v_pk_fma_f32 v[28:29], v[36:37], v[16:17], v[56:57] neg_lo:[0,0,1] neg_hi:[0,0,1]
	v_pk_fma_f32 v[16:17], v[36:37], v[16:17], v[56:57] op_sel_hi:[1,0,1]
	v_pk_mul_f32 v[32:33], v[38:39], v[58:59] op_sel:[1,0] op_sel_hi:[0,0]
	v_mov_b32_e32 v11, v13
	v_pk_add_f32 v[2:3], v[2:3], v[24:25]
	;; [unrolled: 12-line block ×3, first 2 shown]
	v_mov_b32_e32 v37, v21
	v_pk_fma_f32 v[18:19], v[42:43], v[22:23], v[40:41] neg_lo:[0,0,1] neg_hi:[0,0,1]
	v_pk_fma_f32 v[20:21], v[42:43], v[22:23], v[40:41] op_sel_hi:[1,0,1]
	v_pk_add_f32 v[2:3], v[2:3], v[14:15]
	v_mov_b32_e32 v19, v21
	v_pk_add_f32 v[2:3], v[2:3], v[36:37]
	s_nop 0
	v_pk_add_f32 v[2:3], v[2:3], v[18:19]
	s_waitcnt vmcnt(0)
	v_pk_add_f32 v[2:3], v[44:45], v[2:3] neg_lo:[0,1] neg_hi:[0,1]
	scratch_store_dwordx2 off, v[2:3], off offset:184
	s_and_saveexec_b64 s[0:1], vcc
	s_cbranch_execz .LBB97_173
; %bb.172:
	scratch_load_dwordx2 v[2:3], off, off offset:176
	v_mov_b32_e32 v4, 0
	v_mov_b32_e32 v5, v4
	scratch_store_dwordx2 off, v[4:5], off offset:176
	s_waitcnt vmcnt(1)
	ds_write_b64 v1, v[2:3]
.LBB97_173:
	s_or_b64 exec, exec, s[0:1]
	s_waitcnt lgkmcnt(0)
	; wave barrier
	scratch_load_dwordx4 v[8:11], off, off offset:184
	scratch_load_dwordx4 v[16:19], off, off offset:200
	v_mov_b32_e32 v2, 0
	ds_read2_b64 v[4:7], v2 offset0:57 offset1:58
	ds_read2_b64 v[12:15], v2 offset0:59 offset1:60
	scratch_load_dwordx4 v[20:23], off, off offset:216
	scratch_load_dwordx4 v[24:27], off, off offset:232
	;; [unrolled: 1-line block ×3, first 2 shown]
	scratch_load_dwordx2 v[42:43], off, off offset:264
	v_cmp_lt_u32_e32 vcc, 21, v0
	s_waitcnt vmcnt(5) lgkmcnt(1)
	v_mul_f32_e32 v3, v4, v9
	v_fmac_f32_e32 v3, v5, v8
	v_add_f32_e32 v37, 0, v3
	v_mul_f32_e32 v3, v5, v9
	v_fma_f32 v3, v4, v8, -v3
	v_mul_f32_e32 v39, v6, v11
	v_add_f32_e32 v36, 0, v3
	v_mul_f32_e32 v3, v7, v11
	v_fmac_f32_e32 v39, v7, v10
	s_waitcnt vmcnt(4) lgkmcnt(0)
	v_mul_f32_e32 v41, v12, v17
	v_fma_f32 v38, v6, v10, -v3
	v_mul_f32_e32 v3, v13, v17
	v_fmac_f32_e32 v41, v13, v16
	v_fma_f32 v40, v12, v16, -v3
	v_pk_add_f32 v[16:17], v[36:37], v[38:39]
	v_mov_b32_e32 v36, v19
	v_pk_mul_f32 v[36:37], v[14:15], v[36:37] op_sel:[1,0] op_sel_hi:[0,0]
	ds_read2_b64 v[4:7], v2 offset0:61 offset1:62
	ds_read2_b64 v[8:11], v2 offset0:63 offset1:64
	;; [unrolled: 1-line block ×3, first 2 shown]
	ds_read_b64 v[12:13], v2 offset:536
	v_pk_fma_f32 v[38:39], v[14:15], v[18:19], v[36:37] neg_lo:[0,0,1] neg_hi:[0,0,1]
	v_pk_fma_f32 v[14:15], v[14:15], v[18:19], v[36:37] op_sel_hi:[1,0,1]
	v_pk_add_f32 v[16:17], v[16:17], v[40:41]
	v_mov_b32_e32 v39, v15
	v_pk_add_f32 v[14:15], v[16:17], v[38:39]
	s_waitcnt vmcnt(3) lgkmcnt(3)
	v_pk_mul_f32 v[16:17], v[4:5], v[20:21] op_sel:[1,1] op_sel_hi:[0,1]
	v_pk_fma_f32 v[18:19], v[4:5], v[20:21], v[16:17] neg_lo:[0,0,1] neg_hi:[0,0,1]
	v_pk_fma_f32 v[4:5], v[4:5], v[20:21], v[16:17] op_sel_hi:[1,0,1]
	s_nop 0
	v_mov_b32_e32 v19, v5
	v_pk_add_f32 v[4:5], v[14:15], v[18:19]
	v_mov_b32_e32 v14, v23
	v_pk_mul_f32 v[14:15], v[6:7], v[14:15] op_sel:[1,0] op_sel_hi:[0,0]
	v_pk_fma_f32 v[16:17], v[6:7], v[22:23], v[14:15] neg_lo:[0,0,1] neg_hi:[0,0,1]
	v_pk_fma_f32 v[6:7], v[6:7], v[22:23], v[14:15] op_sel_hi:[1,0,1]
	s_nop 0
	v_mov_b32_e32 v17, v7
	s_waitcnt vmcnt(2) lgkmcnt(2)
	v_pk_mul_f32 v[6:7], v[8:9], v[24:25] op_sel:[1,1] op_sel_hi:[0,1]
	v_pk_fma_f32 v[14:15], v[8:9], v[24:25], v[6:7] neg_lo:[0,0,1] neg_hi:[0,0,1]
	v_pk_fma_f32 v[6:7], v[8:9], v[24:25], v[6:7] op_sel_hi:[1,0,1]
	v_pk_add_f32 v[4:5], v[4:5], v[16:17]
	v_mov_b32_e32 v6, v27
	v_mov_b32_e32 v15, v7
	v_pk_mul_f32 v[6:7], v[10:11], v[6:7] op_sel:[1,0] op_sel_hi:[0,0]
	v_pk_fma_f32 v[8:9], v[10:11], v[26:27], v[6:7] neg_lo:[0,0,1] neg_hi:[0,0,1]
	v_pk_fma_f32 v[6:7], v[10:11], v[26:27], v[6:7] op_sel_hi:[1,0,1]
	v_pk_add_f32 v[4:5], v[4:5], v[14:15]
	v_mov_b32_e32 v9, v7
	s_waitcnt vmcnt(1) lgkmcnt(1)
	v_pk_mul_f32 v[6:7], v[32:33], v[28:29] op_sel:[1,1] op_sel_hi:[0,1]
	v_pk_add_f32 v[4:5], v[4:5], v[8:9]
	v_pk_fma_f32 v[8:9], v[32:33], v[28:29], v[6:7] neg_lo:[0,0,1] neg_hi:[0,0,1]
	v_pk_fma_f32 v[6:7], v[32:33], v[28:29], v[6:7] op_sel_hi:[1,0,1]
	s_nop 0
	v_mov_b32_e32 v6, v31
	v_mov_b32_e32 v9, v7
	v_pk_mul_f32 v[6:7], v[34:35], v[6:7] op_sel:[1,0] op_sel_hi:[0,0]
	v_pk_add_f32 v[4:5], v[4:5], v[8:9]
	v_pk_fma_f32 v[8:9], v[34:35], v[30:31], v[6:7] neg_lo:[0,0,1] neg_hi:[0,0,1]
	v_pk_fma_f32 v[6:7], v[34:35], v[30:31], v[6:7] op_sel_hi:[1,0,1]
	s_nop 0
	v_mov_b32_e32 v9, v7
	s_waitcnt vmcnt(0) lgkmcnt(0)
	v_pk_mul_f32 v[6:7], v[12:13], v[42:43] op_sel:[1,1] op_sel_hi:[0,1]
	v_pk_add_f32 v[4:5], v[4:5], v[8:9]
	v_pk_fma_f32 v[8:9], v[12:13], v[42:43], v[6:7] neg_lo:[0,0,1] neg_hi:[0,0,1]
	v_pk_fma_f32 v[6:7], v[12:13], v[42:43], v[6:7] op_sel_hi:[1,0,1]
	s_nop 0
	v_mov_b32_e32 v9, v7
	scratch_load_dwordx2 v[6:7], off, off offset:176
	v_pk_add_f32 v[4:5], v[4:5], v[8:9]
	s_waitcnt vmcnt(0)
	v_pk_add_f32 v[4:5], v[6:7], v[4:5] neg_lo:[0,1] neg_hi:[0,1]
	scratch_store_dwordx2 off, v[4:5], off offset:176
	s_and_saveexec_b64 s[0:1], vcc
	s_cbranch_execz .LBB97_175
; %bb.174:
	scratch_load_dwordx2 v[4:5], off, off offset:168
	v_mov_b32_e32 v3, v2
	scratch_store_dwordx2 off, v[2:3], off offset:168
	s_waitcnt vmcnt(1)
	ds_write_b64 v1, v[4:5]
.LBB97_175:
	s_or_b64 exec, exec, s[0:1]
	s_waitcnt lgkmcnt(0)
	; wave barrier
	ds_read_b128 v[4:7], v2 offset:448
	ds_read_b128 v[8:11], v2 offset:464
	;; [unrolled: 1-line block ×4, first 2 shown]
	scratch_load_dwordx4 v[20:23], off, off offset:176
	v_cmp_lt_u32_e32 vcc, 20, v0
	s_waitcnt vmcnt(0) lgkmcnt(3)
	v_mul_f32_e32 v3, v4, v21
	v_fmac_f32_e32 v3, v5, v20
	v_mul_f32_e32 v24, v6, v23
	v_add_f32_e32 v3, 0, v3
	v_fmac_f32_e32 v24, v7, v22
	v_add_f32_e32 v45, v3, v24
	scratch_load_dwordx4 v[24:27], off, off offset:192
	scratch_load_dwordx4 v[28:31], off, off offset:208
	;; [unrolled: 1-line block ×5, first 2 shown]
	v_mul_f32_e32 v3, v5, v21
	v_fma_f32 v3, v4, v20, -v3
	v_mul_f32_e32 v4, v7, v23
	v_fma_f32 v4, v6, v22, -v4
	v_add_f32_e32 v3, 0, v3
	v_add_f32_e32 v44, v3, v4
	s_waitcnt vmcnt(3) lgkmcnt(1)
	v_pk_mul_f32 v[20:21], v[12:13], v[28:29] op_sel:[1,1] op_sel_hi:[0,1]
	v_pk_fma_f32 v[22:23], v[12:13], v[28:29], v[20:21] neg_lo:[0,0,1] neg_hi:[0,0,1]
	v_pk_fma_f32 v[12:13], v[12:13], v[28:29], v[20:21] op_sel_hi:[1,0,1]
	v_mul_f32_e32 v47, v8, v25
	v_mov_b32_e32 v12, v31
	v_mul_f32_e32 v3, v9, v25
	v_mov_b32_e32 v23, v13
	v_pk_mul_f32 v[12:13], v[14:15], v[12:13] op_sel:[1,0] op_sel_hi:[0,0]
	v_fmac_f32_e32 v47, v9, v24
	v_mul_f32_e32 v49, v10, v27
	v_fma_f32 v46, v8, v24, -v3
	v_mul_f32_e32 v3, v11, v27
	v_pk_fma_f32 v[20:21], v[14:15], v[30:31], v[12:13] neg_lo:[0,0,1] neg_hi:[0,0,1]
	v_pk_fma_f32 v[12:13], v[14:15], v[30:31], v[12:13] op_sel_hi:[1,0,1]
	v_fmac_f32_e32 v49, v11, v26
	v_fma_f32 v48, v10, v26, -v3
	ds_read_b128 v[4:7], v2 offset:512
	ds_read_b128 v[8:11], v2 offset:528
	v_pk_add_f32 v[2:3], v[44:45], v[46:47]
	v_mov_b32_e32 v21, v13
	s_waitcnt vmcnt(2) lgkmcnt(2)
	v_pk_mul_f32 v[12:13], v[16:17], v[32:33] op_sel:[1,1] op_sel_hi:[0,1]
	v_pk_add_f32 v[2:3], v[2:3], v[48:49]
	v_pk_fma_f32 v[14:15], v[16:17], v[32:33], v[12:13] neg_lo:[0,0,1] neg_hi:[0,0,1]
	v_pk_fma_f32 v[12:13], v[16:17], v[32:33], v[12:13] op_sel_hi:[1,0,1]
	v_pk_add_f32 v[2:3], v[2:3], v[22:23]
	v_mov_b32_e32 v12, v35
	v_pk_add_f32 v[2:3], v[2:3], v[20:21]
	v_mov_b32_e32 v15, v13
	v_pk_mul_f32 v[12:13], v[18:19], v[12:13] op_sel:[1,0] op_sel_hi:[0,0]
	v_pk_add_f32 v[2:3], v[2:3], v[14:15]
	v_pk_fma_f32 v[14:15], v[18:19], v[34:35], v[12:13] neg_lo:[0,0,1] neg_hi:[0,0,1]
	v_pk_fma_f32 v[12:13], v[18:19], v[34:35], v[12:13] op_sel_hi:[1,0,1]
	s_nop 0
	v_mov_b32_e32 v15, v13
	s_waitcnt vmcnt(1) lgkmcnt(1)
	v_pk_mul_f32 v[12:13], v[4:5], v[36:37] op_sel:[1,1] op_sel_hi:[0,1]
	v_pk_add_f32 v[2:3], v[2:3], v[14:15]
	v_pk_fma_f32 v[14:15], v[4:5], v[36:37], v[12:13] neg_lo:[0,0,1] neg_hi:[0,0,1]
	v_pk_fma_f32 v[4:5], v[4:5], v[36:37], v[12:13] op_sel_hi:[1,0,1]
	s_nop 0
	v_mov_b32_e32 v4, v39
	v_mov_b32_e32 v15, v5
	v_pk_mul_f32 v[4:5], v[6:7], v[4:5] op_sel:[1,0] op_sel_hi:[0,0]
	v_pk_fma_f32 v[12:13], v[6:7], v[38:39], v[4:5] neg_lo:[0,0,1] neg_hi:[0,0,1]
	v_pk_fma_f32 v[4:5], v[6:7], v[38:39], v[4:5] op_sel_hi:[1,0,1]
	v_pk_add_f32 v[2:3], v[2:3], v[14:15]
	v_mov_b32_e32 v13, v5
	s_waitcnt vmcnt(0) lgkmcnt(0)
	v_pk_mul_f32 v[4:5], v[8:9], v[40:41] op_sel:[1,1] op_sel_hi:[0,1]
	v_pk_fma_f32 v[6:7], v[8:9], v[40:41], v[4:5] neg_lo:[0,0,1] neg_hi:[0,0,1]
	v_pk_fma_f32 v[4:5], v[8:9], v[40:41], v[4:5] op_sel_hi:[1,0,1]
	v_pk_add_f32 v[2:3], v[2:3], v[12:13]
	v_mov_b32_e32 v4, v43
	v_mov_b32_e32 v7, v5
	v_pk_mul_f32 v[4:5], v[10:11], v[4:5] op_sel:[1,0] op_sel_hi:[0,0]
	v_pk_add_f32 v[2:3], v[2:3], v[6:7]
	v_pk_fma_f32 v[6:7], v[10:11], v[42:43], v[4:5] neg_lo:[0,0,1] neg_hi:[0,0,1]
	v_pk_fma_f32 v[4:5], v[10:11], v[42:43], v[4:5] op_sel_hi:[1,0,1]
	s_nop 0
	v_mov_b32_e32 v7, v5
	scratch_load_dwordx2 v[4:5], off, off offset:168
	v_pk_add_f32 v[2:3], v[2:3], v[6:7]
	s_waitcnt vmcnt(0)
	v_pk_add_f32 v[2:3], v[4:5], v[2:3] neg_lo:[0,1] neg_hi:[0,1]
	scratch_store_dwordx2 off, v[2:3], off offset:168
	s_and_saveexec_b64 s[0:1], vcc
	s_cbranch_execz .LBB97_177
; %bb.176:
	scratch_load_dwordx2 v[2:3], off, off offset:160
	v_mov_b32_e32 v4, 0
	v_mov_b32_e32 v5, v4
	scratch_store_dwordx2 off, v[4:5], off offset:160
	s_waitcnt vmcnt(1)
	ds_write_b64 v1, v[2:3]
.LBB97_177:
	s_or_b64 exec, exec, s[0:1]
	s_waitcnt lgkmcnt(0)
	; wave barrier
	scratch_load_dwordx4 v[8:11], off, off offset:168
	scratch_load_dwordx4 v[16:19], off, off offset:184
	v_mov_b32_e32 v2, 0
	ds_read2_b64 v[4:7], v2 offset0:55 offset1:56
	scratch_load_dwordx4 v[24:27], off, off offset:200
	v_cmp_lt_u32_e32 vcc, 19, v0
	s_waitcnt vmcnt(2) lgkmcnt(0)
	v_mul_f32_e32 v3, v4, v9
	v_fmac_f32_e32 v3, v5, v8
	v_mul_f32_e32 v12, v6, v11
	v_add_f32_e32 v3, 0, v3
	v_fmac_f32_e32 v12, v7, v10
	v_add_f32_e32 v3, v3, v12
	ds_read2_b64 v[12:15], v2 offset0:57 offset1:58
	s_waitcnt vmcnt(1) lgkmcnt(0)
	v_mul_f32_e32 v20, v12, v17
	v_fmac_f32_e32 v20, v13, v16
	v_add_f32_e32 v41, v3, v20
	ds_read2_b64 v[20:23], v2 offset0:59 offset1:60
	scratch_load_dwordx4 v[28:31], off, off offset:216
	scratch_load_dwordx4 v[32:35], off, off offset:232
	;; [unrolled: 1-line block ×3, first 2 shown]
	scratch_load_dwordx2 v[46:47], off, off offset:264
	v_mul_f32_e32 v3, v5, v9
	v_fma_f32 v3, v4, v8, -v3
	v_mul_f32_e32 v4, v7, v11
	v_add_f32_e32 v3, 0, v3
	v_fma_f32 v4, v6, v10, -v4
	v_add_f32_e32 v3, v3, v4
	v_mul_f32_e32 v4, v13, v17
	v_fma_f32 v4, v12, v16, -v4
	v_add_f32_e32 v40, v3, v4
	v_mul_f32_e32 v3, v15, v19
	v_fma_f32 v42, v14, v18, -v3
	s_waitcnt vmcnt(4) lgkmcnt(0)
	v_mul_f32_e32 v3, v21, v25
	v_mul_f32_e32 v43, v14, v19
	;; [unrolled: 1-line block ×3, first 2 shown]
	v_fma_f32 v44, v20, v24, -v3
	v_mov_b32_e32 v20, v27
	v_fmac_f32_e32 v43, v15, v18
	v_fmac_f32_e32 v45, v21, v24
	ds_read2_b64 v[4:7], v2 offset0:61 offset1:62
	ds_read2_b64 v[8:11], v2 offset0:63 offset1:64
	;; [unrolled: 1-line block ×3, first 2 shown]
	ds_read_b64 v[16:17], v2 offset:536
	v_pk_mul_f32 v[20:21], v[22:23], v[20:21] op_sel:[1,0] op_sel_hi:[0,0]
	v_pk_fma_f32 v[24:25], v[22:23], v[26:27], v[20:21] neg_lo:[0,0,1] neg_hi:[0,0,1]
	v_pk_fma_f32 v[20:21], v[22:23], v[26:27], v[20:21] op_sel_hi:[1,0,1]
	v_pk_add_f32 v[18:19], v[40:41], v[42:43]
	v_mov_b32_e32 v25, v21
	v_pk_add_f32 v[18:19], v[18:19], v[44:45]
	s_waitcnt vmcnt(3) lgkmcnt(3)
	v_pk_mul_f32 v[20:21], v[4:5], v[28:29] op_sel:[1,1] op_sel_hi:[0,1]
	v_pk_fma_f32 v[22:23], v[4:5], v[28:29], v[20:21] neg_lo:[0,0,1] neg_hi:[0,0,1]
	v_pk_fma_f32 v[4:5], v[4:5], v[28:29], v[20:21] op_sel_hi:[1,0,1]
	v_pk_add_f32 v[18:19], v[18:19], v[24:25]
	v_mov_b32_e32 v23, v5
	v_pk_add_f32 v[4:5], v[18:19], v[22:23]
	v_mov_b32_e32 v18, v31
	v_pk_mul_f32 v[18:19], v[6:7], v[18:19] op_sel:[1,0] op_sel_hi:[0,0]
	v_pk_fma_f32 v[20:21], v[6:7], v[30:31], v[18:19] neg_lo:[0,0,1] neg_hi:[0,0,1]
	v_pk_fma_f32 v[6:7], v[6:7], v[30:31], v[18:19] op_sel_hi:[1,0,1]
	s_nop 0
	v_mov_b32_e32 v21, v7
	s_waitcnt vmcnt(2) lgkmcnt(2)
	v_pk_mul_f32 v[6:7], v[8:9], v[32:33] op_sel:[1,1] op_sel_hi:[0,1]
	v_pk_fma_f32 v[18:19], v[8:9], v[32:33], v[6:7] neg_lo:[0,0,1] neg_hi:[0,0,1]
	v_pk_fma_f32 v[6:7], v[8:9], v[32:33], v[6:7] op_sel_hi:[1,0,1]
	v_pk_add_f32 v[4:5], v[4:5], v[20:21]
	v_mov_b32_e32 v6, v35
	v_mov_b32_e32 v19, v7
	v_pk_mul_f32 v[6:7], v[10:11], v[6:7] op_sel:[1,0] op_sel_hi:[0,0]
	v_pk_fma_f32 v[8:9], v[10:11], v[34:35], v[6:7] neg_lo:[0,0,1] neg_hi:[0,0,1]
	v_pk_fma_f32 v[6:7], v[10:11], v[34:35], v[6:7] op_sel_hi:[1,0,1]
	v_pk_add_f32 v[4:5], v[4:5], v[18:19]
	v_mov_b32_e32 v9, v7
	s_waitcnt vmcnt(1) lgkmcnt(1)
	v_pk_mul_f32 v[6:7], v[12:13], v[36:37] op_sel:[1,1] op_sel_hi:[0,1]
	v_pk_add_f32 v[4:5], v[4:5], v[8:9]
	v_pk_fma_f32 v[8:9], v[12:13], v[36:37], v[6:7] neg_lo:[0,0,1] neg_hi:[0,0,1]
	v_pk_fma_f32 v[6:7], v[12:13], v[36:37], v[6:7] op_sel_hi:[1,0,1]
	s_nop 0
	v_mov_b32_e32 v6, v39
	v_mov_b32_e32 v9, v7
	v_pk_mul_f32 v[6:7], v[14:15], v[6:7] op_sel:[1,0] op_sel_hi:[0,0]
	v_pk_add_f32 v[4:5], v[4:5], v[8:9]
	v_pk_fma_f32 v[8:9], v[14:15], v[38:39], v[6:7] neg_lo:[0,0,1] neg_hi:[0,0,1]
	v_pk_fma_f32 v[6:7], v[14:15], v[38:39], v[6:7] op_sel_hi:[1,0,1]
	s_nop 0
	v_mov_b32_e32 v9, v7
	s_waitcnt vmcnt(0) lgkmcnt(0)
	v_pk_mul_f32 v[6:7], v[16:17], v[46:47] op_sel:[1,1] op_sel_hi:[0,1]
	v_pk_add_f32 v[4:5], v[4:5], v[8:9]
	v_pk_fma_f32 v[8:9], v[16:17], v[46:47], v[6:7] neg_lo:[0,0,1] neg_hi:[0,0,1]
	v_pk_fma_f32 v[6:7], v[16:17], v[46:47], v[6:7] op_sel_hi:[1,0,1]
	s_nop 0
	v_mov_b32_e32 v9, v7
	scratch_load_dwordx2 v[6:7], off, off offset:160
	v_pk_add_f32 v[4:5], v[4:5], v[8:9]
	s_waitcnt vmcnt(0)
	v_pk_add_f32 v[4:5], v[6:7], v[4:5] neg_lo:[0,1] neg_hi:[0,1]
	scratch_store_dwordx2 off, v[4:5], off offset:160
	s_and_saveexec_b64 s[0:1], vcc
	s_cbranch_execz .LBB97_179
; %bb.178:
	scratch_load_dwordx2 v[4:5], off, off offset:152
	v_mov_b32_e32 v3, v2
	scratch_store_dwordx2 off, v[2:3], off offset:152
	s_waitcnt vmcnt(1)
	ds_write_b64 v1, v[4:5]
.LBB97_179:
	s_or_b64 exec, exec, s[0:1]
	s_waitcnt lgkmcnt(0)
	; wave barrier
	ds_read_b128 v[4:7], v2 offset:432
	ds_read_b128 v[8:11], v2 offset:448
	;; [unrolled: 1-line block ×4, first 2 shown]
	scratch_load_dwordx4 v[20:23], off, off offset:160
	v_cmp_lt_u32_e32 vcc, 18, v0
	s_waitcnt vmcnt(0) lgkmcnt(3)
	v_mul_f32_e32 v3, v4, v21
	v_fmac_f32_e32 v3, v5, v20
	v_mul_f32_e32 v24, v6, v23
	v_add_f32_e32 v3, 0, v3
	v_fmac_f32_e32 v24, v7, v22
	v_add_f32_e32 v3, v3, v24
	scratch_load_dwordx4 v[24:27], off, off offset:176
	s_waitcnt vmcnt(0) lgkmcnt(2)
	v_mul_f32_e32 v28, v8, v25
	v_fmac_f32_e32 v28, v9, v24
	v_add_f32_e32 v3, v3, v28
	v_mul_f32_e32 v28, v10, v27
	v_fmac_f32_e32 v28, v11, v26
	v_add_f32_e32 v49, v3, v28
	scratch_load_dwordx4 v[28:31], off, off offset:192
	scratch_load_dwordx4 v[32:35], off, off offset:208
	;; [unrolled: 1-line block ×5, first 2 shown]
	v_mul_f32_e32 v3, v5, v21
	v_fma_f32 v3, v4, v20, -v3
	v_mul_f32_e32 v4, v7, v23
	v_add_f32_e32 v3, 0, v3
	v_fma_f32 v4, v6, v22, -v4
	v_add_f32_e32 v3, v3, v4
	v_mul_f32_e32 v4, v9, v25
	v_fma_f32 v4, v8, v24, -v4
	v_add_f32_e32 v3, v3, v4
	v_mul_f32_e32 v4, v11, v27
	v_fma_f32 v4, v10, v26, -v4
	v_add_f32_e32 v48, v3, v4
	s_waitcnt vmcnt(3) lgkmcnt(0)
	v_pk_mul_f32 v[20:21], v[16:17], v[32:33] op_sel:[1,1] op_sel_hi:[0,1]
	v_pk_fma_f32 v[22:23], v[16:17], v[32:33], v[20:21] neg_lo:[0,0,1] neg_hi:[0,0,1]
	v_mul_f32_e32 v3, v13, v29
	v_mul_f32_e32 v51, v12, v29
	v_mul_f32_e32 v53, v14, v31
	v_fma_f32 v50, v12, v28, -v3
	v_mul_f32_e32 v3, v15, v31
	v_pk_fma_f32 v[16:17], v[16:17], v[32:33], v[20:21] op_sel_hi:[1,0,1]
	v_fmac_f32_e32 v51, v13, v28
	v_fmac_f32_e32 v53, v15, v30
	v_fma_f32 v52, v14, v30, -v3
	ds_read_b128 v[4:7], v2 offset:496
	ds_read_b128 v[8:11], v2 offset:512
	;; [unrolled: 1-line block ×3, first 2 shown]
	v_mov_b32_e32 v16, v35
	v_mov_b32_e32 v23, v17
	v_pk_mul_f32 v[16:17], v[18:19], v[16:17] op_sel:[1,0] op_sel_hi:[0,0]
	v_pk_fma_f32 v[20:21], v[18:19], v[34:35], v[16:17] neg_lo:[0,0,1] neg_hi:[0,0,1]
	v_pk_fma_f32 v[16:17], v[18:19], v[34:35], v[16:17] op_sel_hi:[1,0,1]
	v_pk_add_f32 v[2:3], v[48:49], v[50:51]
	v_mov_b32_e32 v21, v17
	s_waitcnt vmcnt(2) lgkmcnt(2)
	v_pk_mul_f32 v[16:17], v[4:5], v[36:37] op_sel:[1,1] op_sel_hi:[0,1]
	v_pk_fma_f32 v[18:19], v[4:5], v[36:37], v[16:17] neg_lo:[0,0,1] neg_hi:[0,0,1]
	v_pk_fma_f32 v[4:5], v[4:5], v[36:37], v[16:17] op_sel_hi:[1,0,1]
	v_pk_add_f32 v[2:3], v[2:3], v[52:53]
	v_mov_b32_e32 v4, v39
	v_mov_b32_e32 v19, v5
	v_pk_mul_f32 v[4:5], v[6:7], v[4:5] op_sel:[1,0] op_sel_hi:[0,0]
	v_pk_fma_f32 v[16:17], v[6:7], v[38:39], v[4:5] neg_lo:[0,0,1] neg_hi:[0,0,1]
	v_pk_fma_f32 v[4:5], v[6:7], v[38:39], v[4:5] op_sel_hi:[1,0,1]
	v_pk_add_f32 v[2:3], v[2:3], v[22:23]
	v_mov_b32_e32 v17, v5
	s_waitcnt vmcnt(1) lgkmcnt(1)
	v_pk_mul_f32 v[4:5], v[8:9], v[40:41] op_sel:[1,1] op_sel_hi:[0,1]
	v_pk_add_f32 v[2:3], v[2:3], v[20:21]
	v_pk_fma_f32 v[6:7], v[8:9], v[40:41], v[4:5] neg_lo:[0,0,1] neg_hi:[0,0,1]
	v_pk_fma_f32 v[4:5], v[8:9], v[40:41], v[4:5] op_sel_hi:[1,0,1]
	v_pk_add_f32 v[2:3], v[2:3], v[18:19]
	v_mov_b32_e32 v4, v43
	v_pk_add_f32 v[2:3], v[2:3], v[16:17]
	v_mov_b32_e32 v7, v5
	v_pk_mul_f32 v[4:5], v[10:11], v[4:5] op_sel:[1,0] op_sel_hi:[0,0]
	v_pk_add_f32 v[2:3], v[2:3], v[6:7]
	v_pk_fma_f32 v[6:7], v[10:11], v[42:43], v[4:5] neg_lo:[0,0,1] neg_hi:[0,0,1]
	v_pk_fma_f32 v[4:5], v[10:11], v[42:43], v[4:5] op_sel_hi:[1,0,1]
	s_nop 0
	v_mov_b32_e32 v7, v5
	s_waitcnt vmcnt(0) lgkmcnt(0)
	v_pk_mul_f32 v[4:5], v[12:13], v[44:45] op_sel:[1,1] op_sel_hi:[0,1]
	v_pk_add_f32 v[2:3], v[2:3], v[6:7]
	v_pk_fma_f32 v[6:7], v[12:13], v[44:45], v[4:5] neg_lo:[0,0,1] neg_hi:[0,0,1]
	v_pk_fma_f32 v[4:5], v[12:13], v[44:45], v[4:5] op_sel_hi:[1,0,1]
	s_nop 0
	v_mov_b32_e32 v4, v47
	v_mov_b32_e32 v7, v5
	v_pk_mul_f32 v[4:5], v[14:15], v[4:5] op_sel:[1,0] op_sel_hi:[0,0]
	v_pk_add_f32 v[2:3], v[2:3], v[6:7]
	v_pk_fma_f32 v[6:7], v[14:15], v[46:47], v[4:5] neg_lo:[0,0,1] neg_hi:[0,0,1]
	v_pk_fma_f32 v[4:5], v[14:15], v[46:47], v[4:5] op_sel_hi:[1,0,1]
	s_nop 0
	v_mov_b32_e32 v7, v5
	scratch_load_dwordx2 v[4:5], off, off offset:152
	v_pk_add_f32 v[2:3], v[2:3], v[6:7]
	s_waitcnt vmcnt(0)
	v_pk_add_f32 v[2:3], v[4:5], v[2:3] neg_lo:[0,1] neg_hi:[0,1]
	scratch_store_dwordx2 off, v[2:3], off offset:152
	s_and_saveexec_b64 s[0:1], vcc
	s_cbranch_execz .LBB97_181
; %bb.180:
	scratch_load_dwordx2 v[2:3], off, off offset:144
	v_mov_b32_e32 v4, 0
	v_mov_b32_e32 v5, v4
	scratch_store_dwordx2 off, v[4:5], off offset:144
	s_waitcnt vmcnt(1)
	ds_write_b64 v1, v[2:3]
.LBB97_181:
	s_or_b64 exec, exec, s[0:1]
	s_waitcnt lgkmcnt(0)
	; wave barrier
	scratch_load_dwordx4 v[8:11], off, off offset:152
	scratch_load_dwordx4 v[16:19], off, off offset:168
	;; [unrolled: 1-line block ×4, first 2 shown]
	v_mov_b32_e32 v2, 0
	ds_read2_b64 v[4:7], v2 offset0:53 offset1:54
	v_cmp_lt_u32_e32 vcc, 17, v0
	s_waitcnt vmcnt(3) lgkmcnt(0)
	v_mul_f32_e32 v3, v4, v9
	v_fmac_f32_e32 v3, v5, v8
	v_mul_f32_e32 v12, v6, v11
	v_add_f32_e32 v3, 0, v3
	v_fmac_f32_e32 v12, v7, v10
	v_add_f32_e32 v3, v3, v12
	ds_read2_b64 v[12:15], v2 offset0:55 offset1:56
	s_waitcnt vmcnt(2) lgkmcnt(0)
	v_mul_f32_e32 v20, v12, v17
	v_fmac_f32_e32 v20, v13, v16
	v_add_f32_e32 v3, v3, v20
	v_mul_f32_e32 v20, v14, v19
	v_fmac_f32_e32 v20, v15, v18
	v_add_f32_e32 v3, v3, v20
	ds_read2_b64 v[20:23], v2 offset0:57 offset1:58
	s_waitcnt vmcnt(1) lgkmcnt(0)
	v_mul_f32_e32 v28, v20, v25
	v_fmac_f32_e32 v28, v21, v24
	v_add_f32_e32 v49, v3, v28
	ds_read2_b64 v[28:31], v2 offset0:59 offset1:60
	scratch_load_dwordx4 v[36:39], off, off offset:216
	scratch_load_dwordx4 v[40:43], off, off offset:232
	;; [unrolled: 1-line block ×3, first 2 shown]
	scratch_load_dwordx2 v[54:55], off, off offset:264
	v_mul_f32_e32 v3, v5, v9
	v_fma_f32 v3, v4, v8, -v3
	v_mul_f32_e32 v4, v7, v11
	v_add_f32_e32 v3, 0, v3
	v_fma_f32 v4, v6, v10, -v4
	v_add_f32_e32 v3, v3, v4
	v_mul_f32_e32 v4, v13, v17
	v_fma_f32 v4, v12, v16, -v4
	v_add_f32_e32 v3, v3, v4
	v_mul_f32_e32 v4, v15, v19
	;; [unrolled: 3-line block ×3, first 2 shown]
	v_fma_f32 v4, v20, v24, -v4
	v_mul_f32_e32 v51, v22, v27
	v_add_f32_e32 v48, v3, v4
	v_mul_f32_e32 v3, v23, v27
	s_waitcnt vmcnt(4)
	v_mov_b32_e32 v20, v35
	v_fmac_f32_e32 v51, v23, v26
	s_waitcnt lgkmcnt(0)
	v_mul_f32_e32 v53, v28, v33
	v_fma_f32 v50, v22, v26, -v3
	v_mul_f32_e32 v3, v29, v33
	ds_read2_b64 v[4:7], v2 offset0:61 offset1:62
	ds_read2_b64 v[8:11], v2 offset0:63 offset1:64
	;; [unrolled: 1-line block ×3, first 2 shown]
	ds_read_b64 v[16:17], v2 offset:536
	v_pk_mul_f32 v[20:21], v[30:31], v[20:21] op_sel:[1,0] op_sel_hi:[0,0]
	v_fmac_f32_e32 v53, v29, v32
	v_fma_f32 v52, v28, v32, -v3
	v_pk_add_f32 v[18:19], v[48:49], v[50:51]
	v_pk_fma_f32 v[22:23], v[30:31], v[34:35], v[20:21] neg_lo:[0,0,1] neg_hi:[0,0,1]
	v_pk_fma_f32 v[20:21], v[30:31], v[34:35], v[20:21] op_sel_hi:[1,0,1]
	v_pk_add_f32 v[18:19], v[18:19], v[52:53]
	v_mov_b32_e32 v23, v21
	v_pk_add_f32 v[18:19], v[18:19], v[22:23]
	s_waitcnt vmcnt(3) lgkmcnt(3)
	v_pk_mul_f32 v[20:21], v[4:5], v[36:37] op_sel:[1,1] op_sel_hi:[0,1]
	v_pk_fma_f32 v[22:23], v[4:5], v[36:37], v[20:21] neg_lo:[0,0,1] neg_hi:[0,0,1]
	v_pk_fma_f32 v[4:5], v[4:5], v[36:37], v[20:21] op_sel_hi:[1,0,1]
	s_nop 0
	v_mov_b32_e32 v23, v5
	v_pk_add_f32 v[4:5], v[18:19], v[22:23]
	v_mov_b32_e32 v18, v39
	v_pk_mul_f32 v[18:19], v[6:7], v[18:19] op_sel:[1,0] op_sel_hi:[0,0]
	v_pk_fma_f32 v[20:21], v[6:7], v[38:39], v[18:19] neg_lo:[0,0,1] neg_hi:[0,0,1]
	v_pk_fma_f32 v[6:7], v[6:7], v[38:39], v[18:19] op_sel_hi:[1,0,1]
	s_nop 0
	v_mov_b32_e32 v21, v7
	s_waitcnt vmcnt(2) lgkmcnt(2)
	v_pk_mul_f32 v[6:7], v[8:9], v[40:41] op_sel:[1,1] op_sel_hi:[0,1]
	v_pk_fma_f32 v[18:19], v[8:9], v[40:41], v[6:7] neg_lo:[0,0,1] neg_hi:[0,0,1]
	v_pk_fma_f32 v[6:7], v[8:9], v[40:41], v[6:7] op_sel_hi:[1,0,1]
	v_pk_add_f32 v[4:5], v[4:5], v[20:21]
	v_mov_b32_e32 v6, v43
	v_mov_b32_e32 v19, v7
	v_pk_mul_f32 v[6:7], v[10:11], v[6:7] op_sel:[1,0] op_sel_hi:[0,0]
	v_pk_fma_f32 v[8:9], v[10:11], v[42:43], v[6:7] neg_lo:[0,0,1] neg_hi:[0,0,1]
	v_pk_fma_f32 v[6:7], v[10:11], v[42:43], v[6:7] op_sel_hi:[1,0,1]
	v_pk_add_f32 v[4:5], v[4:5], v[18:19]
	v_mov_b32_e32 v9, v7
	s_waitcnt vmcnt(1) lgkmcnt(1)
	v_pk_mul_f32 v[6:7], v[12:13], v[44:45] op_sel:[1,1] op_sel_hi:[0,1]
	v_pk_add_f32 v[4:5], v[4:5], v[8:9]
	v_pk_fma_f32 v[8:9], v[12:13], v[44:45], v[6:7] neg_lo:[0,0,1] neg_hi:[0,0,1]
	v_pk_fma_f32 v[6:7], v[12:13], v[44:45], v[6:7] op_sel_hi:[1,0,1]
	s_nop 0
	v_mov_b32_e32 v6, v47
	v_mov_b32_e32 v9, v7
	v_pk_mul_f32 v[6:7], v[14:15], v[6:7] op_sel:[1,0] op_sel_hi:[0,0]
	v_pk_add_f32 v[4:5], v[4:5], v[8:9]
	v_pk_fma_f32 v[8:9], v[14:15], v[46:47], v[6:7] neg_lo:[0,0,1] neg_hi:[0,0,1]
	v_pk_fma_f32 v[6:7], v[14:15], v[46:47], v[6:7] op_sel_hi:[1,0,1]
	s_nop 0
	v_mov_b32_e32 v9, v7
	s_waitcnt vmcnt(0) lgkmcnt(0)
	v_pk_mul_f32 v[6:7], v[16:17], v[54:55] op_sel:[1,1] op_sel_hi:[0,1]
	v_pk_add_f32 v[4:5], v[4:5], v[8:9]
	v_pk_fma_f32 v[8:9], v[16:17], v[54:55], v[6:7] neg_lo:[0,0,1] neg_hi:[0,0,1]
	v_pk_fma_f32 v[6:7], v[16:17], v[54:55], v[6:7] op_sel_hi:[1,0,1]
	s_nop 0
	v_mov_b32_e32 v9, v7
	scratch_load_dwordx2 v[6:7], off, off offset:144
	v_pk_add_f32 v[4:5], v[4:5], v[8:9]
	s_waitcnt vmcnt(0)
	v_pk_add_f32 v[4:5], v[6:7], v[4:5] neg_lo:[0,1] neg_hi:[0,1]
	scratch_store_dwordx2 off, v[4:5], off offset:144
	s_and_saveexec_b64 s[0:1], vcc
	s_cbranch_execz .LBB97_183
; %bb.182:
	scratch_load_dwordx2 v[4:5], off, off offset:136
	v_mov_b32_e32 v3, v2
	scratch_store_dwordx2 off, v[2:3], off offset:136
	s_waitcnt vmcnt(1)
	ds_write_b64 v1, v[4:5]
.LBB97_183:
	s_or_b64 exec, exec, s[0:1]
	s_waitcnt lgkmcnt(0)
	; wave barrier
	ds_read_b128 v[4:7], v2 offset:416
	ds_read_b128 v[8:11], v2 offset:432
	;; [unrolled: 1-line block ×4, first 2 shown]
	scratch_load_dwordx4 v[20:23], off, off offset:144
	v_cmp_lt_u32_e32 vcc, 16, v0
	s_waitcnt vmcnt(0) lgkmcnt(3)
	v_mul_f32_e32 v3, v4, v21
	v_fmac_f32_e32 v3, v5, v20
	v_mul_f32_e32 v24, v6, v23
	v_add_f32_e32 v3, 0, v3
	v_fmac_f32_e32 v24, v7, v22
	v_add_f32_e32 v3, v3, v24
	scratch_load_dwordx4 v[24:27], off, off offset:160
	s_waitcnt vmcnt(0) lgkmcnt(2)
	v_mul_f32_e32 v28, v8, v25
	v_fmac_f32_e32 v28, v9, v24
	v_add_f32_e32 v3, v3, v28
	v_mul_f32_e32 v28, v10, v27
	v_fmac_f32_e32 v28, v11, v26
	v_add_f32_e32 v3, v3, v28
	scratch_load_dwordx4 v[28:31], off, off offset:176
	s_waitcnt vmcnt(0) lgkmcnt(1)
	v_mul_f32_e32 v32, v12, v29
	v_fmac_f32_e32 v32, v13, v28
	v_add_f32_e32 v3, v3, v32
	v_mul_f32_e32 v32, v14, v31
	v_fmac_f32_e32 v32, v15, v30
	v_add_f32_e32 v53, v3, v32
	scratch_load_dwordx4 v[32:35], off, off offset:192
	scratch_load_dwordx4 v[36:39], off, off offset:208
	;; [unrolled: 1-line block ×5, first 2 shown]
	v_mul_f32_e32 v3, v5, v21
	v_fma_f32 v3, v4, v20, -v3
	v_mul_f32_e32 v4, v7, v23
	v_add_f32_e32 v3, 0, v3
	v_fma_f32 v4, v6, v22, -v4
	v_add_f32_e32 v3, v3, v4
	v_mul_f32_e32 v4, v9, v25
	v_fma_f32 v4, v8, v24, -v4
	v_add_f32_e32 v3, v3, v4
	v_mul_f32_e32 v4, v11, v27
	;; [unrolled: 3-line block ×4, first 2 shown]
	v_fma_f32 v4, v14, v30, -v4
	v_add_f32_e32 v52, v3, v4
	s_waitcnt vmcnt(4) lgkmcnt(0)
	v_mul_f32_e32 v3, v17, v33
	v_mul_f32_e32 v55, v16, v33
	;; [unrolled: 1-line block ×3, first 2 shown]
	v_fma_f32 v54, v16, v32, -v3
	v_mul_f32_e32 v3, v19, v35
	v_fmac_f32_e32 v55, v17, v32
	v_fmac_f32_e32 v57, v19, v34
	v_fma_f32 v56, v18, v34, -v3
	ds_read_b128 v[4:7], v2 offset:480
	ds_read_b128 v[8:11], v2 offset:496
	;; [unrolled: 1-line block ×4, first 2 shown]
	v_pk_add_f32 v[2:3], v[52:53], v[54:55]
	s_waitcnt vmcnt(3) lgkmcnt(3)
	v_pk_mul_f32 v[20:21], v[4:5], v[36:37] op_sel:[1,1] op_sel_hi:[0,1]
	v_pk_fma_f32 v[22:23], v[4:5], v[36:37], v[20:21] neg_lo:[0,0,1] neg_hi:[0,0,1]
	v_pk_fma_f32 v[4:5], v[4:5], v[36:37], v[20:21] op_sel_hi:[1,0,1]
	v_pk_add_f32 v[2:3], v[2:3], v[56:57]
	v_mov_b32_e32 v4, v39
	v_mov_b32_e32 v23, v5
	v_pk_mul_f32 v[4:5], v[6:7], v[4:5] op_sel:[1,0] op_sel_hi:[0,0]
	v_pk_fma_f32 v[20:21], v[6:7], v[38:39], v[4:5] neg_lo:[0,0,1] neg_hi:[0,0,1]
	v_pk_fma_f32 v[4:5], v[6:7], v[38:39], v[4:5] op_sel_hi:[1,0,1]
	v_pk_add_f32 v[2:3], v[2:3], v[22:23]
	v_mov_b32_e32 v21, v5
	s_waitcnt vmcnt(2) lgkmcnt(2)
	v_pk_mul_f32 v[4:5], v[8:9], v[40:41] op_sel:[1,1] op_sel_hi:[0,1]
	v_pk_fma_f32 v[6:7], v[8:9], v[40:41], v[4:5] neg_lo:[0,0,1] neg_hi:[0,0,1]
	v_pk_fma_f32 v[4:5], v[8:9], v[40:41], v[4:5] op_sel_hi:[1,0,1]
	v_pk_add_f32 v[2:3], v[2:3], v[20:21]
	v_mov_b32_e32 v4, v43
	v_mov_b32_e32 v7, v5
	v_pk_mul_f32 v[4:5], v[10:11], v[4:5] op_sel:[1,0] op_sel_hi:[0,0]
	v_pk_add_f32 v[2:3], v[2:3], v[6:7]
	v_pk_fma_f32 v[6:7], v[10:11], v[42:43], v[4:5] neg_lo:[0,0,1] neg_hi:[0,0,1]
	v_pk_fma_f32 v[4:5], v[10:11], v[42:43], v[4:5] op_sel_hi:[1,0,1]
	s_nop 0
	v_mov_b32_e32 v7, v5
	s_waitcnt vmcnt(1) lgkmcnt(1)
	v_pk_mul_f32 v[4:5], v[12:13], v[44:45] op_sel:[1,1] op_sel_hi:[0,1]
	v_pk_add_f32 v[2:3], v[2:3], v[6:7]
	v_pk_fma_f32 v[6:7], v[12:13], v[44:45], v[4:5] neg_lo:[0,0,1] neg_hi:[0,0,1]
	v_pk_fma_f32 v[4:5], v[12:13], v[44:45], v[4:5] op_sel_hi:[1,0,1]
	s_nop 0
	v_mov_b32_e32 v4, v47
	v_mov_b32_e32 v7, v5
	v_pk_mul_f32 v[4:5], v[14:15], v[4:5] op_sel:[1,0] op_sel_hi:[0,0]
	v_pk_add_f32 v[2:3], v[2:3], v[6:7]
	v_pk_fma_f32 v[6:7], v[14:15], v[46:47], v[4:5] neg_lo:[0,0,1] neg_hi:[0,0,1]
	v_pk_fma_f32 v[4:5], v[14:15], v[46:47], v[4:5] op_sel_hi:[1,0,1]
	s_nop 0
	v_mov_b32_e32 v7, v5
	s_waitcnt vmcnt(0) lgkmcnt(0)
	v_pk_mul_f32 v[4:5], v[16:17], v[48:49] op_sel:[1,1] op_sel_hi:[0,1]
	v_pk_add_f32 v[2:3], v[2:3], v[6:7]
	v_pk_fma_f32 v[6:7], v[16:17], v[48:49], v[4:5] neg_lo:[0,0,1] neg_hi:[0,0,1]
	v_pk_fma_f32 v[4:5], v[16:17], v[48:49], v[4:5] op_sel_hi:[1,0,1]
	s_nop 0
	v_mov_b32_e32 v4, v51
	v_mov_b32_e32 v7, v5
	v_pk_mul_f32 v[4:5], v[18:19], v[4:5] op_sel:[1,0] op_sel_hi:[0,0]
	v_pk_add_f32 v[2:3], v[2:3], v[6:7]
	v_pk_fma_f32 v[6:7], v[18:19], v[50:51], v[4:5] neg_lo:[0,0,1] neg_hi:[0,0,1]
	v_pk_fma_f32 v[4:5], v[18:19], v[50:51], v[4:5] op_sel_hi:[1,0,1]
	s_nop 0
	v_mov_b32_e32 v7, v5
	scratch_load_dwordx2 v[4:5], off, off offset:136
	v_pk_add_f32 v[2:3], v[2:3], v[6:7]
	s_waitcnt vmcnt(0)
	v_pk_add_f32 v[2:3], v[4:5], v[2:3] neg_lo:[0,1] neg_hi:[0,1]
	scratch_store_dwordx2 off, v[2:3], off offset:136
	s_and_saveexec_b64 s[0:1], vcc
	s_cbranch_execz .LBB97_185
; %bb.184:
	scratch_load_dwordx2 v[2:3], off, off offset:128
	v_mov_b32_e32 v4, 0
	v_mov_b32_e32 v5, v4
	scratch_store_dwordx2 off, v[4:5], off offset:128
	s_waitcnt vmcnt(1)
	ds_write_b64 v1, v[2:3]
.LBB97_185:
	s_or_b64 exec, exec, s[0:1]
	s_waitcnt lgkmcnt(0)
	; wave barrier
	scratch_load_dwordx4 v[4:7], off, off offset:136
	scratch_load_dwordx4 v[8:11], off, off offset:152
	;; [unrolled: 1-line block ×8, first 2 shown]
	scratch_load_dwordx2 v[68:69], off, off offset:264
	scratch_load_dwordx2 v[70:71], off, off offset:128
	v_mov_b32_e32 v2, 0
	ds_read2_b64 v[36:39], v2 offset0:51 offset1:52
	ds_read2_b64 v[40:43], v2 offset0:53 offset1:54
	;; [unrolled: 1-line block ×8, first 2 shown]
	ds_read_b64 v[72:73], v2 offset:536
	v_cmp_lt_u32_e32 vcc, 15, v0
	s_waitcnt vmcnt(9) lgkmcnt(8)
	v_mul_f32_e32 v79, v38, v7
	v_mul_f32_e32 v3, v36, v5
	s_waitcnt vmcnt(8) lgkmcnt(7)
	v_mul_f32_e32 v83, v40, v9
	s_waitcnt vmcnt(7) lgkmcnt(6)
	v_mul_f32_e32 v87, v44, v13
	v_mul_f32_e32 v5, v37, v5
	;; [unrolled: 1-line block ×5, first 2 shown]
	s_waitcnt vmcnt(5)
	v_mov_b32_e32 v78, v23
	s_waitcnt vmcnt(3) lgkmcnt(2)
	v_pk_mul_f32 v[84:85], v[60:61], v[28:29] op_sel:[1,1] op_sel_hi:[0,1]
	v_fmac_f32_e32 v79, v39, v6
	v_mul_f32_e32 v86, v42, v11
	v_mul_f32_e32 v89, v48, v17
	;; [unrolled: 1-line block ×4, first 2 shown]
	v_fmac_f32_e32 v3, v37, v4
	v_fmac_f32_e32 v87, v45, v12
	v_fma_f32 v36, v36, v4, -v5
	v_fma_f32 v37, v38, v6, -v7
	;; [unrolled: 1-line block ×4, first 2 shown]
	v_pk_mul_f32 v[4:5], v[54:55], v[78:79] op_sel:[1,0] op_sel_hi:[0,0]
	v_pk_fma_f32 v[12:13], v[60:61], v[28:29], v[84:85] neg_lo:[0,0,1] neg_hi:[0,0,1]
	v_fmac_f32_e32 v89, v49, v16
	v_fma_f32 v39, v42, v10, -v11
	v_fma_f32 v42, v48, v16, -v17
	v_add_f32_e32 v3, 0, v3
	v_add_f32_e32 v13, 0, v36
	v_pk_fma_f32 v[16:17], v[54:55], v[22:23], v[4:5] neg_lo:[0,0,1] neg_hi:[0,0,1]
	v_pk_fma_f32 v[4:5], v[54:55], v[22:23], v[4:5] op_sel_hi:[1,0,1]
	v_fmac_f32_e32 v83, v41, v8
	v_add_f32_e32 v3, v3, v79
	v_add_f32_e32 v4, v13, v37
	v_fmac_f32_e32 v86, v43, v10
	v_add_f32_e32 v3, v3, v83
	v_add_f32_e32 v4, v4, v38
	v_mul_f32_e32 v88, v46, v15
	v_mul_f32_e32 v15, v47, v15
	v_add_f32_e32 v3, v3, v86
	v_add_f32_e32 v4, v4, v39
	v_fmac_f32_e32 v88, v47, v14
	v_fma_f32 v41, v46, v14, -v15
	v_add_f32_e32 v3, v3, v87
	v_add_f32_e32 v4, v4, v40
	v_mul_f32_e32 v75, v50, v19
	v_mul_f32_e32 v19, v51, v19
	v_add_f32_e32 v3, v3, v88
	v_add_f32_e32 v4, v4, v41
	v_mul_f32_e32 v77, v52, v21
	v_mul_f32_e32 v21, v53, v21
	v_fmac_f32_e32 v75, v51, v18
	v_fma_f32 v74, v50, v18, -v19
	v_mov_b32_e32 v17, v5
	v_add_f32_e32 v5, v3, v89
	v_add_f32_e32 v4, v4, v42
	v_pk_mul_f32 v[80:81], v[56:57], v[24:25] op_sel:[1,1] op_sel_hi:[0,1]
	v_fmac_f32_e32 v77, v53, v20
	v_fma_f32 v76, v52, v20, -v21
	v_pk_add_f32 v[4:5], v[4:5], v[74:75]
	v_mov_b32_e32 v82, v27
	v_pk_fma_f32 v[6:7], v[56:57], v[24:25], v[80:81] neg_lo:[0,0,1] neg_hi:[0,0,1]
	v_pk_fma_f32 v[8:9], v[56:57], v[24:25], v[80:81] op_sel_hi:[1,0,1]
	v_pk_add_f32 v[4:5], v[4:5], v[76:77]
	v_pk_mul_f32 v[10:11], v[58:59], v[82:83] op_sel:[1,0] op_sel_hi:[0,0]
	v_mov_b32_e32 v7, v9
	v_pk_add_f32 v[4:5], v[4:5], v[16:17]
	v_pk_fma_f32 v[8:9], v[58:59], v[26:27], v[10:11] neg_lo:[0,0,1] neg_hi:[0,0,1]
	v_pk_fma_f32 v[10:11], v[58:59], v[26:27], v[10:11] op_sel_hi:[1,0,1]
	v_pk_add_f32 v[4:5], v[4:5], v[6:7]
	v_mov_b32_e32 v6, v31
	v_pk_fma_f32 v[14:15], v[60:61], v[28:29], v[84:85] op_sel_hi:[1,0,1]
	v_mov_b32_e32 v9, v11
	v_pk_mul_f32 v[6:7], v[62:63], v[6:7] op_sel:[1,0] op_sel_hi:[0,0]
	v_pk_add_f32 v[4:5], v[4:5], v[8:9]
	v_mov_b32_e32 v13, v15
	v_pk_fma_f32 v[8:9], v[62:63], v[30:31], v[6:7] neg_lo:[0,0,1] neg_hi:[0,0,1]
	v_pk_fma_f32 v[6:7], v[62:63], v[30:31], v[6:7] op_sel_hi:[1,0,1]
	v_pk_add_f32 v[4:5], v[4:5], v[12:13]
	v_mov_b32_e32 v9, v7
	s_waitcnt vmcnt(2) lgkmcnt(1)
	v_pk_mul_f32 v[6:7], v[64:65], v[32:33] op_sel:[1,1] op_sel_hi:[0,1]
	v_pk_add_f32 v[4:5], v[4:5], v[8:9]
	v_pk_fma_f32 v[8:9], v[64:65], v[32:33], v[6:7] neg_lo:[0,0,1] neg_hi:[0,0,1]
	v_pk_fma_f32 v[6:7], v[64:65], v[32:33], v[6:7] op_sel_hi:[1,0,1]
	s_nop 0
	v_mov_b32_e32 v6, v35
	v_mov_b32_e32 v9, v7
	v_pk_mul_f32 v[6:7], v[66:67], v[6:7] op_sel:[1,0] op_sel_hi:[0,0]
	v_pk_add_f32 v[4:5], v[4:5], v[8:9]
	v_pk_fma_f32 v[8:9], v[66:67], v[34:35], v[6:7] neg_lo:[0,0,1] neg_hi:[0,0,1]
	v_pk_fma_f32 v[6:7], v[66:67], v[34:35], v[6:7] op_sel_hi:[1,0,1]
	s_nop 0
	v_mov_b32_e32 v9, v7
	s_waitcnt vmcnt(1) lgkmcnt(0)
	v_pk_mul_f32 v[6:7], v[72:73], v[68:69] op_sel:[1,1] op_sel_hi:[0,1]
	v_pk_add_f32 v[4:5], v[4:5], v[8:9]
	v_pk_fma_f32 v[8:9], v[72:73], v[68:69], v[6:7] neg_lo:[0,0,1] neg_hi:[0,0,1]
	v_pk_fma_f32 v[6:7], v[72:73], v[68:69], v[6:7] op_sel_hi:[1,0,1]
	s_nop 0
	v_mov_b32_e32 v9, v7
	v_pk_add_f32 v[4:5], v[4:5], v[8:9]
	s_waitcnt vmcnt(0)
	v_pk_add_f32 v[4:5], v[70:71], v[4:5] neg_lo:[0,1] neg_hi:[0,1]
	scratch_store_dwordx2 off, v[4:5], off offset:128
	s_and_saveexec_b64 s[0:1], vcc
	s_cbranch_execz .LBB97_187
; %bb.186:
	scratch_load_dwordx2 v[4:5], off, off offset:120
	v_mov_b32_e32 v3, v2
	scratch_store_dwordx2 off, v[2:3], off offset:120
	s_waitcnt vmcnt(1)
	ds_write_b64 v1, v[4:5]
.LBB97_187:
	s_or_b64 exec, exec, s[0:1]
	s_waitcnt lgkmcnt(0)
	; wave barrier
	scratch_load_dwordx4 v[4:7], off, off offset:128
	scratch_load_dwordx4 v[8:11], off, off offset:144
	;; [unrolled: 1-line block ×7, first 2 shown]
	ds_read_b128 v[32:35], v2 offset:400
	ds_read_b128 v[36:39], v2 offset:416
	;; [unrolled: 1-line block ×4, first 2 shown]
	scratch_load_dwordx4 v[48:51], off, off offset:240
	scratch_load_dwordx4 v[52:55], off, off offset:256
	ds_read_b128 v[56:59], v2 offset:464
	ds_read_b128 v[60:63], v2 offset:480
	;; [unrolled: 1-line block ×5, first 2 shown]
	scratch_load_dwordx2 v[2:3], off, off offset:120
	v_cmp_lt_u32_e32 vcc, 14, v0
	s_waitcnt vmcnt(9) lgkmcnt(8)
	v_mul_f32_e32 v83, v32, v5
	v_mul_f32_e32 v86, v34, v7
	s_waitcnt vmcnt(8) lgkmcnt(7)
	v_mul_f32_e32 v87, v36, v9
	s_waitcnt vmcnt(7) lgkmcnt(6)
	v_mul_f32_e32 v89, v40, v13
	v_mul_f32_e32 v5, v33, v5
	;; [unrolled: 1-line block ×5, first 2 shown]
	s_waitcnt vmcnt(4) lgkmcnt(3)
	v_pk_mul_f32 v[80:81], v[60:61], v[24:25] op_sel:[1,1] op_sel_hi:[0,1]
	v_mov_b32_e32 v82, v27
	s_waitcnt vmcnt(3) lgkmcnt(2)
	v_pk_mul_f32 v[84:85], v[64:65], v[28:29] op_sel:[1,1] op_sel_hi:[0,1]
	v_fmac_f32_e32 v83, v33, v4
	v_mul_f32_e32 v90, v42, v15
	v_mul_f32_e32 v91, v44, v17
	;; [unrolled: 1-line block ×4, first 2 shown]
	v_fmac_f32_e32 v86, v35, v6
	v_fmac_f32_e32 v87, v37, v8
	;; [unrolled: 1-line block ×3, first 2 shown]
	v_fma_f32 v32, v32, v4, -v5
	v_fma_f32 v33, v34, v6, -v7
	;; [unrolled: 1-line block ×4, first 2 shown]
	v_pk_fma_f32 v[4:5], v[60:61], v[24:25], v[80:81] neg_lo:[0,0,1] neg_hi:[0,0,1]
	v_pk_fma_f32 v[6:7], v[60:61], v[24:25], v[80:81] op_sel_hi:[1,0,1]
	v_pk_mul_f32 v[8:9], v[62:63], v[82:83] op_sel:[1,0] op_sel_hi:[0,0]
	v_pk_fma_f32 v[12:13], v[64:65], v[28:29], v[84:85] op_sel_hi:[1,0,1]
	v_fmac_f32_e32 v90, v43, v14
	v_fma_f32 v14, v42, v14, -v15
	v_fma_f32 v15, v44, v16, -v17
	v_add_f32_e32 v12, 0, v83
	v_add_f32_e32 v17, 0, v32
	v_mov_b32_e32 v5, v7
	v_pk_fma_f32 v[6:7], v[62:63], v[26:27], v[8:9] neg_lo:[0,0,1] neg_hi:[0,0,1]
	v_pk_fma_f32 v[8:9], v[62:63], v[26:27], v[8:9] op_sel_hi:[1,0,1]
	v_mul_f32_e32 v88, v38, v11
	v_mul_f32_e32 v11, v39, v11
	v_add_f32_e32 v8, v12, v86
	v_add_f32_e32 v12, v17, v33
	v_fmac_f32_e32 v88, v39, v10
	v_fma_f32 v35, v38, v10, -v11
	v_mov_b32_e32 v7, v9
	v_add_f32_e32 v8, v8, v87
	v_add_f32_e32 v9, v12, v34
	;; [unrolled: 1-line block ×6, first 2 shown]
	v_mul_f32_e32 v92, v46, v19
	v_mul_f32_e32 v19, v47, v19
	v_fmac_f32_e32 v91, v45, v16
	v_add_f32_e32 v8, v8, v90
	v_add_f32_e32 v9, v9, v14
	v_mul_f32_e32 v77, v56, v21
	v_mul_f32_e32 v21, v57, v21
	v_fmac_f32_e32 v92, v47, v18
	v_fma_f32 v16, v46, v18, -v19
	v_add_f32_e32 v8, v8, v91
	v_add_f32_e32 v12, v9, v15
	v_mul_f32_e32 v79, v58, v23
	v_mul_f32_e32 v23, v59, v23
	v_fmac_f32_e32 v77, v57, v20
	v_fma_f32 v76, v56, v20, -v21
	v_add_f32_e32 v9, v8, v92
	v_add_f32_e32 v8, v12, v16
	v_fmac_f32_e32 v79, v59, v22
	v_fma_f32 v78, v58, v22, -v23
	v_pk_add_f32 v[8:9], v[8:9], v[76:77]
	v_pk_fma_f32 v[10:11], v[64:65], v[28:29], v[84:85] neg_lo:[0,0,1] neg_hi:[0,0,1]
	v_pk_add_f32 v[8:9], v[8:9], v[78:79]
	v_mov_b32_e32 v11, v13
	v_pk_add_f32 v[4:5], v[8:9], v[4:5]
	s_nop 0
	v_pk_add_f32 v[4:5], v[4:5], v[6:7]
	v_mov_b32_e32 v6, v31
	v_pk_mul_f32 v[6:7], v[66:67], v[6:7] op_sel:[1,0] op_sel_hi:[0,0]
	v_pk_fma_f32 v[8:9], v[66:67], v[30:31], v[6:7] neg_lo:[0,0,1] neg_hi:[0,0,1]
	v_pk_fma_f32 v[6:7], v[66:67], v[30:31], v[6:7] op_sel_hi:[1,0,1]
	v_pk_add_f32 v[4:5], v[4:5], v[10:11]
	v_mov_b32_e32 v9, v7
	s_waitcnt vmcnt(2) lgkmcnt(1)
	v_pk_mul_f32 v[6:7], v[68:69], v[48:49] op_sel:[1,1] op_sel_hi:[0,1]
	v_pk_add_f32 v[4:5], v[4:5], v[8:9]
	v_pk_fma_f32 v[8:9], v[68:69], v[48:49], v[6:7] neg_lo:[0,0,1] neg_hi:[0,0,1]
	v_pk_fma_f32 v[6:7], v[68:69], v[48:49], v[6:7] op_sel_hi:[1,0,1]
	s_nop 0
	v_mov_b32_e32 v6, v51
	v_mov_b32_e32 v9, v7
	v_pk_mul_f32 v[6:7], v[70:71], v[6:7] op_sel:[1,0] op_sel_hi:[0,0]
	v_pk_add_f32 v[4:5], v[4:5], v[8:9]
	v_pk_fma_f32 v[8:9], v[70:71], v[50:51], v[6:7] neg_lo:[0,0,1] neg_hi:[0,0,1]
	v_pk_fma_f32 v[6:7], v[70:71], v[50:51], v[6:7] op_sel_hi:[1,0,1]
	s_nop 0
	v_mov_b32_e32 v9, v7
	s_waitcnt vmcnt(1) lgkmcnt(0)
	v_pk_mul_f32 v[6:7], v[72:73], v[52:53] op_sel:[1,1] op_sel_hi:[0,1]
	v_pk_add_f32 v[4:5], v[4:5], v[8:9]
	v_pk_fma_f32 v[8:9], v[72:73], v[52:53], v[6:7] neg_lo:[0,0,1] neg_hi:[0,0,1]
	v_pk_fma_f32 v[6:7], v[72:73], v[52:53], v[6:7] op_sel_hi:[1,0,1]
	s_nop 0
	v_mov_b32_e32 v6, v55
	v_mov_b32_e32 v9, v7
	v_pk_mul_f32 v[6:7], v[74:75], v[6:7] op_sel:[1,0] op_sel_hi:[0,0]
	v_pk_add_f32 v[4:5], v[4:5], v[8:9]
	v_pk_fma_f32 v[8:9], v[74:75], v[54:55], v[6:7] neg_lo:[0,0,1] neg_hi:[0,0,1]
	v_pk_fma_f32 v[6:7], v[74:75], v[54:55], v[6:7] op_sel_hi:[1,0,1]
	s_nop 0
	v_mov_b32_e32 v9, v7
	v_pk_add_f32 v[4:5], v[4:5], v[8:9]
	s_waitcnt vmcnt(0)
	v_pk_add_f32 v[2:3], v[2:3], v[4:5] neg_lo:[0,1] neg_hi:[0,1]
	scratch_store_dwordx2 off, v[2:3], off offset:120
	s_and_saveexec_b64 s[0:1], vcc
	s_cbranch_execz .LBB97_189
; %bb.188:
	scratch_load_dwordx2 v[2:3], off, off offset:112
	v_mov_b32_e32 v4, 0
	v_mov_b32_e32 v5, v4
	scratch_store_dwordx2 off, v[4:5], off offset:112
	s_waitcnt vmcnt(1)
	ds_write_b64 v1, v[2:3]
.LBB97_189:
	s_or_b64 exec, exec, s[0:1]
	s_waitcnt lgkmcnt(0)
	; wave barrier
	scratch_load_dwordx4 v[4:7], off, off offset:120
	scratch_load_dwordx4 v[8:11], off, off offset:136
	;; [unrolled: 1-line block ×9, first 2 shown]
	scratch_load_dwordx2 v[76:77], off, off offset:264
	scratch_load_dwordx2 v[78:79], off, off offset:112
	v_mov_b32_e32 v2, 0
	ds_read2_b64 v[40:43], v2 offset0:49 offset1:50
	ds_read2_b64 v[44:47], v2 offset0:51 offset1:52
	;; [unrolled: 1-line block ×9, first 2 shown]
	ds_read_b64 v[80:81], v2 offset:536
	v_cmp_lt_u32_e32 vcc, 13, v0
	s_waitcnt vmcnt(10) lgkmcnt(9)
	v_mul_f32_e32 v87, v42, v7
	v_mul_f32_e32 v3, v40, v5
	;; [unrolled: 1-line block ×3, first 2 shown]
	v_fmac_f32_e32 v87, v43, v6
	s_waitcnt vmcnt(9) lgkmcnt(8)
	v_mul_f32_e32 v88, v44, v9
	s_waitcnt vmcnt(5)
	v_mov_b32_e32 v86, v27
	v_mul_f32_e32 v89, v46, v11
	s_waitcnt lgkmcnt(7)
	v_mul_f32_e32 v91, v50, v15
	v_mul_f32_e32 v7, v43, v7
	;; [unrolled: 1-line block ×5, first 2 shown]
	v_fmac_f32_e32 v3, v41, v4
	v_fma_f32 v40, v40, v4, -v5
	s_waitcnt lgkmcnt(4)
	v_pk_mul_f32 v[4:5], v[62:63], v[86:87] op_sel:[1,0] op_sel_hi:[0,0]
	v_fmac_f32_e32 v88, v45, v8
	v_fma_f32 v41, v42, v6, -v7
	v_fma_f32 v8, v44, v8, -v9
	v_fma_f32 v9, v46, v10, -v11
	v_fma_f32 v11, v50, v14, -v15
	v_add_f32_e32 v3, 0, v3
	v_add_f32_e32 v15, 0, v40
	v_pk_fma_f32 v[6:7], v[62:63], v[26:27], v[4:5] neg_lo:[0,0,1] neg_hi:[0,0,1]
	v_pk_fma_f32 v[4:5], v[62:63], v[26:27], v[4:5] op_sel_hi:[1,0,1]
	v_add_f32_e32 v3, v3, v87
	v_add_f32_e32 v4, v15, v41
	v_mul_f32_e32 v90, v48, v13
	v_mul_f32_e32 v13, v49, v13
	v_fmac_f32_e32 v89, v47, v10
	v_add_f32_e32 v3, v3, v88
	v_add_f32_e32 v4, v4, v8
	v_fmac_f32_e32 v90, v49, v12
	v_fma_f32 v10, v48, v12, -v13
	v_add_f32_e32 v3, v3, v89
	v_add_f32_e32 v4, v4, v9
	v_mul_f32_e32 v92, v52, v17
	v_mul_f32_e32 v17, v53, v17
	v_fmac_f32_e32 v91, v51, v14
	v_add_f32_e32 v3, v3, v90
	v_add_f32_e32 v4, v4, v10
	v_mul_f32_e32 v93, v54, v19
	v_mul_f32_e32 v19, v55, v19
	v_fmac_f32_e32 v92, v53, v16
	v_fma_f32 v12, v52, v16, -v17
	v_add_f32_e32 v3, v3, v91
	v_add_f32_e32 v4, v4, v11
	v_mul_f32_e32 v94, v56, v21
	v_mul_f32_e32 v21, v57, v21
	v_fmac_f32_e32 v93, v55, v18
	v_fma_f32 v13, v54, v18, -v19
	;; [unrolled: 6-line block ×4, first 2 shown]
	v_mov_b32_e32 v7, v5
	v_add_f32_e32 v5, v3, v94
	v_add_f32_e32 v4, v4, v14
	v_fmac_f32_e32 v85, v61, v24
	v_fma_f32 v84, v60, v24, -v25
	v_pk_add_f32 v[4:5], v[4:5], v[82:83]
	s_nop 0
	v_pk_add_f32 v[4:5], v[4:5], v[84:85]
	s_nop 0
	v_pk_add_f32 v[4:5], v[4:5], v[6:7]
	s_waitcnt vmcnt(4) lgkmcnt(3)
	v_pk_mul_f32 v[6:7], v[64:65], v[28:29] op_sel:[1,1] op_sel_hi:[0,1]
	v_pk_fma_f32 v[8:9], v[64:65], v[28:29], v[6:7] neg_lo:[0,0,1] neg_hi:[0,0,1]
	v_pk_fma_f32 v[6:7], v[64:65], v[28:29], v[6:7] op_sel_hi:[1,0,1]
	s_nop 0
	v_mov_b32_e32 v6, v31
	v_mov_b32_e32 v9, v7
	v_pk_mul_f32 v[6:7], v[66:67], v[6:7] op_sel:[1,0] op_sel_hi:[0,0]
	v_pk_add_f32 v[4:5], v[4:5], v[8:9]
	v_pk_fma_f32 v[8:9], v[66:67], v[30:31], v[6:7] neg_lo:[0,0,1] neg_hi:[0,0,1]
	v_pk_fma_f32 v[6:7], v[66:67], v[30:31], v[6:7] op_sel_hi:[1,0,1]
	s_nop 0
	v_mov_b32_e32 v9, v7
	s_waitcnt vmcnt(3) lgkmcnt(2)
	v_pk_mul_f32 v[6:7], v[68:69], v[32:33] op_sel:[1,1] op_sel_hi:[0,1]
	v_pk_add_f32 v[4:5], v[4:5], v[8:9]
	v_pk_fma_f32 v[8:9], v[68:69], v[32:33], v[6:7] neg_lo:[0,0,1] neg_hi:[0,0,1]
	v_pk_fma_f32 v[6:7], v[68:69], v[32:33], v[6:7] op_sel_hi:[1,0,1]
	s_nop 0
	v_mov_b32_e32 v6, v35
	v_mov_b32_e32 v9, v7
	v_pk_mul_f32 v[6:7], v[70:71], v[6:7] op_sel:[1,0] op_sel_hi:[0,0]
	v_pk_add_f32 v[4:5], v[4:5], v[8:9]
	v_pk_fma_f32 v[8:9], v[70:71], v[34:35], v[6:7] neg_lo:[0,0,1] neg_hi:[0,0,1]
	v_pk_fma_f32 v[6:7], v[70:71], v[34:35], v[6:7] op_sel_hi:[1,0,1]
	s_nop 0
	v_mov_b32_e32 v9, v7
	s_waitcnt vmcnt(2) lgkmcnt(1)
	v_pk_mul_f32 v[6:7], v[72:73], v[36:37] op_sel:[1,1] op_sel_hi:[0,1]
	v_pk_add_f32 v[4:5], v[4:5], v[8:9]
	;; [unrolled: 14-line block ×3, first 2 shown]
	v_pk_fma_f32 v[8:9], v[80:81], v[76:77], v[6:7] neg_lo:[0,0,1] neg_hi:[0,0,1]
	v_pk_fma_f32 v[6:7], v[80:81], v[76:77], v[6:7] op_sel_hi:[1,0,1]
	s_nop 0
	v_mov_b32_e32 v9, v7
	v_pk_add_f32 v[4:5], v[4:5], v[8:9]
	s_waitcnt vmcnt(0)
	v_pk_add_f32 v[4:5], v[78:79], v[4:5] neg_lo:[0,1] neg_hi:[0,1]
	scratch_store_dwordx2 off, v[4:5], off offset:112
	s_and_saveexec_b64 s[0:1], vcc
	s_cbranch_execz .LBB97_191
; %bb.190:
	scratch_load_dwordx2 v[4:5], off, off offset:104
	v_mov_b32_e32 v3, v2
	scratch_store_dwordx2 off, v[2:3], off offset:104
	s_waitcnt vmcnt(1)
	ds_write_b64 v1, v[4:5]
.LBB97_191:
	s_or_b64 exec, exec, s[0:1]
	s_waitcnt lgkmcnt(0)
	; wave barrier
	scratch_load_dwordx4 v[4:7], off, off offset:112
	scratch_load_dwordx4 v[8:11], off, off offset:128
	;; [unrolled: 1-line block ×7, first 2 shown]
	ds_read_b128 v[32:35], v2 offset:384
	ds_read_b128 v[36:39], v2 offset:400
	;; [unrolled: 1-line block ×6, first 2 shown]
	scratch_load_dwordx4 v[56:59], off, off offset:224
	scratch_load_dwordx4 v[60:63], off, off offset:240
	;; [unrolled: 1-line block ×3, first 2 shown]
	ds_read_b128 v[68:71], v2 offset:480
	ds_read_b128 v[72:75], v2 offset:496
	;; [unrolled: 1-line block ×4, first 2 shown]
	scratch_load_dwordx2 v[2:3], off, off offset:104
	v_cmp_lt_u32_e32 vcc, 12, v0
	s_waitcnt vmcnt(10) lgkmcnt(9)
	v_mul_f32_e32 v90, v32, v5
	v_mul_f32_e32 v5, v33, v5
	;; [unrolled: 1-line block ×3, first 2 shown]
	s_waitcnt vmcnt(9) lgkmcnt(8)
	v_mul_f32_e32 v92, v36, v9
	s_waitcnt vmcnt(8) lgkmcnt(7)
	v_mul_f32_e32 v95, v42, v15
	v_mul_f32_e32 v7, v35, v7
	;; [unrolled: 1-line block ×4, first 2 shown]
	v_fmac_f32_e32 v90, v33, v4
	v_fma_f32 v4, v32, v4, -v5
	v_fmac_f32_e32 v91, v35, v6
	v_fmac_f32_e32 v95, v43, v14
	v_fma_f32 v5, v34, v6, -v7
	v_fma_f32 v6, v36, v8, -v9
	;; [unrolled: 1-line block ×3, first 2 shown]
	v_add_f32_e32 v14, 0, v90
	v_add_f32_e32 v4, 0, v4
	v_mul_f32_e32 v93, v38, v11
	v_mul_f32_e32 v11, v39, v11
	v_fmac_f32_e32 v92, v37, v8
	v_add_f32_e32 v14, v14, v91
	v_add_f32_e32 v4, v4, v5
	v_mul_f32_e32 v94, v40, v13
	v_mul_f32_e32 v13, v41, v13
	v_fmac_f32_e32 v93, v39, v10
	v_fma_f32 v7, v38, v10, -v11
	v_add_f32_e32 v5, v14, v92
	v_add_f32_e32 v4, v4, v6
	v_fmac_f32_e32 v94, v41, v12
	v_fma_f32 v8, v40, v12, -v13
	v_add_f32_e32 v5, v5, v93
	v_add_f32_e32 v4, v4, v7
	s_waitcnt vmcnt(7) lgkmcnt(6)
	v_mul_f32_e32 v96, v44, v17
	v_mul_f32_e32 v17, v45, v17
	v_add_f32_e32 v5, v5, v94
	v_add_f32_e32 v4, v4, v8
	v_mul_f32_e32 v97, v46, v19
	v_mul_f32_e32 v19, v47, v19
	v_fmac_f32_e32 v96, v45, v16
	v_fma_f32 v10, v44, v16, -v17
	v_add_f32_e32 v5, v5, v95
	v_add_f32_e32 v4, v4, v9
	s_waitcnt vmcnt(6) lgkmcnt(5)
	v_mul_f32_e32 v98, v48, v21
	v_mul_f32_e32 v21, v49, v21
	v_fmac_f32_e32 v97, v47, v18
	v_fma_f32 v11, v46, v18, -v19
	v_add_f32_e32 v5, v5, v96
	v_add_f32_e32 v4, v4, v10
	v_mul_f32_e32 v99, v50, v23
	v_mul_f32_e32 v23, v51, v23
	v_fmac_f32_e32 v98, v49, v20
	v_fma_f32 v12, v48, v20, -v21
	v_add_f32_e32 v5, v5, v97
	v_add_f32_e32 v4, v4, v11
	s_waitcnt vmcnt(5) lgkmcnt(4)
	v_mul_f32_e32 v85, v52, v25
	v_mul_f32_e32 v25, v53, v25
	v_fmac_f32_e32 v99, v51, v22
	v_fma_f32 v13, v50, v22, -v23
	v_add_f32_e32 v5, v5, v98
	v_add_f32_e32 v4, v4, v12
	v_mul_f32_e32 v87, v54, v27
	v_mul_f32_e32 v27, v55, v27
	s_waitcnt vmcnt(4) lgkmcnt(3)
	v_pk_mul_f32 v[88:89], v[68:69], v[28:29] op_sel:[1,1] op_sel_hi:[0,1]
	v_fmac_f32_e32 v85, v53, v24
	v_fma_f32 v84, v52, v24, -v25
	v_add_f32_e32 v5, v5, v99
	v_add_f32_e32 v4, v4, v13
	v_fmac_f32_e32 v87, v55, v26
	v_fma_f32 v86, v54, v26, -v27
	v_pk_add_f32 v[4:5], v[4:5], v[84:85]
	v_pk_fma_f32 v[6:7], v[68:69], v[28:29], v[88:89] neg_lo:[0,0,1] neg_hi:[0,0,1]
	v_pk_fma_f32 v[8:9], v[68:69], v[28:29], v[88:89] op_sel_hi:[1,0,1]
	v_pk_add_f32 v[4:5], v[4:5], v[86:87]
	v_mov_b32_e32 v7, v9
	v_pk_add_f32 v[4:5], v[4:5], v[6:7]
	v_mov_b32_e32 v6, v31
	v_pk_mul_f32 v[6:7], v[70:71], v[6:7] op_sel:[1,0] op_sel_hi:[0,0]
	v_pk_fma_f32 v[8:9], v[70:71], v[30:31], v[6:7] neg_lo:[0,0,1] neg_hi:[0,0,1]
	v_pk_fma_f32 v[6:7], v[70:71], v[30:31], v[6:7] op_sel_hi:[1,0,1]
	s_nop 0
	v_mov_b32_e32 v9, v7
	s_waitcnt vmcnt(3) lgkmcnt(2)
	v_pk_mul_f32 v[6:7], v[72:73], v[56:57] op_sel:[1,1] op_sel_hi:[0,1]
	v_pk_add_f32 v[4:5], v[4:5], v[8:9]
	v_pk_fma_f32 v[8:9], v[72:73], v[56:57], v[6:7] neg_lo:[0,0,1] neg_hi:[0,0,1]
	v_pk_fma_f32 v[6:7], v[72:73], v[56:57], v[6:7] op_sel_hi:[1,0,1]
	s_nop 0
	v_mov_b32_e32 v6, v59
	v_mov_b32_e32 v9, v7
	v_pk_mul_f32 v[6:7], v[74:75], v[6:7] op_sel:[1,0] op_sel_hi:[0,0]
	v_pk_add_f32 v[4:5], v[4:5], v[8:9]
	v_pk_fma_f32 v[8:9], v[74:75], v[58:59], v[6:7] neg_lo:[0,0,1] neg_hi:[0,0,1]
	v_pk_fma_f32 v[6:7], v[74:75], v[58:59], v[6:7] op_sel_hi:[1,0,1]
	s_nop 0
	v_mov_b32_e32 v9, v7
	s_waitcnt vmcnt(2) lgkmcnt(1)
	v_pk_mul_f32 v[6:7], v[76:77], v[60:61] op_sel:[1,1] op_sel_hi:[0,1]
	v_pk_add_f32 v[4:5], v[4:5], v[8:9]
	v_pk_fma_f32 v[8:9], v[76:77], v[60:61], v[6:7] neg_lo:[0,0,1] neg_hi:[0,0,1]
	v_pk_fma_f32 v[6:7], v[76:77], v[60:61], v[6:7] op_sel_hi:[1,0,1]
	s_nop 0
	v_mov_b32_e32 v6, v63
	v_mov_b32_e32 v9, v7
	v_pk_mul_f32 v[6:7], v[78:79], v[6:7] op_sel:[1,0] op_sel_hi:[0,0]
	v_pk_add_f32 v[4:5], v[4:5], v[8:9]
	;; [unrolled: 14-line block ×3, first 2 shown]
	v_pk_fma_f32 v[8:9], v[82:83], v[66:67], v[6:7] neg_lo:[0,0,1] neg_hi:[0,0,1]
	v_pk_fma_f32 v[6:7], v[82:83], v[66:67], v[6:7] op_sel_hi:[1,0,1]
	s_nop 0
	v_mov_b32_e32 v9, v7
	v_pk_add_f32 v[4:5], v[4:5], v[8:9]
	s_waitcnt vmcnt(0)
	v_pk_add_f32 v[2:3], v[2:3], v[4:5] neg_lo:[0,1] neg_hi:[0,1]
	scratch_store_dwordx2 off, v[2:3], off offset:104
	s_and_saveexec_b64 s[0:1], vcc
	s_cbranch_execz .LBB97_193
; %bb.192:
	scratch_load_dwordx2 v[2:3], off, off offset:96
	v_mov_b32_e32 v4, 0
	v_mov_b32_e32 v5, v4
	scratch_store_dwordx2 off, v[4:5], off offset:96
	s_waitcnt vmcnt(1)
	ds_write_b64 v1, v[2:3]
.LBB97_193:
	s_or_b64 exec, exec, s[0:1]
	s_waitcnt lgkmcnt(0)
	; wave barrier
	scratch_load_dwordx4 v[2:5], off, off offset:104
	scratch_load_dwordx4 v[8:11], off, off offset:120
	;; [unrolled: 1-line block ×10, first 2 shown]
	scratch_load_dwordx2 v[76:77], off, off offset:264
	scratch_load_dwordx2 v[78:79], off, off offset:96
	v_mov_b32_e32 v6, 0
	ds_read2_b64 v[44:47], v6 offset0:47 offset1:48
	ds_read2_b64 v[48:51], v6 offset0:49 offset1:50
	;; [unrolled: 1-line block ×8, first 2 shown]
	v_cmp_lt_u32_e32 vcc, 11, v0
	s_waitcnt vmcnt(11) lgkmcnt(7)
	v_mul_f32_e32 v7, v44, v3
	v_mul_f32_e32 v3, v45, v3
	;; [unrolled: 1-line block ×4, first 2 shown]
	v_fmac_f32_e32 v7, v45, v2
	v_fma_f32 v2, v44, v2, -v3
	s_waitcnt vmcnt(10) lgkmcnt(6)
	v_mul_f32_e32 v82, v48, v9
	v_mul_f32_e32 v9, v49, v9
	v_fma_f32 v3, v46, v4, -v5
	v_add_f32_e32 v2, 0, v2
	v_mul_f32_e32 v84, v50, v11
	v_mul_f32_e32 v11, v51, v11
	v_fmac_f32_e32 v80, v47, v4
	v_fma_f32 v4, v48, v8, -v9
	v_add_f32_e32 v7, 0, v7
	v_add_f32_e32 v2, v2, v3
	s_waitcnt vmcnt(9) lgkmcnt(5)
	v_mul_f32_e32 v85, v52, v13
	v_mul_f32_e32 v13, v53, v13
	v_fmac_f32_e32 v82, v49, v8
	v_fma_f32 v5, v50, v10, -v11
	v_add_f32_e32 v7, v7, v80
	v_add_f32_e32 v2, v2, v4
	v_mul_f32_e32 v86, v54, v15
	v_mul_f32_e32 v15, v55, v15
	v_fmac_f32_e32 v84, v51, v10
	v_fma_f32 v8, v52, v12, -v13
	v_add_f32_e32 v3, v7, v82
	v_add_f32_e32 v2, v2, v5
	s_waitcnt vmcnt(8) lgkmcnt(4)
	v_mul_f32_e32 v87, v56, v17
	v_mul_f32_e32 v17, v57, v17
	v_fmac_f32_e32 v85, v53, v12
	v_fma_f32 v9, v54, v14, -v15
	v_add_f32_e32 v3, v3, v84
	;; [unrolled: 13-line block ×4, first 2 shown]
	v_add_f32_e32 v2, v2, v12
	v_fmac_f32_e32 v90, v63, v22
	v_fma_f32 v14, v64, v24, -v25
	v_add_f32_e32 v3, v3, v89
	v_add_f32_e32 v2, v2, v13
	v_mul_f32_e32 v81, v66, v27
	v_fmac_f32_e32 v91, v65, v24
	v_add_f32_e32 v3, v3, v90
	v_add_f32_e32 v12, v2, v14
	v_mul_f32_e32 v2, v67, v27
	s_waitcnt vmcnt(5)
	v_mov_b32_e32 v16, v31
	s_waitcnt lgkmcnt(1)
	v_mul_f32_e32 v83, v68, v29
	v_fmac_f32_e32 v81, v67, v26
	v_add_f32_e32 v13, v3, v91
	v_fma_f32 v80, v66, v26, -v2
	v_mul_f32_e32 v2, v69, v29
	v_pk_mul_f32 v[16:17], v[70:71], v[16:17] op_sel:[1,0] op_sel_hi:[0,0]
	v_fmac_f32_e32 v83, v69, v28
	v_fma_f32 v82, v68, v28, -v2
	v_pk_add_f32 v[12:13], v[12:13], v[80:81]
	v_pk_fma_f32 v[18:19], v[70:71], v[30:31], v[16:17] neg_lo:[0,0,1] neg_hi:[0,0,1]
	v_pk_fma_f32 v[16:17], v[70:71], v[30:31], v[16:17] op_sel_hi:[1,0,1]
	v_pk_add_f32 v[12:13], v[12:13], v[82:83]
	v_mov_b32_e32 v19, v17
	s_waitcnt vmcnt(4) lgkmcnt(0)
	v_pk_mul_f32 v[16:17], v[72:73], v[32:33] op_sel:[1,1] op_sel_hi:[0,1]
	v_pk_add_f32 v[12:13], v[12:13], v[18:19]
	v_pk_fma_f32 v[18:19], v[72:73], v[32:33], v[16:17] neg_lo:[0,0,1] neg_hi:[0,0,1]
	v_pk_fma_f32 v[16:17], v[72:73], v[32:33], v[16:17] op_sel_hi:[1,0,1]
	ds_read2_b64 v[2:5], v6 offset0:63 offset1:64
	ds_read2_b64 v[8:11], v6 offset0:65 offset1:66
	ds_read_b64 v[14:15], v6 offset:536
	v_mov_b32_e32 v16, v35
	v_mov_b32_e32 v19, v17
	v_pk_mul_f32 v[16:17], v[74:75], v[16:17] op_sel:[1,0] op_sel_hi:[0,0]
	v_pk_add_f32 v[12:13], v[12:13], v[18:19]
	v_pk_fma_f32 v[18:19], v[74:75], v[34:35], v[16:17] neg_lo:[0,0,1] neg_hi:[0,0,1]
	v_pk_fma_f32 v[16:17], v[74:75], v[34:35], v[16:17] op_sel_hi:[1,0,1]
	s_nop 0
	v_mov_b32_e32 v19, v17
	s_waitcnt vmcnt(3) lgkmcnt(2)
	v_pk_mul_f32 v[16:17], v[2:3], v[36:37] op_sel:[1,1] op_sel_hi:[0,1]
	v_pk_add_f32 v[12:13], v[12:13], v[18:19]
	v_pk_fma_f32 v[18:19], v[2:3], v[36:37], v[16:17] neg_lo:[0,0,1] neg_hi:[0,0,1]
	v_pk_fma_f32 v[2:3], v[2:3], v[36:37], v[16:17] op_sel_hi:[1,0,1]
	s_nop 0
	v_mov_b32_e32 v19, v3
	v_pk_add_f32 v[2:3], v[12:13], v[18:19]
	v_mov_b32_e32 v12, v39
	v_pk_mul_f32 v[12:13], v[4:5], v[12:13] op_sel:[1,0] op_sel_hi:[0,0]
	v_pk_fma_f32 v[16:17], v[4:5], v[38:39], v[12:13] neg_lo:[0,0,1] neg_hi:[0,0,1]
	v_pk_fma_f32 v[4:5], v[4:5], v[38:39], v[12:13] op_sel_hi:[1,0,1]
	s_nop 0
	v_mov_b32_e32 v17, v5
	s_waitcnt vmcnt(2) lgkmcnt(1)
	v_pk_mul_f32 v[4:5], v[8:9], v[40:41] op_sel:[1,1] op_sel_hi:[0,1]
	v_pk_fma_f32 v[12:13], v[8:9], v[40:41], v[4:5] neg_lo:[0,0,1] neg_hi:[0,0,1]
	v_pk_fma_f32 v[4:5], v[8:9], v[40:41], v[4:5] op_sel_hi:[1,0,1]
	v_pk_add_f32 v[2:3], v[2:3], v[16:17]
	v_mov_b32_e32 v4, v43
	v_mov_b32_e32 v13, v5
	v_pk_mul_f32 v[4:5], v[10:11], v[4:5] op_sel:[1,0] op_sel_hi:[0,0]
	v_pk_fma_f32 v[8:9], v[10:11], v[42:43], v[4:5] neg_lo:[0,0,1] neg_hi:[0,0,1]
	v_pk_fma_f32 v[4:5], v[10:11], v[42:43], v[4:5] op_sel_hi:[1,0,1]
	v_pk_add_f32 v[2:3], v[2:3], v[12:13]
	v_mov_b32_e32 v9, v5
	s_waitcnt vmcnt(1) lgkmcnt(0)
	v_pk_mul_f32 v[4:5], v[14:15], v[76:77] op_sel:[1,1] op_sel_hi:[0,1]
	v_pk_add_f32 v[2:3], v[2:3], v[8:9]
	v_pk_fma_f32 v[8:9], v[14:15], v[76:77], v[4:5] neg_lo:[0,0,1] neg_hi:[0,0,1]
	v_pk_fma_f32 v[4:5], v[14:15], v[76:77], v[4:5] op_sel_hi:[1,0,1]
	s_nop 0
	v_mov_b32_e32 v9, v5
	v_pk_add_f32 v[2:3], v[2:3], v[8:9]
	s_waitcnt vmcnt(0)
	v_pk_add_f32 v[2:3], v[78:79], v[2:3] neg_lo:[0,1] neg_hi:[0,1]
	scratch_store_dwordx2 off, v[2:3], off offset:96
	s_and_saveexec_b64 s[0:1], vcc
	s_cbranch_execz .LBB97_195
; %bb.194:
	scratch_load_dwordx2 v[2:3], off, off offset:88
	v_mov_b32_e32 v7, v6
	scratch_store_dwordx2 off, v[6:7], off offset:88
	s_waitcnt vmcnt(1)
	ds_write_b64 v1, v[2:3]
.LBB97_195:
	s_or_b64 exec, exec, s[0:1]
	s_waitcnt lgkmcnt(0)
	; wave barrier
	scratch_load_dwordx4 v[8:11], off, off offset:96
	scratch_load_dwordx4 v[12:15], off, off offset:112
	;; [unrolled: 1-line block ×7, first 2 shown]
	ds_read_b128 v[36:39], v6 offset:368
	ds_read_b128 v[40:43], v6 offset:384
	;; [unrolled: 1-line block ×6, first 2 shown]
	scratch_load_dwordx4 v[60:63], off, off offset:208
	scratch_load_dwordx4 v[64:67], off, off offset:224
	;; [unrolled: 1-line block ×4, first 2 shown]
	ds_read_b128 v[72:75], v6 offset:464
	ds_read_b128 v[76:79], v6 offset:480
	scratch_load_dwordx2 v[80:81], off, off offset:88
	v_cmp_lt_u32_e32 vcc, 10, v0
	s_waitcnt vmcnt(11) lgkmcnt(7)
	v_mul_f32_e32 v7, v36, v9
	v_mul_f32_e32 v82, v38, v11
	;; [unrolled: 1-line block ×3, first 2 shown]
	v_fmac_f32_e32 v7, v37, v8
	s_waitcnt vmcnt(10) lgkmcnt(6)
	v_mul_f32_e32 v84, v40, v13
	v_mul_f32_e32 v11, v39, v11
	v_fmac_f32_e32 v82, v39, v10
	v_fma_f32 v8, v36, v8, -v9
	v_add_f32_e32 v7, 0, v7
	v_mul_f32_e32 v86, v42, v15
	v_mul_f32_e32 v13, v41, v13
	v_fmac_f32_e32 v84, v41, v12
	v_fma_f32 v9, v38, v10, -v11
	v_add_f32_e32 v8, 0, v8
	v_add_f32_e32 v7, v7, v82
	s_waitcnt vmcnt(9) lgkmcnt(5)
	v_mul_f32_e32 v87, v44, v17
	v_mul_f32_e32 v15, v43, v15
	v_fmac_f32_e32 v86, v43, v14
	v_fma_f32 v10, v40, v12, -v13
	v_add_f32_e32 v8, v8, v9
	v_add_f32_e32 v7, v7, v84
	v_mul_f32_e32 v88, v46, v19
	v_mul_f32_e32 v17, v45, v17
	v_fmac_f32_e32 v87, v45, v16
	v_fma_f32 v11, v42, v14, -v15
	v_add_f32_e32 v8, v8, v10
	v_add_f32_e32 v7, v7, v86
	s_waitcnt vmcnt(8) lgkmcnt(4)
	v_mul_f32_e32 v89, v48, v21
	v_mul_f32_e32 v19, v47, v19
	v_fmac_f32_e32 v88, v47, v18
	v_fma_f32 v12, v44, v16, -v17
	v_add_f32_e32 v8, v8, v11
	;; [unrolled: 13-line block ×4, first 2 shown]
	v_add_f32_e32 v7, v7, v91
	v_mul_f32_e32 v94, v58, v31
	v_mul_f32_e32 v29, v57, v29
	v_fmac_f32_e32 v93, v57, v28
	v_fma_f32 v17, v54, v26, -v27
	v_add_f32_e32 v8, v8, v16
	v_add_f32_e32 v7, v7, v92
	v_fmac_f32_e32 v94, v59, v30
	v_fma_f32 v18, v56, v28, -v29
	v_add_f32_e32 v8, v8, v17
	v_add_f32_e32 v7, v7, v93
	;; [unrolled: 1-line block ×4, first 2 shown]
	v_mul_f32_e32 v8, v59, v31
	v_fma_f32 v8, v58, v30, -v8
	s_waitcnt vmcnt(5) lgkmcnt(1)
	v_mul_f32_e32 v83, v72, v33
	v_add_f32_e32 v20, v7, v8
	v_mul_f32_e32 v7, v73, v33
	v_fmac_f32_e32 v83, v73, v32
	v_fma_f32 v82, v72, v32, -v7
	v_mul_f32_e32 v7, v75, v35
	v_fma_f32 v84, v74, v34, -v7
	ds_read_b128 v[8:11], v6 offset:496
	ds_read_b128 v[12:15], v6 offset:512
	;; [unrolled: 1-line block ×3, first 2 shown]
	v_pk_add_f32 v[6:7], v[20:21], v[82:83]
	s_waitcnt vmcnt(4) lgkmcnt(3)
	v_pk_mul_f32 v[20:21], v[76:77], v[60:61] op_sel:[1,1] op_sel_hi:[0,1]
	v_mul_f32_e32 v85, v74, v35
	v_pk_fma_f32 v[22:23], v[76:77], v[60:61], v[20:21] neg_lo:[0,0,1] neg_hi:[0,0,1]
	v_pk_fma_f32 v[20:21], v[76:77], v[60:61], v[20:21] op_sel_hi:[1,0,1]
	v_fmac_f32_e32 v85, v75, v34
	v_mov_b32_e32 v20, v63
	v_pk_add_f32 v[6:7], v[6:7], v[84:85]
	v_mov_b32_e32 v23, v21
	v_pk_mul_f32 v[20:21], v[78:79], v[20:21] op_sel:[1,0] op_sel_hi:[0,0]
	v_pk_add_f32 v[6:7], v[6:7], v[22:23]
	v_pk_fma_f32 v[22:23], v[78:79], v[62:63], v[20:21] neg_lo:[0,0,1] neg_hi:[0,0,1]
	v_pk_fma_f32 v[20:21], v[78:79], v[62:63], v[20:21] op_sel_hi:[1,0,1]
	s_nop 0
	v_mov_b32_e32 v23, v21
	s_waitcnt vmcnt(3) lgkmcnt(2)
	v_pk_mul_f32 v[20:21], v[8:9], v[64:65] op_sel:[1,1] op_sel_hi:[0,1]
	v_pk_add_f32 v[6:7], v[6:7], v[22:23]
	v_pk_fma_f32 v[22:23], v[8:9], v[64:65], v[20:21] neg_lo:[0,0,1] neg_hi:[0,0,1]
	v_pk_fma_f32 v[8:9], v[8:9], v[64:65], v[20:21] op_sel_hi:[1,0,1]
	s_nop 0
	v_mov_b32_e32 v8, v67
	v_mov_b32_e32 v23, v9
	v_pk_mul_f32 v[8:9], v[10:11], v[8:9] op_sel:[1,0] op_sel_hi:[0,0]
	v_pk_fma_f32 v[20:21], v[10:11], v[66:67], v[8:9] neg_lo:[0,0,1] neg_hi:[0,0,1]
	v_pk_fma_f32 v[8:9], v[10:11], v[66:67], v[8:9] op_sel_hi:[1,0,1]
	v_pk_add_f32 v[6:7], v[6:7], v[22:23]
	v_mov_b32_e32 v21, v9
	s_waitcnt vmcnt(2) lgkmcnt(1)
	v_pk_mul_f32 v[8:9], v[12:13], v[68:69] op_sel:[1,1] op_sel_hi:[0,1]
	v_pk_fma_f32 v[10:11], v[12:13], v[68:69], v[8:9] neg_lo:[0,0,1] neg_hi:[0,0,1]
	v_pk_fma_f32 v[8:9], v[12:13], v[68:69], v[8:9] op_sel_hi:[1,0,1]
	v_pk_add_f32 v[6:7], v[6:7], v[20:21]
	v_mov_b32_e32 v8, v71
	v_mov_b32_e32 v11, v9
	v_pk_mul_f32 v[8:9], v[14:15], v[8:9] op_sel:[1,0] op_sel_hi:[0,0]
	v_pk_add_f32 v[6:7], v[6:7], v[10:11]
	v_pk_fma_f32 v[10:11], v[14:15], v[70:71], v[8:9] neg_lo:[0,0,1] neg_hi:[0,0,1]
	v_pk_fma_f32 v[8:9], v[14:15], v[70:71], v[8:9] op_sel_hi:[1,0,1]
	s_nop 0
	v_mov_b32_e32 v11, v9
	s_waitcnt vmcnt(1) lgkmcnt(0)
	v_pk_mul_f32 v[8:9], v[16:17], v[2:3] op_sel:[1,1] op_sel_hi:[0,1]
	v_pk_add_f32 v[6:7], v[6:7], v[10:11]
	v_pk_fma_f32 v[10:11], v[16:17], v[2:3], v[8:9] neg_lo:[0,0,1] neg_hi:[0,0,1]
	v_pk_fma_f32 v[2:3], v[16:17], v[2:3], v[8:9] op_sel_hi:[1,0,1]
	s_nop 0
	v_mov_b32_e32 v11, v3
	v_pk_add_f32 v[2:3], v[6:7], v[10:11]
	v_mov_b32_e32 v6, v5
	v_pk_mul_f32 v[6:7], v[18:19], v[6:7] op_sel:[1,0] op_sel_hi:[0,0]
	v_pk_fma_f32 v[8:9], v[18:19], v[4:5], v[6:7] neg_lo:[0,0,1] neg_hi:[0,0,1]
	v_pk_fma_f32 v[4:5], v[18:19], v[4:5], v[6:7] op_sel_hi:[1,0,1]
	s_nop 0
	v_mov_b32_e32 v9, v5
	v_pk_add_f32 v[2:3], v[2:3], v[8:9]
	s_waitcnt vmcnt(0)
	v_pk_add_f32 v[2:3], v[80:81], v[2:3] neg_lo:[0,1] neg_hi:[0,1]
	scratch_store_dwordx2 off, v[2:3], off offset:88
	s_and_saveexec_b64 s[0:1], vcc
	s_cbranch_execz .LBB97_197
; %bb.196:
	scratch_load_dwordx2 v[2:3], off, off offset:80
	v_mov_b32_e32 v4, 0
	v_mov_b32_e32 v5, v4
	scratch_store_dwordx2 off, v[4:5], off offset:80
	s_waitcnt vmcnt(1)
	ds_write_b64 v1, v[2:3]
.LBB97_197:
	s_or_b64 exec, exec, s[0:1]
	s_waitcnt lgkmcnt(0)
	; wave barrier
	scratch_load_dwordx4 v[2:5], off, off offset:88
	scratch_load_dwordx4 v[14:17], off, off offset:104
	;; [unrolled: 1-line block ×11, first 2 shown]
	scratch_load_dwordx2 v[24:25], off, off offset:264
	scratch_load_dwordx2 v[82:83], off, off offset:80
	v_mov_b32_e32 v22, 0
	ds_read2_b64 v[50:53], v22 offset0:45 offset1:46
	ds_read2_b64 v[54:57], v22 offset0:47 offset1:48
	;; [unrolled: 1-line block ×8, first 2 shown]
	v_cmp_lt_u32_e32 vcc, 9, v0
	s_waitcnt vmcnt(12) lgkmcnt(7)
	v_mul_f32_e32 v23, v50, v3
	v_mul_f32_e32 v84, v52, v5
	;; [unrolled: 1-line block ×3, first 2 shown]
	v_fmac_f32_e32 v23, v51, v2
	s_waitcnt vmcnt(8) lgkmcnt(3)
	v_mul_f32_e32 v93, v66, v19
	v_mul_f32_e32 v19, v67, v19
	;; [unrolled: 1-line block ×4, first 2 shown]
	v_fmac_f32_e32 v84, v53, v4
	v_fmac_f32_e32 v93, v67, v18
	v_fma_f32 v2, v50, v2, -v3
	v_fma_f32 v18, v66, v18, -v19
	v_add_f32_e32 v19, 0, v23
	v_mul_f32_e32 v88, v56, v17
	v_fmac_f32_e32 v86, v55, v14
	v_fma_f32 v3, v52, v4, -v5
	v_add_f32_e32 v2, 0, v2
	v_add_f32_e32 v19, v19, v84
	v_mul_f32_e32 v89, v58, v27
	v_fmac_f32_e32 v88, v57, v16
	v_add_f32_e32 v2, v2, v3
	v_add_f32_e32 v3, v19, v86
	v_mul_f32_e32 v90, v60, v29
	v_fmac_f32_e32 v89, v59, v26
	v_add_f32_e32 v3, v3, v88
	v_mul_f32_e32 v91, v62, v31
	v_mul_f32_e32 v15, v55, v15
	v_fmac_f32_e32 v90, v61, v28
	v_add_f32_e32 v3, v3, v89
	v_mul_f32_e32 v92, v64, v33
	v_mul_f32_e32 v17, v57, v17
	v_fmac_f32_e32 v91, v63, v30
	v_fma_f32 v4, v54, v14, -v15
	v_add_f32_e32 v3, v3, v90
	v_mul_f32_e32 v27, v59, v27
	v_fmac_f32_e32 v92, v65, v32
	v_fma_f32 v5, v56, v16, -v17
	v_add_f32_e32 v2, v2, v4
	v_add_f32_e32 v3, v3, v91
	v_mul_f32_e32 v94, v68, v21
	v_mul_f32_e32 v29, v61, v29
	v_fma_f32 v14, v58, v26, -v27
	v_add_f32_e32 v2, v2, v5
	v_add_f32_e32 v3, v3, v92
	s_waitcnt vmcnt(7) lgkmcnt(2)
	v_mul_f32_e32 v95, v70, v35
	v_mul_f32_e32 v31, v63, v31
	v_fmac_f32_e32 v94, v69, v20
	v_fma_f32 v15, v60, v28, -v29
	v_add_f32_e32 v2, v2, v14
	v_add_f32_e32 v3, v3, v93
	v_mul_f32_e32 v96, v72, v37
	v_mul_f32_e32 v33, v65, v33
	v_fmac_f32_e32 v95, v71, v34
	v_fma_f32 v16, v62, v30, -v31
	v_add_f32_e32 v2, v2, v15
	v_add_f32_e32 v3, v3, v94
	s_waitcnt vmcnt(6) lgkmcnt(1)
	v_mul_f32_e32 v97, v74, v39
	v_fmac_f32_e32 v96, v73, v36
	v_fma_f32 v17, v64, v32, -v33
	v_add_f32_e32 v2, v2, v16
	v_add_f32_e32 v3, v3, v95
	v_mul_f32_e32 v21, v69, v21
	v_fmac_f32_e32 v97, v75, v38
	v_add_f32_e32 v2, v2, v17
	v_add_f32_e32 v3, v3, v96
	;; [unrolled: 1-line block ×4, first 2 shown]
	v_fma_f32 v3, v68, v20, -v21
	v_add_f32_e32 v2, v2, v3
	v_mul_f32_e32 v3, v71, v35
	v_fma_f32 v3, v70, v34, -v3
	v_add_f32_e32 v2, v2, v3
	v_mul_f32_e32 v3, v73, v37
	;; [unrolled: 3-line block ×4, first 2 shown]
	v_mul_f32_e32 v85, v76, v41
	v_fma_f32 v84, v76, v40, -v2
	s_waitcnt vmcnt(5) lgkmcnt(0)
	v_mul_f32_e32 v2, v79, v43
	v_mov_b32_e32 v30, v45
	v_mul_f32_e32 v87, v78, v43
	v_fmac_f32_e32 v85, v77, v40
	v_fma_f32 v86, v78, v42, -v2
	ds_read2_b64 v[2:5], v22 offset0:61 offset1:62
	ds_read2_b64 v[14:17], v22 offset0:63 offset1:64
	;; [unrolled: 1-line block ×3, first 2 shown]
	ds_read_b64 v[28:29], v22 offset:536
	v_pk_mul_f32 v[30:31], v[80:81], v[30:31] op_sel:[1,0] op_sel_hi:[0,0]
	v_fmac_f32_e32 v87, v79, v42
	v_pk_add_f32 v[26:27], v[26:27], v[84:85]
	v_pk_fma_f32 v[32:33], v[80:81], v[44:45], v[30:31] neg_lo:[0,0,1] neg_hi:[0,0,1]
	v_pk_fma_f32 v[30:31], v[80:81], v[44:45], v[30:31] op_sel_hi:[1,0,1]
	v_pk_add_f32 v[26:27], v[26:27], v[86:87]
	v_mov_b32_e32 v33, v31
	s_waitcnt vmcnt(4) lgkmcnt(3)
	v_pk_mul_f32 v[30:31], v[2:3], v[46:47] op_sel:[1,1] op_sel_hi:[0,1]
	v_pk_add_f32 v[26:27], v[26:27], v[32:33]
	v_pk_fma_f32 v[32:33], v[2:3], v[46:47], v[30:31] neg_lo:[0,0,1] neg_hi:[0,0,1]
	v_pk_fma_f32 v[2:3], v[2:3], v[46:47], v[30:31] op_sel_hi:[1,0,1]
	s_nop 0
	v_mov_b32_e32 v33, v3
	v_pk_add_f32 v[2:3], v[26:27], v[32:33]
	v_mov_b32_e32 v26, v49
	v_pk_mul_f32 v[26:27], v[4:5], v[26:27] op_sel:[1,0] op_sel_hi:[0,0]
	v_pk_fma_f32 v[30:31], v[4:5], v[48:49], v[26:27] neg_lo:[0,0,1] neg_hi:[0,0,1]
	v_pk_fma_f32 v[4:5], v[4:5], v[48:49], v[26:27] op_sel_hi:[1,0,1]
	s_nop 0
	v_mov_b32_e32 v31, v5
	s_waitcnt vmcnt(3) lgkmcnt(2)
	v_pk_mul_f32 v[4:5], v[14:15], v[10:11] op_sel:[1,1] op_sel_hi:[0,1]
	v_pk_fma_f32 v[26:27], v[14:15], v[10:11], v[4:5] neg_lo:[0,0,1] neg_hi:[0,0,1]
	v_pk_fma_f32 v[4:5], v[14:15], v[10:11], v[4:5] op_sel_hi:[1,0,1]
	v_pk_add_f32 v[2:3], v[2:3], v[30:31]
	v_mov_b32_e32 v4, v13
	v_mov_b32_e32 v27, v5
	v_pk_mul_f32 v[4:5], v[16:17], v[4:5] op_sel:[1,0] op_sel_hi:[0,0]
	v_pk_fma_f32 v[10:11], v[16:17], v[12:13], v[4:5] neg_lo:[0,0,1] neg_hi:[0,0,1]
	v_pk_fma_f32 v[4:5], v[16:17], v[12:13], v[4:5] op_sel_hi:[1,0,1]
	v_pk_add_f32 v[2:3], v[2:3], v[26:27]
	v_mov_b32_e32 v11, v5
	s_waitcnt vmcnt(2) lgkmcnt(1)
	v_pk_mul_f32 v[4:5], v[18:19], v[6:7] op_sel:[1,1] op_sel_hi:[0,1]
	v_pk_add_f32 v[2:3], v[2:3], v[10:11]
	v_pk_fma_f32 v[10:11], v[18:19], v[6:7], v[4:5] neg_lo:[0,0,1] neg_hi:[0,0,1]
	v_pk_fma_f32 v[4:5], v[18:19], v[6:7], v[4:5] op_sel_hi:[1,0,1]
	s_nop 0
	v_mov_b32_e32 v4, v9
	v_mov_b32_e32 v11, v5
	v_pk_mul_f32 v[4:5], v[20:21], v[4:5] op_sel:[1,0] op_sel_hi:[0,0]
	v_pk_fma_f32 v[6:7], v[20:21], v[8:9], v[4:5] neg_lo:[0,0,1] neg_hi:[0,0,1]
	v_pk_fma_f32 v[4:5], v[20:21], v[8:9], v[4:5] op_sel_hi:[1,0,1]
	v_pk_add_f32 v[2:3], v[2:3], v[10:11]
	v_mov_b32_e32 v7, v5
	s_waitcnt vmcnt(1) lgkmcnt(0)
	v_pk_mul_f32 v[4:5], v[28:29], v[24:25] op_sel:[1,1] op_sel_hi:[0,1]
	v_pk_add_f32 v[2:3], v[2:3], v[6:7]
	v_pk_fma_f32 v[6:7], v[28:29], v[24:25], v[4:5] neg_lo:[0,0,1] neg_hi:[0,0,1]
	v_pk_fma_f32 v[4:5], v[28:29], v[24:25], v[4:5] op_sel_hi:[1,0,1]
	s_nop 0
	v_mov_b32_e32 v7, v5
	v_pk_add_f32 v[2:3], v[2:3], v[6:7]
	s_waitcnt vmcnt(0)
	v_pk_add_f32 v[2:3], v[82:83], v[2:3] neg_lo:[0,1] neg_hi:[0,1]
	scratch_store_dwordx2 off, v[2:3], off offset:80
	s_and_saveexec_b64 s[0:1], vcc
	s_cbranch_execz .LBB97_199
; %bb.198:
	scratch_load_dwordx2 v[2:3], off, off offset:72
	v_mov_b32_e32 v23, v22
	scratch_store_dwordx2 off, v[22:23], off offset:72
	s_waitcnt vmcnt(1)
	ds_write_b64 v1, v[2:3]
.LBB97_199:
	s_or_b64 exec, exec, s[0:1]
	s_waitcnt lgkmcnt(0)
	; wave barrier
	ds_read_b128 v[2:5], v22 offset:352
	ds_read_b128 v[6:9], v22 offset:368
	;; [unrolled: 1-line block ×4, first 2 shown]
	scratch_load_dwordx4 v[18:21], off, off offset:80
	scratch_load_dwordx4 v[40:43], off, off offset:144
	v_cmp_lt_u32_e32 vcc, 8, v0
	scratch_load_dwordx4 v[48:51], off, off offset:160
	scratch_load_dwordx4 v[56:59], off, off offset:176
	;; [unrolled: 1-line block ×3, first 2 shown]
	s_waitcnt vmcnt(4) lgkmcnt(3)
	v_mul_f32_e32 v23, v2, v19
	v_fmac_f32_e32 v23, v3, v18
	v_mul_f32_e32 v24, v4, v21
	v_add_f32_e32 v23, 0, v23
	v_fmac_f32_e32 v24, v5, v20
	v_add_f32_e32 v23, v23, v24
	scratch_load_dwordx4 v[24:27], off, off offset:96
	v_mul_f32_e32 v3, v3, v19
	v_fma_f32 v2, v2, v18, -v3
	v_mul_f32_e32 v3, v5, v21
	v_add_f32_e32 v2, 0, v2
	v_fma_f32 v3, v4, v20, -v3
	v_add_f32_e32 v2, v2, v3
	s_waitcnt vmcnt(0) lgkmcnt(2)
	v_mul_f32_e32 v28, v6, v25
	v_fmac_f32_e32 v28, v7, v24
	v_add_f32_e32 v23, v23, v28
	v_mul_f32_e32 v28, v8, v27
	v_fmac_f32_e32 v28, v9, v26
	v_add_f32_e32 v23, v23, v28
	scratch_load_dwordx4 v[28:31], off, off offset:112
	v_mul_f32_e32 v3, v7, v25
	v_fma_f32 v3, v6, v24, -v3
	v_add_f32_e32 v2, v2, v3
	v_mul_f32_e32 v3, v9, v27
	v_fma_f32 v3, v8, v26, -v3
	v_add_f32_e32 v2, v2, v3
	s_waitcnt vmcnt(0) lgkmcnt(1)
	v_mul_f32_e32 v32, v10, v29
	v_fmac_f32_e32 v32, v11, v28
	v_add_f32_e32 v23, v23, v32
	v_mul_f32_e32 v32, v12, v31
	v_fmac_f32_e32 v32, v13, v30
	v_add_f32_e32 v23, v23, v32
	scratch_load_dwordx4 v[32:35], off, off offset:128
	v_mul_f32_e32 v3, v11, v29
	v_fma_f32 v3, v10, v28, -v3
	v_add_f32_e32 v2, v2, v3
	v_mul_f32_e32 v3, v13, v31
	v_fma_f32 v3, v12, v30, -v3
	v_add_f32_e32 v2, v2, v3
	s_waitcnt vmcnt(0) lgkmcnt(0)
	v_mul_f32_e32 v36, v14, v33
	v_fmac_f32_e32 v36, v15, v32
	v_add_f32_e32 v23, v23, v36
	v_mul_f32_e32 v36, v16, v35
	v_fmac_f32_e32 v36, v17, v34
	v_add_f32_e32 v23, v23, v36
	ds_read_b128 v[36:39], v22 offset:416
	v_mul_f32_e32 v3, v15, v33
	v_fma_f32 v3, v14, v32, -v3
	v_add_f32_e32 v2, v2, v3
	v_mul_f32_e32 v3, v17, v35
	s_waitcnt lgkmcnt(0)
	v_mul_f32_e32 v44, v36, v41
	v_fmac_f32_e32 v44, v37, v40
	v_add_f32_e32 v23, v23, v44
	v_mul_f32_e32 v44, v38, v43
	v_fmac_f32_e32 v44, v39, v42
	v_add_f32_e32 v23, v23, v44
	ds_read_b128 v[44:47], v22 offset:432
	v_fma_f32 v3, v16, v34, -v3
	v_add_f32_e32 v2, v2, v3
	v_mul_f32_e32 v3, v37, v41
	v_fma_f32 v3, v36, v40, -v3
	s_waitcnt lgkmcnt(0)
	v_mul_f32_e32 v52, v44, v49
	v_fmac_f32_e32 v52, v45, v48
	v_add_f32_e32 v23, v23, v52
	v_mul_f32_e32 v52, v46, v51
	v_fmac_f32_e32 v52, v47, v50
	v_add_f32_e32 v23, v23, v52
	ds_read_b128 v[52:55], v22 offset:448
	v_add_f32_e32 v2, v2, v3
	v_mul_f32_e32 v3, v39, v43
	v_fma_f32 v3, v38, v42, -v3
	v_add_f32_e32 v2, v2, v3
	s_waitcnt lgkmcnt(0)
	v_mul_f32_e32 v60, v52, v57
	v_fmac_f32_e32 v60, v53, v56
	v_add_f32_e32 v23, v23, v60
	v_mul_f32_e32 v60, v54, v59
	v_fmac_f32_e32 v60, v55, v58
	v_add_f32_e32 v85, v23, v60
	ds_read_b128 v[60:63], v22 offset:464
	scratch_load_dwordx4 v[68:71], off, off offset:208
	scratch_load_dwordx4 v[72:75], off, off offset:224
	;; [unrolled: 1-line block ×4, first 2 shown]
	v_mul_f32_e32 v3, v45, v49
	v_fma_f32 v3, v44, v48, -v3
	v_add_f32_e32 v2, v2, v3
	v_mul_f32_e32 v3, v47, v51
	v_fma_f32 v3, v46, v50, -v3
	v_add_f32_e32 v2, v2, v3
	;; [unrolled: 3-line block ×4, first 2 shown]
	s_waitcnt lgkmcnt(0)
	v_mul_f32_e32 v2, v61, v65
	v_fma_f32 v86, v60, v64, -v2
	v_mul_f32_e32 v2, v63, v67
	v_fma_f32 v88, v62, v66, -v2
	ds_read_b128 v[2:5], v22 offset:480
	ds_read_b128 v[6:9], v22 offset:496
	;; [unrolled: 1-line block ×4, first 2 shown]
	v_mul_f32_e32 v87, v60, v65
	v_fmac_f32_e32 v87, v61, v64
	v_mul_f32_e32 v89, v62, v67
	v_fmac_f32_e32 v89, v63, v66
	v_pk_add_f32 v[18:19], v[84:85], v[86:87]
	s_waitcnt vmcnt(3) lgkmcnt(3)
	v_pk_mul_f32 v[20:21], v[2:3], v[68:69] op_sel:[1,1] op_sel_hi:[0,1]
	v_pk_fma_f32 v[22:23], v[2:3], v[68:69], v[20:21] neg_lo:[0,0,1] neg_hi:[0,0,1]
	v_pk_fma_f32 v[2:3], v[2:3], v[68:69], v[20:21] op_sel_hi:[1,0,1]
	v_pk_add_f32 v[18:19], v[18:19], v[88:89]
	v_mov_b32_e32 v23, v3
	v_pk_add_f32 v[2:3], v[18:19], v[22:23]
	v_mov_b32_e32 v18, v71
	v_pk_mul_f32 v[18:19], v[4:5], v[18:19] op_sel:[1,0] op_sel_hi:[0,0]
	v_pk_fma_f32 v[20:21], v[4:5], v[70:71], v[18:19] neg_lo:[0,0,1] neg_hi:[0,0,1]
	v_pk_fma_f32 v[4:5], v[4:5], v[70:71], v[18:19] op_sel_hi:[1,0,1]
	s_nop 0
	v_mov_b32_e32 v21, v5
	s_waitcnt vmcnt(2) lgkmcnt(2)
	v_pk_mul_f32 v[4:5], v[6:7], v[72:73] op_sel:[1,1] op_sel_hi:[0,1]
	v_pk_fma_f32 v[18:19], v[6:7], v[72:73], v[4:5] neg_lo:[0,0,1] neg_hi:[0,0,1]
	v_pk_fma_f32 v[4:5], v[6:7], v[72:73], v[4:5] op_sel_hi:[1,0,1]
	v_pk_add_f32 v[2:3], v[2:3], v[20:21]
	v_mov_b32_e32 v4, v75
	v_mov_b32_e32 v19, v5
	v_pk_mul_f32 v[4:5], v[8:9], v[4:5] op_sel:[1,0] op_sel_hi:[0,0]
	v_pk_fma_f32 v[6:7], v[8:9], v[74:75], v[4:5] neg_lo:[0,0,1] neg_hi:[0,0,1]
	v_pk_fma_f32 v[4:5], v[8:9], v[74:75], v[4:5] op_sel_hi:[1,0,1]
	v_pk_add_f32 v[2:3], v[2:3], v[18:19]
	v_mov_b32_e32 v7, v5
	s_waitcnt vmcnt(1) lgkmcnt(1)
	v_pk_mul_f32 v[4:5], v[10:11], v[76:77] op_sel:[1,1] op_sel_hi:[0,1]
	v_pk_add_f32 v[2:3], v[2:3], v[6:7]
	v_pk_fma_f32 v[6:7], v[10:11], v[76:77], v[4:5] neg_lo:[0,0,1] neg_hi:[0,0,1]
	v_pk_fma_f32 v[4:5], v[10:11], v[76:77], v[4:5] op_sel_hi:[1,0,1]
	s_nop 0
	v_mov_b32_e32 v4, v79
	v_mov_b32_e32 v7, v5
	v_pk_mul_f32 v[4:5], v[12:13], v[4:5] op_sel:[1,0] op_sel_hi:[0,0]
	v_pk_add_f32 v[2:3], v[2:3], v[6:7]
	v_pk_fma_f32 v[6:7], v[12:13], v[78:79], v[4:5] neg_lo:[0,0,1] neg_hi:[0,0,1]
	v_pk_fma_f32 v[4:5], v[12:13], v[78:79], v[4:5] op_sel_hi:[1,0,1]
	s_nop 0
	v_mov_b32_e32 v7, v5
	s_waitcnt vmcnt(0) lgkmcnt(0)
	v_pk_mul_f32 v[4:5], v[14:15], v[80:81] op_sel:[1,1] op_sel_hi:[0,1]
	v_pk_add_f32 v[2:3], v[2:3], v[6:7]
	v_pk_fma_f32 v[6:7], v[14:15], v[80:81], v[4:5] neg_lo:[0,0,1] neg_hi:[0,0,1]
	v_pk_fma_f32 v[4:5], v[14:15], v[80:81], v[4:5] op_sel_hi:[1,0,1]
	s_nop 0
	v_mov_b32_e32 v4, v83
	v_mov_b32_e32 v7, v5
	v_pk_mul_f32 v[4:5], v[16:17], v[4:5] op_sel:[1,0] op_sel_hi:[0,0]
	v_pk_add_f32 v[2:3], v[2:3], v[6:7]
	v_pk_fma_f32 v[6:7], v[16:17], v[82:83], v[4:5] neg_lo:[0,0,1] neg_hi:[0,0,1]
	v_pk_fma_f32 v[4:5], v[16:17], v[82:83], v[4:5] op_sel_hi:[1,0,1]
	s_nop 0
	v_mov_b32_e32 v7, v5
	scratch_load_dwordx2 v[4:5], off, off offset:72
	v_pk_add_f32 v[2:3], v[2:3], v[6:7]
	s_waitcnt vmcnt(0)
	v_pk_add_f32 v[2:3], v[4:5], v[2:3] neg_lo:[0,1] neg_hi:[0,1]
	scratch_store_dwordx2 off, v[2:3], off offset:72
	s_and_saveexec_b64 s[0:1], vcc
	s_cbranch_execz .LBB97_201
; %bb.200:
	scratch_load_dwordx2 v[2:3], off, off offset:64
	v_mov_b32_e32 v4, 0
	v_mov_b32_e32 v5, v4
	scratch_store_dwordx2 off, v[4:5], off offset:64
	s_waitcnt vmcnt(1)
	ds_write_b64 v1, v[2:3]
.LBB97_201:
	s_or_b64 exec, exec, s[0:1]
	s_waitcnt lgkmcnt(0)
	; wave barrier
	scratch_load_dwordx4 v[8:11], off, off offset:72
	scratch_load_dwordx4 v[16:19], off, off offset:88
	;; [unrolled: 1-line block ×8, first 2 shown]
	v_mov_b32_e32 v2, 0
	ds_read2_b64 v[4:7], v2 offset0:43 offset1:44
	scratch_load_dwordx4 v[72:75], off, off offset:200
	v_cmp_lt_u32_e32 vcc, 7, v0
	s_waitcnt vmcnt(8) lgkmcnt(0)
	v_mul_f32_e32 v3, v4, v9
	v_fmac_f32_e32 v3, v5, v8
	v_mul_f32_e32 v12, v6, v11
	v_add_f32_e32 v3, 0, v3
	v_fmac_f32_e32 v12, v7, v10
	v_add_f32_e32 v3, v3, v12
	ds_read2_b64 v[12:15], v2 offset0:45 offset1:46
	s_waitcnt vmcnt(7) lgkmcnt(0)
	v_mul_f32_e32 v20, v12, v17
	v_fmac_f32_e32 v20, v13, v16
	v_add_f32_e32 v3, v3, v20
	v_mul_f32_e32 v20, v14, v19
	v_fmac_f32_e32 v20, v15, v18
	v_add_f32_e32 v3, v3, v20
	ds_read2_b64 v[20:23], v2 offset0:47 offset1:48
	s_waitcnt vmcnt(6) lgkmcnt(0)
	v_mul_f32_e32 v28, v20, v25
	v_fmac_f32_e32 v28, v21, v24
	v_add_f32_e32 v3, v3, v28
	v_mul_f32_e32 v28, v22, v27
	;; [unrolled: 8-line block ×6, first 2 shown]
	v_fmac_f32_e32 v60, v55, v58
	v_add_f32_e32 v3, v3, v60
	ds_read2_b64 v[60:63], v2 offset0:57 offset1:58
	s_waitcnt vmcnt(1) lgkmcnt(0)
	v_mul_f32_e32 v68, v60, v65
	v_fmac_f32_e32 v68, v61, v64
	v_add_f32_e32 v89, v3, v68
	ds_read2_b64 v[68:71], v2 offset0:59 offset1:60
	scratch_load_dwordx4 v[76:79], off, off offset:216
	scratch_load_dwordx4 v[80:83], off, off offset:232
	;; [unrolled: 1-line block ×3, first 2 shown]
	scratch_load_dwordx2 v[94:95], off, off offset:264
	v_mul_f32_e32 v3, v5, v9
	v_fma_f32 v3, v4, v8, -v3
	v_mul_f32_e32 v4, v7, v11
	v_add_f32_e32 v3, 0, v3
	v_fma_f32 v4, v6, v10, -v4
	v_add_f32_e32 v3, v3, v4
	v_mul_f32_e32 v4, v13, v17
	v_fma_f32 v4, v12, v16, -v4
	v_add_f32_e32 v3, v3, v4
	v_mul_f32_e32 v4, v15, v19
	;; [unrolled: 3-line block ×13, first 2 shown]
	v_fma_f32 v4, v60, v64, -v4
	v_mul_f32_e32 v91, v62, v67
	v_add_f32_e32 v88, v3, v4
	v_mul_f32_e32 v3, v63, v67
	s_waitcnt vmcnt(4)
	v_mov_b32_e32 v20, v75
	v_fmac_f32_e32 v91, v63, v66
	s_waitcnt lgkmcnt(0)
	v_mul_f32_e32 v93, v68, v73
	v_fma_f32 v90, v62, v66, -v3
	v_mul_f32_e32 v3, v69, v73
	ds_read2_b64 v[4:7], v2 offset0:61 offset1:62
	ds_read2_b64 v[8:11], v2 offset0:63 offset1:64
	;; [unrolled: 1-line block ×3, first 2 shown]
	ds_read_b64 v[16:17], v2 offset:536
	v_pk_mul_f32 v[20:21], v[70:71], v[20:21] op_sel:[1,0] op_sel_hi:[0,0]
	v_fmac_f32_e32 v93, v69, v72
	v_fma_f32 v92, v68, v72, -v3
	v_pk_add_f32 v[18:19], v[88:89], v[90:91]
	v_pk_fma_f32 v[22:23], v[70:71], v[74:75], v[20:21] neg_lo:[0,0,1] neg_hi:[0,0,1]
	v_pk_fma_f32 v[20:21], v[70:71], v[74:75], v[20:21] op_sel_hi:[1,0,1]
	v_pk_add_f32 v[18:19], v[18:19], v[92:93]
	v_mov_b32_e32 v23, v21
	v_pk_add_f32 v[18:19], v[18:19], v[22:23]
	s_waitcnt vmcnt(3) lgkmcnt(3)
	v_pk_mul_f32 v[20:21], v[4:5], v[76:77] op_sel:[1,1] op_sel_hi:[0,1]
	v_pk_fma_f32 v[22:23], v[4:5], v[76:77], v[20:21] neg_lo:[0,0,1] neg_hi:[0,0,1]
	v_pk_fma_f32 v[4:5], v[4:5], v[76:77], v[20:21] op_sel_hi:[1,0,1]
	s_nop 0
	v_mov_b32_e32 v23, v5
	v_pk_add_f32 v[4:5], v[18:19], v[22:23]
	v_mov_b32_e32 v18, v79
	v_pk_mul_f32 v[18:19], v[6:7], v[18:19] op_sel:[1,0] op_sel_hi:[0,0]
	v_pk_fma_f32 v[20:21], v[6:7], v[78:79], v[18:19] neg_lo:[0,0,1] neg_hi:[0,0,1]
	v_pk_fma_f32 v[6:7], v[6:7], v[78:79], v[18:19] op_sel_hi:[1,0,1]
	s_nop 0
	v_mov_b32_e32 v21, v7
	s_waitcnt vmcnt(2) lgkmcnt(2)
	v_pk_mul_f32 v[6:7], v[8:9], v[80:81] op_sel:[1,1] op_sel_hi:[0,1]
	v_pk_fma_f32 v[18:19], v[8:9], v[80:81], v[6:7] neg_lo:[0,0,1] neg_hi:[0,0,1]
	v_pk_fma_f32 v[6:7], v[8:9], v[80:81], v[6:7] op_sel_hi:[1,0,1]
	v_pk_add_f32 v[4:5], v[4:5], v[20:21]
	v_mov_b32_e32 v6, v83
	v_mov_b32_e32 v19, v7
	v_pk_mul_f32 v[6:7], v[10:11], v[6:7] op_sel:[1,0] op_sel_hi:[0,0]
	v_pk_fma_f32 v[8:9], v[10:11], v[82:83], v[6:7] neg_lo:[0,0,1] neg_hi:[0,0,1]
	v_pk_fma_f32 v[6:7], v[10:11], v[82:83], v[6:7] op_sel_hi:[1,0,1]
	v_pk_add_f32 v[4:5], v[4:5], v[18:19]
	v_mov_b32_e32 v9, v7
	s_waitcnt vmcnt(1) lgkmcnt(1)
	v_pk_mul_f32 v[6:7], v[12:13], v[84:85] op_sel:[1,1] op_sel_hi:[0,1]
	v_pk_add_f32 v[4:5], v[4:5], v[8:9]
	v_pk_fma_f32 v[8:9], v[12:13], v[84:85], v[6:7] neg_lo:[0,0,1] neg_hi:[0,0,1]
	v_pk_fma_f32 v[6:7], v[12:13], v[84:85], v[6:7] op_sel_hi:[1,0,1]
	s_nop 0
	v_mov_b32_e32 v6, v87
	v_mov_b32_e32 v9, v7
	v_pk_mul_f32 v[6:7], v[14:15], v[6:7] op_sel:[1,0] op_sel_hi:[0,0]
	v_pk_add_f32 v[4:5], v[4:5], v[8:9]
	v_pk_fma_f32 v[8:9], v[14:15], v[86:87], v[6:7] neg_lo:[0,0,1] neg_hi:[0,0,1]
	v_pk_fma_f32 v[6:7], v[14:15], v[86:87], v[6:7] op_sel_hi:[1,0,1]
	s_nop 0
	v_mov_b32_e32 v9, v7
	s_waitcnt vmcnt(0) lgkmcnt(0)
	v_pk_mul_f32 v[6:7], v[16:17], v[94:95] op_sel:[1,1] op_sel_hi:[0,1]
	v_pk_add_f32 v[4:5], v[4:5], v[8:9]
	v_pk_fma_f32 v[8:9], v[16:17], v[94:95], v[6:7] neg_lo:[0,0,1] neg_hi:[0,0,1]
	v_pk_fma_f32 v[6:7], v[16:17], v[94:95], v[6:7] op_sel_hi:[1,0,1]
	s_nop 0
	v_mov_b32_e32 v9, v7
	scratch_load_dwordx2 v[6:7], off, off offset:64
	v_pk_add_f32 v[4:5], v[4:5], v[8:9]
	s_waitcnt vmcnt(0)
	v_pk_add_f32 v[4:5], v[6:7], v[4:5] neg_lo:[0,1] neg_hi:[0,1]
	scratch_store_dwordx2 off, v[4:5], off offset:64
	s_and_saveexec_b64 s[0:1], vcc
	s_cbranch_execz .LBB97_203
; %bb.202:
	scratch_load_dwordx2 v[4:5], off, off offset:56
	v_mov_b32_e32 v3, v2
	scratch_store_dwordx2 off, v[2:3], off offset:56
	s_waitcnt vmcnt(1)
	ds_write_b64 v1, v[4:5]
.LBB97_203:
	s_or_b64 exec, exec, s[0:1]
	s_waitcnt lgkmcnt(0)
	; wave barrier
	ds_read_b128 v[4:7], v2 offset:336
	ds_read_b128 v[8:11], v2 offset:352
	;; [unrolled: 1-line block ×4, first 2 shown]
	scratch_load_dwordx4 v[20:23], off, off offset:64
	scratch_load_dwordx4 v[40:43], off, off offset:128
	;; [unrolled: 1-line block ×3, first 2 shown]
	v_cmp_lt_u32_e32 vcc, 6, v0
	scratch_load_dwordx4 v[48:51], off, off offset:144
	scratch_load_dwordx4 v[56:59], off, off offset:160
	scratch_load_dwordx4 v[64:67], off, off offset:176
	s_waitcnt vmcnt(5) lgkmcnt(3)
	v_mul_f32_e32 v3, v4, v21
	v_fmac_f32_e32 v3, v5, v20
	v_mul_f32_e32 v24, v6, v23
	v_add_f32_e32 v3, 0, v3
	v_fmac_f32_e32 v24, v7, v22
	v_add_f32_e32 v3, v3, v24
	scratch_load_dwordx4 v[24:27], off, off offset:80
	s_waitcnt vmcnt(0) lgkmcnt(2)
	v_mul_f32_e32 v28, v8, v25
	v_fmac_f32_e32 v28, v9, v24
	v_add_f32_e32 v3, v3, v28
	v_mul_f32_e32 v28, v10, v27
	v_fmac_f32_e32 v28, v11, v26
	v_add_f32_e32 v3, v3, v28
	scratch_load_dwordx4 v[28:31], off, off offset:96
	s_waitcnt vmcnt(0) lgkmcnt(1)
	v_mul_f32_e32 v32, v12, v29
	v_fmac_f32_e32 v32, v13, v28
	v_add_f32_e32 v3, v3, v32
	v_mul_f32_e32 v32, v14, v31
	v_fmac_f32_e32 v32, v15, v30
	v_add_f32_e32 v3, v3, v32
	scratch_load_dwordx4 v[32:35], off, off offset:112
	s_waitcnt vmcnt(0) lgkmcnt(0)
	v_mul_f32_e32 v36, v16, v33
	v_fmac_f32_e32 v36, v17, v32
	v_add_f32_e32 v3, v3, v36
	v_mul_f32_e32 v36, v18, v35
	v_fmac_f32_e32 v36, v19, v34
	v_add_f32_e32 v3, v3, v36
	ds_read_b128 v[36:39], v2 offset:400
	s_waitcnt lgkmcnt(0)
	v_mul_f32_e32 v44, v36, v41
	v_fmac_f32_e32 v44, v37, v40
	v_add_f32_e32 v3, v3, v44
	v_mul_f32_e32 v44, v38, v43
	v_fmac_f32_e32 v44, v39, v42
	v_add_f32_e32 v3, v3, v44
	ds_read_b128 v[44:47], v2 offset:416
	s_waitcnt lgkmcnt(0)
	v_mul_f32_e32 v52, v44, v49
	v_fmac_f32_e32 v52, v45, v48
	v_add_f32_e32 v3, v3, v52
	v_mul_f32_e32 v52, v46, v51
	;; [unrolled: 8-line block ×4, first 2 shown]
	v_fmac_f32_e32 v68, v63, v66
	v_add_f32_e32 v93, v3, v68
	ds_read_b128 v[68:71], v2 offset:464
	scratch_load_dwordx4 v[76:79], off, off offset:208
	scratch_load_dwordx4 v[80:83], off, off offset:224
	;; [unrolled: 1-line block ×4, first 2 shown]
	v_mul_f32_e32 v3, v5, v21
	v_fma_f32 v3, v4, v20, -v3
	v_mul_f32_e32 v4, v7, v23
	v_add_f32_e32 v3, 0, v3
	v_fma_f32 v4, v6, v22, -v4
	v_add_f32_e32 v3, v3, v4
	v_mul_f32_e32 v4, v9, v25
	v_fma_f32 v4, v8, v24, -v4
	v_add_f32_e32 v3, v3, v4
	v_mul_f32_e32 v4, v11, v27
	;; [unrolled: 3-line block ×14, first 2 shown]
	v_fma_f32 v4, v62, v66, -v4
	v_add_f32_e32 v92, v3, v4
	ds_read_b128 v[4:7], v2 offset:480
	ds_read_b128 v[8:11], v2 offset:496
	;; [unrolled: 1-line block ×4, first 2 shown]
	s_waitcnt lgkmcnt(4)
	v_mul_f32_e32 v95, v68, v73
	v_mul_f32_e32 v3, v69, v73
	v_fmac_f32_e32 v95, v69, v72
	v_mul_f32_e32 v97, v70, v75
	v_fma_f32 v94, v68, v72, -v3
	v_mul_f32_e32 v3, v71, v75
	v_fmac_f32_e32 v97, v71, v74
	v_fma_f32 v96, v70, v74, -v3
	v_pk_add_f32 v[2:3], v[92:93], v[94:95]
	s_waitcnt vmcnt(3) lgkmcnt(3)
	v_pk_mul_f32 v[20:21], v[4:5], v[76:77] op_sel:[1,1] op_sel_hi:[0,1]
	v_pk_fma_f32 v[22:23], v[4:5], v[76:77], v[20:21] neg_lo:[0,0,1] neg_hi:[0,0,1]
	v_pk_fma_f32 v[4:5], v[4:5], v[76:77], v[20:21] op_sel_hi:[1,0,1]
	v_pk_add_f32 v[2:3], v[2:3], v[96:97]
	v_mov_b32_e32 v4, v79
	v_mov_b32_e32 v23, v5
	v_pk_mul_f32 v[4:5], v[6:7], v[4:5] op_sel:[1,0] op_sel_hi:[0,0]
	v_pk_fma_f32 v[20:21], v[6:7], v[78:79], v[4:5] neg_lo:[0,0,1] neg_hi:[0,0,1]
	v_pk_fma_f32 v[4:5], v[6:7], v[78:79], v[4:5] op_sel_hi:[1,0,1]
	v_pk_add_f32 v[2:3], v[2:3], v[22:23]
	v_mov_b32_e32 v21, v5
	s_waitcnt vmcnt(2) lgkmcnt(2)
	v_pk_mul_f32 v[4:5], v[8:9], v[80:81] op_sel:[1,1] op_sel_hi:[0,1]
	v_pk_fma_f32 v[6:7], v[8:9], v[80:81], v[4:5] neg_lo:[0,0,1] neg_hi:[0,0,1]
	v_pk_fma_f32 v[4:5], v[8:9], v[80:81], v[4:5] op_sel_hi:[1,0,1]
	v_pk_add_f32 v[2:3], v[2:3], v[20:21]
	v_mov_b32_e32 v4, v83
	v_mov_b32_e32 v7, v5
	v_pk_mul_f32 v[4:5], v[10:11], v[4:5] op_sel:[1,0] op_sel_hi:[0,0]
	v_pk_add_f32 v[2:3], v[2:3], v[6:7]
	v_pk_fma_f32 v[6:7], v[10:11], v[82:83], v[4:5] neg_lo:[0,0,1] neg_hi:[0,0,1]
	v_pk_fma_f32 v[4:5], v[10:11], v[82:83], v[4:5] op_sel_hi:[1,0,1]
	s_nop 0
	v_mov_b32_e32 v7, v5
	s_waitcnt vmcnt(1) lgkmcnt(1)
	v_pk_mul_f32 v[4:5], v[12:13], v[84:85] op_sel:[1,1] op_sel_hi:[0,1]
	v_pk_add_f32 v[2:3], v[2:3], v[6:7]
	v_pk_fma_f32 v[6:7], v[12:13], v[84:85], v[4:5] neg_lo:[0,0,1] neg_hi:[0,0,1]
	v_pk_fma_f32 v[4:5], v[12:13], v[84:85], v[4:5] op_sel_hi:[1,0,1]
	s_nop 0
	v_mov_b32_e32 v4, v87
	v_mov_b32_e32 v7, v5
	v_pk_mul_f32 v[4:5], v[14:15], v[4:5] op_sel:[1,0] op_sel_hi:[0,0]
	v_pk_add_f32 v[2:3], v[2:3], v[6:7]
	v_pk_fma_f32 v[6:7], v[14:15], v[86:87], v[4:5] neg_lo:[0,0,1] neg_hi:[0,0,1]
	v_pk_fma_f32 v[4:5], v[14:15], v[86:87], v[4:5] op_sel_hi:[1,0,1]
	s_nop 0
	v_mov_b32_e32 v7, v5
	s_waitcnt vmcnt(0) lgkmcnt(0)
	v_pk_mul_f32 v[4:5], v[16:17], v[88:89] op_sel:[1,1] op_sel_hi:[0,1]
	v_pk_add_f32 v[2:3], v[2:3], v[6:7]
	v_pk_fma_f32 v[6:7], v[16:17], v[88:89], v[4:5] neg_lo:[0,0,1] neg_hi:[0,0,1]
	v_pk_fma_f32 v[4:5], v[16:17], v[88:89], v[4:5] op_sel_hi:[1,0,1]
	s_nop 0
	v_mov_b32_e32 v4, v91
	v_mov_b32_e32 v7, v5
	v_pk_mul_f32 v[4:5], v[18:19], v[4:5] op_sel:[1,0] op_sel_hi:[0,0]
	v_pk_add_f32 v[2:3], v[2:3], v[6:7]
	v_pk_fma_f32 v[6:7], v[18:19], v[90:91], v[4:5] neg_lo:[0,0,1] neg_hi:[0,0,1]
	v_pk_fma_f32 v[4:5], v[18:19], v[90:91], v[4:5] op_sel_hi:[1,0,1]
	s_nop 0
	v_mov_b32_e32 v7, v5
	scratch_load_dwordx2 v[4:5], off, off offset:56
	v_pk_add_f32 v[2:3], v[2:3], v[6:7]
	s_waitcnt vmcnt(0)
	v_pk_add_f32 v[2:3], v[4:5], v[2:3] neg_lo:[0,1] neg_hi:[0,1]
	scratch_store_dwordx2 off, v[2:3], off offset:56
	s_and_saveexec_b64 s[0:1], vcc
	s_cbranch_execz .LBB97_205
; %bb.204:
	scratch_load_dwordx2 v[2:3], off, off offset:48
	v_mov_b32_e32 v4, 0
	v_mov_b32_e32 v5, v4
	scratch_store_dwordx2 off, v[4:5], off offset:48
	s_waitcnt vmcnt(1)
	ds_write_b64 v1, v[2:3]
.LBB97_205:
	s_or_b64 exec, exec, s[0:1]
	s_waitcnt lgkmcnt(0)
	; wave barrier
	scratch_load_dwordx4 v[10:13], off, off offset:56
	scratch_load_dwordx4 v[30:33], off, off offset:72
	;; [unrolled: 1-line block ×13, first 2 shown]
	scratch_load_dwordx2 v[54:55], off, off offset:264
	scratch_load_dwordx2 v[80:81], off, off offset:48
	v_mov_b32_e32 v82, 0
	ds_read2_b64 v[56:59], v82 offset0:41 offset1:42
	ds_read2_b64 v[60:63], v82 offset0:43 offset1:44
	;; [unrolled: 1-line block ×10, first 2 shown]
	v_cmp_lt_u32_e32 vcc, 5, v0
	s_waitcnt vmcnt(14) lgkmcnt(9)
	v_mul_f32_e32 v83, v56, v11
	v_mul_f32_e32 v100, v58, v13
	s_waitcnt vmcnt(12) lgkmcnt(7)
	v_mul_f32_e32 v105, v64, v3
	v_mul_f32_e32 v3, v65, v3
	v_fmac_f32_e32 v83, v57, v10
	v_mul_f32_e32 v102, v60, v31
	v_fmac_f32_e32 v100, v59, v12
	v_fmac_f32_e32 v105, v65, v2
	v_fma_f32 v2, v64, v2, -v3
	v_add_f32_e32 v3, 0, v83
	v_mul_f32_e32 v104, v62, v33
	v_fmac_f32_e32 v102, v61, v30
	v_add_f32_e32 v3, v3, v100
	v_fmac_f32_e32 v104, v63, v32
	v_add_f32_e32 v3, v3, v102
	v_mul_f32_e32 v106, v66, v5
	v_add_f32_e32 v3, v3, v104
	s_waitcnt vmcnt(11) lgkmcnt(6)
	v_mul_f32_e32 v107, v68, v7
	v_fmac_f32_e32 v106, v67, v4
	v_add_f32_e32 v3, v3, v105
	v_mul_f32_e32 v108, v70, v9
	v_fmac_f32_e32 v107, v69, v6
	v_add_f32_e32 v3, v3, v106
	s_waitcnt vmcnt(10) lgkmcnt(5)
	v_mul_f32_e32 v109, v72, v19
	v_fmac_f32_e32 v108, v71, v8
	v_add_f32_e32 v3, v3, v107
	v_mul_f32_e32 v110, v74, v21
	v_fmac_f32_e32 v109, v73, v18
	;; [unrolled: 7-line block ×3, first 2 shown]
	v_add_f32_e32 v3, v3, v110
	s_waitcnt vmcnt(8) lgkmcnt(3)
	v_mul_f32_e32 v113, v84, v35
	v_mul_f32_e32 v11, v57, v11
	v_fmac_f32_e32 v112, v79, v24
	v_add_f32_e32 v3, v3, v111
	v_mul_f32_e32 v182, v86, v37
	v_mul_f32_e32 v13, v59, v13
	v_fmac_f32_e32 v113, v85, v34
	v_fma_f32 v10, v56, v10, -v11
	v_add_f32_e32 v3, v3, v112
	s_waitcnt vmcnt(7) lgkmcnt(2)
	v_mul_f32_e32 v183, v88, v39
	v_mul_f32_e32 v31, v61, v31
	v_fmac_f32_e32 v182, v87, v36
	v_fma_f32 v11, v58, v12, -v13
	v_add_f32_e32 v10, 0, v10
	v_add_f32_e32 v3, v3, v113
	v_mul_f32_e32 v184, v90, v41
	v_mul_f32_e32 v33, v63, v33
	v_fmac_f32_e32 v183, v89, v38
	v_fma_f32 v12, v60, v30, -v31
	v_add_f32_e32 v10, v10, v11
	v_add_f32_e32 v3, v3, v182
	s_waitcnt vmcnt(6) lgkmcnt(1)
	v_mul_f32_e32 v185, v92, v51
	v_fmac_f32_e32 v184, v91, v40
	v_fma_f32 v13, v62, v32, -v33
	v_add_f32_e32 v10, v10, v12
	v_add_f32_e32 v3, v3, v183
	v_mul_f32_e32 v5, v67, v5
	v_fmac_f32_e32 v185, v93, v50
	v_add_f32_e32 v10, v10, v13
	v_add_f32_e32 v3, v3, v184
	;; [unrolled: 1-line block ×4, first 2 shown]
	v_fma_f32 v3, v66, v4, -v5
	v_add_f32_e32 v2, v2, v3
	v_mul_f32_e32 v3, v69, v7
	v_fma_f32 v3, v68, v6, -v3
	v_add_f32_e32 v2, v2, v3
	v_mul_f32_e32 v3, v71, v9
	;; [unrolled: 3-line block ×12, first 2 shown]
	v_mul_f32_e32 v101, v94, v53
	v_fma_f32 v100, v94, v52, -v2
	s_waitcnt vmcnt(5) lgkmcnt(0)
	v_mul_f32_e32 v2, v97, v47
	v_mov_b32_e32 v22, v49
	v_mul_f32_e32 v103, v96, v47
	v_fmac_f32_e32 v101, v95, v52
	v_fma_f32 v102, v96, v46, -v2
	ds_read2_b64 v[2:5], v82 offset0:61 offset1:62
	ds_read2_b64 v[6:9], v82 offset0:63 offset1:64
	;; [unrolled: 1-line block ×3, first 2 shown]
	ds_read_b64 v[18:19], v82 offset:536
	v_pk_mul_f32 v[22:23], v[98:99], v[22:23] op_sel:[1,0] op_sel_hi:[0,0]
	v_fmac_f32_e32 v103, v97, v46
	v_pk_add_f32 v[20:21], v[30:31], v[100:101]
	v_pk_fma_f32 v[24:25], v[98:99], v[48:49], v[22:23] neg_lo:[0,0,1] neg_hi:[0,0,1]
	v_pk_fma_f32 v[22:23], v[98:99], v[48:49], v[22:23] op_sel_hi:[1,0,1]
	v_pk_add_f32 v[20:21], v[20:21], v[102:103]
	v_mov_b32_e32 v25, v23
	s_waitcnt vmcnt(4) lgkmcnt(3)
	v_pk_mul_f32 v[22:23], v[2:3], v[42:43] op_sel:[1,1] op_sel_hi:[0,1]
	v_pk_add_f32 v[20:21], v[20:21], v[24:25]
	v_pk_fma_f32 v[24:25], v[2:3], v[42:43], v[22:23] neg_lo:[0,0,1] neg_hi:[0,0,1]
	v_pk_fma_f32 v[2:3], v[2:3], v[42:43], v[22:23] op_sel_hi:[1,0,1]
	s_nop 0
	v_mov_b32_e32 v25, v3
	v_pk_add_f32 v[2:3], v[20:21], v[24:25]
	v_mov_b32_e32 v20, v45
	v_pk_mul_f32 v[20:21], v[4:5], v[20:21] op_sel:[1,0] op_sel_hi:[0,0]
	v_pk_fma_f32 v[22:23], v[4:5], v[44:45], v[20:21] neg_lo:[0,0,1] neg_hi:[0,0,1]
	v_pk_fma_f32 v[4:5], v[4:5], v[44:45], v[20:21] op_sel_hi:[1,0,1]
	s_nop 0
	v_mov_b32_e32 v23, v5
	s_waitcnt vmcnt(3) lgkmcnt(2)
	v_pk_mul_f32 v[4:5], v[6:7], v[26:27] op_sel:[1,1] op_sel_hi:[0,1]
	v_pk_fma_f32 v[20:21], v[6:7], v[26:27], v[4:5] neg_lo:[0,0,1] neg_hi:[0,0,1]
	v_pk_fma_f32 v[4:5], v[6:7], v[26:27], v[4:5] op_sel_hi:[1,0,1]
	v_pk_add_f32 v[2:3], v[2:3], v[22:23]
	v_mov_b32_e32 v4, v29
	v_mov_b32_e32 v21, v5
	v_pk_mul_f32 v[4:5], v[8:9], v[4:5] op_sel:[1,0] op_sel_hi:[0,0]
	v_pk_fma_f32 v[6:7], v[8:9], v[28:29], v[4:5] neg_lo:[0,0,1] neg_hi:[0,0,1]
	v_pk_fma_f32 v[4:5], v[8:9], v[28:29], v[4:5] op_sel_hi:[1,0,1]
	v_pk_add_f32 v[2:3], v[2:3], v[20:21]
	v_mov_b32_e32 v7, v5
	s_waitcnt vmcnt(2) lgkmcnt(1)
	v_pk_mul_f32 v[4:5], v[10:11], v[14:15] op_sel:[1,1] op_sel_hi:[0,1]
	v_pk_add_f32 v[2:3], v[2:3], v[6:7]
	v_pk_fma_f32 v[6:7], v[10:11], v[14:15], v[4:5] neg_lo:[0,0,1] neg_hi:[0,0,1]
	v_pk_fma_f32 v[4:5], v[10:11], v[14:15], v[4:5] op_sel_hi:[1,0,1]
	s_nop 0
	v_mov_b32_e32 v4, v17
	v_mov_b32_e32 v7, v5
	v_pk_mul_f32 v[4:5], v[12:13], v[4:5] op_sel:[1,0] op_sel_hi:[0,0]
	v_pk_add_f32 v[2:3], v[2:3], v[6:7]
	v_pk_fma_f32 v[6:7], v[12:13], v[16:17], v[4:5] neg_lo:[0,0,1] neg_hi:[0,0,1]
	v_pk_fma_f32 v[4:5], v[12:13], v[16:17], v[4:5] op_sel_hi:[1,0,1]
	s_nop 0
	v_mov_b32_e32 v7, v5
	s_waitcnt vmcnt(1) lgkmcnt(0)
	v_pk_mul_f32 v[4:5], v[18:19], v[54:55] op_sel:[1,1] op_sel_hi:[0,1]
	v_pk_add_f32 v[2:3], v[2:3], v[6:7]
	v_pk_fma_f32 v[6:7], v[18:19], v[54:55], v[4:5] neg_lo:[0,0,1] neg_hi:[0,0,1]
	v_pk_fma_f32 v[4:5], v[18:19], v[54:55], v[4:5] op_sel_hi:[1,0,1]
	s_nop 0
	v_mov_b32_e32 v7, v5
	v_pk_add_f32 v[2:3], v[2:3], v[6:7]
	s_waitcnt vmcnt(0)
	v_pk_add_f32 v[2:3], v[80:81], v[2:3] neg_lo:[0,1] neg_hi:[0,1]
	scratch_store_dwordx2 off, v[2:3], off offset:48
	s_and_saveexec_b64 s[0:1], vcc
	s_cbranch_execz .LBB97_207
; %bb.206:
	scratch_load_dwordx2 v[2:3], off, off offset:40
	v_mov_b32_e32 v83, v82
	scratch_store_dwordx2 off, v[82:83], off offset:40
	s_waitcnt vmcnt(1)
	ds_write_b64 v1, v[2:3]
.LBB97_207:
	s_or_b64 exec, exec, s[0:1]
	s_waitcnt lgkmcnt(0)
	; wave barrier
	scratch_load_dwordx4 v[18:21], off, off offset:48
	scratch_load_dwordx4 v[34:37], off, off offset:64
	;; [unrolled: 1-line block ×10, first 2 shown]
	ds_read_b128 v[84:87], v82 offset:320
	ds_read_b128 v[88:91], v82 offset:336
	;; [unrolled: 1-line block ×10, first 2 shown]
	scratch_load_dwordx4 v[54:57], off, off offset:208
	scratch_load_dwordx4 v[46:49], off, off offset:224
	;; [unrolled: 1-line block ×4, first 2 shown]
	scratch_load_dwordx2 v[100:101], off, off offset:40
	v_cmp_lt_u32_e32 vcc, 4, v0
	s_waitcnt vmcnt(14) lgkmcnt(9)
	v_mul_f32_e32 v83, v84, v19
	v_mul_f32_e32 v102, v86, v21
	s_waitcnt vmcnt(12) lgkmcnt(7)
	v_mul_f32_e32 v107, v92, v3
	v_mul_f32_e32 v3, v93, v3
	v_fmac_f32_e32 v83, v85, v18
	v_mul_f32_e32 v104, v88, v35
	v_fmac_f32_e32 v102, v87, v20
	v_fmac_f32_e32 v107, v93, v2
	v_fma_f32 v2, v92, v2, -v3
	v_add_f32_e32 v3, 0, v83
	v_mul_f32_e32 v106, v90, v37
	v_fmac_f32_e32 v104, v89, v34
	v_add_f32_e32 v3, v3, v102
	v_fmac_f32_e32 v106, v91, v36
	v_add_f32_e32 v3, v3, v104
	v_mul_f32_e32 v108, v94, v5
	v_add_f32_e32 v3, v3, v106
	s_waitcnt vmcnt(11) lgkmcnt(6)
	v_mul_f32_e32 v109, v96, v7
	v_fmac_f32_e32 v108, v95, v4
	v_add_f32_e32 v3, v3, v107
	v_mul_f32_e32 v110, v98, v9
	v_fmac_f32_e32 v109, v97, v6
	v_add_f32_e32 v3, v3, v108
	s_waitcnt vmcnt(10) lgkmcnt(5)
	v_mul_f32_e32 v111, v78, v11
	v_fmac_f32_e32 v110, v99, v8
	v_add_f32_e32 v3, v3, v109
	v_mul_f32_e32 v112, v80, v13
	v_fmac_f32_e32 v111, v79, v10
	;; [unrolled: 7-line block ×4, first 2 shown]
	v_add_f32_e32 v3, v3, v182
	s_waitcnt vmcnt(7) lgkmcnt(2)
	v_mul_f32_e32 v185, v66, v39
	v_mul_f32_e32 v19, v85, v19
	v_fmac_f32_e32 v184, v73, v28
	v_add_f32_e32 v3, v3, v183
	v_mul_f32_e32 v186, v68, v41
	v_mul_f32_e32 v21, v87, v21
	v_fmac_f32_e32 v185, v67, v38
	v_fma_f32 v18, v84, v18, -v19
	v_add_f32_e32 v3, v3, v184
	s_waitcnt vmcnt(6) lgkmcnt(1)
	v_mul_f32_e32 v187, v62, v43
	v_mul_f32_e32 v35, v89, v35
	v_fmac_f32_e32 v186, v69, v40
	v_fma_f32 v19, v86, v20, -v21
	v_add_f32_e32 v18, 0, v18
	v_add_f32_e32 v3, v3, v185
	v_mul_f32_e32 v188, v64, v45
	v_mul_f32_e32 v37, v91, v37
	v_fmac_f32_e32 v187, v63, v42
	v_fma_f32 v20, v88, v34, -v35
	v_add_f32_e32 v18, v18, v19
	v_add_f32_e32 v3, v3, v186
	v_fmac_f32_e32 v188, v65, v44
	v_fma_f32 v21, v90, v36, -v37
	v_add_f32_e32 v18, v18, v20
	v_add_f32_e32 v3, v3, v187
	;; [unrolled: 1-line block ×4, first 2 shown]
	v_mul_f32_e32 v3, v95, v5
	v_add_f32_e32 v2, v18, v2
	v_fma_f32 v3, v94, v4, -v3
	v_add_f32_e32 v2, v2, v3
	v_mul_f32_e32 v3, v97, v7
	v_fma_f32 v3, v96, v6, -v3
	v_add_f32_e32 v2, v2, v3
	v_mul_f32_e32 v3, v99, v9
	v_fma_f32 v3, v98, v8, -v3
	v_add_f32_e32 v2, v2, v3
	v_mul_f32_e32 v3, v79, v11
	v_fma_f32 v3, v78, v10, -v3
	v_add_f32_e32 v2, v2, v3
	v_mul_f32_e32 v3, v81, v13
	v_fma_f32 v3, v80, v12, -v3
	v_add_f32_e32 v2, v2, v3
	v_mul_f32_e32 v3, v75, v23
	v_fma_f32 v3, v74, v22, -v3
	v_add_f32_e32 v2, v2, v3
	v_mul_f32_e32 v3, v77, v25
	v_fma_f32 v3, v76, v24, -v3
	v_add_f32_e32 v2, v2, v3
	v_mul_f32_e32 v3, v71, v27
	v_fma_f32 v3, v70, v26, -v3
	v_add_f32_e32 v2, v2, v3
	v_mul_f32_e32 v3, v73, v29
	v_fma_f32 v3, v72, v28, -v3
	v_add_f32_e32 v2, v2, v3
	v_mul_f32_e32 v3, v67, v39
	v_fma_f32 v3, v66, v38, -v3
	v_add_f32_e32 v2, v2, v3
	v_mul_f32_e32 v3, v69, v41
	v_fma_f32 v3, v68, v40, -v3
	v_add_f32_e32 v2, v2, v3
	v_mul_f32_e32 v3, v63, v43
	v_fma_f32 v3, v62, v42, -v3
	v_add_f32_e32 v2, v2, v3
	v_mul_f32_e32 v3, v65, v45
	v_fma_f32 v3, v64, v44, -v3
	v_add_f32_e32 v34, v2, v3
	s_waitcnt vmcnt(5) lgkmcnt(0)
	v_mul_f32_e32 v2, v59, v51
	v_fma_f32 v102, v58, v50, -v2
	v_mul_f32_e32 v2, v61, v53
	v_fma_f32 v104, v60, v52, -v2
	ds_read_b128 v[2:5], v82 offset:480
	ds_read_b128 v[6:9], v82 offset:496
	ds_read_b128 v[10:13], v82 offset:512
	ds_read_b128 v[18:21], v82 offset:528
	v_mul_f32_e32 v103, v58, v51
	v_mul_f32_e32 v105, v60, v53
	v_fmac_f32_e32 v103, v59, v50
	s_waitcnt vmcnt(4) lgkmcnt(3)
	v_pk_mul_f32 v[24:25], v[2:3], v[54:55] op_sel:[1,1] op_sel_hi:[0,1]
	v_fmac_f32_e32 v105, v61, v52
	v_pk_add_f32 v[22:23], v[34:35], v[102:103]
	v_pk_fma_f32 v[26:27], v[2:3], v[54:55], v[24:25] neg_lo:[0,0,1] neg_hi:[0,0,1]
	v_pk_fma_f32 v[2:3], v[2:3], v[54:55], v[24:25] op_sel_hi:[1,0,1]
	v_pk_add_f32 v[22:23], v[22:23], v[104:105]
	v_mov_b32_e32 v27, v3
	v_pk_add_f32 v[2:3], v[22:23], v[26:27]
	v_mov_b32_e32 v22, v57
	v_pk_mul_f32 v[22:23], v[4:5], v[22:23] op_sel:[1,0] op_sel_hi:[0,0]
	v_pk_fma_f32 v[24:25], v[4:5], v[56:57], v[22:23] neg_lo:[0,0,1] neg_hi:[0,0,1]
	v_pk_fma_f32 v[4:5], v[4:5], v[56:57], v[22:23] op_sel_hi:[1,0,1]
	s_nop 0
	v_mov_b32_e32 v25, v5
	s_waitcnt vmcnt(3) lgkmcnt(2)
	v_pk_mul_f32 v[4:5], v[6:7], v[46:47] op_sel:[1,1] op_sel_hi:[0,1]
	v_pk_fma_f32 v[22:23], v[6:7], v[46:47], v[4:5] neg_lo:[0,0,1] neg_hi:[0,0,1]
	v_pk_fma_f32 v[4:5], v[6:7], v[46:47], v[4:5] op_sel_hi:[1,0,1]
	v_pk_add_f32 v[2:3], v[2:3], v[24:25]
	v_mov_b32_e32 v4, v49
	v_mov_b32_e32 v23, v5
	v_pk_mul_f32 v[4:5], v[8:9], v[4:5] op_sel:[1,0] op_sel_hi:[0,0]
	v_pk_fma_f32 v[6:7], v[8:9], v[48:49], v[4:5] neg_lo:[0,0,1] neg_hi:[0,0,1]
	v_pk_fma_f32 v[4:5], v[8:9], v[48:49], v[4:5] op_sel_hi:[1,0,1]
	v_pk_add_f32 v[2:3], v[2:3], v[22:23]
	v_mov_b32_e32 v7, v5
	s_waitcnt vmcnt(2) lgkmcnt(1)
	v_pk_mul_f32 v[4:5], v[10:11], v[30:31] op_sel:[1,1] op_sel_hi:[0,1]
	v_pk_add_f32 v[2:3], v[2:3], v[6:7]
	v_pk_fma_f32 v[6:7], v[10:11], v[30:31], v[4:5] neg_lo:[0,0,1] neg_hi:[0,0,1]
	v_pk_fma_f32 v[4:5], v[10:11], v[30:31], v[4:5] op_sel_hi:[1,0,1]
	s_nop 0
	v_mov_b32_e32 v4, v33
	v_mov_b32_e32 v7, v5
	v_pk_mul_f32 v[4:5], v[12:13], v[4:5] op_sel:[1,0] op_sel_hi:[0,0]
	v_pk_add_f32 v[2:3], v[2:3], v[6:7]
	v_pk_fma_f32 v[6:7], v[12:13], v[32:33], v[4:5] neg_lo:[0,0,1] neg_hi:[0,0,1]
	v_pk_fma_f32 v[4:5], v[12:13], v[32:33], v[4:5] op_sel_hi:[1,0,1]
	s_nop 0
	v_mov_b32_e32 v7, v5
	s_waitcnt vmcnt(1) lgkmcnt(0)
	v_pk_mul_f32 v[4:5], v[18:19], v[14:15] op_sel:[1,1] op_sel_hi:[0,1]
	v_pk_add_f32 v[2:3], v[2:3], v[6:7]
	v_pk_fma_f32 v[6:7], v[18:19], v[14:15], v[4:5] neg_lo:[0,0,1] neg_hi:[0,0,1]
	v_pk_fma_f32 v[4:5], v[18:19], v[14:15], v[4:5] op_sel_hi:[1,0,1]
	s_nop 0
	v_mov_b32_e32 v4, v17
	v_mov_b32_e32 v7, v5
	v_pk_mul_f32 v[4:5], v[20:21], v[4:5] op_sel:[1,0] op_sel_hi:[0,0]
	v_pk_add_f32 v[2:3], v[2:3], v[6:7]
	v_pk_fma_f32 v[6:7], v[20:21], v[16:17], v[4:5] neg_lo:[0,0,1] neg_hi:[0,0,1]
	v_pk_fma_f32 v[4:5], v[20:21], v[16:17], v[4:5] op_sel_hi:[1,0,1]
	s_nop 0
	v_mov_b32_e32 v7, v5
	v_pk_add_f32 v[2:3], v[2:3], v[6:7]
	s_waitcnt vmcnt(0)
	v_pk_add_f32 v[2:3], v[100:101], v[2:3] neg_lo:[0,1] neg_hi:[0,1]
	scratch_store_dwordx2 off, v[2:3], off offset:40
	s_and_saveexec_b64 s[0:1], vcc
	s_cbranch_execz .LBB97_209
; %bb.208:
	scratch_load_dwordx2 v[2:3], off, off offset:32
	v_mov_b32_e32 v4, 0
	v_mov_b32_e32 v5, v4
	scratch_store_dwordx2 off, v[4:5], off offset:32
	s_waitcnt vmcnt(1)
	ds_write_b64 v1, v[2:3]
.LBB97_209:
	s_or_b64 exec, exec, s[0:1]
	s_waitcnt lgkmcnt(0)
	; wave barrier
	scratch_load_dwordx4 v[18:21], off, off offset:40
	scratch_load_dwordx4 v[2:5], off, off offset:56
	;; [unrolled: 1-line block ×14, first 2 shown]
	scratch_load_dwordx2 v[58:59], off, off offset:264
	scratch_load_dwordx2 v[100:101], off, off offset:32
	v_mov_b32_e32 v102, 0
	ds_read2_b64 v[60:63], v102 offset0:39 offset1:40
	ds_read2_b64 v[64:67], v102 offset0:41 offset1:42
	;; [unrolled: 1-line block ×12, first 2 shown]
	v_cmp_lt_u32_e32 vcc, 3, v0
	s_waitcnt vmcnt(15) lgkmcnt(11)
	v_mul_f32_e32 v103, v60, v19
	v_mul_f32_e32 v112, v62, v21
	s_waitcnt vmcnt(14) lgkmcnt(10)
	v_mul_f32_e32 v182, v64, v3
	v_mul_f32_e32 v3, v65, v3
	v_fmac_f32_e32 v103, v61, v18
	v_fmac_f32_e32 v112, v63, v20
	;; [unrolled: 1-line block ×3, first 2 shown]
	v_fma_f32 v2, v64, v2, -v3
	v_add_f32_e32 v3, 0, v103
	v_mul_f32_e32 v184, v66, v5
	v_add_f32_e32 v3, v3, v112
	s_waitcnt vmcnt(13) lgkmcnt(9)
	v_mul_f32_e32 v185, v68, v7
	v_fmac_f32_e32 v184, v67, v4
	v_add_f32_e32 v3, v3, v182
	v_mul_f32_e32 v186, v70, v9
	v_fmac_f32_e32 v185, v69, v6
	v_add_f32_e32 v3, v3, v184
	s_waitcnt vmcnt(12) lgkmcnt(8)
	v_mul_f32_e32 v187, v72, v11
	v_fmac_f32_e32 v186, v71, v8
	v_add_f32_e32 v3, v3, v185
	v_mul_f32_e32 v188, v74, v13
	v_fmac_f32_e32 v187, v73, v10
	;; [unrolled: 7-line block ×6, first 2 shown]
	v_add_f32_e32 v3, v3, v194
	s_waitcnt vmcnt(7) lgkmcnt(3)
	v_mul_f32_e32 v197, v92, v43
	v_fmac_f32_e32 v196, v91, v40
	v_add_f32_e32 v3, v3, v195
	v_mul_f32_e32 v198, v94, v45
	v_mul_f32_e32 v19, v61, v19
	v_fmac_f32_e32 v197, v93, v42
	v_add_f32_e32 v3, v3, v196
	s_waitcnt vmcnt(6) lgkmcnt(2)
	v_mul_f32_e32 v199, v96, v51
	v_mul_f32_e32 v21, v63, v21
	v_fmac_f32_e32 v198, v95, v44
	v_fma_f32 v18, v60, v18, -v19
	v_add_f32_e32 v3, v3, v197
	v_fmac_f32_e32 v199, v97, v50
	v_fma_f32 v19, v62, v20, -v21
	v_add_f32_e32 v18, 0, v18
	v_add_f32_e32 v3, v3, v198
	;; [unrolled: 1-line block ×4, first 2 shown]
	v_mul_f32_e32 v3, v67, v5
	v_add_f32_e32 v2, v18, v2
	v_fma_f32 v3, v66, v4, -v3
	v_add_f32_e32 v2, v2, v3
	v_mul_f32_e32 v3, v69, v7
	v_fma_f32 v3, v68, v6, -v3
	v_add_f32_e32 v2, v2, v3
	v_mul_f32_e32 v3, v71, v9
	;; [unrolled: 3-line block ×15, first 2 shown]
	v_fma_f32 v3, v96, v50, -v3
	v_mul_f32_e32 v113, v98, v53
	v_add_f32_e32 v18, v2, v3
	v_mul_f32_e32 v2, v99, v53
	s_waitcnt vmcnt(5)
	v_mov_b32_e32 v14, v57
	s_waitcnt lgkmcnt(1)
	v_mul_f32_e32 v183, v104, v55
	v_fmac_f32_e32 v113, v99, v52
	v_fma_f32 v112, v98, v52, -v2
	v_mul_f32_e32 v2, v105, v55
	v_pk_mul_f32 v[14:15], v[106:107], v[14:15] op_sel:[1,0] op_sel_hi:[0,0]
	v_fmac_f32_e32 v183, v105, v54
	v_fma_f32 v182, v104, v54, -v2
	v_pk_add_f32 v[12:13], v[18:19], v[112:113]
	v_pk_fma_f32 v[16:17], v[106:107], v[56:57], v[14:15] neg_lo:[0,0,1] neg_hi:[0,0,1]
	v_pk_fma_f32 v[14:15], v[106:107], v[56:57], v[14:15] op_sel_hi:[1,0,1]
	v_pk_add_f32 v[12:13], v[12:13], v[182:183]
	v_mov_b32_e32 v17, v15
	s_waitcnt vmcnt(4) lgkmcnt(0)
	v_pk_mul_f32 v[14:15], v[108:109], v[46:47] op_sel:[1,1] op_sel_hi:[0,1]
	v_pk_add_f32 v[12:13], v[12:13], v[16:17]
	v_pk_fma_f32 v[16:17], v[108:109], v[46:47], v[14:15] neg_lo:[0,0,1] neg_hi:[0,0,1]
	v_pk_fma_f32 v[14:15], v[108:109], v[46:47], v[14:15] op_sel_hi:[1,0,1]
	ds_read2_b64 v[2:5], v102 offset0:63 offset1:64
	ds_read2_b64 v[6:9], v102 offset0:65 offset1:66
	ds_read_b64 v[10:11], v102 offset:536
	v_mov_b32_e32 v14, v49
	v_mov_b32_e32 v17, v15
	v_pk_mul_f32 v[14:15], v[110:111], v[14:15] op_sel:[1,0] op_sel_hi:[0,0]
	v_pk_add_f32 v[12:13], v[12:13], v[16:17]
	v_pk_fma_f32 v[16:17], v[110:111], v[48:49], v[14:15] neg_lo:[0,0,1] neg_hi:[0,0,1]
	v_pk_fma_f32 v[14:15], v[110:111], v[48:49], v[14:15] op_sel_hi:[1,0,1]
	s_nop 0
	v_mov_b32_e32 v17, v15
	s_waitcnt vmcnt(3) lgkmcnt(2)
	v_pk_mul_f32 v[14:15], v[2:3], v[34:35] op_sel:[1,1] op_sel_hi:[0,1]
	v_pk_add_f32 v[12:13], v[12:13], v[16:17]
	v_pk_fma_f32 v[16:17], v[2:3], v[34:35], v[14:15] neg_lo:[0,0,1] neg_hi:[0,0,1]
	v_pk_fma_f32 v[2:3], v[2:3], v[34:35], v[14:15] op_sel_hi:[1,0,1]
	s_nop 0
	v_mov_b32_e32 v17, v3
	v_pk_add_f32 v[2:3], v[12:13], v[16:17]
	v_mov_b32_e32 v12, v37
	v_pk_mul_f32 v[12:13], v[4:5], v[12:13] op_sel:[1,0] op_sel_hi:[0,0]
	v_pk_fma_f32 v[14:15], v[4:5], v[36:37], v[12:13] neg_lo:[0,0,1] neg_hi:[0,0,1]
	v_pk_fma_f32 v[4:5], v[4:5], v[36:37], v[12:13] op_sel_hi:[1,0,1]
	s_nop 0
	v_mov_b32_e32 v15, v5
	s_waitcnt vmcnt(2) lgkmcnt(1)
	v_pk_mul_f32 v[4:5], v[6:7], v[22:23] op_sel:[1,1] op_sel_hi:[0,1]
	v_pk_fma_f32 v[12:13], v[6:7], v[22:23], v[4:5] neg_lo:[0,0,1] neg_hi:[0,0,1]
	v_pk_fma_f32 v[4:5], v[6:7], v[22:23], v[4:5] op_sel_hi:[1,0,1]
	v_pk_add_f32 v[2:3], v[2:3], v[14:15]
	v_mov_b32_e32 v4, v25
	v_mov_b32_e32 v13, v5
	v_pk_mul_f32 v[4:5], v[8:9], v[4:5] op_sel:[1,0] op_sel_hi:[0,0]
	v_pk_fma_f32 v[6:7], v[8:9], v[24:25], v[4:5] neg_lo:[0,0,1] neg_hi:[0,0,1]
	v_pk_fma_f32 v[4:5], v[8:9], v[24:25], v[4:5] op_sel_hi:[1,0,1]
	v_pk_add_f32 v[2:3], v[2:3], v[12:13]
	v_mov_b32_e32 v7, v5
	s_waitcnt vmcnt(1) lgkmcnt(0)
	v_pk_mul_f32 v[4:5], v[10:11], v[58:59] op_sel:[1,1] op_sel_hi:[0,1]
	v_pk_add_f32 v[2:3], v[2:3], v[6:7]
	v_pk_fma_f32 v[6:7], v[10:11], v[58:59], v[4:5] neg_lo:[0,0,1] neg_hi:[0,0,1]
	v_pk_fma_f32 v[4:5], v[10:11], v[58:59], v[4:5] op_sel_hi:[1,0,1]
	s_nop 0
	v_mov_b32_e32 v7, v5
	v_pk_add_f32 v[2:3], v[2:3], v[6:7]
	s_waitcnt vmcnt(0)
	v_pk_add_f32 v[2:3], v[100:101], v[2:3] neg_lo:[0,1] neg_hi:[0,1]
	scratch_store_dwordx2 off, v[2:3], off offset:32
	s_and_saveexec_b64 s[0:1], vcc
	s_cbranch_execz .LBB97_211
; %bb.210:
	scratch_load_dwordx2 v[2:3], off, off offset:24
	v_mov_b32_e32 v103, v102
	scratch_store_dwordx2 off, v[102:103], off offset:24
	s_waitcnt vmcnt(1)
	ds_write_b64 v1, v[2:3]
.LBB97_211:
	s_or_b64 exec, exec, s[0:1]
	s_waitcnt lgkmcnt(0)
	; wave barrier
	scratch_load_dwordx4 v[22:25], off, off offset:32
	scratch_load_dwordx4 v[2:5], off, off offset:48
	;; [unrolled: 1-line block ×11, first 2 shown]
	ds_read_b128 v[104:107], v102 offset:304
	ds_read_b128 v[98:101], v102 offset:320
	;; [unrolled: 1-line block ×10, first 2 shown]
	scratch_load_dwordx4 v[58:61], off, off offset:208
	scratch_load_dwordx4 v[50:53], off, off offset:224
	;; [unrolled: 1-line block ×4, first 2 shown]
	ds_read_b128 v[78:81], v102 offset:464
	ds_read_b128 v[108:111], v102 offset:480
	scratch_load_dwordx2 v[112:113], off, off offset:24
	v_cmp_lt_u32_e32 vcc, 2, v0
	s_waitcnt vmcnt(15) lgkmcnt(11)
	v_mul_f32_e32 v103, v104, v23
	v_mul_f32_e32 v182, v106, v25
	s_waitcnt vmcnt(14) lgkmcnt(10)
	v_mul_f32_e32 v184, v98, v3
	v_mul_f32_e32 v3, v99, v3
	v_fmac_f32_e32 v103, v105, v22
	v_fmac_f32_e32 v182, v107, v24
	;; [unrolled: 1-line block ×3, first 2 shown]
	v_fma_f32 v2, v98, v2, -v3
	v_add_f32_e32 v3, 0, v103
	v_mul_f32_e32 v186, v100, v5
	v_add_f32_e32 v3, v3, v182
	s_waitcnt vmcnt(13) lgkmcnt(9)
	v_mul_f32_e32 v187, v94, v7
	v_fmac_f32_e32 v186, v101, v4
	v_add_f32_e32 v3, v3, v184
	v_mul_f32_e32 v188, v96, v9
	v_fmac_f32_e32 v187, v95, v6
	v_add_f32_e32 v3, v3, v186
	s_waitcnt vmcnt(12) lgkmcnt(8)
	v_mul_f32_e32 v189, v90, v11
	v_fmac_f32_e32 v188, v97, v8
	v_add_f32_e32 v3, v3, v187
	v_mul_f32_e32 v190, v92, v13
	v_fmac_f32_e32 v189, v91, v10
	;; [unrolled: 7-line block ×7, first 2 shown]
	v_add_f32_e32 v3, v3, v198
	s_waitcnt vmcnt(6) lgkmcnt(2)
	v_mul_f32_e32 v201, v62, v47
	v_mul_f32_e32 v23, v105, v23
	v_fmac_f32_e32 v200, v69, v44
	v_add_f32_e32 v3, v3, v199
	v_mul_f32_e32 v202, v64, v49
	v_mul_f32_e32 v25, v107, v25
	v_fmac_f32_e32 v201, v63, v46
	v_fma_f32 v22, v104, v22, -v23
	v_add_f32_e32 v3, v3, v200
	v_fmac_f32_e32 v202, v65, v48
	v_fma_f32 v23, v106, v24, -v25
	v_add_f32_e32 v22, 0, v22
	v_add_f32_e32 v3, v3, v201
	;; [unrolled: 1-line block ×4, first 2 shown]
	v_mul_f32_e32 v3, v101, v5
	v_add_f32_e32 v2, v22, v2
	v_fma_f32 v3, v100, v4, -v3
	v_add_f32_e32 v2, v2, v3
	v_mul_f32_e32 v3, v95, v7
	v_fma_f32 v3, v94, v6, -v3
	v_add_f32_e32 v2, v2, v3
	v_mul_f32_e32 v3, v97, v9
	;; [unrolled: 3-line block ×16, first 2 shown]
	v_fma_f32 v3, v64, v48, -v3
	s_waitcnt vmcnt(5) lgkmcnt(1)
	v_mul_f32_e32 v183, v78, v55
	v_add_f32_e32 v22, v2, v3
	v_mul_f32_e32 v2, v79, v55
	s_waitcnt vmcnt(4) lgkmcnt(0)
	v_pk_mul_f32 v[16:17], v[108:109], v[58:59] op_sel:[1,1] op_sel_hi:[0,1]
	v_mul_f32_e32 v185, v80, v57
	v_fmac_f32_e32 v183, v79, v54
	v_fma_f32 v182, v78, v54, -v2
	v_mul_f32_e32 v2, v81, v57
	v_pk_fma_f32 v[18:19], v[108:109], v[58:59], v[16:17] neg_lo:[0,0,1] neg_hi:[0,0,1]
	v_pk_fma_f32 v[16:17], v[108:109], v[58:59], v[16:17] op_sel_hi:[1,0,1]
	v_fmac_f32_e32 v185, v81, v56
	v_fma_f32 v184, v80, v56, -v2
	ds_read_b128 v[2:5], v102 offset:496
	ds_read_b128 v[6:9], v102 offset:512
	;; [unrolled: 1-line block ×3, first 2 shown]
	v_pk_add_f32 v[14:15], v[22:23], v[182:183]
	v_mov_b32_e32 v16, v61
	v_pk_add_f32 v[14:15], v[14:15], v[184:185]
	v_mov_b32_e32 v19, v17
	v_pk_mul_f32 v[16:17], v[110:111], v[16:17] op_sel:[1,0] op_sel_hi:[0,0]
	v_pk_add_f32 v[14:15], v[14:15], v[18:19]
	v_pk_fma_f32 v[18:19], v[110:111], v[60:61], v[16:17] neg_lo:[0,0,1] neg_hi:[0,0,1]
	v_pk_fma_f32 v[16:17], v[110:111], v[60:61], v[16:17] op_sel_hi:[1,0,1]
	s_nop 0
	v_mov_b32_e32 v19, v17
	s_waitcnt vmcnt(3) lgkmcnt(2)
	v_pk_mul_f32 v[16:17], v[2:3], v[50:51] op_sel:[1,1] op_sel_hi:[0,1]
	v_pk_add_f32 v[14:15], v[14:15], v[18:19]
	v_pk_fma_f32 v[18:19], v[2:3], v[50:51], v[16:17] neg_lo:[0,0,1] neg_hi:[0,0,1]
	v_pk_fma_f32 v[2:3], v[2:3], v[50:51], v[16:17] op_sel_hi:[1,0,1]
	s_nop 0
	v_mov_b32_e32 v19, v3
	v_pk_add_f32 v[2:3], v[14:15], v[18:19]
	v_mov_b32_e32 v14, v53
	v_pk_mul_f32 v[14:15], v[4:5], v[14:15] op_sel:[1,0] op_sel_hi:[0,0]
	v_pk_fma_f32 v[16:17], v[4:5], v[52:53], v[14:15] neg_lo:[0,0,1] neg_hi:[0,0,1]
	v_pk_fma_f32 v[4:5], v[4:5], v[52:53], v[14:15] op_sel_hi:[1,0,1]
	s_nop 0
	v_mov_b32_e32 v17, v5
	s_waitcnt vmcnt(2) lgkmcnt(1)
	v_pk_mul_f32 v[4:5], v[6:7], v[38:39] op_sel:[1,1] op_sel_hi:[0,1]
	v_pk_fma_f32 v[14:15], v[6:7], v[38:39], v[4:5] neg_lo:[0,0,1] neg_hi:[0,0,1]
	v_pk_fma_f32 v[4:5], v[6:7], v[38:39], v[4:5] op_sel_hi:[1,0,1]
	v_pk_add_f32 v[2:3], v[2:3], v[16:17]
	v_mov_b32_e32 v4, v41
	v_mov_b32_e32 v15, v5
	v_pk_mul_f32 v[4:5], v[8:9], v[4:5] op_sel:[1,0] op_sel_hi:[0,0]
	v_pk_fma_f32 v[6:7], v[8:9], v[40:41], v[4:5] neg_lo:[0,0,1] neg_hi:[0,0,1]
	v_pk_fma_f32 v[4:5], v[8:9], v[40:41], v[4:5] op_sel_hi:[1,0,1]
	v_pk_add_f32 v[2:3], v[2:3], v[14:15]
	v_mov_b32_e32 v7, v5
	s_waitcnt vmcnt(1) lgkmcnt(0)
	v_pk_mul_f32 v[4:5], v[10:11], v[26:27] op_sel:[1,1] op_sel_hi:[0,1]
	v_pk_add_f32 v[2:3], v[2:3], v[6:7]
	v_pk_fma_f32 v[6:7], v[10:11], v[26:27], v[4:5] neg_lo:[0,0,1] neg_hi:[0,0,1]
	v_pk_fma_f32 v[4:5], v[10:11], v[26:27], v[4:5] op_sel_hi:[1,0,1]
	s_nop 0
	v_mov_b32_e32 v4, v29
	v_mov_b32_e32 v7, v5
	v_pk_mul_f32 v[4:5], v[12:13], v[4:5] op_sel:[1,0] op_sel_hi:[0,0]
	v_pk_add_f32 v[2:3], v[2:3], v[6:7]
	v_pk_fma_f32 v[6:7], v[12:13], v[28:29], v[4:5] neg_lo:[0,0,1] neg_hi:[0,0,1]
	v_pk_fma_f32 v[4:5], v[12:13], v[28:29], v[4:5] op_sel_hi:[1,0,1]
	s_nop 0
	v_mov_b32_e32 v7, v5
	v_pk_add_f32 v[2:3], v[2:3], v[6:7]
	s_waitcnt vmcnt(0)
	v_pk_add_f32 v[2:3], v[112:113], v[2:3] neg_lo:[0,1] neg_hi:[0,1]
	scratch_store_dwordx2 off, v[2:3], off offset:24
	s_and_saveexec_b64 s[0:1], vcc
	s_cbranch_execz .LBB97_213
; %bb.212:
	scratch_load_dwordx2 v[2:3], off, off offset:16
	v_mov_b32_e32 v4, 0
	v_mov_b32_e32 v5, v4
	scratch_store_dwordx2 off, v[4:5], off offset:16
	s_waitcnt vmcnt(1)
	ds_write_b64 v1, v[2:3]
.LBB97_213:
	s_or_b64 exec, exec, s[0:1]
	s_waitcnt lgkmcnt(0)
	; wave barrier
	scratch_load_dwordx4 v[2:5], off, off offset:24
	scratch_load_dwordx4 v[6:9], off, off offset:40
	scratch_load_dwordx4 v[10:13], off, off offset:56
	scratch_load_dwordx4 v[14:17], off, off offset:72
	scratch_load_dwordx4 v[18:21], off, off offset:88
	scratch_load_dwordx4 v[22:25], off, off offset:104
	scratch_load_dwordx4 v[30:33], off, off offset:120
	scratch_load_dwordx4 v[34:37], off, off offset:136
	scratch_load_dwordx4 v[42:45], off, off offset:152
	scratch_load_dwordx4 v[46:49], off, off offset:168
	scratch_load_dwordx4 v[58:61], off, off offset:184
	scratch_load_dwordx4 v[54:57], off, off offset:200
	scratch_load_dwordx4 v[50:53], off, off offset:216
	scratch_load_dwordx4 v[38:41], off, off offset:232
	scratch_load_dwordx4 v[26:29], off, off offset:248
	scratch_load_dwordx2 v[62:63], off, off offset:264
	scratch_load_dwordx2 v[112:113], off, off offset:16
	v_mov_b32_e32 v182, 0
	ds_read2_b64 v[64:67], v182 offset0:37 offset1:38
	ds_read2_b64 v[68:71], v182 offset0:39 offset1:40
	;; [unrolled: 1-line block ×12, first 2 shown]
	v_cmp_lt_u32_e32 vcc, 1, v0
	s_waitcnt vmcnt(16) lgkmcnt(11)
	v_mul_f32_e32 v183, v64, v3
	v_mul_f32_e32 v184, v66, v5
	;; [unrolled: 1-line block ×3, first 2 shown]
	v_fmac_f32_e32 v183, v65, v2
	s_waitcnt vmcnt(15) lgkmcnt(10)
	v_mul_f32_e32 v186, v68, v7
	v_fmac_f32_e32 v184, v67, v4
	v_fma_f32 v2, v64, v2, -v3
	v_add_f32_e32 v3, 0, v183
	v_mul_f32_e32 v188, v70, v9
	v_fmac_f32_e32 v186, v69, v6
	v_add_f32_e32 v3, v3, v184
	s_waitcnt vmcnt(14) lgkmcnt(9)
	v_mul_f32_e32 v189, v72, v11
	v_fmac_f32_e32 v188, v71, v8
	v_add_f32_e32 v3, v3, v186
	v_mul_f32_e32 v190, v74, v13
	v_fmac_f32_e32 v189, v73, v10
	v_add_f32_e32 v3, v3, v188
	s_waitcnt vmcnt(13) lgkmcnt(8)
	v_mul_f32_e32 v191, v76, v15
	v_fmac_f32_e32 v190, v75, v12
	;; [unrolled: 7-line block ×9, first 2 shown]
	v_add_f32_e32 v3, v3, v203
	v_mul_f32_e32 v5, v67, v5
	v_fmac_f32_e32 v205, v105, v58
	v_add_f32_e32 v3, v3, v204
	v_add_f32_e32 v2, 0, v2
	;; [unrolled: 1-line block ×3, first 2 shown]
	v_fma_f32 v3, v66, v4, -v5
	v_add_f32_e32 v2, v2, v3
	v_mul_f32_e32 v3, v69, v7
	v_fma_f32 v3, v68, v6, -v3
	v_add_f32_e32 v2, v2, v3
	v_mul_f32_e32 v3, v71, v9
	v_fma_f32 v3, v70, v8, -v3
	v_add_f32_e32 v2, v2, v3
	v_mul_f32_e32 v3, v73, v11
	v_fma_f32 v3, v72, v10, -v3
	v_add_f32_e32 v2, v2, v3
	v_mul_f32_e32 v3, v75, v13
	v_fma_f32 v3, v74, v12, -v3
	v_add_f32_e32 v2, v2, v3
	v_mul_f32_e32 v3, v77, v15
	v_fma_f32 v3, v76, v14, -v3
	v_add_f32_e32 v2, v2, v3
	v_mul_f32_e32 v3, v79, v17
	v_fma_f32 v3, v78, v16, -v3
	v_add_f32_e32 v2, v2, v3
	v_mul_f32_e32 v3, v81, v19
	v_fma_f32 v3, v80, v18, -v3
	v_add_f32_e32 v2, v2, v3
	v_mul_f32_e32 v3, v83, v21
	v_fma_f32 v3, v82, v20, -v3
	v_add_f32_e32 v2, v2, v3
	v_mul_f32_e32 v3, v85, v23
	v_fma_f32 v3, v84, v22, -v3
	v_add_f32_e32 v2, v2, v3
	v_mul_f32_e32 v3, v87, v25
	v_fma_f32 v3, v86, v24, -v3
	v_add_f32_e32 v2, v2, v3
	v_mul_f32_e32 v3, v89, v31
	v_fma_f32 v3, v88, v30, -v3
	v_add_f32_e32 v2, v2, v3
	v_mul_f32_e32 v3, v91, v33
	v_fma_f32 v3, v90, v32, -v3
	v_add_f32_e32 v2, v2, v3
	v_mul_f32_e32 v3, v93, v35
	v_fma_f32 v3, v92, v34, -v3
	v_add_f32_e32 v2, v2, v3
	v_mul_f32_e32 v3, v95, v37
	v_fma_f32 v3, v94, v36, -v3
	v_add_f32_e32 v2, v2, v3
	v_mul_f32_e32 v3, v97, v43
	v_fma_f32 v3, v96, v42, -v3
	v_add_f32_e32 v2, v2, v3
	v_mul_f32_e32 v3, v99, v45
	v_fma_f32 v3, v98, v44, -v3
	v_add_f32_e32 v2, v2, v3
	v_mul_f32_e32 v3, v101, v47
	v_fma_f32 v3, v100, v46, -v3
	v_add_f32_e32 v2, v2, v3
	v_mul_f32_e32 v3, v103, v49
	v_fma_f32 v3, v102, v48, -v3
	v_add_f32_e32 v2, v2, v3
	v_mul_f32_e32 v3, v105, v59
	v_fma_f32 v3, v104, v58, -v3
	v_add_f32_e32 v64, v2, v3
	v_mul_f32_e32 v2, v107, v61
	v_mul_f32_e32 v185, v106, v61
	v_fma_f32 v184, v106, v60, -v2
	s_waitcnt vmcnt(5) lgkmcnt(0)
	v_mul_f32_e32 v2, v109, v55
	v_mov_b32_e32 v18, v57
	v_mul_f32_e32 v187, v108, v55
	v_fmac_f32_e32 v185, v107, v60
	v_fma_f32 v186, v108, v54, -v2
	ds_read2_b64 v[2:5], v182 offset0:61 offset1:62
	ds_read2_b64 v[6:9], v182 offset0:63 offset1:64
	;; [unrolled: 1-line block ×3, first 2 shown]
	ds_read_b64 v[14:15], v182 offset:536
	v_pk_mul_f32 v[18:19], v[110:111], v[18:19] op_sel:[1,0] op_sel_hi:[0,0]
	v_fmac_f32_e32 v187, v109, v54
	v_pk_add_f32 v[16:17], v[64:65], v[184:185]
	v_pk_fma_f32 v[20:21], v[110:111], v[56:57], v[18:19] neg_lo:[0,0,1] neg_hi:[0,0,1]
	v_pk_fma_f32 v[18:19], v[110:111], v[56:57], v[18:19] op_sel_hi:[1,0,1]
	v_pk_add_f32 v[16:17], v[16:17], v[186:187]
	v_mov_b32_e32 v21, v19
	s_waitcnt vmcnt(4) lgkmcnt(3)
	v_pk_mul_f32 v[18:19], v[2:3], v[50:51] op_sel:[1,1] op_sel_hi:[0,1]
	v_pk_add_f32 v[16:17], v[16:17], v[20:21]
	v_pk_fma_f32 v[20:21], v[2:3], v[50:51], v[18:19] neg_lo:[0,0,1] neg_hi:[0,0,1]
	v_pk_fma_f32 v[2:3], v[2:3], v[50:51], v[18:19] op_sel_hi:[1,0,1]
	s_nop 0
	v_mov_b32_e32 v21, v3
	v_pk_add_f32 v[2:3], v[16:17], v[20:21]
	v_mov_b32_e32 v16, v53
	v_pk_mul_f32 v[16:17], v[4:5], v[16:17] op_sel:[1,0] op_sel_hi:[0,0]
	v_pk_fma_f32 v[18:19], v[4:5], v[52:53], v[16:17] neg_lo:[0,0,1] neg_hi:[0,0,1]
	v_pk_fma_f32 v[4:5], v[4:5], v[52:53], v[16:17] op_sel_hi:[1,0,1]
	s_nop 0
	v_mov_b32_e32 v19, v5
	s_waitcnt vmcnt(3) lgkmcnt(2)
	v_pk_mul_f32 v[4:5], v[6:7], v[38:39] op_sel:[1,1] op_sel_hi:[0,1]
	v_pk_fma_f32 v[16:17], v[6:7], v[38:39], v[4:5] neg_lo:[0,0,1] neg_hi:[0,0,1]
	v_pk_fma_f32 v[4:5], v[6:7], v[38:39], v[4:5] op_sel_hi:[1,0,1]
	v_pk_add_f32 v[2:3], v[2:3], v[18:19]
	v_mov_b32_e32 v4, v41
	v_mov_b32_e32 v17, v5
	v_pk_mul_f32 v[4:5], v[8:9], v[4:5] op_sel:[1,0] op_sel_hi:[0,0]
	v_pk_fma_f32 v[6:7], v[8:9], v[40:41], v[4:5] neg_lo:[0,0,1] neg_hi:[0,0,1]
	v_pk_fma_f32 v[4:5], v[8:9], v[40:41], v[4:5] op_sel_hi:[1,0,1]
	v_pk_add_f32 v[2:3], v[2:3], v[16:17]
	v_mov_b32_e32 v7, v5
	s_waitcnt vmcnt(2) lgkmcnt(1)
	v_pk_mul_f32 v[4:5], v[10:11], v[26:27] op_sel:[1,1] op_sel_hi:[0,1]
	v_pk_add_f32 v[2:3], v[2:3], v[6:7]
	v_pk_fma_f32 v[6:7], v[10:11], v[26:27], v[4:5] neg_lo:[0,0,1] neg_hi:[0,0,1]
	v_pk_fma_f32 v[4:5], v[10:11], v[26:27], v[4:5] op_sel_hi:[1,0,1]
	s_nop 0
	v_mov_b32_e32 v4, v29
	v_mov_b32_e32 v7, v5
	v_pk_mul_f32 v[4:5], v[12:13], v[4:5] op_sel:[1,0] op_sel_hi:[0,0]
	v_pk_add_f32 v[2:3], v[2:3], v[6:7]
	v_pk_fma_f32 v[6:7], v[12:13], v[28:29], v[4:5] neg_lo:[0,0,1] neg_hi:[0,0,1]
	v_pk_fma_f32 v[4:5], v[12:13], v[28:29], v[4:5] op_sel_hi:[1,0,1]
	s_nop 0
	v_mov_b32_e32 v7, v5
	s_waitcnt vmcnt(1) lgkmcnt(0)
	v_pk_mul_f32 v[4:5], v[14:15], v[62:63] op_sel:[1,1] op_sel_hi:[0,1]
	v_pk_add_f32 v[2:3], v[2:3], v[6:7]
	v_pk_fma_f32 v[6:7], v[14:15], v[62:63], v[4:5] neg_lo:[0,0,1] neg_hi:[0,0,1]
	v_pk_fma_f32 v[4:5], v[14:15], v[62:63], v[4:5] op_sel_hi:[1,0,1]
	s_nop 0
	v_mov_b32_e32 v7, v5
	v_pk_add_f32 v[2:3], v[2:3], v[6:7]
	s_waitcnt vmcnt(0)
	v_pk_add_f32 v[2:3], v[112:113], v[2:3] neg_lo:[0,1] neg_hi:[0,1]
	scratch_store_dwordx2 off, v[2:3], off offset:16
	s_and_saveexec_b64 s[0:1], vcc
	s_cbranch_execz .LBB97_215
; %bb.214:
	scratch_load_dwordx2 v[2:3], off, off offset:8
	v_mov_b32_e32 v183, v182
	scratch_store_dwordx2 off, v[182:183], off offset:8
	s_waitcnt vmcnt(1)
	ds_write_b64 v1, v[2:3]
.LBB97_215:
	s_or_b64 exec, exec, s[0:1]
	s_waitcnt lgkmcnt(0)
	; wave barrier
	scratch_load_dwordx4 v[2:5], off, off offset:16
	scratch_load_dwordx4 v[6:9], off, off offset:32
	;; [unrolled: 1-line block ×12, first 2 shown]
	ds_read_b128 v[110:113], v182 offset:288
	ds_read_b128 v[106:109], v182 offset:304
	;; [unrolled: 1-line block ×12, first 2 shown]
	scratch_load_dwordx4 v[62:65], off, off offset:208
	scratch_load_dwordx4 v[54:57], off, off offset:224
	;; [unrolled: 1-line block ×4, first 2 shown]
	scratch_load_dwordx2 v[184:185], off, off offset:8
	v_cmp_ne_u32_e32 vcc, 0, v0
	s_waitcnt vmcnt(16) lgkmcnt(11)
	v_mul_f32_e32 v183, v110, v3
	v_mul_f32_e32 v186, v112, v5
	;; [unrolled: 1-line block ×3, first 2 shown]
	v_fmac_f32_e32 v183, v111, v2
	s_waitcnt vmcnt(15) lgkmcnt(10)
	v_mul_f32_e32 v188, v106, v7
	v_fmac_f32_e32 v186, v113, v4
	v_fma_f32 v2, v110, v2, -v3
	v_add_f32_e32 v3, 0, v183
	v_mul_f32_e32 v190, v108, v9
	v_fmac_f32_e32 v188, v107, v6
	v_add_f32_e32 v3, v3, v186
	s_waitcnt vmcnt(14) lgkmcnt(9)
	v_mul_f32_e32 v191, v102, v11
	v_fmac_f32_e32 v190, v109, v8
	v_add_f32_e32 v3, v3, v188
	v_mul_f32_e32 v192, v104, v13
	v_fmac_f32_e32 v191, v103, v10
	v_add_f32_e32 v3, v3, v190
	s_waitcnt vmcnt(13) lgkmcnt(8)
	v_mul_f32_e32 v193, v98, v15
	v_fmac_f32_e32 v192, v105, v12
	;; [unrolled: 7-line block ×9, first 2 shown]
	v_add_f32_e32 v3, v3, v205
	v_mul_f32_e32 v208, v72, v53
	v_fmac_f32_e32 v207, v71, v50
	v_add_f32_e32 v3, v3, v206
	v_fmac_f32_e32 v208, v73, v52
	v_add_f32_e32 v3, v3, v207
	v_add_f32_e32 v111, v3, v208
	v_mul_f32_e32 v3, v113, v5
	v_add_f32_e32 v2, 0, v2
	v_fma_f32 v3, v112, v4, -v3
	v_add_f32_e32 v2, v2, v3
	v_mul_f32_e32 v3, v107, v7
	v_fma_f32 v3, v106, v6, -v3
	v_add_f32_e32 v2, v2, v3
	v_mul_f32_e32 v3, v109, v9
	;; [unrolled: 3-line block ×20, first 2 shown]
	v_fma_f32 v3, v72, v52, -v3
	v_add_f32_e32 v110, v2, v3
	s_waitcnt vmcnt(5) lgkmcnt(0)
	v_mul_f32_e32 v2, v67, v59
	v_fma_f32 v186, v66, v58, -v2
	v_mul_f32_e32 v2, v69, v61
	v_fma_f32 v188, v68, v60, -v2
	ds_read_b128 v[2:5], v182 offset:480
	ds_read_b128 v[6:9], v182 offset:496
	;; [unrolled: 1-line block ×4, first 2 shown]
	v_mul_f32_e32 v187, v66, v59
	v_mul_f32_e32 v189, v68, v61
	v_fmac_f32_e32 v187, v67, v58
	s_waitcnt vmcnt(4) lgkmcnt(3)
	v_pk_mul_f32 v[20:21], v[2:3], v[62:63] op_sel:[1,1] op_sel_hi:[0,1]
	v_fmac_f32_e32 v189, v69, v60
	v_pk_add_f32 v[18:19], v[110:111], v[186:187]
	v_pk_fma_f32 v[22:23], v[2:3], v[62:63], v[20:21] neg_lo:[0,0,1] neg_hi:[0,0,1]
	v_pk_fma_f32 v[2:3], v[2:3], v[62:63], v[20:21] op_sel_hi:[1,0,1]
	v_pk_add_f32 v[18:19], v[18:19], v[188:189]
	v_mov_b32_e32 v23, v3
	v_pk_add_f32 v[2:3], v[18:19], v[22:23]
	v_mov_b32_e32 v18, v65
	v_pk_mul_f32 v[18:19], v[4:5], v[18:19] op_sel:[1,0] op_sel_hi:[0,0]
	v_pk_fma_f32 v[20:21], v[4:5], v[64:65], v[18:19] neg_lo:[0,0,1] neg_hi:[0,0,1]
	v_pk_fma_f32 v[4:5], v[4:5], v[64:65], v[18:19] op_sel_hi:[1,0,1]
	s_nop 0
	v_mov_b32_e32 v21, v5
	s_waitcnt vmcnt(3) lgkmcnt(2)
	v_pk_mul_f32 v[4:5], v[6:7], v[54:55] op_sel:[1,1] op_sel_hi:[0,1]
	v_pk_fma_f32 v[18:19], v[6:7], v[54:55], v[4:5] neg_lo:[0,0,1] neg_hi:[0,0,1]
	v_pk_fma_f32 v[4:5], v[6:7], v[54:55], v[4:5] op_sel_hi:[1,0,1]
	v_pk_add_f32 v[2:3], v[2:3], v[20:21]
	v_mov_b32_e32 v4, v57
	v_mov_b32_e32 v19, v5
	v_pk_mul_f32 v[4:5], v[8:9], v[4:5] op_sel:[1,0] op_sel_hi:[0,0]
	v_pk_fma_f32 v[6:7], v[8:9], v[56:57], v[4:5] neg_lo:[0,0,1] neg_hi:[0,0,1]
	v_pk_fma_f32 v[4:5], v[8:9], v[56:57], v[4:5] op_sel_hi:[1,0,1]
	v_pk_add_f32 v[2:3], v[2:3], v[18:19]
	v_mov_b32_e32 v7, v5
	s_waitcnt vmcnt(2) lgkmcnt(1)
	v_pk_mul_f32 v[4:5], v[10:11], v[42:43] op_sel:[1,1] op_sel_hi:[0,1]
	v_pk_add_f32 v[2:3], v[2:3], v[6:7]
	v_pk_fma_f32 v[6:7], v[10:11], v[42:43], v[4:5] neg_lo:[0,0,1] neg_hi:[0,0,1]
	v_pk_fma_f32 v[4:5], v[10:11], v[42:43], v[4:5] op_sel_hi:[1,0,1]
	s_nop 0
	v_mov_b32_e32 v4, v45
	v_mov_b32_e32 v7, v5
	v_pk_mul_f32 v[4:5], v[12:13], v[4:5] op_sel:[1,0] op_sel_hi:[0,0]
	v_pk_add_f32 v[2:3], v[2:3], v[6:7]
	v_pk_fma_f32 v[6:7], v[12:13], v[44:45], v[4:5] neg_lo:[0,0,1] neg_hi:[0,0,1]
	v_pk_fma_f32 v[4:5], v[12:13], v[44:45], v[4:5] op_sel_hi:[1,0,1]
	s_nop 0
	v_mov_b32_e32 v7, v5
	s_waitcnt vmcnt(1) lgkmcnt(0)
	v_pk_mul_f32 v[4:5], v[14:15], v[34:35] op_sel:[1,1] op_sel_hi:[0,1]
	v_pk_add_f32 v[2:3], v[2:3], v[6:7]
	v_pk_fma_f32 v[6:7], v[14:15], v[34:35], v[4:5] neg_lo:[0,0,1] neg_hi:[0,0,1]
	v_pk_fma_f32 v[4:5], v[14:15], v[34:35], v[4:5] op_sel_hi:[1,0,1]
	s_nop 0
	v_mov_b32_e32 v4, v37
	v_mov_b32_e32 v7, v5
	v_pk_mul_f32 v[4:5], v[16:17], v[4:5] op_sel:[1,0] op_sel_hi:[0,0]
	v_pk_add_f32 v[2:3], v[2:3], v[6:7]
	v_pk_fma_f32 v[6:7], v[16:17], v[36:37], v[4:5] neg_lo:[0,0,1] neg_hi:[0,0,1]
	v_pk_fma_f32 v[4:5], v[16:17], v[36:37], v[4:5] op_sel_hi:[1,0,1]
	s_nop 0
	v_mov_b32_e32 v7, v5
	v_pk_add_f32 v[2:3], v[2:3], v[6:7]
	s_waitcnt vmcnt(0)
	v_pk_add_f32 v[2:3], v[184:185], v[2:3] neg_lo:[0,1] neg_hi:[0,1]
	scratch_store_dwordx2 off, v[2:3], off offset:8
	s_and_saveexec_b64 s[0:1], vcc
	s_cbranch_execz .LBB97_217
; %bb.216:
	scratch_load_dwordx2 v[2:3], off, off
	v_mov_b32_e32 v4, 0
	v_mov_b32_e32 v5, v4
	scratch_store_dwordx2 off, v[4:5], off
	s_waitcnt vmcnt(1)
	ds_write_b64 v1, v[2:3]
.LBB97_217:
	s_or_b64 exec, exec, s[0:1]
	s_waitcnt lgkmcnt(0)
	; wave barrier
	scratch_load_dwordx4 v[0:3], off, off offset:8
	scratch_load_dwordx4 v[4:7], off, off offset:24
	;; [unrolled: 1-line block ×13, first 2 shown]
	v_mov_b32_e32 v52, 0
	scratch_load_dwordx2 v[190:191], off, off
	ds_read2_b64 v[54:57], v52 offset0:35 offset1:36
	ds_read2_b64 v[58:61], v52 offset0:37 offset1:38
	;; [unrolled: 1-line block ×14, first 2 shown]
	s_and_b64 vcc, exec, s[10:11]
	s_waitcnt vmcnt(13) lgkmcnt(13)
	v_mul_f32_e32 v53, v54, v1
	v_mul_f32_e32 v110, v56, v3
	v_fmac_f32_e32 v53, v55, v0
	s_waitcnt vmcnt(12) lgkmcnt(12)
	v_mul_f32_e32 v111, v58, v5
	v_fmac_f32_e32 v110, v57, v2
	v_add_f32_e32 v53, 0, v53
	v_mul_f32_e32 v112, v60, v7
	v_fmac_f32_e32 v111, v59, v4
	v_add_f32_e32 v53, v53, v110
	s_waitcnt vmcnt(11) lgkmcnt(11)
	v_mul_f32_e32 v113, v62, v9
	v_fmac_f32_e32 v112, v61, v6
	v_add_f32_e32 v53, v53, v111
	v_mul_f32_e32 v182, v64, v11
	v_fmac_f32_e32 v113, v63, v8
	v_add_f32_e32 v53, v53, v112
	;; [unrolled: 7-line block ×8, first 2 shown]
	s_waitcnt vmcnt(4) lgkmcnt(4)
	v_mul_f32_e32 v199, v90, v37
	v_fmac_f32_e32 v198, v89, v34
	v_add_f32_e32 v53, v53, v197
	v_fmac_f32_e32 v199, v91, v36
	v_add_f32_e32 v53, v53, v198
	v_add_f32_e32 v53, v53, v199
	scratch_load_dwordx4 v[110:113], off, off offset:216
	scratch_load_dwordx4 v[182:185], off, off offset:232
	;; [unrolled: 1-line block ×3, first 2 shown]
	scratch_load_dwordx2 v[198:199], off, off offset:264
	v_mul_f32_e32 v1, v55, v1
	v_fma_f32 v0, v54, v0, -v1
	v_mul_f32_e32 v1, v57, v3
	v_add_f32_e32 v0, 0, v0
	v_fma_f32 v1, v56, v2, -v1
	v_add_f32_e32 v0, v0, v1
	v_mul_f32_e32 v1, v59, v5
	v_fma_f32 v1, v58, v4, -v1
	v_add_f32_e32 v0, v0, v1
	v_mul_f32_e32 v1, v61, v7
	;; [unrolled: 3-line block ×18, first 2 shown]
	v_fma_f32 v1, v92, v38, -v1
	v_add_f32_e32 v0, v0, v1
	s_waitcnt vmcnt(7) lgkmcnt(3)
	v_mul_f32_e32 v1, v95, v41
	v_fma_f32 v1, v94, v40, -v1
	v_mul_f32_e32 v200, v92, v39
	v_add_f32_e32 v0, v0, v1
	v_mul_f32_e32 v1, v97, v43
	v_mul_f32_e32 v201, v94, v41
	v_fmac_f32_e32 v200, v93, v38
	v_fma_f32 v1, v96, v42, -v1
	v_mul_f32_e32 v202, v96, v43
	v_fmac_f32_e32 v201, v95, v40
	v_add_f32_e32 v53, v53, v200
	v_add_f32_e32 v0, v0, v1
	s_waitcnt vmcnt(6) lgkmcnt(2)
	v_mul_f32_e32 v1, v99, v45
	v_mul_f32_e32 v203, v98, v45
	v_fmac_f32_e32 v202, v97, v42
	v_add_f32_e32 v53, v53, v201
	v_fma_f32 v1, v98, v44, -v1
	v_mul_f32_e32 v193, v100, v47
	v_fmac_f32_e32 v203, v99, v44
	v_add_f32_e32 v53, v53, v202
	v_add_f32_e32 v196, v0, v1
	v_mul_f32_e32 v0, v101, v47
	s_waitcnt vmcnt(5)
	v_mov_b32_e32 v12, v51
	s_waitcnt lgkmcnt(1)
	v_mul_f32_e32 v195, v102, v49
	v_fmac_f32_e32 v193, v101, v46
	v_add_f32_e32 v197, v53, v203
	v_fma_f32 v192, v100, v46, -v0
	v_mul_f32_e32 v0, v103, v49
	v_pk_mul_f32 v[12:13], v[104:105], v[12:13] op_sel:[1,0] op_sel_hi:[0,0]
	v_fmac_f32_e32 v195, v103, v48
	v_fma_f32 v194, v102, v48, -v0
	v_pk_add_f32 v[10:11], v[196:197], v[192:193]
	v_pk_fma_f32 v[14:15], v[104:105], v[50:51], v[12:13] neg_lo:[0,0,1] neg_hi:[0,0,1]
	v_pk_fma_f32 v[12:13], v[104:105], v[50:51], v[12:13] op_sel_hi:[1,0,1]
	v_pk_add_f32 v[10:11], v[10:11], v[194:195]
	v_mov_b32_e32 v15, v13
	s_waitcnt vmcnt(3) lgkmcnt(0)
	v_pk_mul_f32 v[12:13], v[106:107], v[110:111] op_sel:[1,1] op_sel_hi:[0,1]
	v_pk_add_f32 v[10:11], v[10:11], v[14:15]
	v_pk_fma_f32 v[14:15], v[106:107], v[110:111], v[12:13] neg_lo:[0,0,1] neg_hi:[0,0,1]
	v_pk_fma_f32 v[12:13], v[106:107], v[110:111], v[12:13] op_sel_hi:[1,0,1]
	ds_read2_b64 v[0:3], v52 offset0:63 offset1:64
	ds_read2_b64 v[4:7], v52 offset0:65 offset1:66
	ds_read_b64 v[8:9], v52 offset:536
	v_mov_b32_e32 v12, v113
	v_mov_b32_e32 v15, v13
	v_pk_mul_f32 v[12:13], v[108:109], v[12:13] op_sel:[1,0] op_sel_hi:[0,0]
	v_pk_add_f32 v[10:11], v[10:11], v[14:15]
	v_pk_fma_f32 v[14:15], v[108:109], v[112:113], v[12:13] neg_lo:[0,0,1] neg_hi:[0,0,1]
	v_pk_fma_f32 v[12:13], v[108:109], v[112:113], v[12:13] op_sel_hi:[1,0,1]
	s_nop 0
	v_mov_b32_e32 v15, v13
	s_waitcnt vmcnt(2) lgkmcnt(2)
	v_pk_mul_f32 v[12:13], v[0:1], v[182:183] op_sel:[1,1] op_sel_hi:[0,1]
	v_pk_add_f32 v[10:11], v[10:11], v[14:15]
	v_pk_fma_f32 v[14:15], v[0:1], v[182:183], v[12:13] neg_lo:[0,0,1] neg_hi:[0,0,1]
	v_pk_fma_f32 v[0:1], v[0:1], v[182:183], v[12:13] op_sel_hi:[1,0,1]
	s_nop 0
	v_mov_b32_e32 v15, v1
	v_pk_add_f32 v[0:1], v[10:11], v[14:15]
	v_mov_b32_e32 v10, v185
	v_pk_mul_f32 v[10:11], v[2:3], v[10:11] op_sel:[1,0] op_sel_hi:[0,0]
	v_pk_fma_f32 v[12:13], v[2:3], v[184:185], v[10:11] neg_lo:[0,0,1] neg_hi:[0,0,1]
	v_pk_fma_f32 v[2:3], v[2:3], v[184:185], v[10:11] op_sel_hi:[1,0,1]
	s_nop 0
	v_mov_b32_e32 v13, v3
	s_waitcnt vmcnt(1) lgkmcnt(1)
	v_pk_mul_f32 v[2:3], v[4:5], v[186:187] op_sel:[1,1] op_sel_hi:[0,1]
	v_pk_fma_f32 v[10:11], v[4:5], v[186:187], v[2:3] neg_lo:[0,0,1] neg_hi:[0,0,1]
	v_pk_fma_f32 v[2:3], v[4:5], v[186:187], v[2:3] op_sel_hi:[1,0,1]
	v_pk_add_f32 v[0:1], v[0:1], v[12:13]
	v_mov_b32_e32 v2, v189
	v_mov_b32_e32 v11, v3
	v_pk_mul_f32 v[2:3], v[6:7], v[2:3] op_sel:[1,0] op_sel_hi:[0,0]
	v_pk_fma_f32 v[4:5], v[6:7], v[188:189], v[2:3] neg_lo:[0,0,1] neg_hi:[0,0,1]
	v_pk_fma_f32 v[2:3], v[6:7], v[188:189], v[2:3] op_sel_hi:[1,0,1]
	v_pk_add_f32 v[0:1], v[0:1], v[10:11]
	v_mov_b32_e32 v5, v3
	s_waitcnt vmcnt(0) lgkmcnt(0)
	v_pk_mul_f32 v[2:3], v[8:9], v[198:199] op_sel:[1,1] op_sel_hi:[0,1]
	v_pk_add_f32 v[0:1], v[0:1], v[4:5]
	v_pk_fma_f32 v[4:5], v[8:9], v[198:199], v[2:3] neg_lo:[0,0,1] neg_hi:[0,0,1]
	v_pk_fma_f32 v[2:3], v[8:9], v[198:199], v[2:3] op_sel_hi:[1,0,1]
	s_nop 0
	v_mov_b32_e32 v5, v3
	v_pk_add_f32 v[0:1], v[0:1], v[4:5]
	s_nop 0
	v_pk_add_f32 v[0:1], v[190:191], v[0:1] neg_lo:[0,1] neg_hi:[0,1]
	scratch_store_dwordx2 off, v[0:1], off
	s_cbranch_vccz .LBB97_284
; %bb.218:
	global_load_dword v0, v52, s[8:9] offset:128
	s_waitcnt vmcnt(0)
	v_readfirstlane_b32 s0, v0
	s_add_i32 s0, s0, -1
	s_cmp_lg_u32 s0, 32
	s_cbranch_scc0 .LBB97_220
; %bb.219:
	s_lshl_b32 s0, s0, 3
	s_nop 0
	scratch_load_dwordx2 v[0:1], off, s0
	scratch_load_dwordx2 v[2:3], off, off offset:256
	s_waitcnt vmcnt(1)
	scratch_store_dwordx2 off, v[0:1], off offset:256
	s_waitcnt vmcnt(1)
	scratch_store_dwordx2 off, v[2:3], s0
.LBB97_220:
	v_mov_b32_e32 v0, 0
	global_load_dword v1, v0, s[8:9] offset:124
	s_waitcnt vmcnt(0)
	v_readfirstlane_b32 s0, v1
	s_add_i32 s0, s0, -1
	s_cmp_eq_u32 s0, 31
	s_cbranch_scc1 .LBB97_222
; %bb.221:
	s_lshl_b32 s0, s0, 3
	s_nop 0
	scratch_load_dwordx2 v[2:3], off, s0
	scratch_load_dwordx2 v[4:5], off, off offset:248
	s_waitcnt vmcnt(1)
	scratch_store_dwordx2 off, v[2:3], off offset:248
	s_waitcnt vmcnt(1)
	scratch_store_dwordx2 off, v[4:5], s0
.LBB97_222:
	global_load_dword v0, v0, s[8:9] offset:120
	s_waitcnt vmcnt(0)
	v_readfirstlane_b32 s0, v0
	s_add_i32 s0, s0, -1
	s_cmp_eq_u32 s0, 30
	s_cbranch_scc1 .LBB97_224
; %bb.223:
	s_lshl_b32 s0, s0, 3
	s_nop 0
	scratch_load_dwordx2 v[0:1], off, s0
	scratch_load_dwordx2 v[2:3], off, off offset:240
	s_waitcnt vmcnt(1)
	scratch_store_dwordx2 off, v[0:1], off offset:240
	s_waitcnt vmcnt(1)
	scratch_store_dwordx2 off, v[2:3], s0
.LBB97_224:
	v_mov_b32_e32 v0, 0
	global_load_dword v1, v0, s[8:9] offset:116
	s_waitcnt vmcnt(0)
	v_readfirstlane_b32 s0, v1
	s_add_i32 s0, s0, -1
	s_cmp_eq_u32 s0, 29
	s_cbranch_scc1 .LBB97_226
; %bb.225:
	s_lshl_b32 s0, s0, 3
	s_nop 0
	scratch_load_dwordx2 v[2:3], off, s0
	scratch_load_dwordx2 v[4:5], off, off offset:232
	s_waitcnt vmcnt(1)
	scratch_store_dwordx2 off, v[2:3], off offset:232
	s_waitcnt vmcnt(1)
	scratch_store_dwordx2 off, v[4:5], s0
.LBB97_226:
	global_load_dword v0, v0, s[8:9] offset:112
	s_waitcnt vmcnt(0)
	v_readfirstlane_b32 s0, v0
	s_add_i32 s0, s0, -1
	s_cmp_eq_u32 s0, 28
	s_cbranch_scc1 .LBB97_228
; %bb.227:
	s_lshl_b32 s0, s0, 3
	s_nop 0
	scratch_load_dwordx2 v[0:1], off, s0
	scratch_load_dwordx2 v[2:3], off, off offset:224
	s_waitcnt vmcnt(1)
	scratch_store_dwordx2 off, v[0:1], off offset:224
	s_waitcnt vmcnt(1)
	scratch_store_dwordx2 off, v[2:3], s0
.LBB97_228:
	;; [unrolled: 33-line block ×15, first 2 shown]
	v_mov_b32_e32 v0, 0
	global_load_dword v1, v0, s[8:9] offset:4
	s_waitcnt vmcnt(0)
	v_readfirstlane_b32 s0, v1
	s_add_i32 s0, s0, -1
	s_cmp_eq_u32 s0, 1
	s_cbranch_scc1 .LBB97_282
; %bb.281:
	s_lshl_b32 s0, s0, 3
	s_nop 0
	scratch_load_dwordx2 v[2:3], off, s0
	scratch_load_dwordx2 v[4:5], off, off offset:8
	s_waitcnt vmcnt(1)
	scratch_store_dwordx2 off, v[2:3], off offset:8
	s_waitcnt vmcnt(1)
	scratch_store_dwordx2 off, v[4:5], s0
.LBB97_282:
	global_load_dword v2, v0, s[8:9]
	s_nop 0
	scratch_load_dwordx2 v[0:1], off, off
	s_waitcnt vmcnt(1)
	v_readfirstlane_b32 s0, v2
	s_add_i32 s0, s0, -1
	s_cmp_eq_u32 s0, 0
	s_cbranch_scc1 .LBB97_284
; %bb.283:
	s_lshl_b32 s0, s0, 3
	s_nop 0
	scratch_load_dwordx2 v[2:3], off, s0
	s_waitcnt vmcnt(0)
	scratch_store_dwordx2 off, v[2:3], off
	scratch_store_dwordx2 off, v[0:1], s0
	scratch_load_dwordx2 v[0:1], off, off
.LBB97_284:
	s_waitcnt vmcnt(0)
	flat_store_dwordx2 v[114:115], v[0:1]
	scratch_load_dwordx2 v[0:1], off, off offset:8
	s_waitcnt vmcnt(0)
	flat_store_dwordx2 v[116:117], v[0:1]
	scratch_load_dwordx2 v[0:1], off, off offset:16
	s_waitcnt vmcnt(0)
	flat_store_dwordx2 v[118:119], v[0:1]
	scratch_load_dwordx2 v[0:1], off, off offset:24
	s_waitcnt vmcnt(0)
	flat_store_dwordx2 v[120:121], v[0:1]
	scratch_load_dwordx2 v[0:1], off, off offset:32
	s_waitcnt vmcnt(0)
	flat_store_dwordx2 v[122:123], v[0:1]
	scratch_load_dwordx2 v[0:1], off, off offset:40
	s_waitcnt vmcnt(0)
	flat_store_dwordx2 v[124:125], v[0:1]
	scratch_load_dwordx2 v[0:1], off, off offset:48
	s_waitcnt vmcnt(0)
	flat_store_dwordx2 v[126:127], v[0:1]
	scratch_load_dwordx2 v[0:1], off, off offset:56
	s_waitcnt vmcnt(0)
	flat_store_dwordx2 v[128:129], v[0:1]
	scratch_load_dwordx2 v[0:1], off, off offset:64
	s_waitcnt vmcnt(0)
	flat_store_dwordx2 v[130:131], v[0:1]
	scratch_load_dwordx2 v[0:1], off, off offset:72
	s_waitcnt vmcnt(0)
	flat_store_dwordx2 v[132:133], v[0:1]
	scratch_load_dwordx2 v[0:1], off, off offset:80
	s_waitcnt vmcnt(0)
	flat_store_dwordx2 v[134:135], v[0:1]
	scratch_load_dwordx2 v[0:1], off, off offset:88
	s_waitcnt vmcnt(0)
	flat_store_dwordx2 v[136:137], v[0:1]
	scratch_load_dwordx2 v[0:1], off, off offset:96
	s_waitcnt vmcnt(0)
	flat_store_dwordx2 v[138:139], v[0:1]
	scratch_load_dwordx2 v[0:1], off, off offset:104
	s_waitcnt vmcnt(0)
	flat_store_dwordx2 v[140:141], v[0:1]
	scratch_load_dwordx2 v[0:1], off, off offset:112
	s_waitcnt vmcnt(0)
	flat_store_dwordx2 v[142:143], v[0:1]
	scratch_load_dwordx2 v[0:1], off, off offset:120
	s_waitcnt vmcnt(0)
	flat_store_dwordx2 v[144:145], v[0:1]
	scratch_load_dwordx2 v[0:1], off, off offset:128
	s_waitcnt vmcnt(0)
	flat_store_dwordx2 v[146:147], v[0:1]
	scratch_load_dwordx2 v[0:1], off, off offset:136
	s_waitcnt vmcnt(0)
	flat_store_dwordx2 v[148:149], v[0:1]
	scratch_load_dwordx2 v[0:1], off, off offset:144
	s_waitcnt vmcnt(0)
	flat_store_dwordx2 v[150:151], v[0:1]
	scratch_load_dwordx2 v[0:1], off, off offset:152
	s_waitcnt vmcnt(0)
	flat_store_dwordx2 v[152:153], v[0:1]
	scratch_load_dwordx2 v[0:1], off, off offset:160
	s_waitcnt vmcnt(0)
	flat_store_dwordx2 v[154:155], v[0:1]
	scratch_load_dwordx2 v[0:1], off, off offset:168
	s_waitcnt vmcnt(0)
	flat_store_dwordx2 v[156:157], v[0:1]
	scratch_load_dwordx2 v[0:1], off, off offset:176
	s_waitcnt vmcnt(0)
	flat_store_dwordx2 v[158:159], v[0:1]
	scratch_load_dwordx2 v[0:1], off, off offset:184
	s_waitcnt vmcnt(0)
	flat_store_dwordx2 v[160:161], v[0:1]
	scratch_load_dwordx2 v[0:1], off, off offset:192
	s_waitcnt vmcnt(0)
	flat_store_dwordx2 v[162:163], v[0:1]
	scratch_load_dwordx2 v[0:1], off, off offset:200
	s_waitcnt vmcnt(0)
	flat_store_dwordx2 v[164:165], v[0:1]
	scratch_load_dwordx2 v[0:1], off, off offset:208
	s_waitcnt vmcnt(0)
	flat_store_dwordx2 v[166:167], v[0:1]
	scratch_load_dwordx2 v[0:1], off, off offset:216
	s_waitcnt vmcnt(0)
	flat_store_dwordx2 v[168:169], v[0:1]
	scratch_load_dwordx2 v[0:1], off, off offset:224
	s_waitcnt vmcnt(0)
	flat_store_dwordx2 v[170:171], v[0:1]
	scratch_load_dwordx2 v[0:1], off, off offset:232
	s_waitcnt vmcnt(0)
	flat_store_dwordx2 v[172:173], v[0:1]
	scratch_load_dwordx2 v[0:1], off, off offset:240
	s_waitcnt vmcnt(0)
	flat_store_dwordx2 v[174:175], v[0:1]
	scratch_load_dwordx2 v[0:1], off, off offset:248
	s_waitcnt vmcnt(0)
	flat_store_dwordx2 v[176:177], v[0:1]
	scratch_load_dwordx2 v[0:1], off, off offset:256
	s_waitcnt vmcnt(0)
	flat_store_dwordx2 v[178:179], v[0:1]
	scratch_load_dwordx2 v[0:1], off, off offset:264
	s_waitcnt vmcnt(0)
	flat_store_dwordx2 v[180:181], v[0:1]
	s_endpgm
	.section	.rodata,"a",@progbits
	.p2align	6, 0x0
	.amdhsa_kernel _ZN9rocsolver6v33100L18getri_kernel_smallILi34E19rocblas_complex_numIfEPKPS3_EEvT1_iilPiilS8_bb
		.amdhsa_group_segment_fixed_size 548
		.amdhsa_private_segment_fixed_size 288
		.amdhsa_kernarg_size 60
		.amdhsa_user_sgpr_count 2
		.amdhsa_user_sgpr_dispatch_ptr 0
		.amdhsa_user_sgpr_queue_ptr 0
		.amdhsa_user_sgpr_kernarg_segment_ptr 1
		.amdhsa_user_sgpr_dispatch_id 0
		.amdhsa_user_sgpr_kernarg_preload_length 0
		.amdhsa_user_sgpr_kernarg_preload_offset 0
		.amdhsa_user_sgpr_private_segment_size 0
		.amdhsa_uses_dynamic_stack 0
		.amdhsa_enable_private_segment 1
		.amdhsa_system_sgpr_workgroup_id_x 1
		.amdhsa_system_sgpr_workgroup_id_y 0
		.amdhsa_system_sgpr_workgroup_id_z 0
		.amdhsa_system_sgpr_workgroup_info 0
		.amdhsa_system_vgpr_workitem_id 0
		.amdhsa_next_free_vgpr 209
		.amdhsa_next_free_sgpr 17
		.amdhsa_accum_offset 212
		.amdhsa_reserve_vcc 1
		.amdhsa_float_round_mode_32 0
		.amdhsa_float_round_mode_16_64 0
		.amdhsa_float_denorm_mode_32 3
		.amdhsa_float_denorm_mode_16_64 3
		.amdhsa_dx10_clamp 1
		.amdhsa_ieee_mode 1
		.amdhsa_fp16_overflow 0
		.amdhsa_tg_split 0
		.amdhsa_exception_fp_ieee_invalid_op 0
		.amdhsa_exception_fp_denorm_src 0
		.amdhsa_exception_fp_ieee_div_zero 0
		.amdhsa_exception_fp_ieee_overflow 0
		.amdhsa_exception_fp_ieee_underflow 0
		.amdhsa_exception_fp_ieee_inexact 0
		.amdhsa_exception_int_div_zero 0
	.end_amdhsa_kernel
	.section	.text._ZN9rocsolver6v33100L18getri_kernel_smallILi34E19rocblas_complex_numIfEPKPS3_EEvT1_iilPiilS8_bb,"axG",@progbits,_ZN9rocsolver6v33100L18getri_kernel_smallILi34E19rocblas_complex_numIfEPKPS3_EEvT1_iilPiilS8_bb,comdat
.Lfunc_end97:
	.size	_ZN9rocsolver6v33100L18getri_kernel_smallILi34E19rocblas_complex_numIfEPKPS3_EEvT1_iilPiilS8_bb, .Lfunc_end97-_ZN9rocsolver6v33100L18getri_kernel_smallILi34E19rocblas_complex_numIfEPKPS3_EEvT1_iilPiilS8_bb
                                        ; -- End function
	.set _ZN9rocsolver6v33100L18getri_kernel_smallILi34E19rocblas_complex_numIfEPKPS3_EEvT1_iilPiilS8_bb.num_vgpr, 209
	.set _ZN9rocsolver6v33100L18getri_kernel_smallILi34E19rocblas_complex_numIfEPKPS3_EEvT1_iilPiilS8_bb.num_agpr, 0
	.set _ZN9rocsolver6v33100L18getri_kernel_smallILi34E19rocblas_complex_numIfEPKPS3_EEvT1_iilPiilS8_bb.numbered_sgpr, 17
	.set _ZN9rocsolver6v33100L18getri_kernel_smallILi34E19rocblas_complex_numIfEPKPS3_EEvT1_iilPiilS8_bb.num_named_barrier, 0
	.set _ZN9rocsolver6v33100L18getri_kernel_smallILi34E19rocblas_complex_numIfEPKPS3_EEvT1_iilPiilS8_bb.private_seg_size, 288
	.set _ZN9rocsolver6v33100L18getri_kernel_smallILi34E19rocblas_complex_numIfEPKPS3_EEvT1_iilPiilS8_bb.uses_vcc, 1
	.set _ZN9rocsolver6v33100L18getri_kernel_smallILi34E19rocblas_complex_numIfEPKPS3_EEvT1_iilPiilS8_bb.uses_flat_scratch, 0
	.set _ZN9rocsolver6v33100L18getri_kernel_smallILi34E19rocblas_complex_numIfEPKPS3_EEvT1_iilPiilS8_bb.has_dyn_sized_stack, 0
	.set _ZN9rocsolver6v33100L18getri_kernel_smallILi34E19rocblas_complex_numIfEPKPS3_EEvT1_iilPiilS8_bb.has_recursion, 0
	.set _ZN9rocsolver6v33100L18getri_kernel_smallILi34E19rocblas_complex_numIfEPKPS3_EEvT1_iilPiilS8_bb.has_indirect_call, 0
	.section	.AMDGPU.csdata,"",@progbits
; Kernel info:
; codeLenInByte = 39560
; TotalNumSgprs: 23
; NumVgprs: 209
; NumAgprs: 0
; TotalNumVgprs: 209
; ScratchSize: 288
; MemoryBound: 0
; FloatMode: 240
; IeeeMode: 1
; LDSByteSize: 548 bytes/workgroup (compile time only)
; SGPRBlocks: 2
; VGPRBlocks: 26
; NumSGPRsForWavesPerEU: 23
; NumVGPRsForWavesPerEU: 209
; AccumOffset: 212
; Occupancy: 2
; WaveLimiterHint : 1
; COMPUTE_PGM_RSRC2:SCRATCH_EN: 1
; COMPUTE_PGM_RSRC2:USER_SGPR: 2
; COMPUTE_PGM_RSRC2:TRAP_HANDLER: 0
; COMPUTE_PGM_RSRC2:TGID_X_EN: 1
; COMPUTE_PGM_RSRC2:TGID_Y_EN: 0
; COMPUTE_PGM_RSRC2:TGID_Z_EN: 0
; COMPUTE_PGM_RSRC2:TIDIG_COMP_CNT: 0
; COMPUTE_PGM_RSRC3_GFX90A:ACCUM_OFFSET: 52
; COMPUTE_PGM_RSRC3_GFX90A:TG_SPLIT: 0
	.section	.text._ZN9rocsolver6v33100L18getri_kernel_smallILi35E19rocblas_complex_numIfEPKPS3_EEvT1_iilPiilS8_bb,"axG",@progbits,_ZN9rocsolver6v33100L18getri_kernel_smallILi35E19rocblas_complex_numIfEPKPS3_EEvT1_iilPiilS8_bb,comdat
	.globl	_ZN9rocsolver6v33100L18getri_kernel_smallILi35E19rocblas_complex_numIfEPKPS3_EEvT1_iilPiilS8_bb ; -- Begin function _ZN9rocsolver6v33100L18getri_kernel_smallILi35E19rocblas_complex_numIfEPKPS3_EEvT1_iilPiilS8_bb
	.p2align	8
	.type	_ZN9rocsolver6v33100L18getri_kernel_smallILi35E19rocblas_complex_numIfEPKPS3_EEvT1_iilPiilS8_bb,@function
_ZN9rocsolver6v33100L18getri_kernel_smallILi35E19rocblas_complex_numIfEPKPS3_EEvT1_iilPiilS8_bb: ; @_ZN9rocsolver6v33100L18getri_kernel_smallILi35E19rocblas_complex_numIfEPKPS3_EEvT1_iilPiilS8_bb
; %bb.0:
	v_cmp_gt_u32_e32 vcc, 35, v0
	s_and_saveexec_b64 s[4:5], vcc
	s_cbranch_execz .LBB98_154
; %bb.1:
	s_load_dword s14, s[0:1], 0x38
	s_load_dwordx2 s[8:9], s[0:1], 0x0
	s_load_dwordx4 s[4:7], s[0:1], 0x28
	s_waitcnt lgkmcnt(0)
	s_bitcmp1_b32 s14, 8
	s_cselect_b64 s[10:11], -1, 0
	s_ashr_i32 s3, s2, 31
	s_lshl_b64 s[12:13], s[2:3], 3
	s_add_u32 s8, s8, s12
	s_addc_u32 s9, s9, s13
	s_load_dwordx2 s[12:13], s[8:9], 0x0
	s_bfe_u32 s8, s14, 0x10008
	s_cmp_eq_u32 s8, 0
                                        ; implicit-def: $sgpr8_sgpr9
	s_cbranch_scc1 .LBB98_3
; %bb.2:
	s_load_dword s8, s[0:1], 0x20
	s_load_dwordx2 s[14:15], s[0:1], 0x18
	s_mul_i32 s9, s4, s3
	s_mul_hi_u32 s16, s4, s2
	s_add_i32 s16, s16, s9
	s_mul_i32 s5, s5, s2
	s_add_i32 s5, s16, s5
	s_mul_i32 s4, s4, s2
	s_waitcnt lgkmcnt(0)
	s_ashr_i32 s9, s8, 31
	s_lshl_b64 s[4:5], s[4:5], 2
	s_add_u32 s14, s14, s4
	s_addc_u32 s15, s15, s5
	s_lshl_b64 s[4:5], s[8:9], 2
	s_add_u32 s8, s14, s4
	s_addc_u32 s9, s15, s5
.LBB98_3:
	s_load_dwordx2 s[4:5], s[0:1], 0x8
	s_load_dword s14, s[0:1], 0x38
	v_lshlrev_b32_e32 v2, 3, v0
	v_mov_b32_e32 v3, 0
	s_waitcnt lgkmcnt(0)
	s_ashr_i32 s1, s4, 31
	s_mov_b32 s0, s4
	s_lshl_b64 s[0:1], s[0:1], 3
	s_add_u32 s0, s12, s0
	s_addc_u32 s1, s13, s1
	v_lshl_add_u64 v[114:115], s[0:1], 0, v[2:3]
	flat_load_dwordx2 v[4:5], v[114:115]
	s_mov_b32 s12, s5
	s_ashr_i32 s13, s5, 31
	v_lshl_add_u64 v[116:117], s[12:13], 3, v[114:115]
	s_add_i32 s4, s5, s5
	v_add_u32_e32 v6, s4, v0
	v_ashrrev_i32_e32 v7, 31, v6
	v_lshl_add_u64 v[118:119], v[6:7], 3, s[0:1]
	v_add_u32_e32 v6, s5, v6
	v_ashrrev_i32_e32 v7, 31, v6
	v_lshl_add_u64 v[120:121], v[6:7], 3, s[0:1]
	;; [unrolled: 3-line block ×25, first 2 shown]
	s_waitcnt vmcnt(0) lgkmcnt(0)
	scratch_store_dwordx2 off, v[4:5], off
	flat_load_dwordx2 v[4:5], v[116:117]
	v_add_u32_e32 v6, s5, v6
	v_ashrrev_i32_e32 v7, 31, v6
	v_lshl_add_u64 v[168:169], v[6:7], 3, s[0:1]
	v_add_u32_e32 v6, s5, v6
	v_ashrrev_i32_e32 v7, 31, v6
	v_lshl_add_u64 v[170:171], v[6:7], 3, s[0:1]
	v_add_u32_e32 v6, s5, v6
	v_ashrrev_i32_e32 v7, 31, v6
	v_lshl_add_u64 v[172:173], v[6:7], 3, s[0:1]
	v_add_u32_e32 v6, s5, v6
	v_ashrrev_i32_e32 v7, 31, v6
	v_lshl_add_u64 v[174:175], v[6:7], 3, s[0:1]
	v_add_u32_e32 v6, s5, v6
	v_ashrrev_i32_e32 v7, 31, v6
	v_lshl_add_u64 v[176:177], v[6:7], 3, s[0:1]
	v_add_u32_e32 v6, s5, v6
	v_ashrrev_i32_e32 v7, 31, v6
	v_lshl_add_u64 v[178:179], v[6:7], 3, s[0:1]
	v_add_u32_e32 v6, s5, v6
	v_ashrrev_i32_e32 v7, 31, v6
	v_lshl_add_u64 v[180:181], v[6:7], 3, s[0:1]
	v_add_u32_e32 v6, s5, v6
	v_ashrrev_i32_e32 v7, 31, v6
	v_lshl_add_u64 v[182:183], v[6:7], 3, s[0:1]
	s_bitcmp0_b32 s14, 0
	s_mov_b64 s[4:5], -1
	s_waitcnt vmcnt(0) lgkmcnt(0)
	scratch_store_dwordx2 off, v[4:5], off offset:8
	flat_load_dwordx2 v[4:5], v[118:119]
	s_waitcnt vmcnt(0) lgkmcnt(0)
	scratch_store_dwordx2 off, v[4:5], off offset:16
	flat_load_dwordx2 v[4:5], v[120:121]
	;; [unrolled: 3-line block ×33, first 2 shown]
	s_waitcnt vmcnt(0) lgkmcnt(0)
	scratch_store_dwordx2 off, v[4:5], off offset:272
	s_cbranch_scc1 .LBB98_152
; %bb.4:
	v_cmp_eq_u32_e64 s[0:1], 0, v0
	s_and_saveexec_b64 s[4:5], s[0:1]
; %bb.5:
	v_mov_b32_e32 v1, 0
	ds_write_b32 v1, v1 offset:280
; %bb.6:
	s_or_b64 exec, exec, s[4:5]
	s_waitcnt lgkmcnt(0)
	; wave barrier
	scratch_load_dwordx2 v[4:5], v2, off
	s_waitcnt vmcnt(0)
	v_cmp_eq_f32_e32 vcc, 0, v4
	v_cmp_eq_f32_e64 s[4:5], 0, v5
	s_and_b64 s[4:5], vcc, s[4:5]
	s_and_saveexec_b64 s[12:13], s[4:5]
	s_cbranch_execz .LBB98_10
; %bb.7:
	v_mov_b32_e32 v1, 0
	ds_read_b32 v4, v1 offset:280
	v_add_u32_e32 v3, 1, v0
	s_waitcnt lgkmcnt(0)
	v_readfirstlane_b32 s4, v4
	s_cmp_eq_u32 s4, 0
	s_cselect_b64 s[14:15], -1, 0
	v_cmp_gt_i32_e32 vcc, s4, v3
	s_or_b64 s[14:15], s[14:15], vcc
	s_and_b64 exec, exec, s[14:15]
	s_cbranch_execz .LBB98_10
; %bb.8:
	s_mov_b64 s[14:15], 0
	v_mov_b32_e32 v4, s4
.LBB98_9:                               ; =>This Inner Loop Header: Depth=1
	ds_cmpst_rtn_b32 v4, v1, v4, v3 offset:280
	s_waitcnt lgkmcnt(0)
	v_cmp_ne_u32_e32 vcc, 0, v4
	v_cmp_le_i32_e64 s[4:5], v4, v3
	s_and_b64 s[4:5], vcc, s[4:5]
	s_and_b64 s[4:5], exec, s[4:5]
	s_or_b64 s[14:15], s[4:5], s[14:15]
	s_andn2_b64 exec, exec, s[14:15]
	s_cbranch_execnz .LBB98_9
.LBB98_10:
	s_or_b64 exec, exec, s[12:13]
	v_mov_b32_e32 v3, 0
	; wave barrier
	ds_read_b32 v1, v3 offset:280
	s_and_saveexec_b64 s[4:5], s[0:1]
	s_cbranch_execz .LBB98_12
; %bb.11:
	s_lshl_b64 s[12:13], s[2:3], 2
	s_add_u32 s12, s6, s12
	s_addc_u32 s13, s7, s13
	s_waitcnt lgkmcnt(0)
	global_store_dword v3, v1, s[12:13]
.LBB98_12:
	s_or_b64 exec, exec, s[4:5]
	s_waitcnt lgkmcnt(0)
	v_cmp_ne_u32_e32 vcc, 0, v1
	s_mov_b64 s[4:5], 0
	s_cbranch_vccnz .LBB98_152
; %bb.13:
	v_mov_b32_e32 v3, v2
	scratch_load_dwordx2 v[4:5], v3, off
                                        ; implicit-def: $vgpr7
                                        ; implicit-def: $vgpr8
	s_waitcnt vmcnt(0)
	v_cmp_ngt_f32_e64 s[4:5], |v4|, |v5|
	s_and_saveexec_b64 s[12:13], s[4:5]
	s_xor_b64 s[4:5], exec, s[12:13]
	s_cbranch_execz .LBB98_15
; %bb.14:
	v_div_scale_f32 v1, s[12:13], v5, v5, v4
	v_rcp_f32_e32 v6, v1
	v_div_scale_f32 v7, vcc, v4, v5, v4
	v_fma_f32 v8, -v1, v6, 1.0
	v_fmac_f32_e32 v6, v8, v6
	v_mul_f32_e32 v8, v7, v6
	v_fma_f32 v9, -v1, v8, v7
	v_fmac_f32_e32 v8, v9, v6
	v_fma_f32 v1, -v1, v8, v7
	v_div_fmas_f32 v1, v1, v6, v8
	v_div_fixup_f32 v1, v1, v5, v4
	v_fmac_f32_e32 v5, v4, v1
	v_div_scale_f32 v4, s[12:13], v5, v5, -1.0
	v_rcp_f32_e32 v6, v4
	s_nop 0
	v_fma_f32 v7, -v4, v6, 1.0
	v_fmac_f32_e32 v6, v7, v6
	v_div_scale_f32 v7, vcc, -1.0, v5, -1.0
	v_mul_f32_e32 v8, v7, v6
	v_fma_f32 v9, -v4, v8, v7
	v_fmac_f32_e32 v8, v9, v6
	v_fma_f32 v4, -v4, v8, v7
	v_div_fmas_f32 v4, v4, v6, v8
	v_div_fixup_f32 v7, v4, v5, -1.0
	v_mul_f32_e32 v8, v1, v7
	v_xor_b32_e32 v6, 0x80000000, v8
                                        ; implicit-def: $vgpr4_vgpr5
.LBB98_15:
	s_andn2_saveexec_b64 s[4:5], s[4:5]
	s_cbranch_execz .LBB98_17
; %bb.16:
	v_div_scale_f32 v1, s[12:13], v4, v4, v5
	v_rcp_f32_e32 v6, v1
	v_div_scale_f32 v7, vcc, v5, v4, v5
	v_fma_f32 v8, -v1, v6, 1.0
	v_fmac_f32_e32 v6, v8, v6
	v_mul_f32_e32 v8, v7, v6
	v_fma_f32 v9, -v1, v8, v7
	v_fmac_f32_e32 v8, v9, v6
	v_fma_f32 v1, -v1, v8, v7
	v_div_fmas_f32 v1, v1, v6, v8
	v_div_fixup_f32 v1, v1, v4, v5
	v_fmac_f32_e32 v4, v5, v1
	v_div_scale_f32 v5, s[12:13], v4, v4, 1.0
	v_rcp_f32_e32 v6, v5
	s_nop 0
	v_fma_f32 v7, -v5, v6, 1.0
	v_fmac_f32_e32 v6, v7, v6
	v_div_scale_f32 v7, vcc, 1.0, v4, 1.0
	v_mul_f32_e32 v8, v7, v6
	v_fma_f32 v9, -v5, v8, v7
	v_fmac_f32_e32 v8, v9, v6
	v_fma_f32 v5, -v5, v8, v7
	v_div_fmas_f32 v5, v5, v6, v8
	v_div_fixup_f32 v6, v5, v4, 1.0
	v_xor_b32_e32 v8, 0x80000000, v6
	v_mul_f32_e64 v7, v1, -v6
.LBB98_17:
	s_or_b64 exec, exec, s[4:5]
	scratch_store_dwordx2 v3, v[6:7], off
	scratch_load_dwordx2 v[4:5], off, off offset:8
	v_xor_b32_e32 v9, 0x80000000, v7
	v_add_u32_e32 v1, 0x120, v2
	s_waitcnt vmcnt(0)
	ds_write2_b64 v2, v[8:9], v[4:5] offset1:36
	s_waitcnt lgkmcnt(0)
	; wave barrier
	s_and_saveexec_b64 s[4:5], s[0:1]
	s_cbranch_execz .LBB98_19
; %bb.18:
	scratch_load_dwordx2 v[4:5], v3, off
	ds_read_b64 v[6:7], v1
	v_mov_b32_e32 v8, 0
	ds_read_b64 v[8:9], v8 offset:8
	s_waitcnt vmcnt(0) lgkmcnt(1)
	v_pk_mul_f32 v[10:11], v[6:7], v[4:5] op_sel:[1,1] op_sel_hi:[0,1]
	v_pk_fma_f32 v[12:13], v[6:7], v[4:5], v[10:11] neg_lo:[0,0,1] neg_hi:[0,0,1]
	v_pk_fma_f32 v[4:5], v[6:7], v[4:5], v[10:11] op_sel_hi:[1,0,1]
	s_nop 0
	v_mov_b32_e32 v13, v5
	v_pk_add_f32 v[4:5], v[12:13], 0 op_sel_hi:[1,0]
	s_waitcnt lgkmcnt(0)
	v_pk_mul_f32 v[6:7], v[4:5], v[8:9] op_sel:[1,1] op_sel_hi:[0,1]
	v_pk_fma_f32 v[10:11], v[4:5], v[8:9], v[6:7] neg_lo:[0,0,1] neg_hi:[0,0,1]
	v_pk_fma_f32 v[4:5], v[4:5], v[8:9], v[6:7] op_sel_hi:[1,0,1]
	s_nop 0
	v_mov_b32_e32 v11, v5
	scratch_store_dwordx2 off, v[10:11], off offset:8
.LBB98_19:
	s_or_b64 exec, exec, s[4:5]
	; wave barrier
	scratch_load_dwordx2 v[4:5], off, off offset:16
	v_cmp_gt_u32_e32 vcc, 2, v0
	s_waitcnt vmcnt(0)
	ds_write_b64 v1, v[4:5]
	s_waitcnt lgkmcnt(0)
	; wave barrier
	s_and_saveexec_b64 s[4:5], vcc
	s_cbranch_execz .LBB98_23
; %bb.20:
	scratch_load_dwordx2 v[4:5], v3, off
	ds_read_b64 v[6:7], v1
	s_waitcnt vmcnt(0) lgkmcnt(0)
	v_pk_mul_f32 v[8:9], v[6:7], v[4:5] op_sel:[1,1] op_sel_hi:[0,1]
	v_pk_fma_f32 v[10:11], v[6:7], v[4:5], v[8:9] neg_lo:[0,0,1] neg_hi:[0,0,1]
	v_pk_fma_f32 v[4:5], v[6:7], v[4:5], v[8:9] op_sel_hi:[1,0,1]
	s_nop 0
	v_mov_b32_e32 v11, v5
	v_pk_add_f32 v[4:5], v[10:11], 0 op_sel_hi:[1,0]
	s_and_saveexec_b64 s[12:13], s[0:1]
	s_cbranch_execz .LBB98_22
; %bb.21:
	scratch_load_dwordx2 v[6:7], off, off offset:8
	v_mov_b32_e32 v3, 0
	ds_read_b64 v[8:9], v3 offset:296
	s_waitcnt vmcnt(0) lgkmcnt(0)
	v_pk_mul_f32 v[10:11], v[8:9], v[6:7] op_sel:[1,1] op_sel_hi:[0,1]
	v_pk_fma_f32 v[12:13], v[8:9], v[6:7], v[10:11] neg_lo:[0,0,1] neg_hi:[0,0,1]
	v_pk_fma_f32 v[6:7], v[8:9], v[6:7], v[10:11] op_sel_hi:[1,0,1]
	s_nop 0
	v_mov_b32_e32 v13, v7
	v_pk_add_f32 v[4:5], v[4:5], v[12:13]
.LBB98_22:
	s_or_b64 exec, exec, s[12:13]
	v_mov_b32_e32 v3, 0
	ds_read_b64 v[6:7], v3 offset:16
	s_waitcnt lgkmcnt(0)
	v_pk_mul_f32 v[8:9], v[4:5], v[6:7] op_sel:[1,1] op_sel_hi:[0,1]
	v_pk_fma_f32 v[10:11], v[4:5], v[6:7], v[8:9] neg_lo:[0,0,1] neg_hi:[0,0,1]
	v_pk_fma_f32 v[4:5], v[4:5], v[6:7], v[8:9] op_sel_hi:[1,0,1]
	s_nop 0
	v_mov_b32_e32 v11, v5
	scratch_store_dwordx2 off, v[10:11], off offset:16
.LBB98_23:
	s_or_b64 exec, exec, s[4:5]
	; wave barrier
	scratch_load_dwordx2 v[4:5], off, off offset:24
	v_cmp_gt_u32_e32 vcc, 3, v0
	v_add_u32_e32 v6, -1, v0
	s_waitcnt vmcnt(0)
	ds_write_b64 v1, v[4:5]
	s_waitcnt lgkmcnt(0)
	; wave barrier
	s_and_saveexec_b64 s[0:1], vcc
	s_cbranch_execz .LBB98_27
; %bb.24:
	v_mov_b32_e32 v4, 0
	v_add_u32_e32 v3, -1, v0
	v_add_u32_e32 v7, 0x120, v2
	v_mov_b32_e32 v8, v2
	s_mov_b64 s[4:5], 0
	v_mov_b32_e32 v5, v4
.LBB98_25:                              ; =>This Inner Loop Header: Depth=1
	scratch_load_dwordx2 v[10:11], v8, off
	ds_read_b64 v[12:13], v7
	v_add_u32_e32 v3, 1, v3
	v_cmp_lt_u32_e32 vcc, 1, v3
	v_add_u32_e32 v7, 8, v7
	v_add_u32_e32 v8, 8, v8
	s_or_b64 s[4:5], vcc, s[4:5]
	s_waitcnt vmcnt(0) lgkmcnt(0)
	v_pk_mul_f32 v[14:15], v[12:13], v[10:11] op_sel:[1,1] op_sel_hi:[0,1]
	v_pk_fma_f32 v[16:17], v[12:13], v[10:11], v[14:15] neg_lo:[0,0,1] neg_hi:[0,0,1]
	v_pk_fma_f32 v[10:11], v[12:13], v[10:11], v[14:15] op_sel_hi:[1,0,1]
	s_nop 0
	v_mov_b32_e32 v17, v11
	v_pk_add_f32 v[4:5], v[4:5], v[16:17]
	s_andn2_b64 exec, exec, s[4:5]
	s_cbranch_execnz .LBB98_25
; %bb.26:
	s_or_b64 exec, exec, s[4:5]
	v_mov_b32_e32 v3, 0
	ds_read_b64 v[8:9], v3 offset:24
	s_waitcnt lgkmcnt(0)
	v_pk_mul_f32 v[10:11], v[4:5], v[8:9] op_sel:[1,1] op_sel_hi:[0,1]
	v_pk_fma_f32 v[12:13], v[4:5], v[8:9], v[10:11] neg_lo:[0,0,1] neg_hi:[0,0,1]
	v_pk_fma_f32 v[4:5], v[4:5], v[8:9], v[10:11] op_sel_hi:[1,0,1]
	s_nop 0
	v_mov_b32_e32 v13, v5
	scratch_store_dwordx2 off, v[12:13], off offset:24
.LBB98_27:
	s_or_b64 exec, exec, s[0:1]
	; wave barrier
	scratch_load_dwordx2 v[4:5], off, off offset:32
	v_cmp_gt_u32_e32 vcc, 4, v0
	s_waitcnt vmcnt(0)
	ds_write_b64 v1, v[4:5]
	s_waitcnt lgkmcnt(0)
	; wave barrier
	s_and_saveexec_b64 s[0:1], vcc
	s_cbranch_execz .LBB98_31
; %bb.28:
	v_mov_b32_e32 v4, 0
	v_add_u32_e32 v3, -1, v0
	v_add_u32_e32 v7, 0x120, v2
	v_mov_b32_e32 v8, v2
	s_mov_b64 s[4:5], 0
	v_mov_b32_e32 v5, v4
.LBB98_29:                              ; =>This Inner Loop Header: Depth=1
	scratch_load_dwordx2 v[10:11], v8, off
	ds_read_b64 v[12:13], v7
	v_add_u32_e32 v3, 1, v3
	v_cmp_lt_u32_e32 vcc, 2, v3
	v_add_u32_e32 v7, 8, v7
	v_add_u32_e32 v8, 8, v8
	s_or_b64 s[4:5], vcc, s[4:5]
	s_waitcnt vmcnt(0) lgkmcnt(0)
	v_pk_mul_f32 v[14:15], v[12:13], v[10:11] op_sel:[1,1] op_sel_hi:[0,1]
	v_pk_fma_f32 v[16:17], v[12:13], v[10:11], v[14:15] neg_lo:[0,0,1] neg_hi:[0,0,1]
	v_pk_fma_f32 v[10:11], v[12:13], v[10:11], v[14:15] op_sel_hi:[1,0,1]
	s_nop 0
	v_mov_b32_e32 v17, v11
	v_pk_add_f32 v[4:5], v[4:5], v[16:17]
	s_andn2_b64 exec, exec, s[4:5]
	s_cbranch_execnz .LBB98_29
; %bb.30:
	s_or_b64 exec, exec, s[4:5]
	v_mov_b32_e32 v3, 0
	ds_read_b64 v[8:9], v3 offset:32
	s_waitcnt lgkmcnt(0)
	v_pk_mul_f32 v[10:11], v[4:5], v[8:9] op_sel:[1,1] op_sel_hi:[0,1]
	v_pk_fma_f32 v[12:13], v[4:5], v[8:9], v[10:11] neg_lo:[0,0,1] neg_hi:[0,0,1]
	v_pk_fma_f32 v[4:5], v[4:5], v[8:9], v[10:11] op_sel_hi:[1,0,1]
	s_nop 0
	v_mov_b32_e32 v13, v5
	scratch_store_dwordx2 off, v[12:13], off offset:32
.LBB98_31:
	s_or_b64 exec, exec, s[0:1]
	; wave barrier
	scratch_load_dwordx2 v[4:5], off, off offset:40
	v_cmp_gt_u32_e32 vcc, 5, v0
	;; [unrolled: 46-line block ×19, first 2 shown]
	s_waitcnt vmcnt(0)
	ds_write_b64 v1, v[4:5]
	s_waitcnt lgkmcnt(0)
	; wave barrier
	s_and_saveexec_b64 s[0:1], vcc
	s_cbranch_execz .LBB98_103
; %bb.100:
	v_mov_b32_e32 v4, 0
	v_add_u32_e32 v3, -1, v0
	v_add_u32_e32 v7, 0x120, v2
	v_mov_b32_e32 v8, v2
	s_mov_b64 s[4:5], 0
	v_mov_b32_e32 v5, v4
.LBB98_101:                             ; =>This Inner Loop Header: Depth=1
	scratch_load_dwordx2 v[10:11], v8, off
	ds_read_b64 v[12:13], v7
	v_add_u32_e32 v3, 1, v3
	v_cmp_lt_u32_e32 vcc, 20, v3
	v_add_u32_e32 v7, 8, v7
	v_add_u32_e32 v8, 8, v8
	s_or_b64 s[4:5], vcc, s[4:5]
	s_waitcnt vmcnt(0) lgkmcnt(0)
	v_pk_mul_f32 v[14:15], v[12:13], v[10:11] op_sel:[1,1] op_sel_hi:[0,1]
	v_pk_fma_f32 v[16:17], v[12:13], v[10:11], v[14:15] neg_lo:[0,0,1] neg_hi:[0,0,1]
	v_pk_fma_f32 v[10:11], v[12:13], v[10:11], v[14:15] op_sel_hi:[1,0,1]
	s_nop 0
	v_mov_b32_e32 v17, v11
	v_pk_add_f32 v[4:5], v[4:5], v[16:17]
	s_andn2_b64 exec, exec, s[4:5]
	s_cbranch_execnz .LBB98_101
; %bb.102:
	s_or_b64 exec, exec, s[4:5]
	v_mov_b32_e32 v3, 0
	ds_read_b64 v[8:9], v3 offset:176
	s_waitcnt lgkmcnt(0)
	v_pk_mul_f32 v[10:11], v[4:5], v[8:9] op_sel:[1,1] op_sel_hi:[0,1]
	v_pk_fma_f32 v[12:13], v[4:5], v[8:9], v[10:11] neg_lo:[0,0,1] neg_hi:[0,0,1]
	v_pk_fma_f32 v[4:5], v[4:5], v[8:9], v[10:11] op_sel_hi:[1,0,1]
	s_nop 0
	v_mov_b32_e32 v13, v5
	scratch_store_dwordx2 off, v[12:13], off offset:176
.LBB98_103:
	s_or_b64 exec, exec, s[0:1]
	; wave barrier
	scratch_load_dwordx2 v[4:5], off, off offset:184
	v_cmp_gt_u32_e32 vcc, 23, v0
	s_waitcnt vmcnt(0)
	ds_write_b64 v1, v[4:5]
	s_waitcnt lgkmcnt(0)
	; wave barrier
	s_and_saveexec_b64 s[0:1], vcc
	s_cbranch_execz .LBB98_107
; %bb.104:
	v_mov_b32_e32 v4, 0
	v_add_u32_e32 v3, -1, v0
	v_add_u32_e32 v7, 0x120, v2
	v_mov_b32_e32 v8, v2
	s_mov_b64 s[4:5], 0
	v_mov_b32_e32 v5, v4
.LBB98_105:                             ; =>This Inner Loop Header: Depth=1
	scratch_load_dwordx2 v[10:11], v8, off
	ds_read_b64 v[12:13], v7
	v_add_u32_e32 v3, 1, v3
	v_cmp_lt_u32_e32 vcc, 21, v3
	v_add_u32_e32 v7, 8, v7
	v_add_u32_e32 v8, 8, v8
	s_or_b64 s[4:5], vcc, s[4:5]
	s_waitcnt vmcnt(0) lgkmcnt(0)
	v_pk_mul_f32 v[14:15], v[12:13], v[10:11] op_sel:[1,1] op_sel_hi:[0,1]
	v_pk_fma_f32 v[16:17], v[12:13], v[10:11], v[14:15] neg_lo:[0,0,1] neg_hi:[0,0,1]
	v_pk_fma_f32 v[10:11], v[12:13], v[10:11], v[14:15] op_sel_hi:[1,0,1]
	s_nop 0
	v_mov_b32_e32 v17, v11
	v_pk_add_f32 v[4:5], v[4:5], v[16:17]
	s_andn2_b64 exec, exec, s[4:5]
	s_cbranch_execnz .LBB98_105
; %bb.106:
	s_or_b64 exec, exec, s[4:5]
	v_mov_b32_e32 v3, 0
	ds_read_b64 v[8:9], v3 offset:184
	s_waitcnt lgkmcnt(0)
	v_pk_mul_f32 v[10:11], v[4:5], v[8:9] op_sel:[1,1] op_sel_hi:[0,1]
	v_pk_fma_f32 v[12:13], v[4:5], v[8:9], v[10:11] neg_lo:[0,0,1] neg_hi:[0,0,1]
	v_pk_fma_f32 v[4:5], v[4:5], v[8:9], v[10:11] op_sel_hi:[1,0,1]
	s_nop 0
	v_mov_b32_e32 v13, v5
	scratch_store_dwordx2 off, v[12:13], off offset:184
.LBB98_107:
	s_or_b64 exec, exec, s[0:1]
	; wave barrier
	scratch_load_dwordx2 v[4:5], off, off offset:192
	v_cmp_gt_u32_e32 vcc, 24, v0
	;; [unrolled: 46-line block ×11, first 2 shown]
	s_waitcnt vmcnt(0)
	ds_write_b64 v1, v[4:5]
	s_waitcnt lgkmcnt(0)
	; wave barrier
	s_and_saveexec_b64 s[0:1], vcc
	s_cbranch_execz .LBB98_147
; %bb.144:
	v_mov_b32_e32 v4, 0
	v_add_u32_e32 v3, -1, v0
	v_add_u32_e32 v7, 0x120, v2
	v_mov_b32_e32 v8, v2
	s_mov_b64 s[4:5], 0
	v_mov_b32_e32 v5, v4
.LBB98_145:                             ; =>This Inner Loop Header: Depth=1
	scratch_load_dwordx2 v[10:11], v8, off
	ds_read_b64 v[12:13], v7
	v_add_u32_e32 v3, 1, v3
	v_cmp_lt_u32_e32 vcc, 31, v3
	v_add_u32_e32 v7, 8, v7
	v_add_u32_e32 v8, 8, v8
	s_or_b64 s[4:5], vcc, s[4:5]
	s_waitcnt vmcnt(0) lgkmcnt(0)
	v_pk_mul_f32 v[14:15], v[12:13], v[10:11] op_sel:[1,1] op_sel_hi:[0,1]
	v_pk_fma_f32 v[16:17], v[12:13], v[10:11], v[14:15] neg_lo:[0,0,1] neg_hi:[0,0,1]
	v_pk_fma_f32 v[10:11], v[12:13], v[10:11], v[14:15] op_sel_hi:[1,0,1]
	s_nop 0
	v_mov_b32_e32 v17, v11
	v_pk_add_f32 v[4:5], v[4:5], v[16:17]
	s_andn2_b64 exec, exec, s[4:5]
	s_cbranch_execnz .LBB98_145
; %bb.146:
	s_or_b64 exec, exec, s[4:5]
	v_mov_b32_e32 v3, 0
	ds_read_b64 v[8:9], v3 offset:264
	s_waitcnt lgkmcnt(0)
	v_pk_mul_f32 v[10:11], v[4:5], v[8:9] op_sel:[1,1] op_sel_hi:[0,1]
	v_pk_fma_f32 v[12:13], v[4:5], v[8:9], v[10:11] neg_lo:[0,0,1] neg_hi:[0,0,1]
	v_pk_fma_f32 v[4:5], v[4:5], v[8:9], v[10:11] op_sel_hi:[1,0,1]
	s_nop 0
	v_mov_b32_e32 v13, v5
	scratch_store_dwordx2 off, v[12:13], off offset:264
.LBB98_147:
	s_or_b64 exec, exec, s[0:1]
	; wave barrier
	scratch_load_dwordx2 v[4:5], off, off offset:272
	v_cmp_ne_u32_e32 vcc, 34, v0
	s_waitcnt vmcnt(0)
	ds_write_b64 v1, v[4:5]
	s_waitcnt lgkmcnt(0)
	; wave barrier
	s_and_saveexec_b64 s[0:1], vcc
	s_cbranch_execz .LBB98_151
; %bb.148:
	v_add_u32_e32 v1, 0x120, v2
	v_mov_b32_e32 v4, v2
	v_mov_b32_e32 v2, 0
	s_mov_b64 s[4:5], 0
	v_mov_b32_e32 v3, v2
.LBB98_149:                             ; =>This Inner Loop Header: Depth=1
	scratch_load_dwordx2 v[8:9], v4, off
	ds_read_b64 v[10:11], v1
	v_add_u32_e32 v6, 1, v6
	v_cmp_lt_u32_e32 vcc, 32, v6
	v_add_u32_e32 v1, 8, v1
	v_add_u32_e32 v4, 8, v4
	s_or_b64 s[4:5], vcc, s[4:5]
	s_waitcnt vmcnt(0) lgkmcnt(0)
	v_pk_mul_f32 v[12:13], v[10:11], v[8:9] op_sel:[1,1] op_sel_hi:[0,1]
	v_pk_fma_f32 v[14:15], v[10:11], v[8:9], v[12:13] neg_lo:[0,0,1] neg_hi:[0,0,1]
	v_pk_fma_f32 v[8:9], v[10:11], v[8:9], v[12:13] op_sel_hi:[1,0,1]
	s_nop 0
	v_mov_b32_e32 v15, v9
	v_pk_add_f32 v[2:3], v[2:3], v[14:15]
	s_andn2_b64 exec, exec, s[4:5]
	s_cbranch_execnz .LBB98_149
; %bb.150:
	s_or_b64 exec, exec, s[4:5]
	v_mov_b32_e32 v1, 0
	ds_read_b64 v[4:5], v1 offset:272
	s_waitcnt lgkmcnt(0)
	v_pk_mul_f32 v[6:7], v[2:3], v[4:5] op_sel:[1,1] op_sel_hi:[0,1]
	v_pk_fma_f32 v[8:9], v[2:3], v[4:5], v[6:7] neg_lo:[0,0,1] neg_hi:[0,0,1]
	v_pk_fma_f32 v[2:3], v[2:3], v[4:5], v[6:7] op_sel_hi:[1,0,1]
	s_nop 0
	v_mov_b32_e32 v9, v3
	scratch_store_dwordx2 off, v[8:9], off offset:272
.LBB98_151:
	s_or_b64 exec, exec, s[0:1]
	s_mov_b64 s[4:5], -1
	; wave barrier
.LBB98_152:
	s_and_b64 vcc, exec, s[4:5]
	s_cbranch_vccz .LBB98_154
; %bb.153:
	s_lshl_b64 s[0:1], s[2:3], 2
	s_add_u32 s0, s6, s0
	s_addc_u32 s1, s7, s1
	v_mov_b32_e32 v1, 0
	global_load_dword v1, v1, s[0:1]
	s_waitcnt vmcnt(0)
	v_cmp_ne_u32_e32 vcc, 0, v1
	s_cbranch_vccz .LBB98_155
.LBB98_154:
	s_endpgm
.LBB98_155:
	v_mov_b32_e32 v1, 0x120
	v_lshl_add_u32 v1, v0, 3, v1
	v_cmp_eq_u32_e32 vcc, 34, v0
	s_and_saveexec_b64 s[0:1], vcc
	s_cbranch_execz .LBB98_157
; %bb.156:
	scratch_load_dwordx2 v[2:3], off, off offset:264
	v_mov_b32_e32 v4, 0
	v_mov_b32_e32 v5, v4
	scratch_store_dwordx2 off, v[4:5], off offset:264
	s_waitcnt vmcnt(1)
	ds_write_b64 v1, v[2:3]
.LBB98_157:
	s_or_b64 exec, exec, s[0:1]
	s_waitcnt lgkmcnt(0)
	; wave barrier
	scratch_load_dwordx2 v[4:5], off, off offset:272
	scratch_load_dwordx2 v[6:7], off, off offset:264
	v_mov_b32_e32 v2, 0
	ds_read_b64 v[8:9], v2 offset:560
	v_cmp_lt_u32_e32 vcc, 32, v0
	s_waitcnt vmcnt(1) lgkmcnt(0)
	v_pk_mul_f32 v[10:11], v[8:9], v[4:5] op_sel:[1,1] op_sel_hi:[0,1]
	v_pk_fma_f32 v[12:13], v[8:9], v[4:5], v[10:11] neg_lo:[0,0,1] neg_hi:[0,0,1]
	v_pk_fma_f32 v[4:5], v[8:9], v[4:5], v[10:11] op_sel_hi:[1,0,1]
	s_nop 0
	v_mov_b32_e32 v13, v5
	v_pk_add_f32 v[4:5], v[12:13], 0 op_sel_hi:[1,0]
	s_waitcnt vmcnt(0)
	v_pk_add_f32 v[4:5], v[6:7], v[4:5] neg_lo:[0,1] neg_hi:[0,1]
	scratch_store_dwordx2 off, v[4:5], off offset:264
	s_and_saveexec_b64 s[0:1], vcc
	s_cbranch_execz .LBB98_159
; %bb.158:
	scratch_load_dwordx2 v[4:5], off, off offset:256
	v_mov_b32_e32 v3, v2
	scratch_store_dwordx2 off, v[2:3], off offset:256
	s_waitcnt vmcnt(1)
	ds_write_b64 v1, v[4:5]
.LBB98_159:
	s_or_b64 exec, exec, s[0:1]
	s_waitcnt lgkmcnt(0)
	; wave barrier
	scratch_load_dwordx4 v[4:7], off, off offset:264
	scratch_load_dwordx2 v[12:13], off, off offset:256
	ds_read2_b64 v[8:11], v2 offset0:69 offset1:70
	v_cmp_lt_u32_e32 vcc, 31, v0
	s_waitcnt vmcnt(1) lgkmcnt(0)
	v_pk_mul_f32 v[2:3], v[8:9], v[4:5] op_sel:[1,1] op_sel_hi:[0,1]
	v_mov_b32_e32 v14, v7
	v_pk_fma_f32 v[16:17], v[8:9], v[4:5], v[2:3] neg_lo:[0,0,1] neg_hi:[0,0,1]
	v_pk_fma_f32 v[2:3], v[8:9], v[4:5], v[2:3] op_sel_hi:[1,0,1]
	v_pk_mul_f32 v[4:5], v[10:11], v[14:15] op_sel:[1,0] op_sel_hi:[0,0]
	v_mov_b32_e32 v17, v3
	v_pk_fma_f32 v[2:3], v[10:11], v[6:7], v[4:5] neg_lo:[0,0,1] neg_hi:[0,0,1]
	v_pk_fma_f32 v[4:5], v[10:11], v[6:7], v[4:5] op_sel_hi:[1,0,1]
	v_pk_add_f32 v[6:7], v[16:17], 0 op_sel_hi:[1,0]
	v_mov_b32_e32 v3, v5
	v_pk_add_f32 v[2:3], v[6:7], v[2:3]
	s_waitcnt vmcnt(0)
	v_pk_add_f32 v[2:3], v[12:13], v[2:3] neg_lo:[0,1] neg_hi:[0,1]
	scratch_store_dwordx2 off, v[2:3], off offset:256
	s_and_saveexec_b64 s[0:1], vcc
	s_cbranch_execz .LBB98_161
; %bb.160:
	scratch_load_dwordx2 v[2:3], off, off offset:248
	v_mov_b32_e32 v4, 0
	v_mov_b32_e32 v5, v4
	scratch_store_dwordx2 off, v[4:5], off offset:248
	s_waitcnt vmcnt(1)
	ds_write_b64 v1, v[2:3]
.LBB98_161:
	s_or_b64 exec, exec, s[0:1]
	s_waitcnt lgkmcnt(0)
	; wave barrier
	scratch_load_dwordx4 v[4:7], off, off offset:256
	scratch_load_dwordx2 v[12:13], off, off offset:272
	scratch_load_dwordx2 v[14:15], off, off offset:248
	v_mov_b32_e32 v2, 0
	ds_read_b128 v[8:11], v2 offset:544
	ds_read_b64 v[16:17], v2 offset:560
	v_cmp_lt_u32_e32 vcc, 30, v0
	s_waitcnt vmcnt(2) lgkmcnt(1)
	v_pk_mul_f32 v[18:19], v[8:9], v[4:5] op_sel:[1,1] op_sel_hi:[0,1]
	v_mov_b32_e32 v20, v7
	v_pk_fma_f32 v[24:25], v[8:9], v[4:5], v[18:19] neg_lo:[0,0,1] neg_hi:[0,0,1]
	v_pk_fma_f32 v[4:5], v[8:9], v[4:5], v[18:19] op_sel_hi:[1,0,1]
	v_pk_mul_f32 v[8:9], v[10:11], v[20:21] op_sel:[1,0] op_sel_hi:[0,0]
	s_waitcnt vmcnt(1) lgkmcnt(0)
	v_pk_mul_f32 v[22:23], v[16:17], v[12:13] op_sel:[1,1] op_sel_hi:[0,1]
	v_mov_b32_e32 v25, v5
	v_pk_fma_f32 v[4:5], v[10:11], v[6:7], v[8:9] neg_lo:[0,0,1] neg_hi:[0,0,1]
	v_pk_fma_f32 v[6:7], v[10:11], v[6:7], v[8:9] op_sel_hi:[1,0,1]
	v_pk_fma_f32 v[18:19], v[16:17], v[12:13], v[22:23] neg_lo:[0,0,1] neg_hi:[0,0,1]
	v_pk_fma_f32 v[12:13], v[16:17], v[12:13], v[22:23] op_sel_hi:[1,0,1]
	v_pk_add_f32 v[8:9], v[24:25], 0 op_sel_hi:[1,0]
	v_mov_b32_e32 v5, v7
	v_mov_b32_e32 v19, v13
	v_pk_add_f32 v[4:5], v[8:9], v[4:5]
	s_nop 0
	v_pk_add_f32 v[4:5], v[4:5], v[18:19]
	s_waitcnt vmcnt(0)
	v_pk_add_f32 v[4:5], v[14:15], v[4:5] neg_lo:[0,1] neg_hi:[0,1]
	scratch_store_dwordx2 off, v[4:5], off offset:248
	s_and_saveexec_b64 s[0:1], vcc
	s_cbranch_execz .LBB98_163
; %bb.162:
	scratch_load_dwordx2 v[4:5], off, off offset:240
	v_mov_b32_e32 v3, v2
	scratch_store_dwordx2 off, v[2:3], off offset:240
	s_waitcnt vmcnt(1)
	ds_write_b64 v1, v[4:5]
.LBB98_163:
	s_or_b64 exec, exec, s[0:1]
	s_waitcnt lgkmcnt(0)
	; wave barrier
	scratch_load_dwordx4 v[4:7], off, off offset:248
	scratch_load_dwordx4 v[8:11], off, off offset:264
	scratch_load_dwordx2 v[20:21], off, off offset:240
	ds_read2_b64 v[12:15], v2 offset0:67 offset1:68
	ds_read2_b64 v[16:19], v2 offset0:69 offset1:70
	v_cmp_lt_u32_e32 vcc, 29, v0
	s_waitcnt vmcnt(2) lgkmcnt(1)
	v_pk_mul_f32 v[2:3], v[12:13], v[4:5] op_sel:[1,1] op_sel_hi:[0,1]
	v_mov_b32_e32 v22, v7
	s_waitcnt vmcnt(1) lgkmcnt(0)
	v_pk_mul_f32 v[24:25], v[16:17], v[8:9] op_sel:[1,1] op_sel_hi:[0,1]
	v_mov_b32_e32 v26, v11
	v_pk_fma_f32 v[28:29], v[12:13], v[4:5], v[2:3] neg_lo:[0,0,1] neg_hi:[0,0,1]
	v_pk_fma_f32 v[2:3], v[12:13], v[4:5], v[2:3] op_sel_hi:[1,0,1]
	v_pk_mul_f32 v[4:5], v[14:15], v[22:23] op_sel:[1,0] op_sel_hi:[0,0]
	v_pk_fma_f32 v[12:13], v[16:17], v[8:9], v[24:25] neg_lo:[0,0,1] neg_hi:[0,0,1]
	v_pk_fma_f32 v[8:9], v[16:17], v[8:9], v[24:25] op_sel_hi:[1,0,1]
	v_pk_mul_f32 v[16:17], v[18:19], v[26:27] op_sel:[1,0] op_sel_hi:[0,0]
	v_mov_b32_e32 v29, v3
	v_pk_fma_f32 v[2:3], v[14:15], v[6:7], v[4:5] neg_lo:[0,0,1] neg_hi:[0,0,1]
	v_pk_fma_f32 v[4:5], v[14:15], v[6:7], v[4:5] op_sel_hi:[1,0,1]
	v_mov_b32_e32 v13, v9
	v_pk_fma_f32 v[6:7], v[18:19], v[10:11], v[16:17] neg_lo:[0,0,1] neg_hi:[0,0,1]
	v_pk_fma_f32 v[8:9], v[18:19], v[10:11], v[16:17] op_sel_hi:[1,0,1]
	v_pk_add_f32 v[10:11], v[28:29], 0 op_sel_hi:[1,0]
	v_mov_b32_e32 v3, v5
	v_pk_add_f32 v[2:3], v[10:11], v[2:3]
	v_mov_b32_e32 v7, v9
	v_pk_add_f32 v[2:3], v[2:3], v[12:13]
	s_nop 0
	v_pk_add_f32 v[2:3], v[2:3], v[6:7]
	s_waitcnt vmcnt(0)
	v_pk_add_f32 v[2:3], v[20:21], v[2:3] neg_lo:[0,1] neg_hi:[0,1]
	scratch_store_dwordx2 off, v[2:3], off offset:240
	s_and_saveexec_b64 s[0:1], vcc
	s_cbranch_execz .LBB98_165
; %bb.164:
	scratch_load_dwordx2 v[2:3], off, off offset:232
	v_mov_b32_e32 v4, 0
	v_mov_b32_e32 v5, v4
	scratch_store_dwordx2 off, v[4:5], off offset:232
	s_waitcnt vmcnt(1)
	ds_write_b64 v1, v[2:3]
.LBB98_165:
	s_or_b64 exec, exec, s[0:1]
	s_waitcnt lgkmcnt(0)
	; wave barrier
	scratch_load_dwordx4 v[4:7], off, off offset:240
	scratch_load_dwordx4 v[8:11], off, off offset:256
	scratch_load_dwordx2 v[20:21], off, off offset:272
	scratch_load_dwordx2 v[22:23], off, off offset:232
	v_mov_b32_e32 v2, 0
	ds_read_b128 v[12:15], v2 offset:528
	ds_read_b128 v[16:19], v2 offset:544
	ds_read_b64 v[24:25], v2 offset:560
	v_cmp_lt_u32_e32 vcc, 28, v0
	s_waitcnt vmcnt(3) lgkmcnt(2)
	v_pk_mul_f32 v[26:27], v[12:13], v[4:5] op_sel:[1,1] op_sel_hi:[0,1]
	v_mov_b32_e32 v28, v7
	v_pk_fma_f32 v[36:37], v[12:13], v[4:5], v[26:27] neg_lo:[0,0,1] neg_hi:[0,0,1]
	v_pk_fma_f32 v[4:5], v[12:13], v[4:5], v[26:27] op_sel_hi:[1,0,1]
	v_pk_mul_f32 v[12:13], v[14:15], v[28:29] op_sel:[1,0] op_sel_hi:[0,0]
	s_waitcnt vmcnt(2) lgkmcnt(1)
	v_pk_mul_f32 v[30:31], v[16:17], v[8:9] op_sel:[1,1] op_sel_hi:[0,1]
	v_mov_b32_e32 v32, v11
	v_mov_b32_e32 v37, v5
	v_pk_fma_f32 v[4:5], v[14:15], v[6:7], v[12:13] neg_lo:[0,0,1] neg_hi:[0,0,1]
	v_pk_fma_f32 v[6:7], v[14:15], v[6:7], v[12:13] op_sel_hi:[1,0,1]
	v_pk_fma_f32 v[26:27], v[16:17], v[8:9], v[30:31] neg_lo:[0,0,1] neg_hi:[0,0,1]
	v_pk_fma_f32 v[8:9], v[16:17], v[8:9], v[30:31] op_sel_hi:[1,0,1]
	v_pk_mul_f32 v[16:17], v[18:19], v[32:33] op_sel:[1,0] op_sel_hi:[0,0]
	v_pk_add_f32 v[12:13], v[36:37], 0 op_sel_hi:[1,0]
	v_mov_b32_e32 v5, v7
	s_waitcnt vmcnt(1) lgkmcnt(0)
	v_pk_mul_f32 v[34:35], v[24:25], v[20:21] op_sel:[1,1] op_sel_hi:[0,1]
	v_mov_b32_e32 v27, v9
	v_pk_fma_f32 v[8:9], v[18:19], v[10:11], v[16:17] neg_lo:[0,0,1] neg_hi:[0,0,1]
	v_pk_fma_f32 v[10:11], v[18:19], v[10:11], v[16:17] op_sel_hi:[1,0,1]
	v_pk_add_f32 v[4:5], v[12:13], v[4:5]
	v_pk_fma_f32 v[28:29], v[24:25], v[20:21], v[34:35] neg_lo:[0,0,1] neg_hi:[0,0,1]
	v_pk_fma_f32 v[20:21], v[24:25], v[20:21], v[34:35] op_sel_hi:[1,0,1]
	v_mov_b32_e32 v9, v11
	v_pk_add_f32 v[4:5], v[4:5], v[26:27]
	v_mov_b32_e32 v29, v21
	v_pk_add_f32 v[4:5], v[4:5], v[8:9]
	s_nop 0
	v_pk_add_f32 v[4:5], v[4:5], v[28:29]
	s_waitcnt vmcnt(0)
	v_pk_add_f32 v[4:5], v[22:23], v[4:5] neg_lo:[0,1] neg_hi:[0,1]
	scratch_store_dwordx2 off, v[4:5], off offset:232
	s_and_saveexec_b64 s[0:1], vcc
	s_cbranch_execz .LBB98_167
; %bb.166:
	scratch_load_dwordx2 v[4:5], off, off offset:224
	v_mov_b32_e32 v3, v2
	scratch_store_dwordx2 off, v[2:3], off offset:224
	s_waitcnt vmcnt(1)
	ds_write_b64 v1, v[4:5]
.LBB98_167:
	s_or_b64 exec, exec, s[0:1]
	s_waitcnt lgkmcnt(0)
	; wave barrier
	scratch_load_dwordx4 v[4:7], off, off offset:232
	scratch_load_dwordx4 v[8:11], off, off offset:248
	;; [unrolled: 1-line block ×3, first 2 shown]
	scratch_load_dwordx2 v[28:29], off, off offset:224
	ds_read2_b64 v[16:19], v2 offset0:65 offset1:66
	ds_read2_b64 v[20:23], v2 offset0:67 offset1:68
	;; [unrolled: 1-line block ×3, first 2 shown]
	v_cmp_lt_u32_e32 vcc, 27, v0
	s_waitcnt vmcnt(3) lgkmcnt(2)
	v_pk_mul_f32 v[2:3], v[16:17], v[4:5] op_sel:[1,1] op_sel_hi:[0,1]
	v_mov_b32_e32 v30, v7
	s_waitcnt vmcnt(2) lgkmcnt(1)
	v_pk_mul_f32 v[32:33], v[20:21], v[8:9] op_sel:[1,1] op_sel_hi:[0,1]
	v_mov_b32_e32 v34, v11
	;; [unrolled: 3-line block ×3, first 2 shown]
	v_pk_fma_f32 v[40:41], v[16:17], v[4:5], v[2:3] neg_lo:[0,0,1] neg_hi:[0,0,1]
	v_pk_fma_f32 v[2:3], v[16:17], v[4:5], v[2:3] op_sel_hi:[1,0,1]
	v_pk_mul_f32 v[4:5], v[18:19], v[30:31] op_sel:[1,0] op_sel_hi:[0,0]
	v_pk_fma_f32 v[16:17], v[20:21], v[8:9], v[32:33] neg_lo:[0,0,1] neg_hi:[0,0,1]
	v_pk_fma_f32 v[8:9], v[20:21], v[8:9], v[32:33] op_sel_hi:[1,0,1]
	v_pk_mul_f32 v[20:21], v[22:23], v[34:35] op_sel:[1,0] op_sel_hi:[0,0]
	;; [unrolled: 3-line block ×3, first 2 shown]
	v_mov_b32_e32 v41, v3
	v_pk_fma_f32 v[2:3], v[18:19], v[6:7], v[4:5] neg_lo:[0,0,1] neg_hi:[0,0,1]
	v_pk_fma_f32 v[4:5], v[18:19], v[6:7], v[4:5] op_sel_hi:[1,0,1]
	v_mov_b32_e32 v17, v9
	v_pk_fma_f32 v[6:7], v[22:23], v[10:11], v[20:21] neg_lo:[0,0,1] neg_hi:[0,0,1]
	v_pk_fma_f32 v[8:9], v[22:23], v[10:11], v[20:21] op_sel_hi:[1,0,1]
	;; [unrolled: 3-line block ×3, first 2 shown]
	v_pk_add_f32 v[14:15], v[40:41], 0 op_sel_hi:[1,0]
	v_mov_b32_e32 v3, v5
	v_pk_add_f32 v[2:3], v[14:15], v[2:3]
	v_mov_b32_e32 v7, v9
	v_pk_add_f32 v[2:3], v[2:3], v[16:17]
	;; [unrolled: 2-line block ×3, first 2 shown]
	s_nop 0
	v_pk_add_f32 v[2:3], v[2:3], v[30:31]
	s_nop 0
	v_pk_add_f32 v[2:3], v[2:3], v[10:11]
	s_waitcnt vmcnt(0)
	v_pk_add_f32 v[2:3], v[28:29], v[2:3] neg_lo:[0,1] neg_hi:[0,1]
	scratch_store_dwordx2 off, v[2:3], off offset:224
	s_and_saveexec_b64 s[0:1], vcc
	s_cbranch_execz .LBB98_169
; %bb.168:
	scratch_load_dwordx2 v[2:3], off, off offset:216
	v_mov_b32_e32 v4, 0
	v_mov_b32_e32 v5, v4
	scratch_store_dwordx2 off, v[4:5], off offset:216
	s_waitcnt vmcnt(1)
	ds_write_b64 v1, v[2:3]
.LBB98_169:
	s_or_b64 exec, exec, s[0:1]
	s_waitcnt lgkmcnt(0)
	; wave barrier
	scratch_load_dwordx4 v[4:7], off, off offset:224
	scratch_load_dwordx4 v[8:11], off, off offset:240
	;; [unrolled: 1-line block ×3, first 2 shown]
	scratch_load_dwordx2 v[28:29], off, off offset:272
	scratch_load_dwordx2 v[30:31], off, off offset:216
	v_mov_b32_e32 v2, 0
	ds_read_b128 v[16:19], v2 offset:512
	ds_read_b128 v[20:23], v2 offset:528
	;; [unrolled: 1-line block ×3, first 2 shown]
	ds_read_b64 v[32:33], v2 offset:560
	v_cmp_lt_u32_e32 vcc, 26, v0
	s_waitcnt vmcnt(4) lgkmcnt(3)
	v_pk_mul_f32 v[34:35], v[16:17], v[4:5] op_sel:[1,1] op_sel_hi:[0,1]
	v_mov_b32_e32 v36, v7
	v_pk_fma_f32 v[48:49], v[16:17], v[4:5], v[34:35] neg_lo:[0,0,1] neg_hi:[0,0,1]
	v_pk_fma_f32 v[4:5], v[16:17], v[4:5], v[34:35] op_sel_hi:[1,0,1]
	v_pk_mul_f32 v[16:17], v[18:19], v[36:37] op_sel:[1,0] op_sel_hi:[0,0]
	s_waitcnt vmcnt(3) lgkmcnt(2)
	v_pk_mul_f32 v[38:39], v[20:21], v[8:9] op_sel:[1,1] op_sel_hi:[0,1]
	v_mov_b32_e32 v40, v11
	v_mov_b32_e32 v49, v5
	v_pk_fma_f32 v[4:5], v[18:19], v[6:7], v[16:17] neg_lo:[0,0,1] neg_hi:[0,0,1]
	v_pk_fma_f32 v[6:7], v[18:19], v[6:7], v[16:17] op_sel_hi:[1,0,1]
	v_pk_fma_f32 v[34:35], v[20:21], v[8:9], v[38:39] neg_lo:[0,0,1] neg_hi:[0,0,1]
	v_pk_fma_f32 v[8:9], v[20:21], v[8:9], v[38:39] op_sel_hi:[1,0,1]
	v_pk_mul_f32 v[20:21], v[22:23], v[40:41] op_sel:[1,0] op_sel_hi:[0,0]
	v_pk_add_f32 v[16:17], v[48:49], 0 op_sel_hi:[1,0]
	v_mov_b32_e32 v5, v7
	s_waitcnt vmcnt(2) lgkmcnt(1)
	v_pk_mul_f32 v[42:43], v[24:25], v[12:13] op_sel:[1,1] op_sel_hi:[0,1]
	v_mov_b32_e32 v44, v15
	v_mov_b32_e32 v35, v9
	v_pk_fma_f32 v[8:9], v[22:23], v[10:11], v[20:21] neg_lo:[0,0,1] neg_hi:[0,0,1]
	v_pk_fma_f32 v[10:11], v[22:23], v[10:11], v[20:21] op_sel_hi:[1,0,1]
	v_pk_add_f32 v[4:5], v[16:17], v[4:5]
	v_pk_fma_f32 v[36:37], v[24:25], v[12:13], v[42:43] neg_lo:[0,0,1] neg_hi:[0,0,1]
	v_pk_fma_f32 v[12:13], v[24:25], v[12:13], v[42:43] op_sel_hi:[1,0,1]
	v_pk_mul_f32 v[24:25], v[26:27], v[44:45] op_sel:[1,0] op_sel_hi:[0,0]
	v_mov_b32_e32 v9, v11
	v_pk_add_f32 v[4:5], v[4:5], v[34:35]
	s_waitcnt vmcnt(1) lgkmcnt(0)
	v_pk_mul_f32 v[46:47], v[32:33], v[28:29] op_sel:[1,1] op_sel_hi:[0,1]
	v_mov_b32_e32 v37, v13
	v_pk_fma_f32 v[12:13], v[26:27], v[14:15], v[24:25] neg_lo:[0,0,1] neg_hi:[0,0,1]
	v_pk_fma_f32 v[14:15], v[26:27], v[14:15], v[24:25] op_sel_hi:[1,0,1]
	v_pk_add_f32 v[4:5], v[4:5], v[8:9]
	v_pk_fma_f32 v[38:39], v[32:33], v[28:29], v[46:47] neg_lo:[0,0,1] neg_hi:[0,0,1]
	v_pk_fma_f32 v[28:29], v[32:33], v[28:29], v[46:47] op_sel_hi:[1,0,1]
	v_mov_b32_e32 v13, v15
	v_pk_add_f32 v[4:5], v[4:5], v[36:37]
	v_mov_b32_e32 v39, v29
	v_pk_add_f32 v[4:5], v[4:5], v[12:13]
	s_nop 0
	v_pk_add_f32 v[4:5], v[4:5], v[38:39]
	s_waitcnt vmcnt(0)
	v_pk_add_f32 v[4:5], v[30:31], v[4:5] neg_lo:[0,1] neg_hi:[0,1]
	scratch_store_dwordx2 off, v[4:5], off offset:216
	s_and_saveexec_b64 s[0:1], vcc
	s_cbranch_execz .LBB98_171
; %bb.170:
	scratch_load_dwordx2 v[4:5], off, off offset:208
	v_mov_b32_e32 v3, v2
	scratch_store_dwordx2 off, v[2:3], off offset:208
	s_waitcnt vmcnt(1)
	ds_write_b64 v1, v[4:5]
.LBB98_171:
	s_or_b64 exec, exec, s[0:1]
	s_waitcnt lgkmcnt(0)
	; wave barrier
	scratch_load_dwordx4 v[4:7], off, off offset:216
	scratch_load_dwordx4 v[8:11], off, off offset:232
	;; [unrolled: 1-line block ×4, first 2 shown]
	scratch_load_dwordx2 v[36:37], off, off offset:208
	ds_read2_b64 v[20:23], v2 offset0:63 offset1:64
	ds_read2_b64 v[24:27], v2 offset0:65 offset1:66
	;; [unrolled: 1-line block ×4, first 2 shown]
	v_cmp_lt_u32_e32 vcc, 25, v0
	s_waitcnt vmcnt(4) lgkmcnt(3)
	v_pk_mul_f32 v[2:3], v[20:21], v[4:5] op_sel:[1,1] op_sel_hi:[0,1]
	v_mov_b32_e32 v38, v7
	s_waitcnt vmcnt(3) lgkmcnt(2)
	v_pk_mul_f32 v[40:41], v[24:25], v[8:9] op_sel:[1,1] op_sel_hi:[0,1]
	v_mov_b32_e32 v42, v11
	;; [unrolled: 3-line block ×4, first 2 shown]
	v_pk_fma_f32 v[52:53], v[20:21], v[4:5], v[2:3] neg_lo:[0,0,1] neg_hi:[0,0,1]
	v_pk_fma_f32 v[2:3], v[20:21], v[4:5], v[2:3] op_sel_hi:[1,0,1]
	v_pk_mul_f32 v[4:5], v[22:23], v[38:39] op_sel:[1,0] op_sel_hi:[0,0]
	v_pk_fma_f32 v[20:21], v[24:25], v[8:9], v[40:41] neg_lo:[0,0,1] neg_hi:[0,0,1]
	v_pk_fma_f32 v[8:9], v[24:25], v[8:9], v[40:41] op_sel_hi:[1,0,1]
	v_pk_mul_f32 v[24:25], v[26:27], v[42:43] op_sel:[1,0] op_sel_hi:[0,0]
	;; [unrolled: 3-line block ×4, first 2 shown]
	v_mov_b32_e32 v53, v3
	v_pk_fma_f32 v[2:3], v[22:23], v[6:7], v[4:5] neg_lo:[0,0,1] neg_hi:[0,0,1]
	v_pk_fma_f32 v[4:5], v[22:23], v[6:7], v[4:5] op_sel_hi:[1,0,1]
	v_mov_b32_e32 v21, v9
	v_pk_fma_f32 v[6:7], v[26:27], v[10:11], v[24:25] neg_lo:[0,0,1] neg_hi:[0,0,1]
	v_pk_fma_f32 v[8:9], v[26:27], v[10:11], v[24:25] op_sel_hi:[1,0,1]
	;; [unrolled: 3-line block ×4, first 2 shown]
	v_pk_add_f32 v[18:19], v[52:53], 0 op_sel_hi:[1,0]
	v_mov_b32_e32 v3, v5
	v_pk_add_f32 v[2:3], v[18:19], v[2:3]
	v_mov_b32_e32 v7, v9
	v_pk_add_f32 v[2:3], v[2:3], v[20:21]
	;; [unrolled: 2-line block ×4, first 2 shown]
	s_nop 0
	v_pk_add_f32 v[2:3], v[2:3], v[10:11]
	s_nop 0
	v_pk_add_f32 v[2:3], v[2:3], v[40:41]
	s_nop 0
	v_pk_add_f32 v[2:3], v[2:3], v[14:15]
	s_waitcnt vmcnt(0)
	v_pk_add_f32 v[2:3], v[36:37], v[2:3] neg_lo:[0,1] neg_hi:[0,1]
	scratch_store_dwordx2 off, v[2:3], off offset:208
	s_and_saveexec_b64 s[0:1], vcc
	s_cbranch_execz .LBB98_173
; %bb.172:
	scratch_load_dwordx2 v[2:3], off, off offset:200
	v_mov_b32_e32 v4, 0
	v_mov_b32_e32 v5, v4
	scratch_store_dwordx2 off, v[4:5], off offset:200
	s_waitcnt vmcnt(1)
	ds_write_b64 v1, v[2:3]
.LBB98_173:
	s_or_b64 exec, exec, s[0:1]
	s_waitcnt lgkmcnt(0)
	; wave barrier
	scratch_load_dwordx4 v[4:7], off, off offset:208
	scratch_load_dwordx4 v[8:11], off, off offset:224
	;; [unrolled: 1-line block ×4, first 2 shown]
	scratch_load_dwordx2 v[36:37], off, off offset:272
	scratch_load_dwordx2 v[38:39], off, off offset:200
	v_mov_b32_e32 v2, 0
	ds_read_b128 v[20:23], v2 offset:496
	ds_read_b128 v[24:27], v2 offset:512
	;; [unrolled: 1-line block ×4, first 2 shown]
	ds_read_b64 v[40:41], v2 offset:560
	v_cmp_lt_u32_e32 vcc, 24, v0
	s_waitcnt vmcnt(5) lgkmcnt(4)
	v_mul_f32_e32 v43, v20, v5
	v_mul_f32_e32 v3, v21, v5
	v_mov_b32_e32 v44, v7
	s_waitcnt vmcnt(4) lgkmcnt(3)
	v_pk_mul_f32 v[46:47], v[24:25], v[8:9] op_sel:[1,1] op_sel_hi:[0,1]
	v_mov_b32_e32 v48, v11
	s_waitcnt vmcnt(1) lgkmcnt(0)
	v_pk_mul_f32 v[58:59], v[40:41], v[36:37] op_sel:[1,1] op_sel_hi:[0,1]
	v_fmac_f32_e32 v43, v21, v4
	v_fma_f32 v42, v20, v4, -v3
	v_pk_mul_f32 v[4:5], v[22:23], v[44:45] op_sel:[1,0] op_sel_hi:[0,0]
	v_pk_fma_f32 v[20:21], v[24:25], v[8:9], v[46:47] neg_lo:[0,0,1] neg_hi:[0,0,1]
	v_pk_fma_f32 v[8:9], v[24:25], v[8:9], v[46:47] op_sel_hi:[1,0,1]
	v_pk_mul_f32 v[24:25], v[26:27], v[48:49] op_sel:[1,0] op_sel_hi:[0,0]
	v_pk_fma_f32 v[48:49], v[40:41], v[36:37], v[58:59] neg_lo:[0,0,1] neg_hi:[0,0,1]
	v_pk_fma_f32 v[36:37], v[40:41], v[36:37], v[58:59] op_sel_hi:[1,0,1]
	v_pk_add_f32 v[40:41], v[42:43], 0 op_sel_hi:[1,0]
	v_pk_fma_f32 v[42:43], v[22:23], v[6:7], v[4:5] neg_lo:[0,0,1] neg_hi:[0,0,1]
	v_pk_fma_f32 v[4:5], v[22:23], v[6:7], v[4:5] op_sel_hi:[1,0,1]
	v_pk_mul_f32 v[50:51], v[28:29], v[12:13] op_sel:[1,1] op_sel_hi:[0,1]
	v_mov_b32_e32 v43, v5
	v_mov_b32_e32 v52, v15
	;; [unrolled: 1-line block ×3, first 2 shown]
	v_pk_fma_f32 v[6:7], v[26:27], v[10:11], v[24:25] neg_lo:[0,0,1] neg_hi:[0,0,1]
	v_pk_fma_f32 v[8:9], v[26:27], v[10:11], v[24:25] op_sel_hi:[1,0,1]
	v_pk_add_f32 v[4:5], v[40:41], v[42:43]
	v_pk_fma_f32 v[44:45], v[28:29], v[12:13], v[50:51] neg_lo:[0,0,1] neg_hi:[0,0,1]
	v_pk_fma_f32 v[12:13], v[28:29], v[12:13], v[50:51] op_sel_hi:[1,0,1]
	v_pk_mul_f32 v[28:29], v[30:31], v[52:53] op_sel:[1,0] op_sel_hi:[0,0]
	v_mov_b32_e32 v7, v9
	v_pk_add_f32 v[4:5], v[4:5], v[20:21]
	v_pk_mul_f32 v[54:55], v[32:33], v[16:17] op_sel:[1,1] op_sel_hi:[0,1]
	v_mov_b32_e32 v56, v19
	v_mov_b32_e32 v45, v13
	v_pk_fma_f32 v[10:11], v[30:31], v[14:15], v[28:29] neg_lo:[0,0,1] neg_hi:[0,0,1]
	v_pk_fma_f32 v[12:13], v[30:31], v[14:15], v[28:29] op_sel_hi:[1,0,1]
	v_pk_add_f32 v[4:5], v[4:5], v[6:7]
	v_pk_fma_f32 v[46:47], v[32:33], v[16:17], v[54:55] neg_lo:[0,0,1] neg_hi:[0,0,1]
	v_pk_fma_f32 v[16:17], v[32:33], v[16:17], v[54:55] op_sel_hi:[1,0,1]
	v_pk_mul_f32 v[32:33], v[34:35], v[56:57] op_sel:[1,0] op_sel_hi:[0,0]
	v_mov_b32_e32 v11, v13
	v_pk_add_f32 v[4:5], v[4:5], v[44:45]
	v_mov_b32_e32 v47, v17
	v_pk_fma_f32 v[14:15], v[34:35], v[18:19], v[32:33] neg_lo:[0,0,1] neg_hi:[0,0,1]
	v_pk_fma_f32 v[16:17], v[34:35], v[18:19], v[32:33] op_sel_hi:[1,0,1]
	v_pk_add_f32 v[4:5], v[4:5], v[10:11]
	v_mov_b32_e32 v15, v17
	v_pk_add_f32 v[4:5], v[4:5], v[46:47]
	v_mov_b32_e32 v49, v37
	v_pk_add_f32 v[4:5], v[4:5], v[14:15]
	s_nop 0
	v_pk_add_f32 v[4:5], v[4:5], v[48:49]
	s_waitcnt vmcnt(0)
	v_pk_add_f32 v[4:5], v[38:39], v[4:5] neg_lo:[0,1] neg_hi:[0,1]
	scratch_store_dwordx2 off, v[4:5], off offset:200
	s_and_saveexec_b64 s[0:1], vcc
	s_cbranch_execz .LBB98_175
; %bb.174:
	scratch_load_dwordx2 v[4:5], off, off offset:192
	v_mov_b32_e32 v3, v2
	scratch_store_dwordx2 off, v[2:3], off offset:192
	s_waitcnt vmcnt(1)
	ds_write_b64 v1, v[4:5]
.LBB98_175:
	s_or_b64 exec, exec, s[0:1]
	s_waitcnt lgkmcnt(0)
	; wave barrier
	scratch_load_dwordx4 v[4:7], off, off offset:200
	scratch_load_dwordx4 v[8:11], off, off offset:216
	;; [unrolled: 1-line block ×5, first 2 shown]
	scratch_load_dwordx2 v[44:45], off, off offset:192
	ds_read2_b64 v[24:27], v2 offset0:61 offset1:62
	ds_read2_b64 v[28:31], v2 offset0:63 offset1:64
	ds_read2_b64 v[32:35], v2 offset0:65 offset1:66
	ds_read2_b64 v[36:39], v2 offset0:67 offset1:68
	ds_read2_b64 v[40:43], v2 offset0:69 offset1:70
	v_cmp_lt_u32_e32 vcc, 23, v0
	s_waitcnt vmcnt(5) lgkmcnt(4)
	v_mul_f32_e32 v3, v24, v5
	v_mul_f32_e32 v2, v25, v5
	;; [unrolled: 1-line block ×4, first 2 shown]
	s_waitcnt vmcnt(4) lgkmcnt(3)
	v_pk_mul_f32 v[48:49], v[28:29], v[8:9] op_sel:[1,1] op_sel_hi:[0,1]
	v_mov_b32_e32 v50, v11
	v_fmac_f32_e32 v3, v25, v4
	v_fma_f32 v2, v24, v4, -v2
	v_fmac_f32_e32 v47, v27, v6
	v_fma_f32 v46, v26, v6, -v5
	v_pk_fma_f32 v[4:5], v[28:29], v[8:9], v[48:49] neg_lo:[0,0,1] neg_hi:[0,0,1]
	v_pk_fma_f32 v[6:7], v[28:29], v[8:9], v[48:49] op_sel_hi:[1,0,1]
	v_pk_mul_f32 v[8:9], v[30:31], v[50:51] op_sel:[1,0] op_sel_hi:[0,0]
	v_pk_add_f32 v[2:3], v[2:3], 0 op_sel_hi:[1,0]
	s_waitcnt vmcnt(3) lgkmcnt(2)
	v_pk_mul_f32 v[52:53], v[32:33], v[12:13] op_sel:[1,1] op_sel_hi:[0,1]
	v_mov_b32_e32 v54, v15
	v_mov_b32_e32 v5, v7
	v_pk_fma_f32 v[6:7], v[30:31], v[10:11], v[8:9] neg_lo:[0,0,1] neg_hi:[0,0,1]
	v_pk_fma_f32 v[8:9], v[30:31], v[10:11], v[8:9] op_sel_hi:[1,0,1]
	v_pk_add_f32 v[2:3], v[2:3], v[46:47]
	v_pk_fma_f32 v[24:25], v[32:33], v[12:13], v[52:53] neg_lo:[0,0,1] neg_hi:[0,0,1]
	v_pk_fma_f32 v[12:13], v[32:33], v[12:13], v[52:53] op_sel_hi:[1,0,1]
	v_pk_mul_f32 v[26:27], v[34:35], v[54:55] op_sel:[1,0] op_sel_hi:[0,0]
	v_mov_b32_e32 v7, v9
	v_pk_add_f32 v[2:3], v[2:3], v[4:5]
	s_waitcnt vmcnt(2) lgkmcnt(1)
	v_pk_mul_f32 v[56:57], v[36:37], v[16:17] op_sel:[1,1] op_sel_hi:[0,1]
	v_mov_b32_e32 v58, v19
	v_mov_b32_e32 v25, v13
	v_pk_fma_f32 v[10:11], v[34:35], v[14:15], v[26:27] neg_lo:[0,0,1] neg_hi:[0,0,1]
	v_pk_fma_f32 v[12:13], v[34:35], v[14:15], v[26:27] op_sel_hi:[1,0,1]
	v_pk_add_f32 v[2:3], v[2:3], v[6:7]
	v_pk_fma_f32 v[28:29], v[36:37], v[16:17], v[56:57] neg_lo:[0,0,1] neg_hi:[0,0,1]
	v_pk_fma_f32 v[16:17], v[36:37], v[16:17], v[56:57] op_sel_hi:[1,0,1]
	v_pk_mul_f32 v[32:33], v[38:39], v[58:59] op_sel:[1,0] op_sel_hi:[0,0]
	v_mov_b32_e32 v11, v13
	v_pk_add_f32 v[2:3], v[2:3], v[24:25]
	;; [unrolled: 12-line block ×3, first 2 shown]
	v_mov_b32_e32 v37, v21
	v_pk_fma_f32 v[18:19], v[42:43], v[22:23], v[40:41] neg_lo:[0,0,1] neg_hi:[0,0,1]
	v_pk_fma_f32 v[20:21], v[42:43], v[22:23], v[40:41] op_sel_hi:[1,0,1]
	v_pk_add_f32 v[2:3], v[2:3], v[14:15]
	v_mov_b32_e32 v19, v21
	v_pk_add_f32 v[2:3], v[2:3], v[36:37]
	s_nop 0
	v_pk_add_f32 v[2:3], v[2:3], v[18:19]
	s_waitcnt vmcnt(0)
	v_pk_add_f32 v[2:3], v[44:45], v[2:3] neg_lo:[0,1] neg_hi:[0,1]
	scratch_store_dwordx2 off, v[2:3], off offset:192
	s_and_saveexec_b64 s[0:1], vcc
	s_cbranch_execz .LBB98_177
; %bb.176:
	scratch_load_dwordx2 v[2:3], off, off offset:184
	v_mov_b32_e32 v4, 0
	v_mov_b32_e32 v5, v4
	scratch_store_dwordx2 off, v[4:5], off offset:184
	s_waitcnt vmcnt(1)
	ds_write_b64 v1, v[2:3]
.LBB98_177:
	s_or_b64 exec, exec, s[0:1]
	v_mov_b32_e32 v2, 0
	s_waitcnt lgkmcnt(0)
	; wave barrier
	ds_read_b128 v[4:7], v2 offset:480
	ds_read_b128 v[8:11], v2 offset:496
	;; [unrolled: 1-line block ×4, first 2 shown]
	scratch_load_dwordx4 v[20:23], off, off offset:192
	scratch_load_dwordx4 v[24:27], off, off offset:208
	scratch_load_dwordx4 v[28:31], off, off offset:224
	scratch_load_dwordx4 v[32:35], off, off offset:240
	scratch_load_dwordx4 v[36:39], off, off offset:256
	scratch_load_dwordx2 v[46:47], off, off offset:272
	v_cmp_lt_u32_e32 vcc, 22, v0
	s_waitcnt vmcnt(5) lgkmcnt(3)
	v_mul_f32_e32 v3, v4, v21
	v_fmac_f32_e32 v3, v5, v20
	v_add_f32_e32 v41, 0, v3
	v_mul_f32_e32 v3, v5, v21
	v_fma_f32 v3, v4, v20, -v3
	v_mul_f32_e32 v43, v6, v23
	v_add_f32_e32 v40, 0, v3
	v_mul_f32_e32 v3, v7, v23
	v_fmac_f32_e32 v43, v7, v22
	v_fma_f32 v42, v6, v22, -v3
	s_waitcnt vmcnt(4)
	v_mov_b32_e32 v22, v27
	s_waitcnt lgkmcnt(2)
	v_mul_f32_e32 v45, v8, v25
	v_mul_f32_e32 v3, v9, v25
	v_pk_mul_f32 v[22:23], v[10:11], v[22:23] op_sel:[1,0] op_sel_hi:[0,0]
	v_fmac_f32_e32 v45, v9, v24
	v_fma_f32 v44, v8, v24, -v3
	v_pk_add_f32 v[20:21], v[40:41], v[42:43]
	v_pk_fma_f32 v[24:25], v[10:11], v[26:27], v[22:23] neg_lo:[0,0,1] neg_hi:[0,0,1]
	v_pk_fma_f32 v[10:11], v[10:11], v[26:27], v[22:23] op_sel_hi:[1,0,1]
	v_pk_add_f32 v[20:21], v[20:21], v[44:45]
	v_mov_b32_e32 v25, v11
	v_pk_add_f32 v[10:11], v[20:21], v[24:25]
	s_waitcnt vmcnt(3) lgkmcnt(1)
	v_pk_mul_f32 v[20:21], v[12:13], v[28:29] op_sel:[1,1] op_sel_hi:[0,1]
	v_pk_fma_f32 v[22:23], v[12:13], v[28:29], v[20:21] neg_lo:[0,0,1] neg_hi:[0,0,1]
	v_pk_fma_f32 v[12:13], v[12:13], v[28:29], v[20:21] op_sel_hi:[1,0,1]
	ds_read_b128 v[4:7], v2 offset:544
	ds_read_b64 v[8:9], v2 offset:560
	v_mov_b32_e32 v12, v31
	v_mov_b32_e32 v23, v13
	v_pk_mul_f32 v[12:13], v[14:15], v[12:13] op_sel:[1,0] op_sel_hi:[0,0]
	v_pk_fma_f32 v[20:21], v[14:15], v[30:31], v[12:13] neg_lo:[0,0,1] neg_hi:[0,0,1]
	v_pk_fma_f32 v[12:13], v[14:15], v[30:31], v[12:13] op_sel_hi:[1,0,1]
	v_pk_add_f32 v[10:11], v[10:11], v[22:23]
	v_mov_b32_e32 v21, v13
	s_waitcnt vmcnt(2) lgkmcnt(2)
	v_pk_mul_f32 v[12:13], v[16:17], v[32:33] op_sel:[1,1] op_sel_hi:[0,1]
	v_pk_fma_f32 v[14:15], v[16:17], v[32:33], v[12:13] neg_lo:[0,0,1] neg_hi:[0,0,1]
	v_pk_fma_f32 v[12:13], v[16:17], v[32:33], v[12:13] op_sel_hi:[1,0,1]
	v_pk_add_f32 v[10:11], v[10:11], v[20:21]
	v_mov_b32_e32 v12, v35
	v_mov_b32_e32 v15, v13
	v_pk_mul_f32 v[12:13], v[18:19], v[12:13] op_sel:[1,0] op_sel_hi:[0,0]
	v_pk_add_f32 v[10:11], v[10:11], v[14:15]
	v_pk_fma_f32 v[14:15], v[18:19], v[34:35], v[12:13] neg_lo:[0,0,1] neg_hi:[0,0,1]
	v_pk_fma_f32 v[12:13], v[18:19], v[34:35], v[12:13] op_sel_hi:[1,0,1]
	s_nop 0
	v_mov_b32_e32 v15, v13
	s_waitcnt vmcnt(1) lgkmcnt(1)
	v_pk_mul_f32 v[12:13], v[4:5], v[36:37] op_sel:[1,1] op_sel_hi:[0,1]
	v_pk_add_f32 v[10:11], v[10:11], v[14:15]
	v_pk_fma_f32 v[14:15], v[4:5], v[36:37], v[12:13] neg_lo:[0,0,1] neg_hi:[0,0,1]
	v_pk_fma_f32 v[4:5], v[4:5], v[36:37], v[12:13] op_sel_hi:[1,0,1]
	s_nop 0
	v_mov_b32_e32 v15, v5
	v_pk_add_f32 v[4:5], v[10:11], v[14:15]
	v_mov_b32_e32 v10, v39
	v_pk_mul_f32 v[10:11], v[6:7], v[10:11] op_sel:[1,0] op_sel_hi:[0,0]
	v_pk_fma_f32 v[12:13], v[6:7], v[38:39], v[10:11] neg_lo:[0,0,1] neg_hi:[0,0,1]
	v_pk_fma_f32 v[6:7], v[6:7], v[38:39], v[10:11] op_sel_hi:[1,0,1]
	s_nop 0
	v_mov_b32_e32 v13, v7
	s_waitcnt vmcnt(0) lgkmcnt(0)
	v_pk_mul_f32 v[6:7], v[8:9], v[46:47] op_sel:[1,1] op_sel_hi:[0,1]
	v_pk_fma_f32 v[10:11], v[8:9], v[46:47], v[6:7] neg_lo:[0,0,1] neg_hi:[0,0,1]
	v_pk_fma_f32 v[6:7], v[8:9], v[46:47], v[6:7] op_sel_hi:[1,0,1]
	v_pk_add_f32 v[4:5], v[4:5], v[12:13]
	v_mov_b32_e32 v11, v7
	scratch_load_dwordx2 v[6:7], off, off offset:184
	v_pk_add_f32 v[4:5], v[4:5], v[10:11]
	s_waitcnt vmcnt(0)
	v_pk_add_f32 v[4:5], v[6:7], v[4:5] neg_lo:[0,1] neg_hi:[0,1]
	scratch_store_dwordx2 off, v[4:5], off offset:184
	s_and_saveexec_b64 s[0:1], vcc
	s_cbranch_execz .LBB98_179
; %bb.178:
	scratch_load_dwordx2 v[4:5], off, off offset:176
	v_mov_b32_e32 v3, v2
	scratch_store_dwordx2 off, v[2:3], off offset:176
	s_waitcnt vmcnt(1)
	ds_write_b64 v1, v[4:5]
.LBB98_179:
	s_or_b64 exec, exec, s[0:1]
	s_waitcnt lgkmcnt(0)
	; wave barrier
	scratch_load_dwordx4 v[8:11], off, off offset:184
	scratch_load_dwordx4 v[16:19], off, off offset:200
	ds_read2_b64 v[4:7], v2 offset0:59 offset1:60
	v_cmp_lt_u32_e32 vcc, 21, v0
	s_waitcnt vmcnt(1) lgkmcnt(0)
	v_mul_f32_e32 v3, v4, v9
	v_fmac_f32_e32 v3, v5, v8
	v_mul_f32_e32 v12, v6, v11
	v_add_f32_e32 v3, 0, v3
	v_fmac_f32_e32 v12, v7, v10
	v_add_f32_e32 v37, v3, v12
	ds_read2_b64 v[12:15], v2 offset0:61 offset1:62
	scratch_load_dwordx4 v[20:23], off, off offset:216
	scratch_load_dwordx4 v[24:27], off, off offset:232
	;; [unrolled: 1-line block ×4, first 2 shown]
	v_mul_f32_e32 v3, v5, v9
	v_fma_f32 v3, v4, v8, -v3
	v_mul_f32_e32 v4, v7, v11
	v_add_f32_e32 v3, 0, v3
	v_fma_f32 v4, v6, v10, -v4
	v_add_f32_e32 v36, v3, v4
	s_waitcnt vmcnt(4) lgkmcnt(0)
	v_mul_f32_e32 v3, v13, v17
	v_mul_f32_e32 v39, v12, v17
	v_mul_f32_e32 v41, v14, v19
	v_fma_f32 v38, v12, v16, -v3
	v_mul_f32_e32 v3, v15, v19
	v_fmac_f32_e32 v39, v13, v16
	v_fmac_f32_e32 v41, v15, v18
	v_fma_f32 v40, v14, v18, -v3
	ds_read2_b64 v[4:7], v2 offset0:63 offset1:64
	ds_read2_b64 v[8:11], v2 offset0:65 offset1:66
	;; [unrolled: 1-line block ×4, first 2 shown]
	v_pk_add_f32 v[2:3], v[36:37], v[38:39]
	s_waitcnt vmcnt(3) lgkmcnt(3)
	v_pk_mul_f32 v[36:37], v[4:5], v[20:21] op_sel:[1,1] op_sel_hi:[0,1]
	v_pk_fma_f32 v[38:39], v[4:5], v[20:21], v[36:37] neg_lo:[0,0,1] neg_hi:[0,0,1]
	v_pk_fma_f32 v[4:5], v[4:5], v[20:21], v[36:37] op_sel_hi:[1,0,1]
	v_pk_add_f32 v[2:3], v[2:3], v[40:41]
	v_mov_b32_e32 v4, v23
	v_mov_b32_e32 v39, v5
	v_pk_mul_f32 v[4:5], v[6:7], v[4:5] op_sel:[1,0] op_sel_hi:[0,0]
	v_pk_fma_f32 v[20:21], v[6:7], v[22:23], v[4:5] neg_lo:[0,0,1] neg_hi:[0,0,1]
	v_pk_fma_f32 v[4:5], v[6:7], v[22:23], v[4:5] op_sel_hi:[1,0,1]
	v_pk_add_f32 v[2:3], v[2:3], v[38:39]
	v_mov_b32_e32 v21, v5
	s_waitcnt vmcnt(2) lgkmcnt(2)
	v_pk_mul_f32 v[4:5], v[8:9], v[24:25] op_sel:[1,1] op_sel_hi:[0,1]
	v_pk_fma_f32 v[6:7], v[8:9], v[24:25], v[4:5] neg_lo:[0,0,1] neg_hi:[0,0,1]
	v_pk_fma_f32 v[4:5], v[8:9], v[24:25], v[4:5] op_sel_hi:[1,0,1]
	v_pk_add_f32 v[2:3], v[2:3], v[20:21]
	v_mov_b32_e32 v4, v27
	v_mov_b32_e32 v7, v5
	v_pk_mul_f32 v[4:5], v[10:11], v[4:5] op_sel:[1,0] op_sel_hi:[0,0]
	v_pk_add_f32 v[2:3], v[2:3], v[6:7]
	v_pk_fma_f32 v[6:7], v[10:11], v[26:27], v[4:5] neg_lo:[0,0,1] neg_hi:[0,0,1]
	v_pk_fma_f32 v[4:5], v[10:11], v[26:27], v[4:5] op_sel_hi:[1,0,1]
	s_nop 0
	v_mov_b32_e32 v7, v5
	s_waitcnt vmcnt(1) lgkmcnt(1)
	v_pk_mul_f32 v[4:5], v[12:13], v[28:29] op_sel:[1,1] op_sel_hi:[0,1]
	v_pk_add_f32 v[2:3], v[2:3], v[6:7]
	v_pk_fma_f32 v[6:7], v[12:13], v[28:29], v[4:5] neg_lo:[0,0,1] neg_hi:[0,0,1]
	v_pk_fma_f32 v[4:5], v[12:13], v[28:29], v[4:5] op_sel_hi:[1,0,1]
	s_nop 0
	v_mov_b32_e32 v4, v31
	v_mov_b32_e32 v7, v5
	v_pk_mul_f32 v[4:5], v[14:15], v[4:5] op_sel:[1,0] op_sel_hi:[0,0]
	v_pk_add_f32 v[2:3], v[2:3], v[6:7]
	v_pk_fma_f32 v[6:7], v[14:15], v[30:31], v[4:5] neg_lo:[0,0,1] neg_hi:[0,0,1]
	v_pk_fma_f32 v[4:5], v[14:15], v[30:31], v[4:5] op_sel_hi:[1,0,1]
	s_nop 0
	v_mov_b32_e32 v7, v5
	s_waitcnt vmcnt(0) lgkmcnt(0)
	v_pk_mul_f32 v[4:5], v[16:17], v[32:33] op_sel:[1,1] op_sel_hi:[0,1]
	v_pk_add_f32 v[2:3], v[2:3], v[6:7]
	v_pk_fma_f32 v[6:7], v[16:17], v[32:33], v[4:5] neg_lo:[0,0,1] neg_hi:[0,0,1]
	v_pk_fma_f32 v[4:5], v[16:17], v[32:33], v[4:5] op_sel_hi:[1,0,1]
	s_nop 0
	v_mov_b32_e32 v4, v35
	v_mov_b32_e32 v7, v5
	v_pk_mul_f32 v[4:5], v[18:19], v[4:5] op_sel:[1,0] op_sel_hi:[0,0]
	v_pk_add_f32 v[2:3], v[2:3], v[6:7]
	v_pk_fma_f32 v[6:7], v[18:19], v[34:35], v[4:5] neg_lo:[0,0,1] neg_hi:[0,0,1]
	v_pk_fma_f32 v[4:5], v[18:19], v[34:35], v[4:5] op_sel_hi:[1,0,1]
	s_nop 0
	v_mov_b32_e32 v7, v5
	scratch_load_dwordx2 v[4:5], off, off offset:176
	v_pk_add_f32 v[2:3], v[2:3], v[6:7]
	s_waitcnt vmcnt(0)
	v_pk_add_f32 v[2:3], v[4:5], v[2:3] neg_lo:[0,1] neg_hi:[0,1]
	scratch_store_dwordx2 off, v[2:3], off offset:176
	s_and_saveexec_b64 s[0:1], vcc
	s_cbranch_execz .LBB98_181
; %bb.180:
	scratch_load_dwordx2 v[2:3], off, off offset:168
	v_mov_b32_e32 v4, 0
	v_mov_b32_e32 v5, v4
	scratch_store_dwordx2 off, v[4:5], off offset:168
	s_waitcnt vmcnt(1)
	ds_write_b64 v1, v[2:3]
.LBB98_181:
	s_or_b64 exec, exec, s[0:1]
	v_mov_b32_e32 v2, 0
	s_waitcnt lgkmcnt(0)
	; wave barrier
	ds_read_b128 v[4:7], v2 offset:464
	ds_read_b128 v[8:11], v2 offset:480
	;; [unrolled: 1-line block ×4, first 2 shown]
	scratch_load_dwordx4 v[20:23], off, off offset:176
	v_cmp_lt_u32_e32 vcc, 20, v0
	s_waitcnt vmcnt(0) lgkmcnt(3)
	v_mul_f32_e32 v3, v4, v21
	v_fmac_f32_e32 v3, v5, v20
	v_mul_f32_e32 v24, v6, v23
	v_add_f32_e32 v3, 0, v3
	v_fmac_f32_e32 v24, v7, v22
	v_add_f32_e32 v3, v3, v24
	scratch_load_dwordx4 v[24:27], off, off offset:192
	s_waitcnt vmcnt(0) lgkmcnt(2)
	v_mul_f32_e32 v28, v8, v25
	v_fmac_f32_e32 v28, v9, v24
	v_add_f32_e32 v45, v3, v28
	scratch_load_dwordx4 v[28:31], off, off offset:208
	scratch_load_dwordx4 v[32:35], off, off offset:224
	;; [unrolled: 1-line block ×4, first 2 shown]
	scratch_load_dwordx2 v[50:51], off, off offset:272
	v_mul_f32_e32 v3, v5, v21
	v_fma_f32 v3, v4, v20, -v3
	v_mul_f32_e32 v4, v7, v23
	v_add_f32_e32 v3, 0, v3
	v_fma_f32 v4, v6, v22, -v4
	v_add_f32_e32 v3, v3, v4
	v_mul_f32_e32 v4, v9, v25
	v_fma_f32 v4, v8, v24, -v4
	v_mul_f32_e32 v47, v10, v27
	v_add_f32_e32 v44, v3, v4
	v_mul_f32_e32 v3, v11, v27
	v_fmac_f32_e32 v47, v11, v26
	v_fma_f32 v46, v10, v26, -v3
	v_pk_add_f32 v[20:21], v[44:45], v[46:47]
	s_waitcnt vmcnt(4)
	v_mov_b32_e32 v22, v31
	s_waitcnt lgkmcnt(1)
	v_mul_f32_e32 v49, v12, v29
	v_mul_f32_e32 v3, v13, v29
	v_pk_mul_f32 v[22:23], v[14:15], v[22:23] op_sel:[1,0] op_sel_hi:[0,0]
	v_fmac_f32_e32 v49, v13, v28
	v_fma_f32 v48, v12, v28, -v3
	v_pk_fma_f32 v[24:25], v[14:15], v[30:31], v[22:23] neg_lo:[0,0,1] neg_hi:[0,0,1]
	v_pk_fma_f32 v[14:15], v[14:15], v[30:31], v[22:23] op_sel_hi:[1,0,1]
	v_pk_add_f32 v[20:21], v[20:21], v[48:49]
	v_mov_b32_e32 v25, v15
	v_pk_add_f32 v[14:15], v[20:21], v[24:25]
	s_waitcnt vmcnt(3) lgkmcnt(0)
	v_pk_mul_f32 v[20:21], v[16:17], v[32:33] op_sel:[1,1] op_sel_hi:[0,1]
	v_pk_fma_f32 v[22:23], v[16:17], v[32:33], v[20:21] neg_lo:[0,0,1] neg_hi:[0,0,1]
	v_pk_fma_f32 v[16:17], v[16:17], v[32:33], v[20:21] op_sel_hi:[1,0,1]
	ds_read_b128 v[4:7], v2 offset:528
	ds_read_b128 v[8:11], v2 offset:544
	ds_read_b64 v[12:13], v2 offset:560
	v_mov_b32_e32 v16, v35
	v_mov_b32_e32 v23, v17
	v_pk_mul_f32 v[16:17], v[18:19], v[16:17] op_sel:[1,0] op_sel_hi:[0,0]
	v_pk_fma_f32 v[20:21], v[18:19], v[34:35], v[16:17] neg_lo:[0,0,1] neg_hi:[0,0,1]
	v_pk_fma_f32 v[16:17], v[18:19], v[34:35], v[16:17] op_sel_hi:[1,0,1]
	v_pk_add_f32 v[14:15], v[14:15], v[22:23]
	v_mov_b32_e32 v21, v17
	s_waitcnt vmcnt(2) lgkmcnt(2)
	v_pk_mul_f32 v[16:17], v[4:5], v[36:37] op_sel:[1,1] op_sel_hi:[0,1]
	v_pk_fma_f32 v[18:19], v[4:5], v[36:37], v[16:17] neg_lo:[0,0,1] neg_hi:[0,0,1]
	v_pk_fma_f32 v[4:5], v[4:5], v[36:37], v[16:17] op_sel_hi:[1,0,1]
	v_pk_add_f32 v[14:15], v[14:15], v[20:21]
	v_mov_b32_e32 v19, v5
	v_pk_add_f32 v[4:5], v[14:15], v[18:19]
	v_mov_b32_e32 v14, v39
	v_pk_mul_f32 v[14:15], v[6:7], v[14:15] op_sel:[1,0] op_sel_hi:[0,0]
	v_pk_fma_f32 v[16:17], v[6:7], v[38:39], v[14:15] neg_lo:[0,0,1] neg_hi:[0,0,1]
	v_pk_fma_f32 v[6:7], v[6:7], v[38:39], v[14:15] op_sel_hi:[1,0,1]
	s_nop 0
	v_mov_b32_e32 v17, v7
	s_waitcnt vmcnt(1) lgkmcnt(1)
	v_pk_mul_f32 v[6:7], v[8:9], v[40:41] op_sel:[1,1] op_sel_hi:[0,1]
	v_pk_fma_f32 v[14:15], v[8:9], v[40:41], v[6:7] neg_lo:[0,0,1] neg_hi:[0,0,1]
	v_pk_fma_f32 v[6:7], v[8:9], v[40:41], v[6:7] op_sel_hi:[1,0,1]
	v_pk_add_f32 v[4:5], v[4:5], v[16:17]
	v_mov_b32_e32 v6, v43
	v_mov_b32_e32 v15, v7
	v_pk_mul_f32 v[6:7], v[10:11], v[6:7] op_sel:[1,0] op_sel_hi:[0,0]
	v_pk_fma_f32 v[8:9], v[10:11], v[42:43], v[6:7] neg_lo:[0,0,1] neg_hi:[0,0,1]
	v_pk_fma_f32 v[6:7], v[10:11], v[42:43], v[6:7] op_sel_hi:[1,0,1]
	v_pk_add_f32 v[4:5], v[4:5], v[14:15]
	v_mov_b32_e32 v9, v7
	s_waitcnt vmcnt(0) lgkmcnt(0)
	v_pk_mul_f32 v[6:7], v[12:13], v[50:51] op_sel:[1,1] op_sel_hi:[0,1]
	v_pk_add_f32 v[4:5], v[4:5], v[8:9]
	v_pk_fma_f32 v[8:9], v[12:13], v[50:51], v[6:7] neg_lo:[0,0,1] neg_hi:[0,0,1]
	v_pk_fma_f32 v[6:7], v[12:13], v[50:51], v[6:7] op_sel_hi:[1,0,1]
	s_nop 0
	v_mov_b32_e32 v9, v7
	scratch_load_dwordx2 v[6:7], off, off offset:168
	v_pk_add_f32 v[4:5], v[4:5], v[8:9]
	s_waitcnt vmcnt(0)
	v_pk_add_f32 v[4:5], v[6:7], v[4:5] neg_lo:[0,1] neg_hi:[0,1]
	scratch_store_dwordx2 off, v[4:5], off offset:168
	s_and_saveexec_b64 s[0:1], vcc
	s_cbranch_execz .LBB98_183
; %bb.182:
	scratch_load_dwordx2 v[4:5], off, off offset:160
	v_mov_b32_e32 v3, v2
	scratch_store_dwordx2 off, v[2:3], off offset:160
	s_waitcnt vmcnt(1)
	ds_write_b64 v1, v[4:5]
.LBB98_183:
	s_or_b64 exec, exec, s[0:1]
	s_waitcnt lgkmcnt(0)
	; wave barrier
	scratch_load_dwordx4 v[8:11], off, off offset:168
	scratch_load_dwordx4 v[16:19], off, off offset:184
	ds_read2_b64 v[4:7], v2 offset0:57 offset1:58
	scratch_load_dwordx4 v[24:27], off, off offset:200
	v_cmp_lt_u32_e32 vcc, 19, v0
	s_waitcnt vmcnt(2) lgkmcnt(0)
	v_mul_f32_e32 v3, v4, v9
	v_fmac_f32_e32 v3, v5, v8
	v_mul_f32_e32 v12, v6, v11
	v_add_f32_e32 v3, 0, v3
	v_fmac_f32_e32 v12, v7, v10
	v_add_f32_e32 v3, v3, v12
	ds_read2_b64 v[12:15], v2 offset0:59 offset1:60
	s_waitcnt vmcnt(1) lgkmcnt(0)
	v_mul_f32_e32 v20, v12, v17
	v_fmac_f32_e32 v20, v13, v16
	v_add_f32_e32 v3, v3, v20
	v_mul_f32_e32 v20, v14, v19
	v_fmac_f32_e32 v20, v15, v18
	v_add_f32_e32 v45, v3, v20
	ds_read2_b64 v[20:23], v2 offset0:61 offset1:62
	scratch_load_dwordx4 v[28:31], off, off offset:216
	scratch_load_dwordx4 v[32:35], off, off offset:232
	scratch_load_dwordx4 v[36:39], off, off offset:248
	scratch_load_dwordx4 v[40:43], off, off offset:264
	v_mul_f32_e32 v3, v5, v9
	v_fma_f32 v3, v4, v8, -v3
	v_mul_f32_e32 v4, v7, v11
	v_add_f32_e32 v3, 0, v3
	v_fma_f32 v4, v6, v10, -v4
	v_add_f32_e32 v3, v3, v4
	v_mul_f32_e32 v4, v13, v17
	v_fma_f32 v4, v12, v16, -v4
	v_add_f32_e32 v3, v3, v4
	v_mul_f32_e32 v4, v15, v19
	v_fma_f32 v4, v14, v18, -v4
	v_add_f32_e32 v44, v3, v4
	ds_read2_b64 v[4:7], v2 offset0:63 offset1:64
	ds_read2_b64 v[8:11], v2 offset0:65 offset1:66
	;; [unrolled: 1-line block ×4, first 2 shown]
	s_waitcnt vmcnt(4) lgkmcnt(4)
	v_mul_f32_e32 v47, v20, v25
	v_mul_f32_e32 v3, v21, v25
	v_fmac_f32_e32 v47, v21, v24
	v_mul_f32_e32 v49, v22, v27
	v_fma_f32 v46, v20, v24, -v3
	v_mul_f32_e32 v3, v23, v27
	v_fmac_f32_e32 v49, v23, v26
	v_fma_f32 v48, v22, v26, -v3
	v_pk_add_f32 v[2:3], v[44:45], v[46:47]
	s_waitcnt vmcnt(3) lgkmcnt(3)
	v_pk_mul_f32 v[20:21], v[4:5], v[28:29] op_sel:[1,1] op_sel_hi:[0,1]
	v_pk_fma_f32 v[22:23], v[4:5], v[28:29], v[20:21] neg_lo:[0,0,1] neg_hi:[0,0,1]
	v_pk_fma_f32 v[4:5], v[4:5], v[28:29], v[20:21] op_sel_hi:[1,0,1]
	v_pk_add_f32 v[2:3], v[2:3], v[48:49]
	v_mov_b32_e32 v4, v31
	v_mov_b32_e32 v23, v5
	v_pk_mul_f32 v[4:5], v[6:7], v[4:5] op_sel:[1,0] op_sel_hi:[0,0]
	v_pk_fma_f32 v[20:21], v[6:7], v[30:31], v[4:5] neg_lo:[0,0,1] neg_hi:[0,0,1]
	v_pk_fma_f32 v[4:5], v[6:7], v[30:31], v[4:5] op_sel_hi:[1,0,1]
	v_pk_add_f32 v[2:3], v[2:3], v[22:23]
	v_mov_b32_e32 v21, v5
	s_waitcnt vmcnt(2) lgkmcnt(2)
	v_pk_mul_f32 v[4:5], v[8:9], v[32:33] op_sel:[1,1] op_sel_hi:[0,1]
	v_pk_fma_f32 v[6:7], v[8:9], v[32:33], v[4:5] neg_lo:[0,0,1] neg_hi:[0,0,1]
	v_pk_fma_f32 v[4:5], v[8:9], v[32:33], v[4:5] op_sel_hi:[1,0,1]
	v_pk_add_f32 v[2:3], v[2:3], v[20:21]
	v_mov_b32_e32 v4, v35
	v_mov_b32_e32 v7, v5
	v_pk_mul_f32 v[4:5], v[10:11], v[4:5] op_sel:[1,0] op_sel_hi:[0,0]
	v_pk_add_f32 v[2:3], v[2:3], v[6:7]
	v_pk_fma_f32 v[6:7], v[10:11], v[34:35], v[4:5] neg_lo:[0,0,1] neg_hi:[0,0,1]
	v_pk_fma_f32 v[4:5], v[10:11], v[34:35], v[4:5] op_sel_hi:[1,0,1]
	s_nop 0
	v_mov_b32_e32 v7, v5
	s_waitcnt vmcnt(1) lgkmcnt(1)
	v_pk_mul_f32 v[4:5], v[12:13], v[36:37] op_sel:[1,1] op_sel_hi:[0,1]
	v_pk_add_f32 v[2:3], v[2:3], v[6:7]
	v_pk_fma_f32 v[6:7], v[12:13], v[36:37], v[4:5] neg_lo:[0,0,1] neg_hi:[0,0,1]
	v_pk_fma_f32 v[4:5], v[12:13], v[36:37], v[4:5] op_sel_hi:[1,0,1]
	s_nop 0
	v_mov_b32_e32 v4, v39
	v_mov_b32_e32 v7, v5
	v_pk_mul_f32 v[4:5], v[14:15], v[4:5] op_sel:[1,0] op_sel_hi:[0,0]
	v_pk_add_f32 v[2:3], v[2:3], v[6:7]
	v_pk_fma_f32 v[6:7], v[14:15], v[38:39], v[4:5] neg_lo:[0,0,1] neg_hi:[0,0,1]
	v_pk_fma_f32 v[4:5], v[14:15], v[38:39], v[4:5] op_sel_hi:[1,0,1]
	s_nop 0
	v_mov_b32_e32 v7, v5
	s_waitcnt vmcnt(0) lgkmcnt(0)
	v_pk_mul_f32 v[4:5], v[16:17], v[40:41] op_sel:[1,1] op_sel_hi:[0,1]
	v_pk_add_f32 v[2:3], v[2:3], v[6:7]
	v_pk_fma_f32 v[6:7], v[16:17], v[40:41], v[4:5] neg_lo:[0,0,1] neg_hi:[0,0,1]
	v_pk_fma_f32 v[4:5], v[16:17], v[40:41], v[4:5] op_sel_hi:[1,0,1]
	s_nop 0
	v_mov_b32_e32 v4, v43
	v_mov_b32_e32 v7, v5
	v_pk_mul_f32 v[4:5], v[18:19], v[4:5] op_sel:[1,0] op_sel_hi:[0,0]
	v_pk_add_f32 v[2:3], v[2:3], v[6:7]
	v_pk_fma_f32 v[6:7], v[18:19], v[42:43], v[4:5] neg_lo:[0,0,1] neg_hi:[0,0,1]
	v_pk_fma_f32 v[4:5], v[18:19], v[42:43], v[4:5] op_sel_hi:[1,0,1]
	s_nop 0
	v_mov_b32_e32 v7, v5
	scratch_load_dwordx2 v[4:5], off, off offset:160
	v_pk_add_f32 v[2:3], v[2:3], v[6:7]
	s_waitcnt vmcnt(0)
	v_pk_add_f32 v[2:3], v[4:5], v[2:3] neg_lo:[0,1] neg_hi:[0,1]
	scratch_store_dwordx2 off, v[2:3], off offset:160
	s_and_saveexec_b64 s[0:1], vcc
	s_cbranch_execz .LBB98_185
; %bb.184:
	scratch_load_dwordx2 v[2:3], off, off offset:152
	v_mov_b32_e32 v4, 0
	v_mov_b32_e32 v5, v4
	scratch_store_dwordx2 off, v[4:5], off offset:152
	s_waitcnt vmcnt(1)
	ds_write_b64 v1, v[2:3]
.LBB98_185:
	s_or_b64 exec, exec, s[0:1]
	v_mov_b32_e32 v2, 0
	s_waitcnt lgkmcnt(0)
	; wave barrier
	ds_read_b128 v[4:7], v2 offset:448
	ds_read_b128 v[8:11], v2 offset:464
	;; [unrolled: 1-line block ×4, first 2 shown]
	scratch_load_dwordx4 v[20:23], off, off offset:160
	v_cmp_lt_u32_e32 vcc, 18, v0
	s_waitcnt vmcnt(0) lgkmcnt(3)
	v_mul_f32_e32 v3, v4, v21
	v_fmac_f32_e32 v3, v5, v20
	v_mul_f32_e32 v24, v6, v23
	v_add_f32_e32 v3, 0, v3
	v_fmac_f32_e32 v24, v7, v22
	v_add_f32_e32 v3, v3, v24
	scratch_load_dwordx4 v[24:27], off, off offset:176
	s_waitcnt vmcnt(0) lgkmcnt(2)
	v_mul_f32_e32 v28, v8, v25
	v_fmac_f32_e32 v28, v9, v24
	v_add_f32_e32 v3, v3, v28
	v_mul_f32_e32 v28, v10, v27
	v_fmac_f32_e32 v28, v11, v26
	v_add_f32_e32 v3, v3, v28
	scratch_load_dwordx4 v[28:31], off, off offset:192
	s_waitcnt vmcnt(0) lgkmcnt(1)
	v_mul_f32_e32 v32, v12, v29
	v_fmac_f32_e32 v32, v13, v28
	v_add_f32_e32 v49, v3, v32
	scratch_load_dwordx4 v[32:35], off, off offset:208
	scratch_load_dwordx4 v[36:39], off, off offset:224
	;; [unrolled: 1-line block ×4, first 2 shown]
	scratch_load_dwordx2 v[54:55], off, off offset:272
	v_mul_f32_e32 v3, v5, v21
	v_fma_f32 v3, v4, v20, -v3
	v_mul_f32_e32 v4, v7, v23
	v_add_f32_e32 v3, 0, v3
	v_fma_f32 v4, v6, v22, -v4
	v_add_f32_e32 v3, v3, v4
	v_mul_f32_e32 v4, v9, v25
	v_fma_f32 v4, v8, v24, -v4
	v_add_f32_e32 v3, v3, v4
	v_mul_f32_e32 v4, v11, v27
	;; [unrolled: 3-line block ×3, first 2 shown]
	v_fma_f32 v4, v12, v28, -v4
	v_mul_f32_e32 v51, v14, v31
	v_add_f32_e32 v48, v3, v4
	v_mul_f32_e32 v3, v15, v31
	v_fmac_f32_e32 v51, v15, v30
	v_fma_f32 v50, v14, v30, -v3
	v_pk_add_f32 v[20:21], v[48:49], v[50:51]
	s_waitcnt vmcnt(4)
	v_mov_b32_e32 v22, v35
	s_waitcnt lgkmcnt(0)
	v_mul_f32_e32 v53, v16, v33
	v_mul_f32_e32 v3, v17, v33
	v_pk_mul_f32 v[22:23], v[18:19], v[22:23] op_sel:[1,0] op_sel_hi:[0,0]
	v_fmac_f32_e32 v53, v17, v32
	v_fma_f32 v52, v16, v32, -v3
	ds_read_b128 v[4:7], v2 offset:512
	ds_read_b128 v[8:11], v2 offset:528
	;; [unrolled: 1-line block ×3, first 2 shown]
	ds_read_b64 v[16:17], v2 offset:560
	v_pk_fma_f32 v[24:25], v[18:19], v[34:35], v[22:23] neg_lo:[0,0,1] neg_hi:[0,0,1]
	v_pk_fma_f32 v[18:19], v[18:19], v[34:35], v[22:23] op_sel_hi:[1,0,1]
	v_pk_add_f32 v[20:21], v[20:21], v[52:53]
	v_mov_b32_e32 v25, v19
	v_pk_add_f32 v[18:19], v[20:21], v[24:25]
	s_waitcnt vmcnt(3) lgkmcnt(3)
	v_pk_mul_f32 v[20:21], v[4:5], v[36:37] op_sel:[1,1] op_sel_hi:[0,1]
	v_pk_fma_f32 v[22:23], v[4:5], v[36:37], v[20:21] neg_lo:[0,0,1] neg_hi:[0,0,1]
	v_pk_fma_f32 v[4:5], v[4:5], v[36:37], v[20:21] op_sel_hi:[1,0,1]
	s_nop 0
	v_mov_b32_e32 v23, v5
	v_pk_add_f32 v[4:5], v[18:19], v[22:23]
	v_mov_b32_e32 v18, v39
	v_pk_mul_f32 v[18:19], v[6:7], v[18:19] op_sel:[1,0] op_sel_hi:[0,0]
	v_pk_fma_f32 v[20:21], v[6:7], v[38:39], v[18:19] neg_lo:[0,0,1] neg_hi:[0,0,1]
	v_pk_fma_f32 v[6:7], v[6:7], v[38:39], v[18:19] op_sel_hi:[1,0,1]
	s_nop 0
	v_mov_b32_e32 v21, v7
	s_waitcnt vmcnt(2) lgkmcnt(2)
	v_pk_mul_f32 v[6:7], v[8:9], v[40:41] op_sel:[1,1] op_sel_hi:[0,1]
	v_pk_fma_f32 v[18:19], v[8:9], v[40:41], v[6:7] neg_lo:[0,0,1] neg_hi:[0,0,1]
	v_pk_fma_f32 v[6:7], v[8:9], v[40:41], v[6:7] op_sel_hi:[1,0,1]
	v_pk_add_f32 v[4:5], v[4:5], v[20:21]
	v_mov_b32_e32 v6, v43
	v_mov_b32_e32 v19, v7
	v_pk_mul_f32 v[6:7], v[10:11], v[6:7] op_sel:[1,0] op_sel_hi:[0,0]
	v_pk_fma_f32 v[8:9], v[10:11], v[42:43], v[6:7] neg_lo:[0,0,1] neg_hi:[0,0,1]
	v_pk_fma_f32 v[6:7], v[10:11], v[42:43], v[6:7] op_sel_hi:[1,0,1]
	v_pk_add_f32 v[4:5], v[4:5], v[18:19]
	v_mov_b32_e32 v9, v7
	s_waitcnt vmcnt(1) lgkmcnt(1)
	v_pk_mul_f32 v[6:7], v[12:13], v[44:45] op_sel:[1,1] op_sel_hi:[0,1]
	v_pk_add_f32 v[4:5], v[4:5], v[8:9]
	v_pk_fma_f32 v[8:9], v[12:13], v[44:45], v[6:7] neg_lo:[0,0,1] neg_hi:[0,0,1]
	v_pk_fma_f32 v[6:7], v[12:13], v[44:45], v[6:7] op_sel_hi:[1,0,1]
	s_nop 0
	v_mov_b32_e32 v6, v47
	v_mov_b32_e32 v9, v7
	v_pk_mul_f32 v[6:7], v[14:15], v[6:7] op_sel:[1,0] op_sel_hi:[0,0]
	v_pk_add_f32 v[4:5], v[4:5], v[8:9]
	v_pk_fma_f32 v[8:9], v[14:15], v[46:47], v[6:7] neg_lo:[0,0,1] neg_hi:[0,0,1]
	v_pk_fma_f32 v[6:7], v[14:15], v[46:47], v[6:7] op_sel_hi:[1,0,1]
	s_nop 0
	v_mov_b32_e32 v9, v7
	s_waitcnt vmcnt(0) lgkmcnt(0)
	v_pk_mul_f32 v[6:7], v[16:17], v[54:55] op_sel:[1,1] op_sel_hi:[0,1]
	v_pk_add_f32 v[4:5], v[4:5], v[8:9]
	v_pk_fma_f32 v[8:9], v[16:17], v[54:55], v[6:7] neg_lo:[0,0,1] neg_hi:[0,0,1]
	v_pk_fma_f32 v[6:7], v[16:17], v[54:55], v[6:7] op_sel_hi:[1,0,1]
	s_nop 0
	v_mov_b32_e32 v9, v7
	scratch_load_dwordx2 v[6:7], off, off offset:152
	v_pk_add_f32 v[4:5], v[4:5], v[8:9]
	s_waitcnt vmcnt(0)
	v_pk_add_f32 v[4:5], v[6:7], v[4:5] neg_lo:[0,1] neg_hi:[0,1]
	scratch_store_dwordx2 off, v[4:5], off offset:152
	s_and_saveexec_b64 s[0:1], vcc
	s_cbranch_execz .LBB98_187
; %bb.186:
	scratch_load_dwordx2 v[4:5], off, off offset:144
	v_mov_b32_e32 v3, v2
	scratch_store_dwordx2 off, v[2:3], off offset:144
	s_waitcnt vmcnt(1)
	ds_write_b64 v1, v[4:5]
.LBB98_187:
	s_or_b64 exec, exec, s[0:1]
	s_waitcnt lgkmcnt(0)
	; wave barrier
	scratch_load_dwordx4 v[8:11], off, off offset:152
	scratch_load_dwordx4 v[16:19], off, off offset:168
	;; [unrolled: 1-line block ×4, first 2 shown]
	ds_read2_b64 v[4:7], v2 offset0:55 offset1:56
	v_cmp_lt_u32_e32 vcc, 17, v0
	s_waitcnt vmcnt(3) lgkmcnt(0)
	v_mul_f32_e32 v3, v4, v9
	v_fmac_f32_e32 v3, v5, v8
	v_mul_f32_e32 v12, v6, v11
	v_add_f32_e32 v3, 0, v3
	v_fmac_f32_e32 v12, v7, v10
	v_add_f32_e32 v3, v3, v12
	ds_read2_b64 v[12:15], v2 offset0:57 offset1:58
	s_waitcnt vmcnt(2) lgkmcnt(0)
	v_mul_f32_e32 v20, v12, v17
	v_fmac_f32_e32 v20, v13, v16
	v_add_f32_e32 v3, v3, v20
	v_mul_f32_e32 v20, v14, v19
	v_fmac_f32_e32 v20, v15, v18
	v_add_f32_e32 v3, v3, v20
	ds_read2_b64 v[20:23], v2 offset0:59 offset1:60
	s_waitcnt vmcnt(1) lgkmcnt(0)
	v_mul_f32_e32 v28, v20, v25
	v_fmac_f32_e32 v28, v21, v24
	v_add_f32_e32 v3, v3, v28
	v_mul_f32_e32 v28, v22, v27
	v_fmac_f32_e32 v28, v23, v26
	v_add_f32_e32 v53, v3, v28
	ds_read2_b64 v[28:31], v2 offset0:61 offset1:62
	scratch_load_dwordx4 v[36:39], off, off offset:216
	scratch_load_dwordx4 v[40:43], off, off offset:232
	;; [unrolled: 1-line block ×4, first 2 shown]
	v_mul_f32_e32 v3, v5, v9
	v_fma_f32 v3, v4, v8, -v3
	v_mul_f32_e32 v4, v7, v11
	v_add_f32_e32 v3, 0, v3
	v_fma_f32 v4, v6, v10, -v4
	v_add_f32_e32 v3, v3, v4
	v_mul_f32_e32 v4, v13, v17
	v_fma_f32 v4, v12, v16, -v4
	v_add_f32_e32 v3, v3, v4
	v_mul_f32_e32 v4, v15, v19
	v_fma_f32 v4, v14, v18, -v4
	v_add_f32_e32 v3, v3, v4
	v_mul_f32_e32 v4, v21, v25
	v_fma_f32 v4, v20, v24, -v4
	v_add_f32_e32 v3, v3, v4
	v_mul_f32_e32 v4, v23, v27
	v_fma_f32 v4, v22, v26, -v4
	v_add_f32_e32 v52, v3, v4
	ds_read2_b64 v[4:7], v2 offset0:63 offset1:64
	ds_read2_b64 v[8:11], v2 offset0:65 offset1:66
	;; [unrolled: 1-line block ×4, first 2 shown]
	s_waitcnt vmcnt(4) lgkmcnt(4)
	v_mul_f32_e32 v55, v28, v33
	v_mul_f32_e32 v3, v29, v33
	v_fmac_f32_e32 v55, v29, v32
	v_mul_f32_e32 v57, v30, v35
	v_fma_f32 v54, v28, v32, -v3
	v_mul_f32_e32 v3, v31, v35
	v_fmac_f32_e32 v57, v31, v34
	v_fma_f32 v56, v30, v34, -v3
	v_pk_add_f32 v[2:3], v[52:53], v[54:55]
	s_waitcnt vmcnt(3) lgkmcnt(3)
	v_pk_mul_f32 v[20:21], v[4:5], v[36:37] op_sel:[1,1] op_sel_hi:[0,1]
	v_pk_fma_f32 v[22:23], v[4:5], v[36:37], v[20:21] neg_lo:[0,0,1] neg_hi:[0,0,1]
	v_pk_fma_f32 v[4:5], v[4:5], v[36:37], v[20:21] op_sel_hi:[1,0,1]
	v_pk_add_f32 v[2:3], v[2:3], v[56:57]
	v_mov_b32_e32 v4, v39
	v_mov_b32_e32 v23, v5
	v_pk_mul_f32 v[4:5], v[6:7], v[4:5] op_sel:[1,0] op_sel_hi:[0,0]
	v_pk_fma_f32 v[20:21], v[6:7], v[38:39], v[4:5] neg_lo:[0,0,1] neg_hi:[0,0,1]
	v_pk_fma_f32 v[4:5], v[6:7], v[38:39], v[4:5] op_sel_hi:[1,0,1]
	v_pk_add_f32 v[2:3], v[2:3], v[22:23]
	v_mov_b32_e32 v21, v5
	s_waitcnt vmcnt(2) lgkmcnt(2)
	v_pk_mul_f32 v[4:5], v[8:9], v[40:41] op_sel:[1,1] op_sel_hi:[0,1]
	v_pk_fma_f32 v[6:7], v[8:9], v[40:41], v[4:5] neg_lo:[0,0,1] neg_hi:[0,0,1]
	v_pk_fma_f32 v[4:5], v[8:9], v[40:41], v[4:5] op_sel_hi:[1,0,1]
	v_pk_add_f32 v[2:3], v[2:3], v[20:21]
	v_mov_b32_e32 v4, v43
	v_mov_b32_e32 v7, v5
	v_pk_mul_f32 v[4:5], v[10:11], v[4:5] op_sel:[1,0] op_sel_hi:[0,0]
	v_pk_add_f32 v[2:3], v[2:3], v[6:7]
	v_pk_fma_f32 v[6:7], v[10:11], v[42:43], v[4:5] neg_lo:[0,0,1] neg_hi:[0,0,1]
	v_pk_fma_f32 v[4:5], v[10:11], v[42:43], v[4:5] op_sel_hi:[1,0,1]
	s_nop 0
	v_mov_b32_e32 v7, v5
	s_waitcnt vmcnt(1) lgkmcnt(1)
	v_pk_mul_f32 v[4:5], v[12:13], v[44:45] op_sel:[1,1] op_sel_hi:[0,1]
	v_pk_add_f32 v[2:3], v[2:3], v[6:7]
	v_pk_fma_f32 v[6:7], v[12:13], v[44:45], v[4:5] neg_lo:[0,0,1] neg_hi:[0,0,1]
	v_pk_fma_f32 v[4:5], v[12:13], v[44:45], v[4:5] op_sel_hi:[1,0,1]
	s_nop 0
	v_mov_b32_e32 v4, v47
	v_mov_b32_e32 v7, v5
	v_pk_mul_f32 v[4:5], v[14:15], v[4:5] op_sel:[1,0] op_sel_hi:[0,0]
	v_pk_add_f32 v[2:3], v[2:3], v[6:7]
	v_pk_fma_f32 v[6:7], v[14:15], v[46:47], v[4:5] neg_lo:[0,0,1] neg_hi:[0,0,1]
	v_pk_fma_f32 v[4:5], v[14:15], v[46:47], v[4:5] op_sel_hi:[1,0,1]
	s_nop 0
	v_mov_b32_e32 v7, v5
	s_waitcnt vmcnt(0) lgkmcnt(0)
	v_pk_mul_f32 v[4:5], v[16:17], v[48:49] op_sel:[1,1] op_sel_hi:[0,1]
	v_pk_add_f32 v[2:3], v[2:3], v[6:7]
	v_pk_fma_f32 v[6:7], v[16:17], v[48:49], v[4:5] neg_lo:[0,0,1] neg_hi:[0,0,1]
	v_pk_fma_f32 v[4:5], v[16:17], v[48:49], v[4:5] op_sel_hi:[1,0,1]
	s_nop 0
	v_mov_b32_e32 v4, v51
	v_mov_b32_e32 v7, v5
	v_pk_mul_f32 v[4:5], v[18:19], v[4:5] op_sel:[1,0] op_sel_hi:[0,0]
	v_pk_add_f32 v[2:3], v[2:3], v[6:7]
	v_pk_fma_f32 v[6:7], v[18:19], v[50:51], v[4:5] neg_lo:[0,0,1] neg_hi:[0,0,1]
	v_pk_fma_f32 v[4:5], v[18:19], v[50:51], v[4:5] op_sel_hi:[1,0,1]
	s_nop 0
	v_mov_b32_e32 v7, v5
	scratch_load_dwordx2 v[4:5], off, off offset:144
	v_pk_add_f32 v[2:3], v[2:3], v[6:7]
	s_waitcnt vmcnt(0)
	v_pk_add_f32 v[2:3], v[4:5], v[2:3] neg_lo:[0,1] neg_hi:[0,1]
	scratch_store_dwordx2 off, v[2:3], off offset:144
	s_and_saveexec_b64 s[0:1], vcc
	s_cbranch_execz .LBB98_189
; %bb.188:
	scratch_load_dwordx2 v[2:3], off, off offset:136
	v_mov_b32_e32 v4, 0
	v_mov_b32_e32 v5, v4
	scratch_store_dwordx2 off, v[4:5], off offset:136
	s_waitcnt vmcnt(1)
	ds_write_b64 v1, v[2:3]
.LBB98_189:
	s_or_b64 exec, exec, s[0:1]
	s_waitcnt lgkmcnt(0)
	; wave barrier
	scratch_load_dwordx4 v[4:7], off, off offset:144
	scratch_load_dwordx4 v[8:11], off, off offset:160
	;; [unrolled: 1-line block ×8, first 2 shown]
	scratch_load_dwordx2 v[68:69], off, off offset:272
	scratch_load_dwordx2 v[70:71], off, off offset:136
	v_mov_b32_e32 v2, 0
	ds_read_b128 v[36:39], v2 offset:432
	ds_read_b128 v[40:43], v2 offset:448
	;; [unrolled: 1-line block ×8, first 2 shown]
	ds_read_b64 v[72:73], v2 offset:560
	v_cmp_lt_u32_e32 vcc, 16, v0
	s_waitcnt vmcnt(9) lgkmcnt(8)
	v_mul_f32_e32 v79, v38, v7
	v_mul_f32_e32 v3, v36, v5
	s_waitcnt vmcnt(8) lgkmcnt(7)
	v_mul_f32_e32 v83, v40, v9
	s_waitcnt vmcnt(7) lgkmcnt(6)
	v_mul_f32_e32 v87, v44, v13
	v_mul_f32_e32 v5, v37, v5
	;; [unrolled: 1-line block ×5, first 2 shown]
	s_waitcnt vmcnt(5)
	v_mov_b32_e32 v78, v23
	s_waitcnt vmcnt(3) lgkmcnt(2)
	v_pk_mul_f32 v[84:85], v[60:61], v[28:29] op_sel:[1,1] op_sel_hi:[0,1]
	v_fmac_f32_e32 v79, v39, v6
	v_mul_f32_e32 v86, v42, v11
	v_mul_f32_e32 v89, v48, v17
	;; [unrolled: 1-line block ×4, first 2 shown]
	v_fmac_f32_e32 v3, v37, v4
	v_fmac_f32_e32 v87, v45, v12
	v_fma_f32 v36, v36, v4, -v5
	v_fma_f32 v37, v38, v6, -v7
	;; [unrolled: 1-line block ×4, first 2 shown]
	v_pk_mul_f32 v[4:5], v[54:55], v[78:79] op_sel:[1,0] op_sel_hi:[0,0]
	v_pk_fma_f32 v[12:13], v[60:61], v[28:29], v[84:85] neg_lo:[0,0,1] neg_hi:[0,0,1]
	v_fmac_f32_e32 v89, v49, v16
	v_fma_f32 v39, v42, v10, -v11
	v_fma_f32 v42, v48, v16, -v17
	v_add_f32_e32 v3, 0, v3
	v_add_f32_e32 v13, 0, v36
	v_pk_fma_f32 v[16:17], v[54:55], v[22:23], v[4:5] neg_lo:[0,0,1] neg_hi:[0,0,1]
	v_pk_fma_f32 v[4:5], v[54:55], v[22:23], v[4:5] op_sel_hi:[1,0,1]
	v_fmac_f32_e32 v83, v41, v8
	v_add_f32_e32 v3, v3, v79
	v_add_f32_e32 v4, v13, v37
	v_fmac_f32_e32 v86, v43, v10
	v_add_f32_e32 v3, v3, v83
	v_add_f32_e32 v4, v4, v38
	v_mul_f32_e32 v88, v46, v15
	v_mul_f32_e32 v15, v47, v15
	v_add_f32_e32 v3, v3, v86
	v_add_f32_e32 v4, v4, v39
	v_fmac_f32_e32 v88, v47, v14
	v_fma_f32 v41, v46, v14, -v15
	v_add_f32_e32 v3, v3, v87
	v_add_f32_e32 v4, v4, v40
	v_mul_f32_e32 v75, v50, v19
	v_mul_f32_e32 v19, v51, v19
	v_add_f32_e32 v3, v3, v88
	v_add_f32_e32 v4, v4, v41
	v_mul_f32_e32 v77, v52, v21
	v_mul_f32_e32 v21, v53, v21
	v_fmac_f32_e32 v75, v51, v18
	v_fma_f32 v74, v50, v18, -v19
	v_mov_b32_e32 v17, v5
	v_add_f32_e32 v5, v3, v89
	v_add_f32_e32 v4, v4, v42
	v_pk_mul_f32 v[80:81], v[56:57], v[24:25] op_sel:[1,1] op_sel_hi:[0,1]
	v_fmac_f32_e32 v77, v53, v20
	v_fma_f32 v76, v52, v20, -v21
	v_pk_add_f32 v[4:5], v[4:5], v[74:75]
	v_mov_b32_e32 v82, v27
	v_pk_fma_f32 v[6:7], v[56:57], v[24:25], v[80:81] neg_lo:[0,0,1] neg_hi:[0,0,1]
	v_pk_fma_f32 v[8:9], v[56:57], v[24:25], v[80:81] op_sel_hi:[1,0,1]
	v_pk_add_f32 v[4:5], v[4:5], v[76:77]
	v_pk_mul_f32 v[10:11], v[58:59], v[82:83] op_sel:[1,0] op_sel_hi:[0,0]
	v_mov_b32_e32 v7, v9
	v_pk_add_f32 v[4:5], v[4:5], v[16:17]
	v_pk_fma_f32 v[8:9], v[58:59], v[26:27], v[10:11] neg_lo:[0,0,1] neg_hi:[0,0,1]
	v_pk_fma_f32 v[10:11], v[58:59], v[26:27], v[10:11] op_sel_hi:[1,0,1]
	v_pk_add_f32 v[4:5], v[4:5], v[6:7]
	v_mov_b32_e32 v6, v31
	v_pk_fma_f32 v[14:15], v[60:61], v[28:29], v[84:85] op_sel_hi:[1,0,1]
	v_mov_b32_e32 v9, v11
	v_pk_mul_f32 v[6:7], v[62:63], v[6:7] op_sel:[1,0] op_sel_hi:[0,0]
	v_pk_add_f32 v[4:5], v[4:5], v[8:9]
	v_mov_b32_e32 v13, v15
	v_pk_fma_f32 v[8:9], v[62:63], v[30:31], v[6:7] neg_lo:[0,0,1] neg_hi:[0,0,1]
	v_pk_fma_f32 v[6:7], v[62:63], v[30:31], v[6:7] op_sel_hi:[1,0,1]
	v_pk_add_f32 v[4:5], v[4:5], v[12:13]
	v_mov_b32_e32 v9, v7
	s_waitcnt vmcnt(2) lgkmcnt(1)
	v_pk_mul_f32 v[6:7], v[64:65], v[32:33] op_sel:[1,1] op_sel_hi:[0,1]
	v_pk_add_f32 v[4:5], v[4:5], v[8:9]
	v_pk_fma_f32 v[8:9], v[64:65], v[32:33], v[6:7] neg_lo:[0,0,1] neg_hi:[0,0,1]
	v_pk_fma_f32 v[6:7], v[64:65], v[32:33], v[6:7] op_sel_hi:[1,0,1]
	s_nop 0
	v_mov_b32_e32 v6, v35
	v_mov_b32_e32 v9, v7
	v_pk_mul_f32 v[6:7], v[66:67], v[6:7] op_sel:[1,0] op_sel_hi:[0,0]
	v_pk_add_f32 v[4:5], v[4:5], v[8:9]
	v_pk_fma_f32 v[8:9], v[66:67], v[34:35], v[6:7] neg_lo:[0,0,1] neg_hi:[0,0,1]
	v_pk_fma_f32 v[6:7], v[66:67], v[34:35], v[6:7] op_sel_hi:[1,0,1]
	s_nop 0
	v_mov_b32_e32 v9, v7
	s_waitcnt vmcnt(1) lgkmcnt(0)
	v_pk_mul_f32 v[6:7], v[72:73], v[68:69] op_sel:[1,1] op_sel_hi:[0,1]
	v_pk_add_f32 v[4:5], v[4:5], v[8:9]
	v_pk_fma_f32 v[8:9], v[72:73], v[68:69], v[6:7] neg_lo:[0,0,1] neg_hi:[0,0,1]
	v_pk_fma_f32 v[6:7], v[72:73], v[68:69], v[6:7] op_sel_hi:[1,0,1]
	s_nop 0
	v_mov_b32_e32 v9, v7
	v_pk_add_f32 v[4:5], v[4:5], v[8:9]
	s_waitcnt vmcnt(0)
	v_pk_add_f32 v[4:5], v[70:71], v[4:5] neg_lo:[0,1] neg_hi:[0,1]
	scratch_store_dwordx2 off, v[4:5], off offset:136
	s_and_saveexec_b64 s[0:1], vcc
	s_cbranch_execz .LBB98_191
; %bb.190:
	scratch_load_dwordx2 v[4:5], off, off offset:128
	v_mov_b32_e32 v3, v2
	scratch_store_dwordx2 off, v[2:3], off offset:128
	s_waitcnt vmcnt(1)
	ds_write_b64 v1, v[4:5]
.LBB98_191:
	s_or_b64 exec, exec, s[0:1]
	s_waitcnt lgkmcnt(0)
	; wave barrier
	scratch_load_dwordx4 v[4:7], off, off offset:136
	scratch_load_dwordx4 v[8:11], off, off offset:152
	;; [unrolled: 1-line block ×7, first 2 shown]
	ds_read2_b64 v[32:35], v2 offset0:53 offset1:54
	ds_read2_b64 v[36:39], v2 offset0:55 offset1:56
	;; [unrolled: 1-line block ×4, first 2 shown]
	scratch_load_dwordx4 v[48:51], off, off offset:248
	scratch_load_dwordx4 v[52:55], off, off offset:264
	ds_read2_b64 v[56:59], v2 offset0:61 offset1:62
	ds_read2_b64 v[60:63], v2 offset0:63 offset1:64
	;; [unrolled: 1-line block ×5, first 2 shown]
	scratch_load_dwordx2 v[2:3], off, off offset:128
	v_cmp_lt_u32_e32 vcc, 15, v0
	s_waitcnt vmcnt(9) lgkmcnt(8)
	v_mul_f32_e32 v83, v32, v5
	v_mul_f32_e32 v86, v34, v7
	s_waitcnt vmcnt(8) lgkmcnt(7)
	v_mul_f32_e32 v87, v36, v9
	s_waitcnt vmcnt(7) lgkmcnt(6)
	v_mul_f32_e32 v89, v40, v13
	v_mul_f32_e32 v5, v33, v5
	;; [unrolled: 1-line block ×5, first 2 shown]
	s_waitcnt vmcnt(4) lgkmcnt(3)
	v_pk_mul_f32 v[80:81], v[60:61], v[24:25] op_sel:[1,1] op_sel_hi:[0,1]
	v_mov_b32_e32 v82, v27
	s_waitcnt vmcnt(3) lgkmcnt(2)
	v_pk_mul_f32 v[84:85], v[64:65], v[28:29] op_sel:[1,1] op_sel_hi:[0,1]
	v_fmac_f32_e32 v83, v33, v4
	v_mul_f32_e32 v90, v42, v15
	v_mul_f32_e32 v91, v44, v17
	;; [unrolled: 1-line block ×4, first 2 shown]
	v_fmac_f32_e32 v86, v35, v6
	v_fmac_f32_e32 v87, v37, v8
	;; [unrolled: 1-line block ×3, first 2 shown]
	v_fma_f32 v32, v32, v4, -v5
	v_fma_f32 v33, v34, v6, -v7
	;; [unrolled: 1-line block ×4, first 2 shown]
	v_pk_fma_f32 v[4:5], v[60:61], v[24:25], v[80:81] neg_lo:[0,0,1] neg_hi:[0,0,1]
	v_pk_fma_f32 v[6:7], v[60:61], v[24:25], v[80:81] op_sel_hi:[1,0,1]
	v_pk_mul_f32 v[8:9], v[62:63], v[82:83] op_sel:[1,0] op_sel_hi:[0,0]
	v_pk_fma_f32 v[12:13], v[64:65], v[28:29], v[84:85] op_sel_hi:[1,0,1]
	v_fmac_f32_e32 v90, v43, v14
	v_fma_f32 v14, v42, v14, -v15
	v_fma_f32 v15, v44, v16, -v17
	v_add_f32_e32 v12, 0, v83
	v_add_f32_e32 v17, 0, v32
	v_mov_b32_e32 v5, v7
	v_pk_fma_f32 v[6:7], v[62:63], v[26:27], v[8:9] neg_lo:[0,0,1] neg_hi:[0,0,1]
	v_pk_fma_f32 v[8:9], v[62:63], v[26:27], v[8:9] op_sel_hi:[1,0,1]
	v_mul_f32_e32 v88, v38, v11
	v_mul_f32_e32 v11, v39, v11
	v_add_f32_e32 v8, v12, v86
	v_add_f32_e32 v12, v17, v33
	v_fmac_f32_e32 v88, v39, v10
	v_fma_f32 v35, v38, v10, -v11
	v_mov_b32_e32 v7, v9
	v_add_f32_e32 v8, v8, v87
	v_add_f32_e32 v9, v12, v34
	;; [unrolled: 1-line block ×6, first 2 shown]
	v_mul_f32_e32 v92, v46, v19
	v_mul_f32_e32 v19, v47, v19
	v_fmac_f32_e32 v91, v45, v16
	v_add_f32_e32 v8, v8, v90
	v_add_f32_e32 v9, v9, v14
	v_mul_f32_e32 v77, v56, v21
	v_mul_f32_e32 v21, v57, v21
	v_fmac_f32_e32 v92, v47, v18
	v_fma_f32 v16, v46, v18, -v19
	v_add_f32_e32 v8, v8, v91
	v_add_f32_e32 v12, v9, v15
	v_mul_f32_e32 v79, v58, v23
	v_mul_f32_e32 v23, v59, v23
	v_fmac_f32_e32 v77, v57, v20
	v_fma_f32 v76, v56, v20, -v21
	v_add_f32_e32 v9, v8, v92
	v_add_f32_e32 v8, v12, v16
	v_fmac_f32_e32 v79, v59, v22
	v_fma_f32 v78, v58, v22, -v23
	v_pk_add_f32 v[8:9], v[8:9], v[76:77]
	v_pk_fma_f32 v[10:11], v[64:65], v[28:29], v[84:85] neg_lo:[0,0,1] neg_hi:[0,0,1]
	v_pk_add_f32 v[8:9], v[8:9], v[78:79]
	v_mov_b32_e32 v11, v13
	v_pk_add_f32 v[4:5], v[8:9], v[4:5]
	s_nop 0
	v_pk_add_f32 v[4:5], v[4:5], v[6:7]
	v_mov_b32_e32 v6, v31
	v_pk_mul_f32 v[6:7], v[66:67], v[6:7] op_sel:[1,0] op_sel_hi:[0,0]
	v_pk_fma_f32 v[8:9], v[66:67], v[30:31], v[6:7] neg_lo:[0,0,1] neg_hi:[0,0,1]
	v_pk_fma_f32 v[6:7], v[66:67], v[30:31], v[6:7] op_sel_hi:[1,0,1]
	v_pk_add_f32 v[4:5], v[4:5], v[10:11]
	v_mov_b32_e32 v9, v7
	s_waitcnt vmcnt(2) lgkmcnt(1)
	v_pk_mul_f32 v[6:7], v[68:69], v[48:49] op_sel:[1,1] op_sel_hi:[0,1]
	v_pk_add_f32 v[4:5], v[4:5], v[8:9]
	v_pk_fma_f32 v[8:9], v[68:69], v[48:49], v[6:7] neg_lo:[0,0,1] neg_hi:[0,0,1]
	v_pk_fma_f32 v[6:7], v[68:69], v[48:49], v[6:7] op_sel_hi:[1,0,1]
	s_nop 0
	v_mov_b32_e32 v6, v51
	v_mov_b32_e32 v9, v7
	v_pk_mul_f32 v[6:7], v[70:71], v[6:7] op_sel:[1,0] op_sel_hi:[0,0]
	v_pk_add_f32 v[4:5], v[4:5], v[8:9]
	v_pk_fma_f32 v[8:9], v[70:71], v[50:51], v[6:7] neg_lo:[0,0,1] neg_hi:[0,0,1]
	v_pk_fma_f32 v[6:7], v[70:71], v[50:51], v[6:7] op_sel_hi:[1,0,1]
	s_nop 0
	v_mov_b32_e32 v9, v7
	s_waitcnt vmcnt(1) lgkmcnt(0)
	v_pk_mul_f32 v[6:7], v[72:73], v[52:53] op_sel:[1,1] op_sel_hi:[0,1]
	v_pk_add_f32 v[4:5], v[4:5], v[8:9]
	v_pk_fma_f32 v[8:9], v[72:73], v[52:53], v[6:7] neg_lo:[0,0,1] neg_hi:[0,0,1]
	v_pk_fma_f32 v[6:7], v[72:73], v[52:53], v[6:7] op_sel_hi:[1,0,1]
	s_nop 0
	v_mov_b32_e32 v6, v55
	v_mov_b32_e32 v9, v7
	v_pk_mul_f32 v[6:7], v[74:75], v[6:7] op_sel:[1,0] op_sel_hi:[0,0]
	v_pk_add_f32 v[4:5], v[4:5], v[8:9]
	v_pk_fma_f32 v[8:9], v[74:75], v[54:55], v[6:7] neg_lo:[0,0,1] neg_hi:[0,0,1]
	v_pk_fma_f32 v[6:7], v[74:75], v[54:55], v[6:7] op_sel_hi:[1,0,1]
	s_nop 0
	v_mov_b32_e32 v9, v7
	v_pk_add_f32 v[4:5], v[4:5], v[8:9]
	s_waitcnt vmcnt(0)
	v_pk_add_f32 v[2:3], v[2:3], v[4:5] neg_lo:[0,1] neg_hi:[0,1]
	scratch_store_dwordx2 off, v[2:3], off offset:128
	s_and_saveexec_b64 s[0:1], vcc
	s_cbranch_execz .LBB98_193
; %bb.192:
	scratch_load_dwordx2 v[2:3], off, off offset:120
	v_mov_b32_e32 v4, 0
	v_mov_b32_e32 v5, v4
	scratch_store_dwordx2 off, v[4:5], off offset:120
	s_waitcnt vmcnt(1)
	ds_write_b64 v1, v[2:3]
.LBB98_193:
	s_or_b64 exec, exec, s[0:1]
	s_waitcnt lgkmcnt(0)
	; wave barrier
	scratch_load_dwordx4 v[4:7], off, off offset:128
	scratch_load_dwordx4 v[8:11], off, off offset:144
	;; [unrolled: 1-line block ×9, first 2 shown]
	scratch_load_dwordx2 v[76:77], off, off offset:272
	scratch_load_dwordx2 v[78:79], off, off offset:120
	v_mov_b32_e32 v2, 0
	ds_read_b128 v[40:43], v2 offset:416
	ds_read_b128 v[44:47], v2 offset:432
	ds_read_b128 v[48:51], v2 offset:448
	ds_read_b128 v[52:55], v2 offset:464
	ds_read_b128 v[56:59], v2 offset:480
	ds_read_b128 v[60:63], v2 offset:496
	ds_read_b128 v[64:67], v2 offset:512
	ds_read_b128 v[68:71], v2 offset:528
	ds_read_b128 v[72:75], v2 offset:544
	ds_read_b64 v[80:81], v2 offset:560
	v_cmp_lt_u32_e32 vcc, 14, v0
	s_waitcnt vmcnt(10) lgkmcnt(9)
	v_mul_f32_e32 v87, v42, v7
	v_mul_f32_e32 v3, v40, v5
	;; [unrolled: 1-line block ×3, first 2 shown]
	v_fmac_f32_e32 v87, v43, v6
	s_waitcnt vmcnt(9) lgkmcnt(8)
	v_mul_f32_e32 v88, v44, v9
	s_waitcnt vmcnt(5)
	v_mov_b32_e32 v86, v27
	v_mul_f32_e32 v89, v46, v11
	s_waitcnt lgkmcnt(7)
	v_mul_f32_e32 v91, v50, v15
	v_mul_f32_e32 v7, v43, v7
	v_mul_f32_e32 v9, v45, v9
	v_mul_f32_e32 v11, v47, v11
	v_mul_f32_e32 v15, v51, v15
	v_fmac_f32_e32 v3, v41, v4
	v_fma_f32 v40, v40, v4, -v5
	s_waitcnt lgkmcnt(4)
	v_pk_mul_f32 v[4:5], v[62:63], v[86:87] op_sel:[1,0] op_sel_hi:[0,0]
	v_fmac_f32_e32 v88, v45, v8
	v_fma_f32 v41, v42, v6, -v7
	v_fma_f32 v8, v44, v8, -v9
	;; [unrolled: 1-line block ×4, first 2 shown]
	v_add_f32_e32 v3, 0, v3
	v_add_f32_e32 v15, 0, v40
	v_pk_fma_f32 v[6:7], v[62:63], v[26:27], v[4:5] neg_lo:[0,0,1] neg_hi:[0,0,1]
	v_pk_fma_f32 v[4:5], v[62:63], v[26:27], v[4:5] op_sel_hi:[1,0,1]
	v_add_f32_e32 v3, v3, v87
	v_add_f32_e32 v4, v15, v41
	v_mul_f32_e32 v90, v48, v13
	v_mul_f32_e32 v13, v49, v13
	v_fmac_f32_e32 v89, v47, v10
	v_add_f32_e32 v3, v3, v88
	v_add_f32_e32 v4, v4, v8
	v_fmac_f32_e32 v90, v49, v12
	v_fma_f32 v10, v48, v12, -v13
	v_add_f32_e32 v3, v3, v89
	v_add_f32_e32 v4, v4, v9
	v_mul_f32_e32 v92, v52, v17
	v_mul_f32_e32 v17, v53, v17
	v_fmac_f32_e32 v91, v51, v14
	v_add_f32_e32 v3, v3, v90
	v_add_f32_e32 v4, v4, v10
	v_mul_f32_e32 v93, v54, v19
	v_mul_f32_e32 v19, v55, v19
	v_fmac_f32_e32 v92, v53, v16
	v_fma_f32 v12, v52, v16, -v17
	v_add_f32_e32 v3, v3, v91
	v_add_f32_e32 v4, v4, v11
	v_mul_f32_e32 v94, v56, v21
	v_mul_f32_e32 v21, v57, v21
	v_fmac_f32_e32 v93, v55, v18
	v_fma_f32 v13, v54, v18, -v19
	;; [unrolled: 6-line block ×4, first 2 shown]
	v_mov_b32_e32 v7, v5
	v_add_f32_e32 v5, v3, v94
	v_add_f32_e32 v4, v4, v14
	v_fmac_f32_e32 v85, v61, v24
	v_fma_f32 v84, v60, v24, -v25
	v_pk_add_f32 v[4:5], v[4:5], v[82:83]
	s_nop 0
	v_pk_add_f32 v[4:5], v[4:5], v[84:85]
	s_nop 0
	v_pk_add_f32 v[4:5], v[4:5], v[6:7]
	s_waitcnt vmcnt(4) lgkmcnt(3)
	v_pk_mul_f32 v[6:7], v[64:65], v[28:29] op_sel:[1,1] op_sel_hi:[0,1]
	v_pk_fma_f32 v[8:9], v[64:65], v[28:29], v[6:7] neg_lo:[0,0,1] neg_hi:[0,0,1]
	v_pk_fma_f32 v[6:7], v[64:65], v[28:29], v[6:7] op_sel_hi:[1,0,1]
	s_nop 0
	v_mov_b32_e32 v6, v31
	v_mov_b32_e32 v9, v7
	v_pk_mul_f32 v[6:7], v[66:67], v[6:7] op_sel:[1,0] op_sel_hi:[0,0]
	v_pk_add_f32 v[4:5], v[4:5], v[8:9]
	v_pk_fma_f32 v[8:9], v[66:67], v[30:31], v[6:7] neg_lo:[0,0,1] neg_hi:[0,0,1]
	v_pk_fma_f32 v[6:7], v[66:67], v[30:31], v[6:7] op_sel_hi:[1,0,1]
	s_nop 0
	v_mov_b32_e32 v9, v7
	s_waitcnt vmcnt(3) lgkmcnt(2)
	v_pk_mul_f32 v[6:7], v[68:69], v[32:33] op_sel:[1,1] op_sel_hi:[0,1]
	v_pk_add_f32 v[4:5], v[4:5], v[8:9]
	v_pk_fma_f32 v[8:9], v[68:69], v[32:33], v[6:7] neg_lo:[0,0,1] neg_hi:[0,0,1]
	v_pk_fma_f32 v[6:7], v[68:69], v[32:33], v[6:7] op_sel_hi:[1,0,1]
	s_nop 0
	v_mov_b32_e32 v6, v35
	v_mov_b32_e32 v9, v7
	v_pk_mul_f32 v[6:7], v[70:71], v[6:7] op_sel:[1,0] op_sel_hi:[0,0]
	v_pk_add_f32 v[4:5], v[4:5], v[8:9]
	v_pk_fma_f32 v[8:9], v[70:71], v[34:35], v[6:7] neg_lo:[0,0,1] neg_hi:[0,0,1]
	v_pk_fma_f32 v[6:7], v[70:71], v[34:35], v[6:7] op_sel_hi:[1,0,1]
	s_nop 0
	v_mov_b32_e32 v9, v7
	s_waitcnt vmcnt(2) lgkmcnt(1)
	v_pk_mul_f32 v[6:7], v[72:73], v[36:37] op_sel:[1,1] op_sel_hi:[0,1]
	v_pk_add_f32 v[4:5], v[4:5], v[8:9]
	;; [unrolled: 14-line block ×3, first 2 shown]
	v_pk_fma_f32 v[8:9], v[80:81], v[76:77], v[6:7] neg_lo:[0,0,1] neg_hi:[0,0,1]
	v_pk_fma_f32 v[6:7], v[80:81], v[76:77], v[6:7] op_sel_hi:[1,0,1]
	s_nop 0
	v_mov_b32_e32 v9, v7
	v_pk_add_f32 v[4:5], v[4:5], v[8:9]
	s_waitcnt vmcnt(0)
	v_pk_add_f32 v[4:5], v[78:79], v[4:5] neg_lo:[0,1] neg_hi:[0,1]
	scratch_store_dwordx2 off, v[4:5], off offset:120
	s_and_saveexec_b64 s[0:1], vcc
	s_cbranch_execz .LBB98_195
; %bb.194:
	scratch_load_dwordx2 v[4:5], off, off offset:112
	v_mov_b32_e32 v3, v2
	scratch_store_dwordx2 off, v[2:3], off offset:112
	s_waitcnt vmcnt(1)
	ds_write_b64 v1, v[4:5]
.LBB98_195:
	s_or_b64 exec, exec, s[0:1]
	s_waitcnt lgkmcnt(0)
	; wave barrier
	scratch_load_dwordx4 v[4:7], off, off offset:120
	scratch_load_dwordx4 v[8:11], off, off offset:136
	;; [unrolled: 1-line block ×7, first 2 shown]
	ds_read2_b64 v[32:35], v2 offset0:51 offset1:52
	ds_read2_b64 v[36:39], v2 offset0:53 offset1:54
	;; [unrolled: 1-line block ×6, first 2 shown]
	scratch_load_dwordx4 v[56:59], off, off offset:232
	scratch_load_dwordx4 v[60:63], off, off offset:248
	;; [unrolled: 1-line block ×3, first 2 shown]
	ds_read2_b64 v[68:71], v2 offset0:63 offset1:64
	ds_read2_b64 v[72:75], v2 offset0:65 offset1:66
	;; [unrolled: 1-line block ×4, first 2 shown]
	scratch_load_dwordx2 v[2:3], off, off offset:112
	v_cmp_lt_u32_e32 vcc, 13, v0
	s_waitcnt vmcnt(10) lgkmcnt(9)
	v_mul_f32_e32 v90, v32, v5
	v_mul_f32_e32 v5, v33, v5
	;; [unrolled: 1-line block ×3, first 2 shown]
	s_waitcnt vmcnt(9) lgkmcnt(8)
	v_mul_f32_e32 v92, v36, v9
	s_waitcnt vmcnt(8) lgkmcnt(7)
	v_mul_f32_e32 v95, v42, v15
	v_mul_f32_e32 v7, v35, v7
	;; [unrolled: 1-line block ×4, first 2 shown]
	v_fmac_f32_e32 v90, v33, v4
	v_fma_f32 v4, v32, v4, -v5
	v_fmac_f32_e32 v91, v35, v6
	v_fmac_f32_e32 v95, v43, v14
	v_fma_f32 v5, v34, v6, -v7
	v_fma_f32 v6, v36, v8, -v9
	;; [unrolled: 1-line block ×3, first 2 shown]
	v_add_f32_e32 v14, 0, v90
	v_add_f32_e32 v4, 0, v4
	v_mul_f32_e32 v93, v38, v11
	v_mul_f32_e32 v11, v39, v11
	v_fmac_f32_e32 v92, v37, v8
	v_add_f32_e32 v14, v14, v91
	v_add_f32_e32 v4, v4, v5
	v_mul_f32_e32 v94, v40, v13
	v_mul_f32_e32 v13, v41, v13
	v_fmac_f32_e32 v93, v39, v10
	v_fma_f32 v7, v38, v10, -v11
	v_add_f32_e32 v5, v14, v92
	v_add_f32_e32 v4, v4, v6
	v_fmac_f32_e32 v94, v41, v12
	v_fma_f32 v8, v40, v12, -v13
	v_add_f32_e32 v5, v5, v93
	v_add_f32_e32 v4, v4, v7
	s_waitcnt vmcnt(7) lgkmcnt(6)
	v_mul_f32_e32 v96, v44, v17
	v_mul_f32_e32 v17, v45, v17
	v_add_f32_e32 v5, v5, v94
	v_add_f32_e32 v4, v4, v8
	v_mul_f32_e32 v97, v46, v19
	v_mul_f32_e32 v19, v47, v19
	v_fmac_f32_e32 v96, v45, v16
	v_fma_f32 v10, v44, v16, -v17
	v_add_f32_e32 v5, v5, v95
	v_add_f32_e32 v4, v4, v9
	s_waitcnt vmcnt(6) lgkmcnt(5)
	v_mul_f32_e32 v98, v48, v21
	v_mul_f32_e32 v21, v49, v21
	v_fmac_f32_e32 v97, v47, v18
	v_fma_f32 v11, v46, v18, -v19
	v_add_f32_e32 v5, v5, v96
	v_add_f32_e32 v4, v4, v10
	v_mul_f32_e32 v99, v50, v23
	v_mul_f32_e32 v23, v51, v23
	v_fmac_f32_e32 v98, v49, v20
	v_fma_f32 v12, v48, v20, -v21
	v_add_f32_e32 v5, v5, v97
	v_add_f32_e32 v4, v4, v11
	s_waitcnt vmcnt(5) lgkmcnt(4)
	v_mul_f32_e32 v85, v52, v25
	v_mul_f32_e32 v25, v53, v25
	v_fmac_f32_e32 v99, v51, v22
	v_fma_f32 v13, v50, v22, -v23
	v_add_f32_e32 v5, v5, v98
	v_add_f32_e32 v4, v4, v12
	v_mul_f32_e32 v87, v54, v27
	v_mul_f32_e32 v27, v55, v27
	s_waitcnt vmcnt(4) lgkmcnt(3)
	v_pk_mul_f32 v[88:89], v[68:69], v[28:29] op_sel:[1,1] op_sel_hi:[0,1]
	v_fmac_f32_e32 v85, v53, v24
	v_fma_f32 v84, v52, v24, -v25
	v_add_f32_e32 v5, v5, v99
	v_add_f32_e32 v4, v4, v13
	v_fmac_f32_e32 v87, v55, v26
	v_fma_f32 v86, v54, v26, -v27
	v_pk_add_f32 v[4:5], v[4:5], v[84:85]
	v_pk_fma_f32 v[6:7], v[68:69], v[28:29], v[88:89] neg_lo:[0,0,1] neg_hi:[0,0,1]
	v_pk_fma_f32 v[8:9], v[68:69], v[28:29], v[88:89] op_sel_hi:[1,0,1]
	v_pk_add_f32 v[4:5], v[4:5], v[86:87]
	v_mov_b32_e32 v7, v9
	v_pk_add_f32 v[4:5], v[4:5], v[6:7]
	v_mov_b32_e32 v6, v31
	v_pk_mul_f32 v[6:7], v[70:71], v[6:7] op_sel:[1,0] op_sel_hi:[0,0]
	v_pk_fma_f32 v[8:9], v[70:71], v[30:31], v[6:7] neg_lo:[0,0,1] neg_hi:[0,0,1]
	v_pk_fma_f32 v[6:7], v[70:71], v[30:31], v[6:7] op_sel_hi:[1,0,1]
	s_nop 0
	v_mov_b32_e32 v9, v7
	s_waitcnt vmcnt(3) lgkmcnt(2)
	v_pk_mul_f32 v[6:7], v[72:73], v[56:57] op_sel:[1,1] op_sel_hi:[0,1]
	v_pk_add_f32 v[4:5], v[4:5], v[8:9]
	v_pk_fma_f32 v[8:9], v[72:73], v[56:57], v[6:7] neg_lo:[0,0,1] neg_hi:[0,0,1]
	v_pk_fma_f32 v[6:7], v[72:73], v[56:57], v[6:7] op_sel_hi:[1,0,1]
	s_nop 0
	v_mov_b32_e32 v6, v59
	v_mov_b32_e32 v9, v7
	v_pk_mul_f32 v[6:7], v[74:75], v[6:7] op_sel:[1,0] op_sel_hi:[0,0]
	v_pk_add_f32 v[4:5], v[4:5], v[8:9]
	v_pk_fma_f32 v[8:9], v[74:75], v[58:59], v[6:7] neg_lo:[0,0,1] neg_hi:[0,0,1]
	v_pk_fma_f32 v[6:7], v[74:75], v[58:59], v[6:7] op_sel_hi:[1,0,1]
	s_nop 0
	v_mov_b32_e32 v9, v7
	s_waitcnt vmcnt(2) lgkmcnt(1)
	v_pk_mul_f32 v[6:7], v[76:77], v[60:61] op_sel:[1,1] op_sel_hi:[0,1]
	v_pk_add_f32 v[4:5], v[4:5], v[8:9]
	v_pk_fma_f32 v[8:9], v[76:77], v[60:61], v[6:7] neg_lo:[0,0,1] neg_hi:[0,0,1]
	v_pk_fma_f32 v[6:7], v[76:77], v[60:61], v[6:7] op_sel_hi:[1,0,1]
	s_nop 0
	v_mov_b32_e32 v6, v63
	v_mov_b32_e32 v9, v7
	v_pk_mul_f32 v[6:7], v[78:79], v[6:7] op_sel:[1,0] op_sel_hi:[0,0]
	v_pk_add_f32 v[4:5], v[4:5], v[8:9]
	;; [unrolled: 14-line block ×3, first 2 shown]
	v_pk_fma_f32 v[8:9], v[82:83], v[66:67], v[6:7] neg_lo:[0,0,1] neg_hi:[0,0,1]
	v_pk_fma_f32 v[6:7], v[82:83], v[66:67], v[6:7] op_sel_hi:[1,0,1]
	s_nop 0
	v_mov_b32_e32 v9, v7
	v_pk_add_f32 v[4:5], v[4:5], v[8:9]
	s_waitcnt vmcnt(0)
	v_pk_add_f32 v[2:3], v[2:3], v[4:5] neg_lo:[0,1] neg_hi:[0,1]
	scratch_store_dwordx2 off, v[2:3], off offset:112
	s_and_saveexec_b64 s[0:1], vcc
	s_cbranch_execz .LBB98_197
; %bb.196:
	scratch_load_dwordx2 v[2:3], off, off offset:104
	v_mov_b32_e32 v4, 0
	v_mov_b32_e32 v5, v4
	scratch_store_dwordx2 off, v[4:5], off offset:104
	s_waitcnt vmcnt(1)
	ds_write_b64 v1, v[2:3]
.LBB98_197:
	s_or_b64 exec, exec, s[0:1]
	s_waitcnt lgkmcnt(0)
	; wave barrier
	scratch_load_dwordx4 v[2:5], off, off offset:112
	scratch_load_dwordx4 v[6:9], off, off offset:128
	;; [unrolled: 1-line block ×10, first 2 shown]
	scratch_load_dwordx2 v[76:77], off, off offset:272
	scratch_load_dwordx2 v[78:79], off, off offset:104
	v_mov_b32_e32 v10, 0
	ds_read_b128 v[44:47], v10 offset:400
	ds_read_b128 v[48:51], v10 offset:416
	;; [unrolled: 1-line block ×8, first 2 shown]
	v_cmp_lt_u32_e32 vcc, 12, v0
	s_waitcnt vmcnt(11) lgkmcnt(7)
	v_mul_f32_e32 v11, v44, v3
	v_mul_f32_e32 v3, v45, v3
	;; [unrolled: 1-line block ×4, first 2 shown]
	v_fmac_f32_e32 v11, v45, v2
	v_fma_f32 v2, v44, v2, -v3
	s_waitcnt vmcnt(10) lgkmcnt(6)
	v_mul_f32_e32 v82, v48, v7
	v_mul_f32_e32 v7, v49, v7
	v_fma_f32 v3, v46, v4, -v5
	v_add_f32_e32 v2, 0, v2
	v_mul_f32_e32 v84, v50, v9
	v_mul_f32_e32 v9, v51, v9
	v_fmac_f32_e32 v80, v47, v4
	v_fma_f32 v4, v48, v6, -v7
	v_add_f32_e32 v11, 0, v11
	v_add_f32_e32 v2, v2, v3
	s_waitcnt vmcnt(9) lgkmcnt(5)
	v_mul_f32_e32 v85, v52, v13
	v_mul_f32_e32 v13, v53, v13
	v_fmac_f32_e32 v82, v49, v6
	v_fma_f32 v5, v50, v8, -v9
	v_add_f32_e32 v11, v11, v80
	v_add_f32_e32 v2, v2, v4
	v_mul_f32_e32 v86, v54, v15
	v_mul_f32_e32 v15, v55, v15
	v_fmac_f32_e32 v84, v51, v8
	v_fma_f32 v6, v52, v12, -v13
	v_add_f32_e32 v3, v11, v82
	v_add_f32_e32 v2, v2, v5
	s_waitcnt vmcnt(8) lgkmcnt(4)
	v_mul_f32_e32 v87, v56, v17
	v_mul_f32_e32 v17, v57, v17
	v_fmac_f32_e32 v85, v53, v12
	v_fma_f32 v7, v54, v14, -v15
	v_add_f32_e32 v3, v3, v84
	;; [unrolled: 13-line block ×4, first 2 shown]
	v_add_f32_e32 v2, v2, v12
	v_fmac_f32_e32 v90, v63, v22
	v_fma_f32 v14, v64, v24, -v25
	v_add_f32_e32 v3, v3, v89
	v_add_f32_e32 v2, v2, v13
	v_mul_f32_e32 v81, v66, v27
	v_fmac_f32_e32 v91, v65, v24
	v_add_f32_e32 v3, v3, v90
	v_add_f32_e32 v12, v2, v14
	v_mul_f32_e32 v2, v67, v27
	s_waitcnt vmcnt(5)
	v_mov_b32_e32 v16, v31
	s_waitcnt lgkmcnt(1)
	v_mul_f32_e32 v83, v68, v29
	v_fmac_f32_e32 v81, v67, v26
	v_add_f32_e32 v13, v3, v91
	v_fma_f32 v80, v66, v26, -v2
	v_mul_f32_e32 v2, v69, v29
	v_pk_mul_f32 v[16:17], v[70:71], v[16:17] op_sel:[1,0] op_sel_hi:[0,0]
	v_fmac_f32_e32 v83, v69, v28
	v_fma_f32 v82, v68, v28, -v2
	v_pk_add_f32 v[12:13], v[12:13], v[80:81]
	v_pk_fma_f32 v[18:19], v[70:71], v[30:31], v[16:17] neg_lo:[0,0,1] neg_hi:[0,0,1]
	v_pk_fma_f32 v[16:17], v[70:71], v[30:31], v[16:17] op_sel_hi:[1,0,1]
	v_pk_add_f32 v[12:13], v[12:13], v[82:83]
	v_mov_b32_e32 v19, v17
	s_waitcnt vmcnt(4) lgkmcnt(0)
	v_pk_mul_f32 v[16:17], v[72:73], v[32:33] op_sel:[1,1] op_sel_hi:[0,1]
	v_pk_add_f32 v[12:13], v[12:13], v[18:19]
	v_pk_fma_f32 v[18:19], v[72:73], v[32:33], v[16:17] neg_lo:[0,0,1] neg_hi:[0,0,1]
	v_pk_fma_f32 v[16:17], v[72:73], v[32:33], v[16:17] op_sel_hi:[1,0,1]
	ds_read_b128 v[2:5], v10 offset:528
	ds_read_b128 v[6:9], v10 offset:544
	ds_read_b64 v[14:15], v10 offset:560
	v_mov_b32_e32 v16, v35
	v_mov_b32_e32 v19, v17
	v_pk_mul_f32 v[16:17], v[74:75], v[16:17] op_sel:[1,0] op_sel_hi:[0,0]
	v_pk_add_f32 v[12:13], v[12:13], v[18:19]
	v_pk_fma_f32 v[18:19], v[74:75], v[34:35], v[16:17] neg_lo:[0,0,1] neg_hi:[0,0,1]
	v_pk_fma_f32 v[16:17], v[74:75], v[34:35], v[16:17] op_sel_hi:[1,0,1]
	s_nop 0
	v_mov_b32_e32 v19, v17
	s_waitcnt vmcnt(3) lgkmcnt(2)
	v_pk_mul_f32 v[16:17], v[2:3], v[36:37] op_sel:[1,1] op_sel_hi:[0,1]
	v_pk_add_f32 v[12:13], v[12:13], v[18:19]
	v_pk_fma_f32 v[18:19], v[2:3], v[36:37], v[16:17] neg_lo:[0,0,1] neg_hi:[0,0,1]
	v_pk_fma_f32 v[2:3], v[2:3], v[36:37], v[16:17] op_sel_hi:[1,0,1]
	s_nop 0
	v_mov_b32_e32 v19, v3
	v_pk_add_f32 v[2:3], v[12:13], v[18:19]
	v_mov_b32_e32 v12, v39
	v_pk_mul_f32 v[12:13], v[4:5], v[12:13] op_sel:[1,0] op_sel_hi:[0,0]
	v_pk_fma_f32 v[16:17], v[4:5], v[38:39], v[12:13] neg_lo:[0,0,1] neg_hi:[0,0,1]
	v_pk_fma_f32 v[4:5], v[4:5], v[38:39], v[12:13] op_sel_hi:[1,0,1]
	s_nop 0
	v_mov_b32_e32 v17, v5
	s_waitcnt vmcnt(2) lgkmcnt(1)
	v_pk_mul_f32 v[4:5], v[6:7], v[40:41] op_sel:[1,1] op_sel_hi:[0,1]
	v_pk_fma_f32 v[12:13], v[6:7], v[40:41], v[4:5] neg_lo:[0,0,1] neg_hi:[0,0,1]
	v_pk_fma_f32 v[4:5], v[6:7], v[40:41], v[4:5] op_sel_hi:[1,0,1]
	v_pk_add_f32 v[2:3], v[2:3], v[16:17]
	v_mov_b32_e32 v4, v43
	v_mov_b32_e32 v13, v5
	v_pk_mul_f32 v[4:5], v[8:9], v[4:5] op_sel:[1,0] op_sel_hi:[0,0]
	v_pk_fma_f32 v[6:7], v[8:9], v[42:43], v[4:5] neg_lo:[0,0,1] neg_hi:[0,0,1]
	v_pk_fma_f32 v[4:5], v[8:9], v[42:43], v[4:5] op_sel_hi:[1,0,1]
	v_pk_add_f32 v[2:3], v[2:3], v[12:13]
	v_mov_b32_e32 v7, v5
	s_waitcnt vmcnt(1) lgkmcnt(0)
	v_pk_mul_f32 v[4:5], v[14:15], v[76:77] op_sel:[1,1] op_sel_hi:[0,1]
	v_pk_add_f32 v[2:3], v[2:3], v[6:7]
	v_pk_fma_f32 v[6:7], v[14:15], v[76:77], v[4:5] neg_lo:[0,0,1] neg_hi:[0,0,1]
	v_pk_fma_f32 v[4:5], v[14:15], v[76:77], v[4:5] op_sel_hi:[1,0,1]
	s_nop 0
	v_mov_b32_e32 v7, v5
	v_pk_add_f32 v[2:3], v[2:3], v[6:7]
	s_waitcnt vmcnt(0)
	v_pk_add_f32 v[2:3], v[78:79], v[2:3] neg_lo:[0,1] neg_hi:[0,1]
	scratch_store_dwordx2 off, v[2:3], off offset:104
	s_and_saveexec_b64 s[0:1], vcc
	s_cbranch_execz .LBB98_199
; %bb.198:
	scratch_load_dwordx2 v[2:3], off, off offset:96
	v_mov_b32_e32 v11, v10
	scratch_store_dwordx2 off, v[10:11], off offset:96
	s_waitcnt vmcnt(1)
	ds_write_b64 v1, v[2:3]
.LBB98_199:
	s_or_b64 exec, exec, s[0:1]
	s_waitcnt lgkmcnt(0)
	; wave barrier
	scratch_load_dwordx4 v[6:9], off, off offset:104
	scratch_load_dwordx4 v[12:15], off, off offset:120
	;; [unrolled: 1-line block ×7, first 2 shown]
	ds_read2_b64 v[36:39], v10 offset0:49 offset1:50
	ds_read2_b64 v[40:43], v10 offset0:51 offset1:52
	ds_read2_b64 v[44:47], v10 offset0:53 offset1:54
	ds_read2_b64 v[48:51], v10 offset0:55 offset1:56
	ds_read2_b64 v[52:55], v10 offset0:57 offset1:58
	ds_read2_b64 v[56:59], v10 offset0:59 offset1:60
	scratch_load_dwordx4 v[60:63], off, off offset:216
	scratch_load_dwordx4 v[64:67], off, off offset:232
	;; [unrolled: 1-line block ×4, first 2 shown]
	ds_read2_b64 v[72:75], v10 offset0:61 offset1:62
	ds_read2_b64 v[76:79], v10 offset0:63 offset1:64
	scratch_load_dwordx2 v[80:81], off, off offset:96
	v_cmp_lt_u32_e32 vcc, 11, v0
	s_waitcnt vmcnt(11) lgkmcnt(7)
	v_mul_f32_e32 v11, v36, v7
	v_mul_f32_e32 v82, v38, v9
	;; [unrolled: 1-line block ×3, first 2 shown]
	v_fmac_f32_e32 v11, v37, v6
	s_waitcnt vmcnt(10) lgkmcnt(6)
	v_mul_f32_e32 v84, v40, v13
	v_mul_f32_e32 v9, v39, v9
	v_fmac_f32_e32 v82, v39, v8
	v_fma_f32 v6, v36, v6, -v7
	v_add_f32_e32 v11, 0, v11
	v_mul_f32_e32 v86, v42, v15
	v_fmac_f32_e32 v84, v41, v12
	v_fma_f32 v7, v38, v8, -v9
	v_add_f32_e32 v6, 0, v6
	v_add_f32_e32 v11, v11, v82
	s_waitcnt vmcnt(9) lgkmcnt(5)
	v_mul_f32_e32 v87, v44, v17
	v_mul_f32_e32 v13, v41, v13
	v_fmac_f32_e32 v86, v43, v14
	v_add_f32_e32 v6, v6, v7
	v_add_f32_e32 v7, v11, v84
	v_mul_f32_e32 v88, v46, v19
	v_mul_f32_e32 v15, v43, v15
	v_fmac_f32_e32 v87, v45, v16
	v_fma_f32 v8, v40, v12, -v13
	v_add_f32_e32 v7, v7, v86
	s_waitcnt vmcnt(8) lgkmcnt(4)
	v_mul_f32_e32 v89, v48, v21
	v_mul_f32_e32 v17, v45, v17
	v_fmac_f32_e32 v88, v47, v18
	v_fma_f32 v9, v42, v14, -v15
	v_add_f32_e32 v6, v6, v8
	v_add_f32_e32 v7, v7, v87
	v_mul_f32_e32 v90, v50, v23
	v_mul_f32_e32 v19, v47, v19
	v_fmac_f32_e32 v89, v49, v20
	v_fma_f32 v12, v44, v16, -v17
	v_add_f32_e32 v6, v6, v9
	v_add_f32_e32 v7, v7, v88
	s_waitcnt vmcnt(7) lgkmcnt(3)
	v_mul_f32_e32 v91, v52, v25
	v_mul_f32_e32 v21, v49, v21
	v_fmac_f32_e32 v90, v51, v22
	v_fma_f32 v13, v46, v18, -v19
	v_add_f32_e32 v6, v6, v12
	v_add_f32_e32 v7, v7, v89
	v_mul_f32_e32 v92, v54, v27
	v_mul_f32_e32 v23, v51, v23
	v_fmac_f32_e32 v91, v53, v24
	v_fma_f32 v14, v48, v20, -v21
	v_add_f32_e32 v6, v6, v13
	;; [unrolled: 13-line block ×3, first 2 shown]
	v_add_f32_e32 v7, v7, v92
	v_mul_f32_e32 v29, v57, v29
	v_fmac_f32_e32 v94, v59, v30
	v_fma_f32 v17, v54, v26, -v27
	v_add_f32_e32 v6, v6, v16
	v_add_f32_e32 v7, v7, v93
	v_fma_f32 v18, v56, v28, -v29
	v_add_f32_e32 v6, v6, v17
	v_add_f32_e32 v21, v7, v94
	v_mul_f32_e32 v7, v59, v31
	v_add_f32_e32 v6, v6, v18
	v_fma_f32 v7, v58, v30, -v7
	s_waitcnt vmcnt(5) lgkmcnt(1)
	v_mul_f32_e32 v83, v72, v33
	v_add_f32_e32 v20, v6, v7
	v_mul_f32_e32 v6, v73, v33
	v_fmac_f32_e32 v83, v73, v32
	v_fma_f32 v82, v72, v32, -v6
	v_mul_f32_e32 v6, v75, v35
	v_fma_f32 v84, v74, v34, -v6
	ds_read2_b64 v[6:9], v10 offset0:65 offset1:66
	ds_read2_b64 v[12:15], v10 offset0:67 offset1:68
	;; [unrolled: 1-line block ×3, first 2 shown]
	v_pk_add_f32 v[10:11], v[20:21], v[82:83]
	s_waitcnt vmcnt(4) lgkmcnt(3)
	v_pk_mul_f32 v[20:21], v[76:77], v[60:61] op_sel:[1,1] op_sel_hi:[0,1]
	v_mul_f32_e32 v85, v74, v35
	v_pk_fma_f32 v[22:23], v[76:77], v[60:61], v[20:21] neg_lo:[0,0,1] neg_hi:[0,0,1]
	v_pk_fma_f32 v[20:21], v[76:77], v[60:61], v[20:21] op_sel_hi:[1,0,1]
	v_fmac_f32_e32 v85, v75, v34
	v_mov_b32_e32 v20, v63
	v_pk_add_f32 v[10:11], v[10:11], v[84:85]
	v_mov_b32_e32 v23, v21
	v_pk_mul_f32 v[20:21], v[78:79], v[20:21] op_sel:[1,0] op_sel_hi:[0,0]
	v_pk_add_f32 v[10:11], v[10:11], v[22:23]
	v_pk_fma_f32 v[22:23], v[78:79], v[62:63], v[20:21] neg_lo:[0,0,1] neg_hi:[0,0,1]
	v_pk_fma_f32 v[20:21], v[78:79], v[62:63], v[20:21] op_sel_hi:[1,0,1]
	s_nop 0
	v_mov_b32_e32 v23, v21
	s_waitcnt vmcnt(3) lgkmcnt(2)
	v_pk_mul_f32 v[20:21], v[6:7], v[64:65] op_sel:[1,1] op_sel_hi:[0,1]
	v_pk_add_f32 v[10:11], v[10:11], v[22:23]
	v_pk_fma_f32 v[22:23], v[6:7], v[64:65], v[20:21] neg_lo:[0,0,1] neg_hi:[0,0,1]
	v_pk_fma_f32 v[6:7], v[6:7], v[64:65], v[20:21] op_sel_hi:[1,0,1]
	s_nop 0
	v_mov_b32_e32 v23, v7
	v_pk_add_f32 v[6:7], v[10:11], v[22:23]
	v_mov_b32_e32 v10, v67
	v_pk_mul_f32 v[10:11], v[8:9], v[10:11] op_sel:[1,0] op_sel_hi:[0,0]
	v_pk_fma_f32 v[20:21], v[8:9], v[66:67], v[10:11] neg_lo:[0,0,1] neg_hi:[0,0,1]
	v_pk_fma_f32 v[8:9], v[8:9], v[66:67], v[10:11] op_sel_hi:[1,0,1]
	s_nop 0
	v_mov_b32_e32 v21, v9
	s_waitcnt vmcnt(2) lgkmcnt(1)
	v_pk_mul_f32 v[8:9], v[12:13], v[68:69] op_sel:[1,1] op_sel_hi:[0,1]
	v_pk_fma_f32 v[10:11], v[12:13], v[68:69], v[8:9] neg_lo:[0,0,1] neg_hi:[0,0,1]
	v_pk_fma_f32 v[8:9], v[12:13], v[68:69], v[8:9] op_sel_hi:[1,0,1]
	v_pk_add_f32 v[6:7], v[6:7], v[20:21]
	v_mov_b32_e32 v8, v71
	v_mov_b32_e32 v11, v9
	v_pk_mul_f32 v[8:9], v[14:15], v[8:9] op_sel:[1,0] op_sel_hi:[0,0]
	v_pk_add_f32 v[6:7], v[6:7], v[10:11]
	v_pk_fma_f32 v[10:11], v[14:15], v[70:71], v[8:9] neg_lo:[0,0,1] neg_hi:[0,0,1]
	v_pk_fma_f32 v[8:9], v[14:15], v[70:71], v[8:9] op_sel_hi:[1,0,1]
	s_nop 0
	v_mov_b32_e32 v11, v9
	s_waitcnt vmcnt(1) lgkmcnt(0)
	v_pk_mul_f32 v[8:9], v[16:17], v[2:3] op_sel:[1,1] op_sel_hi:[0,1]
	v_pk_add_f32 v[6:7], v[6:7], v[10:11]
	v_pk_fma_f32 v[10:11], v[16:17], v[2:3], v[8:9] neg_lo:[0,0,1] neg_hi:[0,0,1]
	v_pk_fma_f32 v[2:3], v[16:17], v[2:3], v[8:9] op_sel_hi:[1,0,1]
	s_nop 0
	v_mov_b32_e32 v11, v3
	v_pk_add_f32 v[2:3], v[6:7], v[10:11]
	v_mov_b32_e32 v6, v5
	v_pk_mul_f32 v[6:7], v[18:19], v[6:7] op_sel:[1,0] op_sel_hi:[0,0]
	v_pk_fma_f32 v[8:9], v[18:19], v[4:5], v[6:7] neg_lo:[0,0,1] neg_hi:[0,0,1]
	v_pk_fma_f32 v[4:5], v[18:19], v[4:5], v[6:7] op_sel_hi:[1,0,1]
	s_nop 0
	v_mov_b32_e32 v9, v5
	v_pk_add_f32 v[2:3], v[2:3], v[8:9]
	s_waitcnt vmcnt(0)
	v_pk_add_f32 v[2:3], v[80:81], v[2:3] neg_lo:[0,1] neg_hi:[0,1]
	scratch_store_dwordx2 off, v[2:3], off offset:96
	s_and_saveexec_b64 s[0:1], vcc
	s_cbranch_execz .LBB98_201
; %bb.200:
	scratch_load_dwordx2 v[2:3], off, off offset:88
	v_mov_b32_e32 v4, 0
	v_mov_b32_e32 v5, v4
	scratch_store_dwordx2 off, v[4:5], off offset:88
	s_waitcnt vmcnt(1)
	ds_write_b64 v1, v[2:3]
.LBB98_201:
	s_or_b64 exec, exec, s[0:1]
	v_mov_b32_e32 v2, 0
	s_waitcnt lgkmcnt(0)
	; wave barrier
	ds_read_b128 v[4:7], v2 offset:384
	ds_read_b128 v[8:11], v2 offset:400
	;; [unrolled: 1-line block ×4, first 2 shown]
	scratch_load_dwordx4 v[20:23], off, off offset:96
	scratch_load_dwordx4 v[40:43], off, off offset:160
	v_cmp_lt_u32_e32 vcc, 10, v0
	scratch_load_dwordx4 v[48:51], off, off offset:176
	scratch_load_dwordx4 v[56:59], off, off offset:192
	;; [unrolled: 1-line block ×3, first 2 shown]
	s_waitcnt vmcnt(4) lgkmcnt(3)
	v_mul_f32_e32 v3, v4, v21
	v_fmac_f32_e32 v3, v5, v20
	v_mul_f32_e32 v24, v6, v23
	v_add_f32_e32 v3, 0, v3
	v_fmac_f32_e32 v24, v7, v22
	v_add_f32_e32 v3, v3, v24
	scratch_load_dwordx4 v[24:27], off, off offset:112
	s_waitcnt vmcnt(0) lgkmcnt(2)
	v_mul_f32_e32 v28, v8, v25
	v_fmac_f32_e32 v28, v9, v24
	v_add_f32_e32 v3, v3, v28
	v_mul_f32_e32 v28, v10, v27
	v_fmac_f32_e32 v28, v11, v26
	v_add_f32_e32 v3, v3, v28
	scratch_load_dwordx4 v[28:31], off, off offset:128
	s_waitcnt vmcnt(0) lgkmcnt(1)
	v_mul_f32_e32 v32, v12, v29
	v_fmac_f32_e32 v32, v13, v28
	v_add_f32_e32 v3, v3, v32
	v_mul_f32_e32 v32, v14, v31
	;; [unrolled: 8-line block ×3, first 2 shown]
	v_fmac_f32_e32 v36, v19, v34
	v_add_f32_e32 v3, v3, v36
	ds_read_b128 v[36:39], v2 offset:448
	s_waitcnt lgkmcnt(0)
	v_mul_f32_e32 v44, v36, v41
	v_fmac_f32_e32 v44, v37, v40
	v_add_f32_e32 v3, v3, v44
	v_mul_f32_e32 v44, v38, v43
	v_fmac_f32_e32 v44, v39, v42
	v_add_f32_e32 v3, v3, v44
	ds_read_b128 v[44:47], v2 offset:464
	s_waitcnt lgkmcnt(0)
	v_mul_f32_e32 v52, v44, v49
	v_fmac_f32_e32 v52, v45, v48
	v_add_f32_e32 v3, v3, v52
	v_mul_f32_e32 v52, v46, v51
	v_fmac_f32_e32 v52, v47, v50
	v_add_f32_e32 v3, v3, v52
	ds_read_b128 v[52:55], v2 offset:480
	s_waitcnt lgkmcnt(0)
	v_mul_f32_e32 v60, v52, v57
	v_fmac_f32_e32 v60, v53, v56
	v_add_f32_e32 v81, v3, v60
	ds_read_b128 v[60:63], v2 offset:496
	scratch_load_dwordx4 v[68:71], off, off offset:224
	scratch_load_dwordx4 v[72:75], off, off offset:240
	;; [unrolled: 1-line block ×3, first 2 shown]
	scratch_load_dwordx2 v[86:87], off, off offset:272
	v_mul_f32_e32 v3, v5, v21
	v_fma_f32 v3, v4, v20, -v3
	v_mul_f32_e32 v4, v7, v23
	v_add_f32_e32 v3, 0, v3
	v_fma_f32 v4, v6, v22, -v4
	v_add_f32_e32 v3, v3, v4
	v_mul_f32_e32 v4, v9, v25
	v_fma_f32 v4, v8, v24, -v4
	v_add_f32_e32 v3, v3, v4
	v_mul_f32_e32 v4, v11, v27
	v_fma_f32 v4, v10, v26, -v4
	v_add_f32_e32 v3, v3, v4
	v_mul_f32_e32 v4, v13, v29
	v_fma_f32 v4, v12, v28, -v4
	v_add_f32_e32 v3, v3, v4
	v_mul_f32_e32 v4, v15, v31
	v_fma_f32 v4, v14, v30, -v4
	v_add_f32_e32 v3, v3, v4
	v_mul_f32_e32 v4, v17, v33
	v_fma_f32 v4, v16, v32, -v4
	v_add_f32_e32 v3, v3, v4
	v_mul_f32_e32 v4, v19, v35
	v_fma_f32 v4, v18, v34, -v4
	v_add_f32_e32 v3, v3, v4
	v_mul_f32_e32 v4, v37, v41
	v_fma_f32 v4, v36, v40, -v4
	v_add_f32_e32 v3, v3, v4
	v_mul_f32_e32 v4, v39, v43
	v_fma_f32 v4, v38, v42, -v4
	v_add_f32_e32 v3, v3, v4
	v_mul_f32_e32 v4, v45, v49
	v_fma_f32 v4, v44, v48, -v4
	v_add_f32_e32 v3, v3, v4
	v_mul_f32_e32 v4, v47, v51
	v_fma_f32 v4, v46, v50, -v4
	v_add_f32_e32 v3, v3, v4
	v_mul_f32_e32 v4, v53, v57
	v_fma_f32 v4, v52, v56, -v4
	v_mul_f32_e32 v83, v54, v59
	v_add_f32_e32 v80, v3, v4
	v_mul_f32_e32 v3, v55, v59
	v_mov_b32_e32 v20, v67
	v_fmac_f32_e32 v83, v55, v58
	s_waitcnt lgkmcnt(0)
	v_mul_f32_e32 v85, v60, v65
	v_fma_f32 v82, v54, v58, -v3
	v_mul_f32_e32 v3, v61, v65
	ds_read_b128 v[4:7], v2 offset:512
	ds_read_b128 v[8:11], v2 offset:528
	;; [unrolled: 1-line block ×3, first 2 shown]
	ds_read_b64 v[16:17], v2 offset:560
	v_pk_mul_f32 v[20:21], v[62:63], v[20:21] op_sel:[1,0] op_sel_hi:[0,0]
	v_fmac_f32_e32 v85, v61, v64
	v_fma_f32 v84, v60, v64, -v3
	v_pk_add_f32 v[18:19], v[80:81], v[82:83]
	v_pk_fma_f32 v[22:23], v[62:63], v[66:67], v[20:21] neg_lo:[0,0,1] neg_hi:[0,0,1]
	v_pk_fma_f32 v[20:21], v[62:63], v[66:67], v[20:21] op_sel_hi:[1,0,1]
	v_pk_add_f32 v[18:19], v[18:19], v[84:85]
	v_mov_b32_e32 v23, v21
	v_pk_add_f32 v[18:19], v[18:19], v[22:23]
	s_waitcnt vmcnt(3) lgkmcnt(3)
	v_pk_mul_f32 v[20:21], v[4:5], v[68:69] op_sel:[1,1] op_sel_hi:[0,1]
	v_pk_fma_f32 v[22:23], v[4:5], v[68:69], v[20:21] neg_lo:[0,0,1] neg_hi:[0,0,1]
	v_pk_fma_f32 v[4:5], v[4:5], v[68:69], v[20:21] op_sel_hi:[1,0,1]
	s_nop 0
	v_mov_b32_e32 v23, v5
	v_pk_add_f32 v[4:5], v[18:19], v[22:23]
	v_mov_b32_e32 v18, v71
	v_pk_mul_f32 v[18:19], v[6:7], v[18:19] op_sel:[1,0] op_sel_hi:[0,0]
	v_pk_fma_f32 v[20:21], v[6:7], v[70:71], v[18:19] neg_lo:[0,0,1] neg_hi:[0,0,1]
	v_pk_fma_f32 v[6:7], v[6:7], v[70:71], v[18:19] op_sel_hi:[1,0,1]
	s_nop 0
	v_mov_b32_e32 v21, v7
	s_waitcnt vmcnt(2) lgkmcnt(2)
	v_pk_mul_f32 v[6:7], v[8:9], v[72:73] op_sel:[1,1] op_sel_hi:[0,1]
	v_pk_fma_f32 v[18:19], v[8:9], v[72:73], v[6:7] neg_lo:[0,0,1] neg_hi:[0,0,1]
	v_pk_fma_f32 v[6:7], v[8:9], v[72:73], v[6:7] op_sel_hi:[1,0,1]
	v_pk_add_f32 v[4:5], v[4:5], v[20:21]
	v_mov_b32_e32 v6, v75
	v_mov_b32_e32 v19, v7
	v_pk_mul_f32 v[6:7], v[10:11], v[6:7] op_sel:[1,0] op_sel_hi:[0,0]
	v_pk_fma_f32 v[8:9], v[10:11], v[74:75], v[6:7] neg_lo:[0,0,1] neg_hi:[0,0,1]
	v_pk_fma_f32 v[6:7], v[10:11], v[74:75], v[6:7] op_sel_hi:[1,0,1]
	v_pk_add_f32 v[4:5], v[4:5], v[18:19]
	v_mov_b32_e32 v9, v7
	s_waitcnt vmcnt(1) lgkmcnt(1)
	v_pk_mul_f32 v[6:7], v[12:13], v[76:77] op_sel:[1,1] op_sel_hi:[0,1]
	v_pk_add_f32 v[4:5], v[4:5], v[8:9]
	v_pk_fma_f32 v[8:9], v[12:13], v[76:77], v[6:7] neg_lo:[0,0,1] neg_hi:[0,0,1]
	v_pk_fma_f32 v[6:7], v[12:13], v[76:77], v[6:7] op_sel_hi:[1,0,1]
	s_nop 0
	v_mov_b32_e32 v6, v79
	v_mov_b32_e32 v9, v7
	v_pk_mul_f32 v[6:7], v[14:15], v[6:7] op_sel:[1,0] op_sel_hi:[0,0]
	v_pk_add_f32 v[4:5], v[4:5], v[8:9]
	v_pk_fma_f32 v[8:9], v[14:15], v[78:79], v[6:7] neg_lo:[0,0,1] neg_hi:[0,0,1]
	v_pk_fma_f32 v[6:7], v[14:15], v[78:79], v[6:7] op_sel_hi:[1,0,1]
	s_nop 0
	v_mov_b32_e32 v9, v7
	s_waitcnt vmcnt(0) lgkmcnt(0)
	v_pk_mul_f32 v[6:7], v[16:17], v[86:87] op_sel:[1,1] op_sel_hi:[0,1]
	v_pk_add_f32 v[4:5], v[4:5], v[8:9]
	v_pk_fma_f32 v[8:9], v[16:17], v[86:87], v[6:7] neg_lo:[0,0,1] neg_hi:[0,0,1]
	v_pk_fma_f32 v[6:7], v[16:17], v[86:87], v[6:7] op_sel_hi:[1,0,1]
	s_nop 0
	v_mov_b32_e32 v9, v7
	scratch_load_dwordx2 v[6:7], off, off offset:88
	v_pk_add_f32 v[4:5], v[4:5], v[8:9]
	s_waitcnt vmcnt(0)
	v_pk_add_f32 v[4:5], v[6:7], v[4:5] neg_lo:[0,1] neg_hi:[0,1]
	scratch_store_dwordx2 off, v[4:5], off offset:88
	s_and_saveexec_b64 s[0:1], vcc
	s_cbranch_execz .LBB98_203
; %bb.202:
	scratch_load_dwordx2 v[4:5], off, off offset:80
	v_mov_b32_e32 v3, v2
	scratch_store_dwordx2 off, v[2:3], off offset:80
	s_waitcnt vmcnt(1)
	ds_write_b64 v1, v[4:5]
.LBB98_203:
	s_or_b64 exec, exec, s[0:1]
	s_waitcnt lgkmcnt(0)
	; wave barrier
	scratch_load_dwordx4 v[8:11], off, off offset:88
	scratch_load_dwordx4 v[16:19], off, off offset:104
	;; [unrolled: 1-line block ×8, first 2 shown]
	ds_read2_b64 v[4:7], v2 offset0:47 offset1:48
	v_cmp_lt_u32_e32 vcc, 9, v0
	s_waitcnt vmcnt(7) lgkmcnt(0)
	v_mul_f32_e32 v3, v4, v9
	v_fmac_f32_e32 v3, v5, v8
	v_mul_f32_e32 v12, v6, v11
	v_add_f32_e32 v3, 0, v3
	v_fmac_f32_e32 v12, v7, v10
	v_add_f32_e32 v3, v3, v12
	ds_read2_b64 v[12:15], v2 offset0:49 offset1:50
	s_waitcnt vmcnt(6) lgkmcnt(0)
	v_mul_f32_e32 v20, v12, v17
	v_fmac_f32_e32 v20, v13, v16
	v_add_f32_e32 v3, v3, v20
	v_mul_f32_e32 v20, v14, v19
	v_fmac_f32_e32 v20, v15, v18
	v_add_f32_e32 v3, v3, v20
	ds_read2_b64 v[20:23], v2 offset0:51 offset1:52
	s_waitcnt vmcnt(5) lgkmcnt(0)
	v_mul_f32_e32 v28, v20, v25
	v_fmac_f32_e32 v28, v21, v24
	v_add_f32_e32 v3, v3, v28
	v_mul_f32_e32 v28, v22, v27
	;; [unrolled: 8-line block ×6, first 2 shown]
	v_fmac_f32_e32 v60, v55, v58
	v_add_f32_e32 v85, v3, v60
	ds_read2_b64 v[60:63], v2 offset0:61 offset1:62
	scratch_load_dwordx4 v[68:71], off, off offset:216
	scratch_load_dwordx4 v[72:75], off, off offset:232
	;; [unrolled: 1-line block ×4, first 2 shown]
	v_mul_f32_e32 v3, v5, v9
	v_fma_f32 v3, v4, v8, -v3
	v_mul_f32_e32 v4, v7, v11
	v_add_f32_e32 v3, 0, v3
	v_fma_f32 v4, v6, v10, -v4
	v_add_f32_e32 v3, v3, v4
	v_mul_f32_e32 v4, v13, v17
	v_fma_f32 v4, v12, v16, -v4
	v_add_f32_e32 v3, v3, v4
	v_mul_f32_e32 v4, v15, v19
	;; [unrolled: 3-line block ×12, first 2 shown]
	v_fma_f32 v4, v54, v58, -v4
	v_add_f32_e32 v84, v3, v4
	ds_read2_b64 v[4:7], v2 offset0:63 offset1:64
	ds_read2_b64 v[8:11], v2 offset0:65 offset1:66
	;; [unrolled: 1-line block ×4, first 2 shown]
	s_waitcnt vmcnt(4) lgkmcnt(4)
	v_mul_f32_e32 v87, v60, v65
	v_mul_f32_e32 v3, v61, v65
	v_fmac_f32_e32 v87, v61, v64
	v_mul_f32_e32 v89, v62, v67
	v_fma_f32 v86, v60, v64, -v3
	v_mul_f32_e32 v3, v63, v67
	v_fmac_f32_e32 v89, v63, v66
	v_fma_f32 v88, v62, v66, -v3
	v_pk_add_f32 v[2:3], v[84:85], v[86:87]
	s_waitcnt vmcnt(3) lgkmcnt(3)
	v_pk_mul_f32 v[20:21], v[4:5], v[68:69] op_sel:[1,1] op_sel_hi:[0,1]
	v_pk_fma_f32 v[22:23], v[4:5], v[68:69], v[20:21] neg_lo:[0,0,1] neg_hi:[0,0,1]
	v_pk_fma_f32 v[4:5], v[4:5], v[68:69], v[20:21] op_sel_hi:[1,0,1]
	v_pk_add_f32 v[2:3], v[2:3], v[88:89]
	v_mov_b32_e32 v4, v71
	v_mov_b32_e32 v23, v5
	v_pk_mul_f32 v[4:5], v[6:7], v[4:5] op_sel:[1,0] op_sel_hi:[0,0]
	v_pk_fma_f32 v[20:21], v[6:7], v[70:71], v[4:5] neg_lo:[0,0,1] neg_hi:[0,0,1]
	v_pk_fma_f32 v[4:5], v[6:7], v[70:71], v[4:5] op_sel_hi:[1,0,1]
	v_pk_add_f32 v[2:3], v[2:3], v[22:23]
	v_mov_b32_e32 v21, v5
	s_waitcnt vmcnt(2) lgkmcnt(2)
	v_pk_mul_f32 v[4:5], v[8:9], v[72:73] op_sel:[1,1] op_sel_hi:[0,1]
	v_pk_fma_f32 v[6:7], v[8:9], v[72:73], v[4:5] neg_lo:[0,0,1] neg_hi:[0,0,1]
	v_pk_fma_f32 v[4:5], v[8:9], v[72:73], v[4:5] op_sel_hi:[1,0,1]
	v_pk_add_f32 v[2:3], v[2:3], v[20:21]
	v_mov_b32_e32 v4, v75
	v_mov_b32_e32 v7, v5
	v_pk_mul_f32 v[4:5], v[10:11], v[4:5] op_sel:[1,0] op_sel_hi:[0,0]
	v_pk_add_f32 v[2:3], v[2:3], v[6:7]
	v_pk_fma_f32 v[6:7], v[10:11], v[74:75], v[4:5] neg_lo:[0,0,1] neg_hi:[0,0,1]
	v_pk_fma_f32 v[4:5], v[10:11], v[74:75], v[4:5] op_sel_hi:[1,0,1]
	s_nop 0
	v_mov_b32_e32 v7, v5
	s_waitcnt vmcnt(1) lgkmcnt(1)
	v_pk_mul_f32 v[4:5], v[12:13], v[76:77] op_sel:[1,1] op_sel_hi:[0,1]
	v_pk_add_f32 v[2:3], v[2:3], v[6:7]
	v_pk_fma_f32 v[6:7], v[12:13], v[76:77], v[4:5] neg_lo:[0,0,1] neg_hi:[0,0,1]
	v_pk_fma_f32 v[4:5], v[12:13], v[76:77], v[4:5] op_sel_hi:[1,0,1]
	s_nop 0
	v_mov_b32_e32 v4, v79
	v_mov_b32_e32 v7, v5
	v_pk_mul_f32 v[4:5], v[14:15], v[4:5] op_sel:[1,0] op_sel_hi:[0,0]
	v_pk_add_f32 v[2:3], v[2:3], v[6:7]
	v_pk_fma_f32 v[6:7], v[14:15], v[78:79], v[4:5] neg_lo:[0,0,1] neg_hi:[0,0,1]
	v_pk_fma_f32 v[4:5], v[14:15], v[78:79], v[4:5] op_sel_hi:[1,0,1]
	s_nop 0
	v_mov_b32_e32 v7, v5
	s_waitcnt vmcnt(0) lgkmcnt(0)
	v_pk_mul_f32 v[4:5], v[16:17], v[80:81] op_sel:[1,1] op_sel_hi:[0,1]
	v_pk_add_f32 v[2:3], v[2:3], v[6:7]
	v_pk_fma_f32 v[6:7], v[16:17], v[80:81], v[4:5] neg_lo:[0,0,1] neg_hi:[0,0,1]
	v_pk_fma_f32 v[4:5], v[16:17], v[80:81], v[4:5] op_sel_hi:[1,0,1]
	s_nop 0
	v_mov_b32_e32 v4, v83
	v_mov_b32_e32 v7, v5
	v_pk_mul_f32 v[4:5], v[18:19], v[4:5] op_sel:[1,0] op_sel_hi:[0,0]
	v_pk_add_f32 v[2:3], v[2:3], v[6:7]
	v_pk_fma_f32 v[6:7], v[18:19], v[82:83], v[4:5] neg_lo:[0,0,1] neg_hi:[0,0,1]
	v_pk_fma_f32 v[4:5], v[18:19], v[82:83], v[4:5] op_sel_hi:[1,0,1]
	s_nop 0
	v_mov_b32_e32 v7, v5
	scratch_load_dwordx2 v[4:5], off, off offset:80
	v_pk_add_f32 v[2:3], v[2:3], v[6:7]
	s_waitcnt vmcnt(0)
	v_pk_add_f32 v[2:3], v[4:5], v[2:3] neg_lo:[0,1] neg_hi:[0,1]
	scratch_store_dwordx2 off, v[2:3], off offset:80
	s_and_saveexec_b64 s[0:1], vcc
	s_cbranch_execz .LBB98_205
; %bb.204:
	scratch_load_dwordx2 v[2:3], off, off offset:72
	v_mov_b32_e32 v4, 0
	v_mov_b32_e32 v5, v4
	scratch_store_dwordx2 off, v[4:5], off offset:72
	s_waitcnt vmcnt(1)
	ds_write_b64 v1, v[2:3]
.LBB98_205:
	s_or_b64 exec, exec, s[0:1]
	v_mov_b32_e32 v2, 0
	s_waitcnt lgkmcnt(0)
	; wave barrier
	ds_read_b128 v[4:7], v2 offset:368
	ds_read_b128 v[8:11], v2 offset:384
	;; [unrolled: 1-line block ×4, first 2 shown]
	scratch_load_dwordx4 v[20:23], off, off offset:80
	scratch_load_dwordx4 v[40:43], off, off offset:144
	;; [unrolled: 1-line block ×3, first 2 shown]
	v_cmp_lt_u32_e32 vcc, 8, v0
	scratch_load_dwordx4 v[48:51], off, off offset:160
	scratch_load_dwordx4 v[56:59], off, off offset:176
	;; [unrolled: 1-line block ×3, first 2 shown]
	s_waitcnt vmcnt(5) lgkmcnt(3)
	v_mul_f32_e32 v3, v4, v21
	v_fmac_f32_e32 v3, v5, v20
	v_mul_f32_e32 v24, v6, v23
	v_add_f32_e32 v3, 0, v3
	v_fmac_f32_e32 v24, v7, v22
	v_add_f32_e32 v3, v3, v24
	scratch_load_dwordx4 v[24:27], off, off offset:96
	s_waitcnt vmcnt(0) lgkmcnt(2)
	v_mul_f32_e32 v28, v8, v25
	v_fmac_f32_e32 v28, v9, v24
	v_add_f32_e32 v3, v3, v28
	v_mul_f32_e32 v28, v10, v27
	v_fmac_f32_e32 v28, v11, v26
	v_add_f32_e32 v3, v3, v28
	scratch_load_dwordx4 v[28:31], off, off offset:112
	s_waitcnt vmcnt(0) lgkmcnt(1)
	v_mul_f32_e32 v32, v12, v29
	v_fmac_f32_e32 v32, v13, v28
	v_add_f32_e32 v3, v3, v32
	v_mul_f32_e32 v32, v14, v31
	;; [unrolled: 8-line block ×3, first 2 shown]
	v_fmac_f32_e32 v36, v19, v34
	v_add_f32_e32 v3, v3, v36
	ds_read_b128 v[36:39], v2 offset:432
	s_waitcnt lgkmcnt(0)
	v_mul_f32_e32 v44, v36, v41
	v_fmac_f32_e32 v44, v37, v40
	v_add_f32_e32 v3, v3, v44
	v_mul_f32_e32 v44, v38, v43
	v_fmac_f32_e32 v44, v39, v42
	v_add_f32_e32 v3, v3, v44
	ds_read_b128 v[44:47], v2 offset:448
	s_waitcnt lgkmcnt(0)
	v_mul_f32_e32 v52, v44, v49
	v_fmac_f32_e32 v52, v45, v48
	v_add_f32_e32 v3, v3, v52
	v_mul_f32_e32 v52, v46, v51
	;; [unrolled: 8-line block ×3, first 2 shown]
	v_fmac_f32_e32 v60, v55, v58
	v_add_f32_e32 v3, v3, v60
	ds_read_b128 v[60:63], v2 offset:480
	s_waitcnt lgkmcnt(0)
	v_mul_f32_e32 v68, v60, v65
	v_fmac_f32_e32 v68, v61, v64
	v_add_f32_e32 v89, v3, v68
	ds_read_b128 v[68:71], v2 offset:496
	scratch_load_dwordx4 v[76:79], off, off offset:224
	scratch_load_dwordx4 v[80:83], off, off offset:240
	;; [unrolled: 1-line block ×3, first 2 shown]
	scratch_load_dwordx2 v[94:95], off, off offset:272
	v_mul_f32_e32 v3, v5, v21
	v_fma_f32 v3, v4, v20, -v3
	v_mul_f32_e32 v4, v7, v23
	v_add_f32_e32 v3, 0, v3
	v_fma_f32 v4, v6, v22, -v4
	v_add_f32_e32 v3, v3, v4
	v_mul_f32_e32 v4, v9, v25
	v_fma_f32 v4, v8, v24, -v4
	v_add_f32_e32 v3, v3, v4
	v_mul_f32_e32 v4, v11, v27
	;; [unrolled: 3-line block ×13, first 2 shown]
	v_fma_f32 v4, v60, v64, -v4
	v_mul_f32_e32 v91, v62, v67
	v_add_f32_e32 v88, v3, v4
	v_mul_f32_e32 v3, v63, v67
	v_mov_b32_e32 v20, v75
	v_fmac_f32_e32 v91, v63, v66
	s_waitcnt lgkmcnt(0)
	v_mul_f32_e32 v93, v68, v73
	v_fma_f32 v90, v62, v66, -v3
	v_mul_f32_e32 v3, v69, v73
	ds_read_b128 v[4:7], v2 offset:512
	ds_read_b128 v[8:11], v2 offset:528
	;; [unrolled: 1-line block ×3, first 2 shown]
	ds_read_b64 v[16:17], v2 offset:560
	v_pk_mul_f32 v[20:21], v[70:71], v[20:21] op_sel:[1,0] op_sel_hi:[0,0]
	v_fmac_f32_e32 v93, v69, v72
	v_fma_f32 v92, v68, v72, -v3
	v_pk_add_f32 v[18:19], v[88:89], v[90:91]
	v_pk_fma_f32 v[22:23], v[70:71], v[74:75], v[20:21] neg_lo:[0,0,1] neg_hi:[0,0,1]
	v_pk_fma_f32 v[20:21], v[70:71], v[74:75], v[20:21] op_sel_hi:[1,0,1]
	v_pk_add_f32 v[18:19], v[18:19], v[92:93]
	v_mov_b32_e32 v23, v21
	v_pk_add_f32 v[18:19], v[18:19], v[22:23]
	s_waitcnt vmcnt(3) lgkmcnt(3)
	v_pk_mul_f32 v[20:21], v[4:5], v[76:77] op_sel:[1,1] op_sel_hi:[0,1]
	v_pk_fma_f32 v[22:23], v[4:5], v[76:77], v[20:21] neg_lo:[0,0,1] neg_hi:[0,0,1]
	v_pk_fma_f32 v[4:5], v[4:5], v[76:77], v[20:21] op_sel_hi:[1,0,1]
	s_nop 0
	v_mov_b32_e32 v23, v5
	v_pk_add_f32 v[4:5], v[18:19], v[22:23]
	v_mov_b32_e32 v18, v79
	v_pk_mul_f32 v[18:19], v[6:7], v[18:19] op_sel:[1,0] op_sel_hi:[0,0]
	v_pk_fma_f32 v[20:21], v[6:7], v[78:79], v[18:19] neg_lo:[0,0,1] neg_hi:[0,0,1]
	v_pk_fma_f32 v[6:7], v[6:7], v[78:79], v[18:19] op_sel_hi:[1,0,1]
	s_nop 0
	v_mov_b32_e32 v21, v7
	s_waitcnt vmcnt(2) lgkmcnt(2)
	v_pk_mul_f32 v[6:7], v[8:9], v[80:81] op_sel:[1,1] op_sel_hi:[0,1]
	v_pk_fma_f32 v[18:19], v[8:9], v[80:81], v[6:7] neg_lo:[0,0,1] neg_hi:[0,0,1]
	v_pk_fma_f32 v[6:7], v[8:9], v[80:81], v[6:7] op_sel_hi:[1,0,1]
	v_pk_add_f32 v[4:5], v[4:5], v[20:21]
	v_mov_b32_e32 v6, v83
	v_mov_b32_e32 v19, v7
	v_pk_mul_f32 v[6:7], v[10:11], v[6:7] op_sel:[1,0] op_sel_hi:[0,0]
	v_pk_fma_f32 v[8:9], v[10:11], v[82:83], v[6:7] neg_lo:[0,0,1] neg_hi:[0,0,1]
	v_pk_fma_f32 v[6:7], v[10:11], v[82:83], v[6:7] op_sel_hi:[1,0,1]
	v_pk_add_f32 v[4:5], v[4:5], v[18:19]
	v_mov_b32_e32 v9, v7
	s_waitcnt vmcnt(1) lgkmcnt(1)
	v_pk_mul_f32 v[6:7], v[12:13], v[84:85] op_sel:[1,1] op_sel_hi:[0,1]
	v_pk_add_f32 v[4:5], v[4:5], v[8:9]
	v_pk_fma_f32 v[8:9], v[12:13], v[84:85], v[6:7] neg_lo:[0,0,1] neg_hi:[0,0,1]
	v_pk_fma_f32 v[6:7], v[12:13], v[84:85], v[6:7] op_sel_hi:[1,0,1]
	s_nop 0
	v_mov_b32_e32 v6, v87
	v_mov_b32_e32 v9, v7
	v_pk_mul_f32 v[6:7], v[14:15], v[6:7] op_sel:[1,0] op_sel_hi:[0,0]
	v_pk_add_f32 v[4:5], v[4:5], v[8:9]
	v_pk_fma_f32 v[8:9], v[14:15], v[86:87], v[6:7] neg_lo:[0,0,1] neg_hi:[0,0,1]
	v_pk_fma_f32 v[6:7], v[14:15], v[86:87], v[6:7] op_sel_hi:[1,0,1]
	s_nop 0
	v_mov_b32_e32 v9, v7
	s_waitcnt vmcnt(0) lgkmcnt(0)
	v_pk_mul_f32 v[6:7], v[16:17], v[94:95] op_sel:[1,1] op_sel_hi:[0,1]
	v_pk_add_f32 v[4:5], v[4:5], v[8:9]
	v_pk_fma_f32 v[8:9], v[16:17], v[94:95], v[6:7] neg_lo:[0,0,1] neg_hi:[0,0,1]
	v_pk_fma_f32 v[6:7], v[16:17], v[94:95], v[6:7] op_sel_hi:[1,0,1]
	s_nop 0
	v_mov_b32_e32 v9, v7
	scratch_load_dwordx2 v[6:7], off, off offset:72
	v_pk_add_f32 v[4:5], v[4:5], v[8:9]
	s_waitcnt vmcnt(0)
	v_pk_add_f32 v[4:5], v[6:7], v[4:5] neg_lo:[0,1] neg_hi:[0,1]
	scratch_store_dwordx2 off, v[4:5], off offset:72
	s_and_saveexec_b64 s[0:1], vcc
	s_cbranch_execz .LBB98_207
; %bb.206:
	scratch_load_dwordx2 v[4:5], off, off offset:64
	v_mov_b32_e32 v3, v2
	scratch_store_dwordx2 off, v[2:3], off offset:64
	s_waitcnt vmcnt(1)
	ds_write_b64 v1, v[4:5]
.LBB98_207:
	s_or_b64 exec, exec, s[0:1]
	s_waitcnt lgkmcnt(0)
	; wave barrier
	scratch_load_dwordx4 v[8:11], off, off offset:72
	scratch_load_dwordx4 v[16:19], off, off offset:88
	;; [unrolled: 1-line block ×8, first 2 shown]
	ds_read2_b64 v[4:7], v2 offset0:45 offset1:46
	scratch_load_dwordx4 v[72:75], off, off offset:200
	v_cmp_lt_u32_e32 vcc, 7, v0
	s_waitcnt vmcnt(8) lgkmcnt(0)
	v_mul_f32_e32 v3, v4, v9
	v_fmac_f32_e32 v3, v5, v8
	v_mul_f32_e32 v12, v6, v11
	v_add_f32_e32 v3, 0, v3
	v_fmac_f32_e32 v12, v7, v10
	v_add_f32_e32 v3, v3, v12
	ds_read2_b64 v[12:15], v2 offset0:47 offset1:48
	s_waitcnt vmcnt(7) lgkmcnt(0)
	v_mul_f32_e32 v20, v12, v17
	v_fmac_f32_e32 v20, v13, v16
	v_add_f32_e32 v3, v3, v20
	v_mul_f32_e32 v20, v14, v19
	v_fmac_f32_e32 v20, v15, v18
	v_add_f32_e32 v3, v3, v20
	ds_read2_b64 v[20:23], v2 offset0:49 offset1:50
	s_waitcnt vmcnt(6) lgkmcnt(0)
	v_mul_f32_e32 v28, v20, v25
	v_fmac_f32_e32 v28, v21, v24
	v_add_f32_e32 v3, v3, v28
	v_mul_f32_e32 v28, v22, v27
	;; [unrolled: 8-line block ×7, first 2 shown]
	v_fmac_f32_e32 v68, v63, v66
	v_add_f32_e32 v93, v3, v68
	ds_read2_b64 v[68:71], v2 offset0:61 offset1:62
	scratch_load_dwordx4 v[76:79], off, off offset:216
	scratch_load_dwordx4 v[80:83], off, off offset:232
	;; [unrolled: 1-line block ×4, first 2 shown]
	v_mul_f32_e32 v3, v5, v9
	v_fma_f32 v3, v4, v8, -v3
	v_mul_f32_e32 v4, v7, v11
	v_add_f32_e32 v3, 0, v3
	v_fma_f32 v4, v6, v10, -v4
	v_add_f32_e32 v3, v3, v4
	v_mul_f32_e32 v4, v13, v17
	v_fma_f32 v4, v12, v16, -v4
	v_add_f32_e32 v3, v3, v4
	v_mul_f32_e32 v4, v15, v19
	;; [unrolled: 3-line block ×14, first 2 shown]
	v_fma_f32 v4, v62, v66, -v4
	v_add_f32_e32 v92, v3, v4
	ds_read2_b64 v[4:7], v2 offset0:63 offset1:64
	ds_read2_b64 v[8:11], v2 offset0:65 offset1:66
	;; [unrolled: 1-line block ×4, first 2 shown]
	s_waitcnt vmcnt(4) lgkmcnt(4)
	v_mul_f32_e32 v95, v68, v73
	v_mul_f32_e32 v3, v69, v73
	v_fmac_f32_e32 v95, v69, v72
	v_mul_f32_e32 v97, v70, v75
	v_fma_f32 v94, v68, v72, -v3
	v_mul_f32_e32 v3, v71, v75
	v_fmac_f32_e32 v97, v71, v74
	v_fma_f32 v96, v70, v74, -v3
	v_pk_add_f32 v[2:3], v[92:93], v[94:95]
	s_waitcnt vmcnt(3) lgkmcnt(3)
	v_pk_mul_f32 v[20:21], v[4:5], v[76:77] op_sel:[1,1] op_sel_hi:[0,1]
	v_pk_fma_f32 v[22:23], v[4:5], v[76:77], v[20:21] neg_lo:[0,0,1] neg_hi:[0,0,1]
	v_pk_fma_f32 v[4:5], v[4:5], v[76:77], v[20:21] op_sel_hi:[1,0,1]
	v_pk_add_f32 v[2:3], v[2:3], v[96:97]
	v_mov_b32_e32 v4, v79
	v_mov_b32_e32 v23, v5
	v_pk_mul_f32 v[4:5], v[6:7], v[4:5] op_sel:[1,0] op_sel_hi:[0,0]
	v_pk_fma_f32 v[20:21], v[6:7], v[78:79], v[4:5] neg_lo:[0,0,1] neg_hi:[0,0,1]
	v_pk_fma_f32 v[4:5], v[6:7], v[78:79], v[4:5] op_sel_hi:[1,0,1]
	v_pk_add_f32 v[2:3], v[2:3], v[22:23]
	v_mov_b32_e32 v21, v5
	s_waitcnt vmcnt(2) lgkmcnt(2)
	v_pk_mul_f32 v[4:5], v[8:9], v[80:81] op_sel:[1,1] op_sel_hi:[0,1]
	v_pk_fma_f32 v[6:7], v[8:9], v[80:81], v[4:5] neg_lo:[0,0,1] neg_hi:[0,0,1]
	v_pk_fma_f32 v[4:5], v[8:9], v[80:81], v[4:5] op_sel_hi:[1,0,1]
	v_pk_add_f32 v[2:3], v[2:3], v[20:21]
	v_mov_b32_e32 v4, v83
	v_mov_b32_e32 v7, v5
	v_pk_mul_f32 v[4:5], v[10:11], v[4:5] op_sel:[1,0] op_sel_hi:[0,0]
	v_pk_add_f32 v[2:3], v[2:3], v[6:7]
	v_pk_fma_f32 v[6:7], v[10:11], v[82:83], v[4:5] neg_lo:[0,0,1] neg_hi:[0,0,1]
	v_pk_fma_f32 v[4:5], v[10:11], v[82:83], v[4:5] op_sel_hi:[1,0,1]
	s_nop 0
	v_mov_b32_e32 v7, v5
	s_waitcnt vmcnt(1) lgkmcnt(1)
	v_pk_mul_f32 v[4:5], v[12:13], v[84:85] op_sel:[1,1] op_sel_hi:[0,1]
	v_pk_add_f32 v[2:3], v[2:3], v[6:7]
	v_pk_fma_f32 v[6:7], v[12:13], v[84:85], v[4:5] neg_lo:[0,0,1] neg_hi:[0,0,1]
	v_pk_fma_f32 v[4:5], v[12:13], v[84:85], v[4:5] op_sel_hi:[1,0,1]
	s_nop 0
	v_mov_b32_e32 v4, v87
	v_mov_b32_e32 v7, v5
	v_pk_mul_f32 v[4:5], v[14:15], v[4:5] op_sel:[1,0] op_sel_hi:[0,0]
	v_pk_add_f32 v[2:3], v[2:3], v[6:7]
	v_pk_fma_f32 v[6:7], v[14:15], v[86:87], v[4:5] neg_lo:[0,0,1] neg_hi:[0,0,1]
	v_pk_fma_f32 v[4:5], v[14:15], v[86:87], v[4:5] op_sel_hi:[1,0,1]
	s_nop 0
	v_mov_b32_e32 v7, v5
	s_waitcnt vmcnt(0) lgkmcnt(0)
	v_pk_mul_f32 v[4:5], v[16:17], v[88:89] op_sel:[1,1] op_sel_hi:[0,1]
	v_pk_add_f32 v[2:3], v[2:3], v[6:7]
	v_pk_fma_f32 v[6:7], v[16:17], v[88:89], v[4:5] neg_lo:[0,0,1] neg_hi:[0,0,1]
	v_pk_fma_f32 v[4:5], v[16:17], v[88:89], v[4:5] op_sel_hi:[1,0,1]
	s_nop 0
	v_mov_b32_e32 v4, v91
	v_mov_b32_e32 v7, v5
	v_pk_mul_f32 v[4:5], v[18:19], v[4:5] op_sel:[1,0] op_sel_hi:[0,0]
	v_pk_add_f32 v[2:3], v[2:3], v[6:7]
	v_pk_fma_f32 v[6:7], v[18:19], v[90:91], v[4:5] neg_lo:[0,0,1] neg_hi:[0,0,1]
	v_pk_fma_f32 v[4:5], v[18:19], v[90:91], v[4:5] op_sel_hi:[1,0,1]
	s_nop 0
	v_mov_b32_e32 v7, v5
	scratch_load_dwordx2 v[4:5], off, off offset:64
	v_pk_add_f32 v[2:3], v[2:3], v[6:7]
	s_waitcnt vmcnt(0)
	v_pk_add_f32 v[2:3], v[4:5], v[2:3] neg_lo:[0,1] neg_hi:[0,1]
	scratch_store_dwordx2 off, v[2:3], off offset:64
	s_and_saveexec_b64 s[0:1], vcc
	s_cbranch_execz .LBB98_209
; %bb.208:
	scratch_load_dwordx2 v[2:3], off, off offset:56
	v_mov_b32_e32 v4, 0
	v_mov_b32_e32 v5, v4
	scratch_store_dwordx2 off, v[4:5], off offset:56
	s_waitcnt vmcnt(1)
	ds_write_b64 v1, v[2:3]
.LBB98_209:
	s_or_b64 exec, exec, s[0:1]
	s_waitcnt lgkmcnt(0)
	; wave barrier
	scratch_load_dwordx4 v[18:21], off, off offset:64
	scratch_load_dwordx4 v[30:33], off, off offset:80
	;; [unrolled: 1-line block ×13, first 2 shown]
	scratch_load_dwordx2 v[54:55], off, off offset:272
	scratch_load_dwordx2 v[80:81], off, off offset:56
	v_mov_b32_e32 v82, 0
	ds_read_b128 v[56:59], v82 offset:352
	ds_read_b128 v[60:63], v82 offset:368
	ds_read_b128 v[64:67], v82 offset:384
	ds_read_b128 v[68:71], v82 offset:400
	ds_read_b128 v[72:75], v82 offset:416
	ds_read_b128 v[76:79], v82 offset:432
	ds_read_b128 v[84:87], v82 offset:448
	ds_read_b128 v[88:91], v82 offset:464
	ds_read_b128 v[92:95], v82 offset:480
	ds_read_b128 v[96:99], v82 offset:496
	v_cmp_lt_u32_e32 vcc, 6, v0
	s_waitcnt vmcnt(14) lgkmcnt(9)
	v_mul_f32_e32 v83, v56, v19
	v_mul_f32_e32 v100, v58, v21
	s_waitcnt vmcnt(12) lgkmcnt(7)
	v_mul_f32_e32 v105, v64, v3
	v_mul_f32_e32 v3, v65, v3
	v_fmac_f32_e32 v83, v57, v18
	v_mul_f32_e32 v102, v60, v31
	v_fmac_f32_e32 v100, v59, v20
	v_fmac_f32_e32 v105, v65, v2
	v_fma_f32 v2, v64, v2, -v3
	v_add_f32_e32 v3, 0, v83
	v_mul_f32_e32 v104, v62, v33
	v_fmac_f32_e32 v102, v61, v30
	v_add_f32_e32 v3, v3, v100
	v_fmac_f32_e32 v104, v63, v32
	v_add_f32_e32 v3, v3, v102
	v_mul_f32_e32 v106, v66, v5
	v_add_f32_e32 v3, v3, v104
	s_waitcnt vmcnt(11) lgkmcnt(6)
	v_mul_f32_e32 v107, v68, v7
	v_fmac_f32_e32 v106, v67, v4
	v_add_f32_e32 v3, v3, v105
	v_mul_f32_e32 v108, v70, v9
	v_fmac_f32_e32 v107, v69, v6
	v_add_f32_e32 v3, v3, v106
	s_waitcnt vmcnt(10) lgkmcnt(5)
	v_mul_f32_e32 v109, v72, v15
	v_fmac_f32_e32 v108, v71, v8
	v_add_f32_e32 v3, v3, v107
	v_mul_f32_e32 v110, v74, v17
	v_fmac_f32_e32 v109, v73, v14
	;; [unrolled: 7-line block ×3, first 2 shown]
	v_add_f32_e32 v3, v3, v110
	s_waitcnt vmcnt(8) lgkmcnt(3)
	v_mul_f32_e32 v113, v84, v35
	v_mul_f32_e32 v19, v57, v19
	v_fmac_f32_e32 v112, v79, v24
	v_add_f32_e32 v3, v3, v111
	v_mul_f32_e32 v184, v86, v37
	v_mul_f32_e32 v21, v59, v21
	v_fmac_f32_e32 v113, v85, v34
	v_fma_f32 v18, v56, v18, -v19
	v_add_f32_e32 v3, v3, v112
	s_waitcnt vmcnt(7) lgkmcnt(2)
	v_mul_f32_e32 v185, v88, v39
	v_mul_f32_e32 v31, v61, v31
	v_fmac_f32_e32 v184, v87, v36
	v_fma_f32 v19, v58, v20, -v21
	v_add_f32_e32 v18, 0, v18
	v_add_f32_e32 v3, v3, v113
	v_mul_f32_e32 v186, v90, v41
	v_mul_f32_e32 v33, v63, v33
	v_fmac_f32_e32 v185, v89, v38
	v_fma_f32 v20, v60, v30, -v31
	v_add_f32_e32 v18, v18, v19
	v_add_f32_e32 v3, v3, v184
	s_waitcnt vmcnt(6) lgkmcnt(1)
	v_mul_f32_e32 v187, v92, v51
	v_fmac_f32_e32 v186, v91, v40
	v_fma_f32 v21, v62, v32, -v33
	v_add_f32_e32 v18, v18, v20
	v_add_f32_e32 v3, v3, v185
	v_mul_f32_e32 v5, v67, v5
	v_fmac_f32_e32 v187, v93, v50
	v_add_f32_e32 v18, v18, v21
	v_add_f32_e32 v3, v3, v186
	v_add_f32_e32 v2, v18, v2
	v_add_f32_e32 v19, v3, v187
	v_fma_f32 v3, v66, v4, -v5
	v_add_f32_e32 v2, v2, v3
	v_mul_f32_e32 v3, v69, v7
	v_fma_f32 v3, v68, v6, -v3
	v_add_f32_e32 v2, v2, v3
	v_mul_f32_e32 v3, v71, v9
	;; [unrolled: 3-line block ×12, first 2 shown]
	v_mul_f32_e32 v101, v94, v53
	v_fma_f32 v100, v94, v52, -v2
	s_waitcnt vmcnt(5) lgkmcnt(0)
	v_mul_f32_e32 v2, v97, v47
	v_mov_b32_e32 v22, v49
	v_mul_f32_e32 v103, v96, v47
	v_fmac_f32_e32 v101, v95, v52
	v_fma_f32 v102, v96, v46, -v2
	ds_read_b128 v[2:5], v82 offset:512
	ds_read_b128 v[6:9], v82 offset:528
	;; [unrolled: 1-line block ×3, first 2 shown]
	ds_read_b64 v[20:21], v82 offset:560
	v_pk_mul_f32 v[22:23], v[98:99], v[22:23] op_sel:[1,0] op_sel_hi:[0,0]
	v_fmac_f32_e32 v103, v97, v46
	v_pk_add_f32 v[18:19], v[18:19], v[100:101]
	v_pk_fma_f32 v[24:25], v[98:99], v[48:49], v[22:23] neg_lo:[0,0,1] neg_hi:[0,0,1]
	v_pk_fma_f32 v[22:23], v[98:99], v[48:49], v[22:23] op_sel_hi:[1,0,1]
	v_pk_add_f32 v[18:19], v[18:19], v[102:103]
	v_mov_b32_e32 v25, v23
	s_waitcnt vmcnt(4) lgkmcnt(3)
	v_pk_mul_f32 v[22:23], v[2:3], v[42:43] op_sel:[1,1] op_sel_hi:[0,1]
	v_pk_add_f32 v[18:19], v[18:19], v[24:25]
	v_pk_fma_f32 v[24:25], v[2:3], v[42:43], v[22:23] neg_lo:[0,0,1] neg_hi:[0,0,1]
	v_pk_fma_f32 v[2:3], v[2:3], v[42:43], v[22:23] op_sel_hi:[1,0,1]
	s_nop 0
	v_mov_b32_e32 v25, v3
	v_pk_add_f32 v[2:3], v[18:19], v[24:25]
	v_mov_b32_e32 v18, v45
	v_pk_mul_f32 v[18:19], v[4:5], v[18:19] op_sel:[1,0] op_sel_hi:[0,0]
	v_pk_fma_f32 v[22:23], v[4:5], v[44:45], v[18:19] neg_lo:[0,0,1] neg_hi:[0,0,1]
	v_pk_fma_f32 v[4:5], v[4:5], v[44:45], v[18:19] op_sel_hi:[1,0,1]
	s_nop 0
	v_mov_b32_e32 v23, v5
	s_waitcnt vmcnt(3) lgkmcnt(2)
	v_pk_mul_f32 v[4:5], v[6:7], v[26:27] op_sel:[1,1] op_sel_hi:[0,1]
	v_pk_fma_f32 v[18:19], v[6:7], v[26:27], v[4:5] neg_lo:[0,0,1] neg_hi:[0,0,1]
	v_pk_fma_f32 v[4:5], v[6:7], v[26:27], v[4:5] op_sel_hi:[1,0,1]
	v_pk_add_f32 v[2:3], v[2:3], v[22:23]
	v_mov_b32_e32 v4, v29
	v_mov_b32_e32 v19, v5
	v_pk_mul_f32 v[4:5], v[8:9], v[4:5] op_sel:[1,0] op_sel_hi:[0,0]
	v_pk_fma_f32 v[6:7], v[8:9], v[28:29], v[4:5] neg_lo:[0,0,1] neg_hi:[0,0,1]
	v_pk_fma_f32 v[4:5], v[8:9], v[28:29], v[4:5] op_sel_hi:[1,0,1]
	v_pk_add_f32 v[2:3], v[2:3], v[18:19]
	v_mov_b32_e32 v7, v5
	s_waitcnt vmcnt(2) lgkmcnt(1)
	v_pk_mul_f32 v[4:5], v[14:15], v[10:11] op_sel:[1,1] op_sel_hi:[0,1]
	v_pk_add_f32 v[2:3], v[2:3], v[6:7]
	v_pk_fma_f32 v[6:7], v[14:15], v[10:11], v[4:5] neg_lo:[0,0,1] neg_hi:[0,0,1]
	v_pk_fma_f32 v[4:5], v[14:15], v[10:11], v[4:5] op_sel_hi:[1,0,1]
	s_nop 0
	v_mov_b32_e32 v4, v13
	v_mov_b32_e32 v7, v5
	v_pk_mul_f32 v[4:5], v[16:17], v[4:5] op_sel:[1,0] op_sel_hi:[0,0]
	v_pk_add_f32 v[2:3], v[2:3], v[6:7]
	v_pk_fma_f32 v[6:7], v[16:17], v[12:13], v[4:5] neg_lo:[0,0,1] neg_hi:[0,0,1]
	v_pk_fma_f32 v[4:5], v[16:17], v[12:13], v[4:5] op_sel_hi:[1,0,1]
	s_nop 0
	v_mov_b32_e32 v7, v5
	s_waitcnt vmcnt(1) lgkmcnt(0)
	v_pk_mul_f32 v[4:5], v[20:21], v[54:55] op_sel:[1,1] op_sel_hi:[0,1]
	v_pk_add_f32 v[2:3], v[2:3], v[6:7]
	v_pk_fma_f32 v[6:7], v[20:21], v[54:55], v[4:5] neg_lo:[0,0,1] neg_hi:[0,0,1]
	v_pk_fma_f32 v[4:5], v[20:21], v[54:55], v[4:5] op_sel_hi:[1,0,1]
	s_nop 0
	v_mov_b32_e32 v7, v5
	v_pk_add_f32 v[2:3], v[2:3], v[6:7]
	s_waitcnt vmcnt(0)
	v_pk_add_f32 v[2:3], v[80:81], v[2:3] neg_lo:[0,1] neg_hi:[0,1]
	scratch_store_dwordx2 off, v[2:3], off offset:56
	s_and_saveexec_b64 s[0:1], vcc
	s_cbranch_execz .LBB98_211
; %bb.210:
	scratch_load_dwordx2 v[2:3], off, off offset:48
	v_mov_b32_e32 v83, v82
	scratch_store_dwordx2 off, v[82:83], off offset:48
	s_waitcnt vmcnt(1)
	ds_write_b64 v1, v[2:3]
.LBB98_211:
	s_or_b64 exec, exec, s[0:1]
	s_waitcnt lgkmcnt(0)
	; wave barrier
	scratch_load_dwordx4 v[10:13], off, off offset:56
	scratch_load_dwordx4 v[26:29], off, off offset:72
	;; [unrolled: 1-line block ×10, first 2 shown]
	ds_read2_b64 v[84:87], v82 offset0:43 offset1:44
	ds_read2_b64 v[88:91], v82 offset0:45 offset1:46
	ds_read2_b64 v[92:95], v82 offset0:47 offset1:48
	ds_read2_b64 v[96:99], v82 offset0:49 offset1:50
	ds_read2_b64 v[78:81], v82 offset0:51 offset1:52
	ds_read2_b64 v[74:77], v82 offset0:53 offset1:54
	ds_read2_b64 v[70:73], v82 offset0:55 offset1:56
	ds_read2_b64 v[66:69], v82 offset0:57 offset1:58
	ds_read2_b64 v[62:65], v82 offset0:59 offset1:60
	ds_read2_b64 v[58:61], v82 offset0:61 offset1:62
	scratch_load_dwordx4 v[54:57], off, off offset:216
	scratch_load_dwordx4 v[46:49], off, off offset:232
	;; [unrolled: 1-line block ×4, first 2 shown]
	scratch_load_dwordx2 v[100:101], off, off offset:48
	v_cmp_lt_u32_e32 vcc, 5, v0
	s_waitcnt vmcnt(14) lgkmcnt(9)
	v_mul_f32_e32 v83, v84, v11
	v_mul_f32_e32 v102, v86, v13
	s_waitcnt vmcnt(12) lgkmcnt(7)
	v_mul_f32_e32 v107, v92, v3
	v_mul_f32_e32 v3, v93, v3
	v_fmac_f32_e32 v83, v85, v10
	v_mul_f32_e32 v104, v88, v27
	v_fmac_f32_e32 v102, v87, v12
	v_fmac_f32_e32 v107, v93, v2
	v_fma_f32 v2, v92, v2, -v3
	v_add_f32_e32 v3, 0, v83
	v_mul_f32_e32 v106, v90, v29
	v_fmac_f32_e32 v104, v89, v26
	v_add_f32_e32 v3, v3, v102
	v_fmac_f32_e32 v106, v91, v28
	v_add_f32_e32 v3, v3, v104
	v_mul_f32_e32 v108, v94, v5
	v_add_f32_e32 v3, v3, v106
	s_waitcnt vmcnt(11) lgkmcnt(6)
	v_mul_f32_e32 v109, v96, v7
	v_fmac_f32_e32 v108, v95, v4
	v_add_f32_e32 v3, v3, v107
	v_mul_f32_e32 v110, v98, v9
	v_fmac_f32_e32 v109, v97, v6
	v_add_f32_e32 v3, v3, v108
	s_waitcnt vmcnt(10) lgkmcnt(5)
	v_mul_f32_e32 v111, v78, v15
	v_fmac_f32_e32 v110, v99, v8
	v_add_f32_e32 v3, v3, v109
	v_mul_f32_e32 v112, v80, v17
	v_fmac_f32_e32 v111, v79, v14
	v_add_f32_e32 v3, v3, v110
	s_waitcnt vmcnt(9) lgkmcnt(4)
	v_mul_f32_e32 v113, v74, v23
	v_fmac_f32_e32 v112, v81, v16
	v_add_f32_e32 v3, v3, v111
	v_mul_f32_e32 v184, v76, v25
	v_fmac_f32_e32 v113, v75, v22
	v_add_f32_e32 v3, v3, v112
	s_waitcnt vmcnt(8) lgkmcnt(3)
	v_mul_f32_e32 v185, v70, v31
	v_fmac_f32_e32 v184, v77, v24
	v_add_f32_e32 v3, v3, v113
	v_mul_f32_e32 v186, v72, v33
	v_fmac_f32_e32 v185, v71, v30
	v_add_f32_e32 v3, v3, v184
	s_waitcnt vmcnt(7) lgkmcnt(2)
	v_mul_f32_e32 v187, v66, v39
	v_mul_f32_e32 v11, v85, v11
	v_fmac_f32_e32 v186, v73, v32
	v_add_f32_e32 v3, v3, v185
	v_mul_f32_e32 v188, v68, v41
	v_mul_f32_e32 v13, v87, v13
	v_fmac_f32_e32 v187, v67, v38
	v_fma_f32 v10, v84, v10, -v11
	v_add_f32_e32 v3, v3, v186
	s_waitcnt vmcnt(6) lgkmcnt(1)
	v_mul_f32_e32 v189, v62, v43
	v_mul_f32_e32 v27, v89, v27
	v_fmac_f32_e32 v188, v69, v40
	v_fma_f32 v11, v86, v12, -v13
	v_add_f32_e32 v10, 0, v10
	v_add_f32_e32 v3, v3, v187
	v_mul_f32_e32 v190, v64, v45
	v_mul_f32_e32 v29, v91, v29
	v_fmac_f32_e32 v189, v63, v42
	v_fma_f32 v12, v88, v26, -v27
	v_add_f32_e32 v10, v10, v11
	v_add_f32_e32 v3, v3, v188
	v_fmac_f32_e32 v190, v65, v44
	v_fma_f32 v13, v90, v28, -v29
	v_add_f32_e32 v10, v10, v12
	v_add_f32_e32 v3, v3, v189
	;; [unrolled: 1-line block ×4, first 2 shown]
	v_mul_f32_e32 v3, v95, v5
	v_add_f32_e32 v2, v10, v2
	v_fma_f32 v3, v94, v4, -v3
	v_add_f32_e32 v2, v2, v3
	v_mul_f32_e32 v3, v97, v7
	v_fma_f32 v3, v96, v6, -v3
	v_add_f32_e32 v2, v2, v3
	v_mul_f32_e32 v3, v99, v9
	;; [unrolled: 3-line block ×12, first 2 shown]
	v_fma_f32 v3, v64, v44, -v3
	v_add_f32_e32 v26, v2, v3
	s_waitcnt vmcnt(5) lgkmcnt(0)
	v_mul_f32_e32 v2, v59, v51
	v_fma_f32 v102, v58, v50, -v2
	v_mul_f32_e32 v2, v61, v53
	v_fma_f32 v104, v60, v52, -v2
	ds_read2_b64 v[2:5], v82 offset0:63 offset1:64
	ds_read2_b64 v[6:9], v82 offset0:65 offset1:66
	;; [unrolled: 1-line block ×4, first 2 shown]
	v_mul_f32_e32 v103, v58, v51
	v_mul_f32_e32 v105, v60, v53
	v_fmac_f32_e32 v103, v59, v50
	s_waitcnt vmcnt(4) lgkmcnt(3)
	v_pk_mul_f32 v[24:25], v[2:3], v[54:55] op_sel:[1,1] op_sel_hi:[0,1]
	v_fmac_f32_e32 v105, v61, v52
	v_pk_add_f32 v[22:23], v[26:27], v[102:103]
	v_pk_fma_f32 v[26:27], v[2:3], v[54:55], v[24:25] neg_lo:[0,0,1] neg_hi:[0,0,1]
	v_pk_fma_f32 v[2:3], v[2:3], v[54:55], v[24:25] op_sel_hi:[1,0,1]
	v_pk_add_f32 v[22:23], v[22:23], v[104:105]
	v_mov_b32_e32 v27, v3
	v_pk_add_f32 v[2:3], v[22:23], v[26:27]
	v_mov_b32_e32 v22, v57
	v_pk_mul_f32 v[22:23], v[4:5], v[22:23] op_sel:[1,0] op_sel_hi:[0,0]
	v_pk_fma_f32 v[24:25], v[4:5], v[56:57], v[22:23] neg_lo:[0,0,1] neg_hi:[0,0,1]
	v_pk_fma_f32 v[4:5], v[4:5], v[56:57], v[22:23] op_sel_hi:[1,0,1]
	s_nop 0
	v_mov_b32_e32 v25, v5
	s_waitcnt vmcnt(3) lgkmcnt(2)
	v_pk_mul_f32 v[4:5], v[6:7], v[46:47] op_sel:[1,1] op_sel_hi:[0,1]
	v_pk_fma_f32 v[22:23], v[6:7], v[46:47], v[4:5] neg_lo:[0,0,1] neg_hi:[0,0,1]
	v_pk_fma_f32 v[4:5], v[6:7], v[46:47], v[4:5] op_sel_hi:[1,0,1]
	v_pk_add_f32 v[2:3], v[2:3], v[24:25]
	v_mov_b32_e32 v4, v49
	v_mov_b32_e32 v23, v5
	v_pk_mul_f32 v[4:5], v[8:9], v[4:5] op_sel:[1,0] op_sel_hi:[0,0]
	v_pk_fma_f32 v[6:7], v[8:9], v[48:49], v[4:5] neg_lo:[0,0,1] neg_hi:[0,0,1]
	v_pk_fma_f32 v[4:5], v[8:9], v[48:49], v[4:5] op_sel_hi:[1,0,1]
	v_pk_add_f32 v[2:3], v[2:3], v[22:23]
	v_mov_b32_e32 v7, v5
	s_waitcnt vmcnt(2) lgkmcnt(1)
	v_pk_mul_f32 v[4:5], v[10:11], v[34:35] op_sel:[1,1] op_sel_hi:[0,1]
	v_pk_add_f32 v[2:3], v[2:3], v[6:7]
	v_pk_fma_f32 v[6:7], v[10:11], v[34:35], v[4:5] neg_lo:[0,0,1] neg_hi:[0,0,1]
	v_pk_fma_f32 v[4:5], v[10:11], v[34:35], v[4:5] op_sel_hi:[1,0,1]
	s_nop 0
	v_mov_b32_e32 v4, v37
	v_mov_b32_e32 v7, v5
	v_pk_mul_f32 v[4:5], v[12:13], v[4:5] op_sel:[1,0] op_sel_hi:[0,0]
	v_pk_add_f32 v[2:3], v[2:3], v[6:7]
	v_pk_fma_f32 v[6:7], v[12:13], v[36:37], v[4:5] neg_lo:[0,0,1] neg_hi:[0,0,1]
	v_pk_fma_f32 v[4:5], v[12:13], v[36:37], v[4:5] op_sel_hi:[1,0,1]
	s_nop 0
	v_mov_b32_e32 v7, v5
	s_waitcnt vmcnt(1) lgkmcnt(0)
	v_pk_mul_f32 v[4:5], v[14:15], v[18:19] op_sel:[1,1] op_sel_hi:[0,1]
	v_pk_add_f32 v[2:3], v[2:3], v[6:7]
	v_pk_fma_f32 v[6:7], v[14:15], v[18:19], v[4:5] neg_lo:[0,0,1] neg_hi:[0,0,1]
	v_pk_fma_f32 v[4:5], v[14:15], v[18:19], v[4:5] op_sel_hi:[1,0,1]
	s_nop 0
	v_mov_b32_e32 v4, v21
	v_mov_b32_e32 v7, v5
	v_pk_mul_f32 v[4:5], v[16:17], v[4:5] op_sel:[1,0] op_sel_hi:[0,0]
	v_pk_add_f32 v[2:3], v[2:3], v[6:7]
	v_pk_fma_f32 v[6:7], v[16:17], v[20:21], v[4:5] neg_lo:[0,0,1] neg_hi:[0,0,1]
	v_pk_fma_f32 v[4:5], v[16:17], v[20:21], v[4:5] op_sel_hi:[1,0,1]
	s_nop 0
	v_mov_b32_e32 v7, v5
	v_pk_add_f32 v[2:3], v[2:3], v[6:7]
	s_waitcnt vmcnt(0)
	v_pk_add_f32 v[2:3], v[100:101], v[2:3] neg_lo:[0,1] neg_hi:[0,1]
	scratch_store_dwordx2 off, v[2:3], off offset:48
	s_and_saveexec_b64 s[0:1], vcc
	s_cbranch_execz .LBB98_213
; %bb.212:
	scratch_load_dwordx2 v[2:3], off, off offset:40
	v_mov_b32_e32 v4, 0
	v_mov_b32_e32 v5, v4
	scratch_store_dwordx2 off, v[4:5], off offset:40
	s_waitcnt vmcnt(1)
	ds_write_b64 v1, v[2:3]
.LBB98_213:
	s_or_b64 exec, exec, s[0:1]
	s_waitcnt lgkmcnt(0)
	; wave barrier
	scratch_load_dwordx4 v[26:29], off, off offset:48
	scratch_load_dwordx4 v[2:5], off, off offset:64
	;; [unrolled: 1-line block ×14, first 2 shown]
	scratch_load_dwordx2 v[58:59], off, off offset:272
	scratch_load_dwordx2 v[100:101], off, off offset:40
	v_mov_b32_e32 v102, 0
	ds_read_b128 v[60:63], v102 offset:336
	ds_read_b128 v[64:67], v102 offset:352
	;; [unrolled: 1-line block ×12, first 2 shown]
	v_cmp_lt_u32_e32 vcc, 4, v0
	s_waitcnt vmcnt(15) lgkmcnt(11)
	v_mul_f32_e32 v103, v60, v27
	v_mul_f32_e32 v112, v62, v29
	s_waitcnt vmcnt(14) lgkmcnt(10)
	v_mul_f32_e32 v184, v64, v3
	v_mul_f32_e32 v3, v65, v3
	v_fmac_f32_e32 v103, v61, v26
	v_fmac_f32_e32 v112, v63, v28
	v_fmac_f32_e32 v184, v65, v2
	v_fma_f32 v2, v64, v2, -v3
	v_add_f32_e32 v3, 0, v103
	v_mul_f32_e32 v186, v66, v5
	v_add_f32_e32 v3, v3, v112
	s_waitcnt vmcnt(13) lgkmcnt(9)
	v_mul_f32_e32 v187, v68, v7
	v_fmac_f32_e32 v186, v67, v4
	v_add_f32_e32 v3, v3, v184
	v_mul_f32_e32 v188, v70, v9
	v_fmac_f32_e32 v187, v69, v6
	v_add_f32_e32 v3, v3, v186
	s_waitcnt vmcnt(12) lgkmcnt(8)
	v_mul_f32_e32 v189, v72, v11
	v_fmac_f32_e32 v188, v71, v8
	v_add_f32_e32 v3, v3, v187
	v_mul_f32_e32 v190, v74, v13
	v_fmac_f32_e32 v189, v73, v10
	;; [unrolled: 7-line block ×6, first 2 shown]
	v_add_f32_e32 v3, v3, v196
	s_waitcnt vmcnt(7) lgkmcnt(3)
	v_mul_f32_e32 v199, v92, v43
	v_fmac_f32_e32 v198, v91, v40
	v_add_f32_e32 v3, v3, v197
	v_mul_f32_e32 v200, v94, v45
	v_mul_f32_e32 v27, v61, v27
	v_fmac_f32_e32 v199, v93, v42
	v_add_f32_e32 v3, v3, v198
	s_waitcnt vmcnt(6) lgkmcnt(2)
	v_mul_f32_e32 v201, v96, v51
	v_mul_f32_e32 v29, v63, v29
	v_fmac_f32_e32 v200, v95, v44
	v_fma_f32 v26, v60, v26, -v27
	v_add_f32_e32 v3, v3, v199
	v_fmac_f32_e32 v201, v97, v50
	v_fma_f32 v27, v62, v28, -v29
	v_add_f32_e32 v26, 0, v26
	v_add_f32_e32 v3, v3, v200
	;; [unrolled: 1-line block ×4, first 2 shown]
	v_mul_f32_e32 v3, v67, v5
	v_add_f32_e32 v2, v26, v2
	v_fma_f32 v3, v66, v4, -v3
	v_add_f32_e32 v2, v2, v3
	v_mul_f32_e32 v3, v69, v7
	v_fma_f32 v3, v68, v6, -v3
	v_add_f32_e32 v2, v2, v3
	v_mul_f32_e32 v3, v71, v9
	;; [unrolled: 3-line block ×15, first 2 shown]
	v_fma_f32 v3, v96, v50, -v3
	v_mul_f32_e32 v113, v98, v53
	v_add_f32_e32 v26, v2, v3
	v_mul_f32_e32 v2, v99, v53
	s_waitcnt vmcnt(5)
	v_mov_b32_e32 v14, v57
	s_waitcnt lgkmcnt(1)
	v_mul_f32_e32 v185, v104, v55
	v_fmac_f32_e32 v113, v99, v52
	v_fma_f32 v112, v98, v52, -v2
	v_mul_f32_e32 v2, v105, v55
	v_pk_mul_f32 v[14:15], v[106:107], v[14:15] op_sel:[1,0] op_sel_hi:[0,0]
	v_fmac_f32_e32 v185, v105, v54
	v_fma_f32 v184, v104, v54, -v2
	v_pk_add_f32 v[12:13], v[26:27], v[112:113]
	v_pk_fma_f32 v[16:17], v[106:107], v[56:57], v[14:15] neg_lo:[0,0,1] neg_hi:[0,0,1]
	v_pk_fma_f32 v[14:15], v[106:107], v[56:57], v[14:15] op_sel_hi:[1,0,1]
	v_pk_add_f32 v[12:13], v[12:13], v[184:185]
	v_mov_b32_e32 v17, v15
	s_waitcnt vmcnt(4) lgkmcnt(0)
	v_pk_mul_f32 v[14:15], v[108:109], v[46:47] op_sel:[1,1] op_sel_hi:[0,1]
	v_pk_add_f32 v[12:13], v[12:13], v[16:17]
	v_pk_fma_f32 v[16:17], v[108:109], v[46:47], v[14:15] neg_lo:[0,0,1] neg_hi:[0,0,1]
	v_pk_fma_f32 v[14:15], v[108:109], v[46:47], v[14:15] op_sel_hi:[1,0,1]
	ds_read_b128 v[2:5], v102 offset:528
	ds_read_b128 v[6:9], v102 offset:544
	ds_read_b64 v[10:11], v102 offset:560
	v_mov_b32_e32 v14, v49
	v_mov_b32_e32 v17, v15
	v_pk_mul_f32 v[14:15], v[110:111], v[14:15] op_sel:[1,0] op_sel_hi:[0,0]
	v_pk_add_f32 v[12:13], v[12:13], v[16:17]
	v_pk_fma_f32 v[16:17], v[110:111], v[48:49], v[14:15] neg_lo:[0,0,1] neg_hi:[0,0,1]
	v_pk_fma_f32 v[14:15], v[110:111], v[48:49], v[14:15] op_sel_hi:[1,0,1]
	s_nop 0
	v_mov_b32_e32 v17, v15
	s_waitcnt vmcnt(3) lgkmcnt(2)
	v_pk_mul_f32 v[14:15], v[2:3], v[34:35] op_sel:[1,1] op_sel_hi:[0,1]
	v_pk_add_f32 v[12:13], v[12:13], v[16:17]
	v_pk_fma_f32 v[16:17], v[2:3], v[34:35], v[14:15] neg_lo:[0,0,1] neg_hi:[0,0,1]
	v_pk_fma_f32 v[2:3], v[2:3], v[34:35], v[14:15] op_sel_hi:[1,0,1]
	s_nop 0
	v_mov_b32_e32 v17, v3
	v_pk_add_f32 v[2:3], v[12:13], v[16:17]
	v_mov_b32_e32 v12, v37
	v_pk_mul_f32 v[12:13], v[4:5], v[12:13] op_sel:[1,0] op_sel_hi:[0,0]
	v_pk_fma_f32 v[14:15], v[4:5], v[36:37], v[12:13] neg_lo:[0,0,1] neg_hi:[0,0,1]
	v_pk_fma_f32 v[4:5], v[4:5], v[36:37], v[12:13] op_sel_hi:[1,0,1]
	s_nop 0
	v_mov_b32_e32 v15, v5
	s_waitcnt vmcnt(2) lgkmcnt(1)
	v_pk_mul_f32 v[4:5], v[6:7], v[18:19] op_sel:[1,1] op_sel_hi:[0,1]
	v_pk_fma_f32 v[12:13], v[6:7], v[18:19], v[4:5] neg_lo:[0,0,1] neg_hi:[0,0,1]
	v_pk_fma_f32 v[4:5], v[6:7], v[18:19], v[4:5] op_sel_hi:[1,0,1]
	v_pk_add_f32 v[2:3], v[2:3], v[14:15]
	v_mov_b32_e32 v4, v21
	v_mov_b32_e32 v13, v5
	v_pk_mul_f32 v[4:5], v[8:9], v[4:5] op_sel:[1,0] op_sel_hi:[0,0]
	v_pk_fma_f32 v[6:7], v[8:9], v[20:21], v[4:5] neg_lo:[0,0,1] neg_hi:[0,0,1]
	v_pk_fma_f32 v[4:5], v[8:9], v[20:21], v[4:5] op_sel_hi:[1,0,1]
	v_pk_add_f32 v[2:3], v[2:3], v[12:13]
	v_mov_b32_e32 v7, v5
	s_waitcnt vmcnt(1) lgkmcnt(0)
	v_pk_mul_f32 v[4:5], v[10:11], v[58:59] op_sel:[1,1] op_sel_hi:[0,1]
	v_pk_add_f32 v[2:3], v[2:3], v[6:7]
	v_pk_fma_f32 v[6:7], v[10:11], v[58:59], v[4:5] neg_lo:[0,0,1] neg_hi:[0,0,1]
	v_pk_fma_f32 v[4:5], v[10:11], v[58:59], v[4:5] op_sel_hi:[1,0,1]
	s_nop 0
	v_mov_b32_e32 v7, v5
	v_pk_add_f32 v[2:3], v[2:3], v[6:7]
	s_waitcnt vmcnt(0)
	v_pk_add_f32 v[2:3], v[100:101], v[2:3] neg_lo:[0,1] neg_hi:[0,1]
	scratch_store_dwordx2 off, v[2:3], off offset:40
	s_and_saveexec_b64 s[0:1], vcc
	s_cbranch_execz .LBB98_215
; %bb.214:
	scratch_load_dwordx2 v[2:3], off, off offset:32
	v_mov_b32_e32 v103, v102
	scratch_store_dwordx2 off, v[102:103], off offset:32
	s_waitcnt vmcnt(1)
	ds_write_b64 v1, v[2:3]
.LBB98_215:
	s_or_b64 exec, exec, s[0:1]
	s_waitcnt lgkmcnt(0)
	; wave barrier
	scratch_load_dwordx4 v[18:21], off, off offset:40
	scratch_load_dwordx4 v[2:5], off, off offset:56
	;; [unrolled: 1-line block ×11, first 2 shown]
	ds_read2_b64 v[104:107], v102 offset0:41 offset1:42
	ds_read2_b64 v[98:101], v102 offset0:43 offset1:44
	;; [unrolled: 1-line block ×10, first 2 shown]
	scratch_load_dwordx4 v[58:61], off, off offset:216
	scratch_load_dwordx4 v[50:53], off, off offset:232
	scratch_load_dwordx4 v[38:41], off, off offset:248
	scratch_load_dwordx4 v[26:29], off, off offset:264
	ds_read2_b64 v[78:81], v102 offset0:61 offset1:62
	ds_read2_b64 v[108:111], v102 offset0:63 offset1:64
	scratch_load_dwordx2 v[112:113], off, off offset:32
	v_cmp_lt_u32_e32 vcc, 3, v0
	s_waitcnt vmcnt(15) lgkmcnt(11)
	v_mul_f32_e32 v103, v104, v19
	v_mul_f32_e32 v184, v106, v21
	s_waitcnt vmcnt(14) lgkmcnt(10)
	v_mul_f32_e32 v186, v98, v3
	v_mul_f32_e32 v3, v99, v3
	v_fmac_f32_e32 v103, v105, v18
	v_fmac_f32_e32 v184, v107, v20
	;; [unrolled: 1-line block ×3, first 2 shown]
	v_fma_f32 v2, v98, v2, -v3
	v_add_f32_e32 v3, 0, v103
	v_mul_f32_e32 v188, v100, v5
	v_add_f32_e32 v3, v3, v184
	s_waitcnt vmcnt(13) lgkmcnt(9)
	v_mul_f32_e32 v189, v94, v7
	v_fmac_f32_e32 v188, v101, v4
	v_add_f32_e32 v3, v3, v186
	v_mul_f32_e32 v190, v96, v9
	v_fmac_f32_e32 v189, v95, v6
	v_add_f32_e32 v3, v3, v188
	s_waitcnt vmcnt(12) lgkmcnt(8)
	v_mul_f32_e32 v191, v90, v11
	v_fmac_f32_e32 v190, v97, v8
	v_add_f32_e32 v3, v3, v189
	v_mul_f32_e32 v192, v92, v13
	v_fmac_f32_e32 v191, v91, v10
	;; [unrolled: 7-line block ×7, first 2 shown]
	v_add_f32_e32 v3, v3, v200
	s_waitcnt vmcnt(6) lgkmcnt(2)
	v_mul_f32_e32 v203, v62, v47
	v_mul_f32_e32 v19, v105, v19
	v_fmac_f32_e32 v202, v69, v44
	v_add_f32_e32 v3, v3, v201
	v_mul_f32_e32 v204, v64, v49
	v_mul_f32_e32 v21, v107, v21
	v_fmac_f32_e32 v203, v63, v46
	v_fma_f32 v18, v104, v18, -v19
	v_add_f32_e32 v3, v3, v202
	v_fmac_f32_e32 v204, v65, v48
	v_fma_f32 v19, v106, v20, -v21
	v_add_f32_e32 v18, 0, v18
	v_add_f32_e32 v3, v3, v203
	;; [unrolled: 1-line block ×4, first 2 shown]
	v_mul_f32_e32 v3, v101, v5
	v_add_f32_e32 v2, v18, v2
	v_fma_f32 v3, v100, v4, -v3
	v_add_f32_e32 v2, v2, v3
	v_mul_f32_e32 v3, v95, v7
	v_fma_f32 v3, v94, v6, -v3
	v_add_f32_e32 v2, v2, v3
	v_mul_f32_e32 v3, v97, v9
	;; [unrolled: 3-line block ×16, first 2 shown]
	v_fma_f32 v3, v64, v48, -v3
	s_waitcnt vmcnt(5) lgkmcnt(1)
	v_mul_f32_e32 v185, v78, v55
	v_add_f32_e32 v18, v2, v3
	v_mul_f32_e32 v2, v79, v55
	v_fmac_f32_e32 v185, v79, v54
	v_fma_f32 v184, v78, v54, -v2
	s_waitcnt vmcnt(4) lgkmcnt(0)
	v_pk_mul_f32 v[16:17], v[108:109], v[58:59] op_sel:[1,1] op_sel_hi:[0,1]
	v_mul_f32_e32 v187, v80, v57
	v_mul_f32_e32 v2, v81, v57
	v_pk_add_f32 v[14:15], v[18:19], v[184:185]
	v_pk_fma_f32 v[18:19], v[108:109], v[58:59], v[16:17] neg_lo:[0,0,1] neg_hi:[0,0,1]
	v_pk_fma_f32 v[16:17], v[108:109], v[58:59], v[16:17] op_sel_hi:[1,0,1]
	v_fmac_f32_e32 v187, v81, v56
	v_fma_f32 v186, v80, v56, -v2
	ds_read2_b64 v[2:5], v102 offset0:65 offset1:66
	ds_read2_b64 v[6:9], v102 offset0:67 offset1:68
	;; [unrolled: 1-line block ×3, first 2 shown]
	v_mov_b32_e32 v16, v61
	v_pk_add_f32 v[14:15], v[14:15], v[186:187]
	v_mov_b32_e32 v19, v17
	v_pk_mul_f32 v[16:17], v[110:111], v[16:17] op_sel:[1,0] op_sel_hi:[0,0]
	v_pk_add_f32 v[14:15], v[14:15], v[18:19]
	v_pk_fma_f32 v[18:19], v[110:111], v[60:61], v[16:17] neg_lo:[0,0,1] neg_hi:[0,0,1]
	v_pk_fma_f32 v[16:17], v[110:111], v[60:61], v[16:17] op_sel_hi:[1,0,1]
	s_nop 0
	v_mov_b32_e32 v19, v17
	s_waitcnt vmcnt(3) lgkmcnt(2)
	v_pk_mul_f32 v[16:17], v[2:3], v[50:51] op_sel:[1,1] op_sel_hi:[0,1]
	v_pk_add_f32 v[14:15], v[14:15], v[18:19]
	v_pk_fma_f32 v[18:19], v[2:3], v[50:51], v[16:17] neg_lo:[0,0,1] neg_hi:[0,0,1]
	v_pk_fma_f32 v[2:3], v[2:3], v[50:51], v[16:17] op_sel_hi:[1,0,1]
	s_nop 0
	v_mov_b32_e32 v19, v3
	v_pk_add_f32 v[2:3], v[14:15], v[18:19]
	v_mov_b32_e32 v14, v53
	v_pk_mul_f32 v[14:15], v[4:5], v[14:15] op_sel:[1,0] op_sel_hi:[0,0]
	v_pk_fma_f32 v[16:17], v[4:5], v[52:53], v[14:15] neg_lo:[0,0,1] neg_hi:[0,0,1]
	v_pk_fma_f32 v[4:5], v[4:5], v[52:53], v[14:15] op_sel_hi:[1,0,1]
	s_nop 0
	v_mov_b32_e32 v17, v5
	s_waitcnt vmcnt(2) lgkmcnt(1)
	v_pk_mul_f32 v[4:5], v[6:7], v[38:39] op_sel:[1,1] op_sel_hi:[0,1]
	v_pk_fma_f32 v[14:15], v[6:7], v[38:39], v[4:5] neg_lo:[0,0,1] neg_hi:[0,0,1]
	v_pk_fma_f32 v[4:5], v[6:7], v[38:39], v[4:5] op_sel_hi:[1,0,1]
	v_pk_add_f32 v[2:3], v[2:3], v[16:17]
	v_mov_b32_e32 v4, v41
	v_mov_b32_e32 v15, v5
	v_pk_mul_f32 v[4:5], v[8:9], v[4:5] op_sel:[1,0] op_sel_hi:[0,0]
	v_pk_fma_f32 v[6:7], v[8:9], v[40:41], v[4:5] neg_lo:[0,0,1] neg_hi:[0,0,1]
	v_pk_fma_f32 v[4:5], v[8:9], v[40:41], v[4:5] op_sel_hi:[1,0,1]
	v_pk_add_f32 v[2:3], v[2:3], v[14:15]
	v_mov_b32_e32 v7, v5
	s_waitcnt vmcnt(1) lgkmcnt(0)
	v_pk_mul_f32 v[4:5], v[10:11], v[26:27] op_sel:[1,1] op_sel_hi:[0,1]
	v_pk_add_f32 v[2:3], v[2:3], v[6:7]
	v_pk_fma_f32 v[6:7], v[10:11], v[26:27], v[4:5] neg_lo:[0,0,1] neg_hi:[0,0,1]
	v_pk_fma_f32 v[4:5], v[10:11], v[26:27], v[4:5] op_sel_hi:[1,0,1]
	s_nop 0
	v_mov_b32_e32 v4, v29
	v_mov_b32_e32 v7, v5
	v_pk_mul_f32 v[4:5], v[12:13], v[4:5] op_sel:[1,0] op_sel_hi:[0,0]
	v_pk_add_f32 v[2:3], v[2:3], v[6:7]
	v_pk_fma_f32 v[6:7], v[12:13], v[28:29], v[4:5] neg_lo:[0,0,1] neg_hi:[0,0,1]
	v_pk_fma_f32 v[4:5], v[12:13], v[28:29], v[4:5] op_sel_hi:[1,0,1]
	s_nop 0
	v_mov_b32_e32 v7, v5
	v_pk_add_f32 v[2:3], v[2:3], v[6:7]
	s_waitcnt vmcnt(0)
	v_pk_add_f32 v[2:3], v[112:113], v[2:3] neg_lo:[0,1] neg_hi:[0,1]
	scratch_store_dwordx2 off, v[2:3], off offset:32
	s_and_saveexec_b64 s[0:1], vcc
	s_cbranch_execz .LBB98_217
; %bb.216:
	scratch_load_dwordx2 v[2:3], off, off offset:24
	v_mov_b32_e32 v4, 0
	v_mov_b32_e32 v5, v4
	scratch_store_dwordx2 off, v[4:5], off offset:24
	s_waitcnt vmcnt(1)
	ds_write_b64 v1, v[2:3]
.LBB98_217:
	s_or_b64 exec, exec, s[0:1]
	s_waitcnt lgkmcnt(0)
	; wave barrier
	scratch_load_dwordx4 v[2:5], off, off offset:32
	scratch_load_dwordx4 v[6:9], off, off offset:48
	scratch_load_dwordx4 v[10:13], off, off offset:64
	scratch_load_dwordx4 v[14:17], off, off offset:80
	scratch_load_dwordx4 v[18:21], off, off offset:96
	scratch_load_dwordx4 v[22:25], off, off offset:112
	scratch_load_dwordx4 v[30:33], off, off offset:128
	scratch_load_dwordx4 v[34:37], off, off offset:144
	scratch_load_dwordx4 v[42:45], off, off offset:160
	scratch_load_dwordx4 v[46:49], off, off offset:176
	scratch_load_dwordx4 v[58:61], off, off offset:192
	scratch_load_dwordx4 v[54:57], off, off offset:208
	scratch_load_dwordx4 v[50:53], off, off offset:224
	scratch_load_dwordx4 v[38:41], off, off offset:240
	scratch_load_dwordx4 v[26:29], off, off offset:256
	scratch_load_dwordx2 v[62:63], off, off offset:272
	scratch_load_dwordx2 v[112:113], off, off offset:24
	v_mov_b32_e32 v184, 0
	ds_read_b128 v[64:67], v184 offset:320
	ds_read_b128 v[68:71], v184 offset:336
	;; [unrolled: 1-line block ×12, first 2 shown]
	v_cmp_lt_u32_e32 vcc, 2, v0
	s_waitcnt vmcnt(16) lgkmcnt(11)
	v_mul_f32_e32 v185, v64, v3
	v_mul_f32_e32 v186, v66, v5
	;; [unrolled: 1-line block ×3, first 2 shown]
	v_fmac_f32_e32 v185, v65, v2
	s_waitcnt vmcnt(15) lgkmcnt(10)
	v_mul_f32_e32 v188, v68, v7
	v_fmac_f32_e32 v186, v67, v4
	v_fma_f32 v2, v64, v2, -v3
	v_add_f32_e32 v3, 0, v185
	v_mul_f32_e32 v190, v70, v9
	v_fmac_f32_e32 v188, v69, v6
	v_add_f32_e32 v3, v3, v186
	s_waitcnt vmcnt(14) lgkmcnt(9)
	v_mul_f32_e32 v191, v72, v11
	v_fmac_f32_e32 v190, v71, v8
	v_add_f32_e32 v3, v3, v188
	v_mul_f32_e32 v192, v74, v13
	v_fmac_f32_e32 v191, v73, v10
	v_add_f32_e32 v3, v3, v190
	s_waitcnt vmcnt(13) lgkmcnt(8)
	v_mul_f32_e32 v193, v76, v15
	v_fmac_f32_e32 v192, v75, v12
	;; [unrolled: 7-line block ×9, first 2 shown]
	v_add_f32_e32 v3, v3, v205
	v_mul_f32_e32 v5, v67, v5
	v_fmac_f32_e32 v207, v105, v58
	v_add_f32_e32 v3, v3, v206
	v_add_f32_e32 v2, 0, v2
	;; [unrolled: 1-line block ×3, first 2 shown]
	v_fma_f32 v3, v66, v4, -v5
	v_add_f32_e32 v2, v2, v3
	v_mul_f32_e32 v3, v69, v7
	v_fma_f32 v3, v68, v6, -v3
	v_add_f32_e32 v2, v2, v3
	v_mul_f32_e32 v3, v71, v9
	;; [unrolled: 3-line block ×20, first 2 shown]
	v_mul_f32_e32 v187, v106, v61
	v_fma_f32 v186, v106, v60, -v2
	s_waitcnt vmcnt(5) lgkmcnt(0)
	v_mul_f32_e32 v2, v109, v55
	v_mov_b32_e32 v18, v57
	v_mul_f32_e32 v189, v108, v55
	v_fmac_f32_e32 v187, v107, v60
	v_fma_f32 v188, v108, v54, -v2
	ds_read_b128 v[2:5], v184 offset:512
	ds_read_b128 v[6:9], v184 offset:528
	;; [unrolled: 1-line block ×3, first 2 shown]
	ds_read_b64 v[14:15], v184 offset:560
	v_pk_mul_f32 v[18:19], v[110:111], v[18:19] op_sel:[1,0] op_sel_hi:[0,0]
	v_fmac_f32_e32 v189, v109, v54
	v_pk_add_f32 v[16:17], v[64:65], v[186:187]
	v_pk_fma_f32 v[20:21], v[110:111], v[56:57], v[18:19] neg_lo:[0,0,1] neg_hi:[0,0,1]
	v_pk_fma_f32 v[18:19], v[110:111], v[56:57], v[18:19] op_sel_hi:[1,0,1]
	v_pk_add_f32 v[16:17], v[16:17], v[188:189]
	v_mov_b32_e32 v21, v19
	s_waitcnt vmcnt(4) lgkmcnt(3)
	v_pk_mul_f32 v[18:19], v[2:3], v[50:51] op_sel:[1,1] op_sel_hi:[0,1]
	v_pk_add_f32 v[16:17], v[16:17], v[20:21]
	v_pk_fma_f32 v[20:21], v[2:3], v[50:51], v[18:19] neg_lo:[0,0,1] neg_hi:[0,0,1]
	v_pk_fma_f32 v[2:3], v[2:3], v[50:51], v[18:19] op_sel_hi:[1,0,1]
	s_nop 0
	v_mov_b32_e32 v21, v3
	v_pk_add_f32 v[2:3], v[16:17], v[20:21]
	v_mov_b32_e32 v16, v53
	v_pk_mul_f32 v[16:17], v[4:5], v[16:17] op_sel:[1,0] op_sel_hi:[0,0]
	v_pk_fma_f32 v[18:19], v[4:5], v[52:53], v[16:17] neg_lo:[0,0,1] neg_hi:[0,0,1]
	v_pk_fma_f32 v[4:5], v[4:5], v[52:53], v[16:17] op_sel_hi:[1,0,1]
	s_nop 0
	v_mov_b32_e32 v19, v5
	s_waitcnt vmcnt(3) lgkmcnt(2)
	v_pk_mul_f32 v[4:5], v[6:7], v[38:39] op_sel:[1,1] op_sel_hi:[0,1]
	v_pk_fma_f32 v[16:17], v[6:7], v[38:39], v[4:5] neg_lo:[0,0,1] neg_hi:[0,0,1]
	v_pk_fma_f32 v[4:5], v[6:7], v[38:39], v[4:5] op_sel_hi:[1,0,1]
	v_pk_add_f32 v[2:3], v[2:3], v[18:19]
	v_mov_b32_e32 v4, v41
	v_mov_b32_e32 v17, v5
	v_pk_mul_f32 v[4:5], v[8:9], v[4:5] op_sel:[1,0] op_sel_hi:[0,0]
	v_pk_fma_f32 v[6:7], v[8:9], v[40:41], v[4:5] neg_lo:[0,0,1] neg_hi:[0,0,1]
	v_pk_fma_f32 v[4:5], v[8:9], v[40:41], v[4:5] op_sel_hi:[1,0,1]
	v_pk_add_f32 v[2:3], v[2:3], v[16:17]
	v_mov_b32_e32 v7, v5
	s_waitcnt vmcnt(2) lgkmcnt(1)
	v_pk_mul_f32 v[4:5], v[10:11], v[26:27] op_sel:[1,1] op_sel_hi:[0,1]
	v_pk_add_f32 v[2:3], v[2:3], v[6:7]
	v_pk_fma_f32 v[6:7], v[10:11], v[26:27], v[4:5] neg_lo:[0,0,1] neg_hi:[0,0,1]
	v_pk_fma_f32 v[4:5], v[10:11], v[26:27], v[4:5] op_sel_hi:[1,0,1]
	s_nop 0
	v_mov_b32_e32 v4, v29
	v_mov_b32_e32 v7, v5
	v_pk_mul_f32 v[4:5], v[12:13], v[4:5] op_sel:[1,0] op_sel_hi:[0,0]
	v_pk_add_f32 v[2:3], v[2:3], v[6:7]
	v_pk_fma_f32 v[6:7], v[12:13], v[28:29], v[4:5] neg_lo:[0,0,1] neg_hi:[0,0,1]
	v_pk_fma_f32 v[4:5], v[12:13], v[28:29], v[4:5] op_sel_hi:[1,0,1]
	s_nop 0
	v_mov_b32_e32 v7, v5
	s_waitcnt vmcnt(1) lgkmcnt(0)
	v_pk_mul_f32 v[4:5], v[14:15], v[62:63] op_sel:[1,1] op_sel_hi:[0,1]
	v_pk_add_f32 v[2:3], v[2:3], v[6:7]
	v_pk_fma_f32 v[6:7], v[14:15], v[62:63], v[4:5] neg_lo:[0,0,1] neg_hi:[0,0,1]
	v_pk_fma_f32 v[4:5], v[14:15], v[62:63], v[4:5] op_sel_hi:[1,0,1]
	s_nop 0
	v_mov_b32_e32 v7, v5
	v_pk_add_f32 v[2:3], v[2:3], v[6:7]
	s_waitcnt vmcnt(0)
	v_pk_add_f32 v[2:3], v[112:113], v[2:3] neg_lo:[0,1] neg_hi:[0,1]
	scratch_store_dwordx2 off, v[2:3], off offset:24
	s_and_saveexec_b64 s[0:1], vcc
	s_cbranch_execz .LBB98_219
; %bb.218:
	scratch_load_dwordx2 v[2:3], off, off offset:16
	v_mov_b32_e32 v185, v184
	scratch_store_dwordx2 off, v[184:185], off offset:16
	s_waitcnt vmcnt(1)
	ds_write_b64 v1, v[2:3]
.LBB98_219:
	s_or_b64 exec, exec, s[0:1]
	s_waitcnt lgkmcnt(0)
	; wave barrier
	scratch_load_dwordx4 v[2:5], off, off offset:24
	scratch_load_dwordx4 v[6:9], off, off offset:40
	;; [unrolled: 1-line block ×12, first 2 shown]
	ds_read2_b64 v[110:113], v184 offset0:39 offset1:40
	ds_read2_b64 v[106:109], v184 offset0:41 offset1:42
	;; [unrolled: 1-line block ×12, first 2 shown]
	scratch_load_dwordx4 v[62:65], off, off offset:216
	scratch_load_dwordx4 v[54:57], off, off offset:232
	;; [unrolled: 1-line block ×4, first 2 shown]
	scratch_load_dwordx2 v[186:187], off, off offset:16
	v_cmp_lt_u32_e32 vcc, 1, v0
	s_waitcnt vmcnt(16) lgkmcnt(11)
	v_mul_f32_e32 v185, v110, v3
	v_mul_f32_e32 v188, v112, v5
	;; [unrolled: 1-line block ×3, first 2 shown]
	v_fmac_f32_e32 v185, v111, v2
	s_waitcnt vmcnt(15) lgkmcnt(10)
	v_mul_f32_e32 v190, v106, v7
	v_fmac_f32_e32 v188, v113, v4
	v_fma_f32 v2, v110, v2, -v3
	v_add_f32_e32 v3, 0, v185
	v_mul_f32_e32 v192, v108, v9
	v_fmac_f32_e32 v190, v107, v6
	v_add_f32_e32 v3, v3, v188
	s_waitcnt vmcnt(14) lgkmcnt(9)
	v_mul_f32_e32 v193, v102, v11
	v_fmac_f32_e32 v192, v109, v8
	v_add_f32_e32 v3, v3, v190
	v_mul_f32_e32 v194, v104, v13
	v_fmac_f32_e32 v193, v103, v10
	v_add_f32_e32 v3, v3, v192
	s_waitcnt vmcnt(13) lgkmcnt(8)
	v_mul_f32_e32 v195, v98, v15
	v_fmac_f32_e32 v194, v105, v12
	;; [unrolled: 7-line block ×9, first 2 shown]
	v_add_f32_e32 v3, v3, v207
	v_mul_f32_e32 v210, v72, v53
	v_fmac_f32_e32 v209, v71, v50
	v_add_f32_e32 v3, v3, v208
	v_fmac_f32_e32 v210, v73, v52
	v_add_f32_e32 v3, v3, v209
	v_add_f32_e32 v111, v3, v210
	v_mul_f32_e32 v3, v113, v5
	v_add_f32_e32 v2, 0, v2
	v_fma_f32 v3, v112, v4, -v3
	v_add_f32_e32 v2, v2, v3
	v_mul_f32_e32 v3, v107, v7
	v_fma_f32 v3, v106, v6, -v3
	v_add_f32_e32 v2, v2, v3
	v_mul_f32_e32 v3, v109, v9
	;; [unrolled: 3-line block ×20, first 2 shown]
	v_fma_f32 v3, v72, v52, -v3
	v_add_f32_e32 v110, v2, v3
	s_waitcnt vmcnt(5) lgkmcnt(0)
	v_mul_f32_e32 v2, v67, v59
	v_fma_f32 v188, v66, v58, -v2
	v_mul_f32_e32 v2, v69, v61
	v_fma_f32 v190, v68, v60, -v2
	ds_read2_b64 v[2:5], v184 offset0:63 offset1:64
	ds_read2_b64 v[6:9], v184 offset0:65 offset1:66
	;; [unrolled: 1-line block ×4, first 2 shown]
	v_mul_f32_e32 v189, v66, v59
	v_mul_f32_e32 v191, v68, v61
	v_fmac_f32_e32 v189, v67, v58
	s_waitcnt vmcnt(4) lgkmcnt(3)
	v_pk_mul_f32 v[20:21], v[2:3], v[62:63] op_sel:[1,1] op_sel_hi:[0,1]
	v_fmac_f32_e32 v191, v69, v60
	v_pk_add_f32 v[18:19], v[110:111], v[188:189]
	v_pk_fma_f32 v[22:23], v[2:3], v[62:63], v[20:21] neg_lo:[0,0,1] neg_hi:[0,0,1]
	v_pk_fma_f32 v[2:3], v[2:3], v[62:63], v[20:21] op_sel_hi:[1,0,1]
	v_pk_add_f32 v[18:19], v[18:19], v[190:191]
	v_mov_b32_e32 v23, v3
	v_pk_add_f32 v[2:3], v[18:19], v[22:23]
	v_mov_b32_e32 v18, v65
	v_pk_mul_f32 v[18:19], v[4:5], v[18:19] op_sel:[1,0] op_sel_hi:[0,0]
	v_pk_fma_f32 v[20:21], v[4:5], v[64:65], v[18:19] neg_lo:[0,0,1] neg_hi:[0,0,1]
	v_pk_fma_f32 v[4:5], v[4:5], v[64:65], v[18:19] op_sel_hi:[1,0,1]
	s_nop 0
	v_mov_b32_e32 v21, v5
	s_waitcnt vmcnt(3) lgkmcnt(2)
	v_pk_mul_f32 v[4:5], v[6:7], v[54:55] op_sel:[1,1] op_sel_hi:[0,1]
	v_pk_fma_f32 v[18:19], v[6:7], v[54:55], v[4:5] neg_lo:[0,0,1] neg_hi:[0,0,1]
	v_pk_fma_f32 v[4:5], v[6:7], v[54:55], v[4:5] op_sel_hi:[1,0,1]
	v_pk_add_f32 v[2:3], v[2:3], v[20:21]
	v_mov_b32_e32 v4, v57
	v_mov_b32_e32 v19, v5
	v_pk_mul_f32 v[4:5], v[8:9], v[4:5] op_sel:[1,0] op_sel_hi:[0,0]
	v_pk_fma_f32 v[6:7], v[8:9], v[56:57], v[4:5] neg_lo:[0,0,1] neg_hi:[0,0,1]
	v_pk_fma_f32 v[4:5], v[8:9], v[56:57], v[4:5] op_sel_hi:[1,0,1]
	v_pk_add_f32 v[2:3], v[2:3], v[18:19]
	v_mov_b32_e32 v7, v5
	s_waitcnt vmcnt(2) lgkmcnt(1)
	v_pk_mul_f32 v[4:5], v[10:11], v[42:43] op_sel:[1,1] op_sel_hi:[0,1]
	v_pk_add_f32 v[2:3], v[2:3], v[6:7]
	v_pk_fma_f32 v[6:7], v[10:11], v[42:43], v[4:5] neg_lo:[0,0,1] neg_hi:[0,0,1]
	v_pk_fma_f32 v[4:5], v[10:11], v[42:43], v[4:5] op_sel_hi:[1,0,1]
	s_nop 0
	v_mov_b32_e32 v4, v45
	v_mov_b32_e32 v7, v5
	v_pk_mul_f32 v[4:5], v[12:13], v[4:5] op_sel:[1,0] op_sel_hi:[0,0]
	v_pk_add_f32 v[2:3], v[2:3], v[6:7]
	v_pk_fma_f32 v[6:7], v[12:13], v[44:45], v[4:5] neg_lo:[0,0,1] neg_hi:[0,0,1]
	v_pk_fma_f32 v[4:5], v[12:13], v[44:45], v[4:5] op_sel_hi:[1,0,1]
	s_nop 0
	v_mov_b32_e32 v7, v5
	s_waitcnt vmcnt(1) lgkmcnt(0)
	v_pk_mul_f32 v[4:5], v[14:15], v[34:35] op_sel:[1,1] op_sel_hi:[0,1]
	v_pk_add_f32 v[2:3], v[2:3], v[6:7]
	v_pk_fma_f32 v[6:7], v[14:15], v[34:35], v[4:5] neg_lo:[0,0,1] neg_hi:[0,0,1]
	v_pk_fma_f32 v[4:5], v[14:15], v[34:35], v[4:5] op_sel_hi:[1,0,1]
	s_nop 0
	v_mov_b32_e32 v4, v37
	v_mov_b32_e32 v7, v5
	v_pk_mul_f32 v[4:5], v[16:17], v[4:5] op_sel:[1,0] op_sel_hi:[0,0]
	v_pk_add_f32 v[2:3], v[2:3], v[6:7]
	v_pk_fma_f32 v[6:7], v[16:17], v[36:37], v[4:5] neg_lo:[0,0,1] neg_hi:[0,0,1]
	v_pk_fma_f32 v[4:5], v[16:17], v[36:37], v[4:5] op_sel_hi:[1,0,1]
	s_nop 0
	v_mov_b32_e32 v7, v5
	v_pk_add_f32 v[2:3], v[2:3], v[6:7]
	s_waitcnt vmcnt(0)
	v_pk_add_f32 v[2:3], v[186:187], v[2:3] neg_lo:[0,1] neg_hi:[0,1]
	scratch_store_dwordx2 off, v[2:3], off offset:16
	s_and_saveexec_b64 s[0:1], vcc
	s_cbranch_execz .LBB98_221
; %bb.220:
	scratch_load_dwordx2 v[2:3], off, off offset:8
	v_mov_b32_e32 v4, 0
	v_mov_b32_e32 v5, v4
	scratch_store_dwordx2 off, v[4:5], off offset:8
	s_waitcnt vmcnt(1)
	ds_write_b64 v1, v[2:3]
.LBB98_221:
	s_or_b64 exec, exec, s[0:1]
	s_waitcnt lgkmcnt(0)
	; wave barrier
	scratch_load_dwordx4 v[2:5], off, off offset:16
	scratch_load_dwordx4 v[6:9], off, off offset:32
	;; [unrolled: 1-line block ×13, first 2 shown]
	v_mov_b32_e32 v104, 0
	scratch_load_dwordx2 v[102:103], off, off offset:8
	ds_read_b128 v[54:57], v104 offset:304
	ds_read_b128 v[58:61], v104 offset:320
	ds_read_b128 v[62:65], v104 offset:336
	ds_read_b128 v[66:69], v104 offset:352
	ds_read_b128 v[70:73], v104 offset:368
	ds_read_b128 v[74:77], v104 offset:384
	ds_read_b128 v[78:81], v104 offset:400
	ds_read_b128 v[82:85], v104 offset:416
	ds_read_b128 v[86:89], v104 offset:432
	ds_read_b128 v[90:93], v104 offset:448
	ds_read_b128 v[94:97], v104 offset:464
	ds_read_b128 v[98:101], v104 offset:480
	ds_read_b128 v[106:109], v104 offset:496
	ds_read_b128 v[110:113], v104 offset:512
	v_cmp_ne_u32_e32 vcc, 0, v0
	s_waitcnt vmcnt(13) lgkmcnt(13)
	v_mul_f32_e32 v105, v54, v3
	v_mul_f32_e32 v184, v56, v5
	v_fmac_f32_e32 v105, v55, v2
	s_waitcnt vmcnt(12) lgkmcnt(12)
	v_mul_f32_e32 v185, v58, v7
	v_fmac_f32_e32 v184, v57, v4
	v_add_f32_e32 v105, 0, v105
	v_mul_f32_e32 v186, v60, v9
	v_fmac_f32_e32 v185, v59, v6
	v_add_f32_e32 v105, v105, v184
	s_waitcnt vmcnt(11) lgkmcnt(11)
	v_mul_f32_e32 v187, v62, v11
	v_fmac_f32_e32 v186, v61, v8
	v_add_f32_e32 v105, v105, v185
	v_mul_f32_e32 v188, v64, v13
	v_fmac_f32_e32 v187, v63, v10
	v_add_f32_e32 v105, v105, v186
	s_waitcnt vmcnt(10) lgkmcnt(10)
	v_mul_f32_e32 v189, v66, v15
	v_fmac_f32_e32 v188, v65, v12
	v_add_f32_e32 v105, v105, v187
	v_mul_f32_e32 v190, v68, v17
	v_fmac_f32_e32 v189, v67, v14
	v_add_f32_e32 v105, v105, v188
	s_waitcnt vmcnt(9) lgkmcnt(9)
	v_mul_f32_e32 v191, v70, v19
	v_fmac_f32_e32 v190, v69, v16
	v_add_f32_e32 v105, v105, v189
	v_mul_f32_e32 v192, v72, v21
	v_fmac_f32_e32 v191, v71, v18
	v_add_f32_e32 v105, v105, v190
	s_waitcnt vmcnt(8) lgkmcnt(8)
	v_mul_f32_e32 v193, v74, v23
	v_fmac_f32_e32 v192, v73, v20
	v_add_f32_e32 v105, v105, v191
	v_mul_f32_e32 v194, v76, v25
	v_fmac_f32_e32 v193, v75, v22
	v_add_f32_e32 v105, v105, v192
	s_waitcnt vmcnt(7) lgkmcnt(7)
	v_mul_f32_e32 v195, v78, v27
	v_fmac_f32_e32 v194, v77, v24
	v_add_f32_e32 v105, v105, v193
	v_mul_f32_e32 v196, v80, v29
	v_fmac_f32_e32 v195, v79, v26
	v_add_f32_e32 v105, v105, v194
	s_waitcnt vmcnt(6) lgkmcnt(6)
	v_mul_f32_e32 v198, v82, v31
	v_fmac_f32_e32 v196, v81, v28
	v_add_f32_e32 v105, v105, v195
	v_mul_f32_e32 v200, v84, v33
	v_fmac_f32_e32 v198, v83, v30
	v_add_f32_e32 v105, v105, v196
	s_waitcnt vmcnt(5) lgkmcnt(5)
	v_mul_f32_e32 v201, v86, v35
	v_fmac_f32_e32 v200, v85, v32
	v_add_f32_e32 v105, v105, v198
	v_mul_f32_e32 v202, v88, v37
	v_fmac_f32_e32 v201, v87, v34
	v_add_f32_e32 v105, v105, v200
	s_waitcnt vmcnt(4) lgkmcnt(4)
	v_mul_f32_e32 v203, v90, v39
	v_fmac_f32_e32 v202, v89, v36
	v_add_f32_e32 v105, v105, v201
	v_fmac_f32_e32 v203, v91, v38
	v_add_f32_e32 v105, v105, v202
	v_add_f32_e32 v105, v105, v203
	scratch_load_dwordx4 v[184:187], off, off offset:224
	scratch_load_dwordx4 v[188:191], off, off offset:240
	;; [unrolled: 1-line block ×3, first 2 shown]
	scratch_load_dwordx2 v[202:203], off, off offset:272
	v_mul_f32_e32 v3, v55, v3
	v_fma_f32 v2, v54, v2, -v3
	v_mul_f32_e32 v3, v57, v5
	v_add_f32_e32 v2, 0, v2
	v_fma_f32 v3, v56, v4, -v3
	v_add_f32_e32 v2, v2, v3
	v_mul_f32_e32 v3, v59, v7
	v_fma_f32 v3, v58, v6, -v3
	v_add_f32_e32 v2, v2, v3
	v_mul_f32_e32 v3, v61, v9
	;; [unrolled: 3-line block ×18, first 2 shown]
	v_fma_f32 v3, v92, v40, -v3
	v_add_f32_e32 v2, v2, v3
	s_waitcnt vmcnt(7) lgkmcnt(3)
	v_mul_f32_e32 v3, v95, v43
	v_fma_f32 v3, v94, v42, -v3
	v_mul_f32_e32 v204, v92, v41
	v_add_f32_e32 v2, v2, v3
	v_mul_f32_e32 v3, v97, v45
	v_mul_f32_e32 v205, v94, v43
	v_fmac_f32_e32 v204, v93, v40
	v_fma_f32 v3, v96, v44, -v3
	v_mul_f32_e32 v206, v96, v45
	v_fmac_f32_e32 v205, v95, v42
	v_add_f32_e32 v105, v105, v204
	v_add_f32_e32 v2, v2, v3
	s_waitcnt vmcnt(6) lgkmcnt(2)
	v_mul_f32_e32 v3, v99, v47
	v_mul_f32_e32 v207, v98, v47
	v_fmac_f32_e32 v206, v97, v44
	v_add_f32_e32 v105, v105, v205
	v_fma_f32 v3, v98, v46, -v3
	v_mul_f32_e32 v197, v100, v49
	v_fmac_f32_e32 v207, v99, v46
	v_add_f32_e32 v105, v105, v206
	v_add_f32_e32 v200, v2, v3
	v_mul_f32_e32 v2, v101, v49
	s_waitcnt vmcnt(5)
	v_mov_b32_e32 v14, v53
	s_waitcnt lgkmcnt(1)
	v_mul_f32_e32 v199, v106, v51
	v_fmac_f32_e32 v197, v101, v48
	v_add_f32_e32 v201, v105, v207
	v_fma_f32 v196, v100, v48, -v2
	v_mul_f32_e32 v2, v107, v51
	v_pk_mul_f32 v[14:15], v[108:109], v[14:15] op_sel:[1,0] op_sel_hi:[0,0]
	v_fmac_f32_e32 v199, v107, v50
	v_fma_f32 v198, v106, v50, -v2
	v_pk_add_f32 v[12:13], v[200:201], v[196:197]
	v_pk_fma_f32 v[16:17], v[108:109], v[52:53], v[14:15] neg_lo:[0,0,1] neg_hi:[0,0,1]
	v_pk_fma_f32 v[14:15], v[108:109], v[52:53], v[14:15] op_sel_hi:[1,0,1]
	v_pk_add_f32 v[12:13], v[12:13], v[198:199]
	v_mov_b32_e32 v17, v15
	s_waitcnt vmcnt(3) lgkmcnt(0)
	v_pk_mul_f32 v[14:15], v[110:111], v[184:185] op_sel:[1,1] op_sel_hi:[0,1]
	v_pk_add_f32 v[12:13], v[12:13], v[16:17]
	v_pk_fma_f32 v[16:17], v[110:111], v[184:185], v[14:15] neg_lo:[0,0,1] neg_hi:[0,0,1]
	v_pk_fma_f32 v[14:15], v[110:111], v[184:185], v[14:15] op_sel_hi:[1,0,1]
	ds_read_b128 v[2:5], v104 offset:528
	ds_read_b128 v[6:9], v104 offset:544
	ds_read_b64 v[10:11], v104 offset:560
	v_mov_b32_e32 v14, v187
	v_mov_b32_e32 v17, v15
	v_pk_mul_f32 v[14:15], v[112:113], v[14:15] op_sel:[1,0] op_sel_hi:[0,0]
	v_pk_add_f32 v[12:13], v[12:13], v[16:17]
	v_pk_fma_f32 v[16:17], v[112:113], v[186:187], v[14:15] neg_lo:[0,0,1] neg_hi:[0,0,1]
	v_pk_fma_f32 v[14:15], v[112:113], v[186:187], v[14:15] op_sel_hi:[1,0,1]
	s_nop 0
	v_mov_b32_e32 v17, v15
	s_waitcnt vmcnt(2) lgkmcnt(2)
	v_pk_mul_f32 v[14:15], v[2:3], v[188:189] op_sel:[1,1] op_sel_hi:[0,1]
	v_pk_add_f32 v[12:13], v[12:13], v[16:17]
	v_pk_fma_f32 v[16:17], v[2:3], v[188:189], v[14:15] neg_lo:[0,0,1] neg_hi:[0,0,1]
	v_pk_fma_f32 v[2:3], v[2:3], v[188:189], v[14:15] op_sel_hi:[1,0,1]
	s_nop 0
	v_mov_b32_e32 v17, v3
	v_pk_add_f32 v[2:3], v[12:13], v[16:17]
	v_mov_b32_e32 v12, v191
	v_pk_mul_f32 v[12:13], v[4:5], v[12:13] op_sel:[1,0] op_sel_hi:[0,0]
	v_pk_fma_f32 v[14:15], v[4:5], v[190:191], v[12:13] neg_lo:[0,0,1] neg_hi:[0,0,1]
	v_pk_fma_f32 v[4:5], v[4:5], v[190:191], v[12:13] op_sel_hi:[1,0,1]
	s_nop 0
	v_mov_b32_e32 v15, v5
	s_waitcnt vmcnt(1) lgkmcnt(1)
	v_pk_mul_f32 v[4:5], v[6:7], v[192:193] op_sel:[1,1] op_sel_hi:[0,1]
	v_pk_fma_f32 v[12:13], v[6:7], v[192:193], v[4:5] neg_lo:[0,0,1] neg_hi:[0,0,1]
	v_pk_fma_f32 v[4:5], v[6:7], v[192:193], v[4:5] op_sel_hi:[1,0,1]
	v_pk_add_f32 v[2:3], v[2:3], v[14:15]
	v_mov_b32_e32 v4, v195
	v_mov_b32_e32 v13, v5
	v_pk_mul_f32 v[4:5], v[8:9], v[4:5] op_sel:[1,0] op_sel_hi:[0,0]
	v_pk_fma_f32 v[6:7], v[8:9], v[194:195], v[4:5] neg_lo:[0,0,1] neg_hi:[0,0,1]
	v_pk_fma_f32 v[4:5], v[8:9], v[194:195], v[4:5] op_sel_hi:[1,0,1]
	v_pk_add_f32 v[2:3], v[2:3], v[12:13]
	v_mov_b32_e32 v7, v5
	s_waitcnt vmcnt(0) lgkmcnt(0)
	v_pk_mul_f32 v[4:5], v[10:11], v[202:203] op_sel:[1,1] op_sel_hi:[0,1]
	v_pk_add_f32 v[2:3], v[2:3], v[6:7]
	v_pk_fma_f32 v[6:7], v[10:11], v[202:203], v[4:5] neg_lo:[0,0,1] neg_hi:[0,0,1]
	v_pk_fma_f32 v[4:5], v[10:11], v[202:203], v[4:5] op_sel_hi:[1,0,1]
	s_nop 0
	v_mov_b32_e32 v7, v5
	v_pk_add_f32 v[2:3], v[2:3], v[6:7]
	s_nop 0
	v_pk_add_f32 v[2:3], v[102:103], v[2:3] neg_lo:[0,1] neg_hi:[0,1]
	scratch_store_dwordx2 off, v[2:3], off offset:8
	s_and_saveexec_b64 s[0:1], vcc
	s_cbranch_execz .LBB98_223
; %bb.222:
	scratch_load_dwordx2 v[2:3], off, off
	v_mov_b32_e32 v105, v104
	scratch_store_dwordx2 off, v[104:105], off
	s_waitcnt vmcnt(1)
	ds_write_b64 v1, v[2:3]
.LBB98_223:
	s_or_b64 exec, exec, s[0:1]
	s_waitcnt lgkmcnt(0)
	; wave barrier
	scratch_load_dwordx4 v[0:3], off, off offset:8
	scratch_load_dwordx4 v[4:7], off, off offset:24
	scratch_load_dwordx4 v[8:11], off, off offset:40
	scratch_load_dwordx4 v[12:15], off, off offset:56
	scratch_load_dwordx4 v[16:19], off, off offset:72
	scratch_load_dwordx4 v[20:23], off, off offset:88
	scratch_load_dwordx4 v[24:27], off, off offset:104
	scratch_load_dwordx4 v[28:31], off, off offset:120
	scratch_load_dwordx4 v[32:35], off, off offset:136
	scratch_load_dwordx4 v[36:39], off, off offset:152
	scratch_load_dwordx4 v[40:43], off, off offset:168
	scratch_load_dwordx4 v[44:47], off, off offset:184
	scratch_load_dwordx4 v[48:51], off, off offset:200
	ds_read2_b64 v[100:103], v104 offset0:37 offset1:38
	ds_read2_b64 v[96:99], v104 offset0:39 offset1:40
	;; [unrolled: 1-line block ×14, first 2 shown]
	scratch_load_dwordx2 v[196:197], off, off
	s_and_b64 vcc, exec, s[10:11]
	s_waitcnt vmcnt(13) lgkmcnt(13)
	v_mul_f32_e32 v105, v100, v1
	v_mul_f32_e32 v110, v102, v3
	v_fmac_f32_e32 v105, v101, v0
	s_waitcnt vmcnt(12) lgkmcnt(12)
	v_mul_f32_e32 v111, v96, v5
	v_fmac_f32_e32 v110, v103, v2
	v_add_f32_e32 v105, 0, v105
	v_mul_f32_e32 v112, v98, v7
	v_fmac_f32_e32 v111, v97, v4
	v_add_f32_e32 v105, v105, v110
	s_waitcnt vmcnt(11) lgkmcnt(11)
	v_mul_f32_e32 v113, v92, v9
	v_fmac_f32_e32 v112, v99, v6
	v_add_f32_e32 v105, v105, v111
	v_mul_f32_e32 v184, v94, v11
	v_fmac_f32_e32 v113, v93, v8
	v_add_f32_e32 v105, v105, v112
	;; [unrolled: 7-line block ×7, first 2 shown]
	s_waitcnt vmcnt(5) lgkmcnt(5)
	v_mul_f32_e32 v195, v68, v33
	v_fmac_f32_e32 v194, v75, v30
	v_add_f32_e32 v105, v105, v193
	v_fmac_f32_e32 v195, v69, v32
	v_add_f32_e32 v105, v105, v194
	v_add_f32_e32 v105, v105, v195
	scratch_load_dwordx4 v[110:113], off, off offset:216
	scratch_load_dwordx4 v[184:187], off, off offset:232
	;; [unrolled: 1-line block ×4, first 2 shown]
	v_mul_f32_e32 v1, v101, v1
	v_fma_f32 v0, v100, v0, -v1
	v_mul_f32_e32 v1, v103, v3
	v_add_f32_e32 v0, 0, v0
	v_fma_f32 v1, v102, v2, -v1
	v_add_f32_e32 v0, v0, v1
	v_mul_f32_e32 v1, v97, v5
	v_fma_f32 v1, v96, v4, -v1
	v_add_f32_e32 v0, v0, v1
	v_mul_f32_e32 v1, v99, v7
	;; [unrolled: 3-line block ×16, first 2 shown]
	v_fma_f32 v1, v70, v34, -v1
	v_add_f32_e32 v0, v0, v1
	s_waitcnt vmcnt(8) lgkmcnt(4)
	v_mul_f32_e32 v1, v65, v37
	v_fma_f32 v1, v64, v36, -v1
	v_add_f32_e32 v0, v0, v1
	v_mul_f32_e32 v1, v67, v39
	v_fma_f32 v1, v66, v38, -v1
	v_add_f32_e32 v0, v0, v1
	s_waitcnt vmcnt(7) lgkmcnt(3)
	v_mul_f32_e32 v1, v61, v41
	v_mul_f32_e32 v198, v70, v35
	v_fma_f32 v1, v60, v40, -v1
	v_mul_f32_e32 v200, v64, v37
	v_fmac_f32_e32 v198, v71, v34
	v_add_f32_e32 v0, v0, v1
	v_mul_f32_e32 v1, v63, v43
	v_mul_f32_e32 v202, v66, v39
	v_fmac_f32_e32 v200, v65, v36
	v_add_f32_e32 v105, v105, v198
	v_fma_f32 v1, v62, v42, -v1
	v_mul_f32_e32 v203, v60, v41
	v_fmac_f32_e32 v202, v67, v38
	v_add_f32_e32 v105, v105, v200
	v_add_f32_e32 v0, v0, v1
	s_waitcnt vmcnt(6) lgkmcnt(2)
	v_mul_f32_e32 v1, v57, v45
	v_mul_f32_e32 v204, v62, v43
	v_fmac_f32_e32 v203, v61, v40
	v_add_f32_e32 v105, v105, v202
	v_fma_f32 v1, v56, v44, -v1
	v_mul_f32_e32 v205, v56, v45
	v_fmac_f32_e32 v204, v63, v42
	v_add_f32_e32 v105, v105, v203
	v_add_f32_e32 v0, v0, v1
	v_mul_f32_e32 v1, v59, v47
	v_mul_f32_e32 v206, v58, v47
	v_fmac_f32_e32 v205, v57, v44
	v_add_f32_e32 v105, v105, v204
	v_fma_f32 v1, v58, v46, -v1
	s_waitcnt vmcnt(5) lgkmcnt(1)
	v_mul_f32_e32 v199, v52, v49
	v_fmac_f32_e32 v206, v59, v46
	v_add_f32_e32 v105, v105, v205
	v_add_f32_e32 v202, v0, v1
	v_mul_f32_e32 v0, v53, v49
	s_waitcnt vmcnt(3) lgkmcnt(0)
	v_pk_mul_f32 v[14:15], v[106:107], v[110:111] op_sel:[1,1] op_sel_hi:[0,1]
	v_mul_f32_e32 v201, v54, v51
	v_fmac_f32_e32 v199, v53, v48
	v_add_f32_e32 v203, v105, v206
	v_fma_f32 v198, v52, v48, -v0
	v_mul_f32_e32 v0, v55, v51
	v_pk_fma_f32 v[16:17], v[106:107], v[110:111], v[14:15] neg_lo:[0,0,1] neg_hi:[0,0,1]
	v_pk_fma_f32 v[14:15], v[106:107], v[110:111], v[14:15] op_sel_hi:[1,0,1]
	v_fmac_f32_e32 v201, v55, v50
	v_fma_f32 v200, v54, v50, -v0
	ds_read2_b64 v[0:3], v104 offset0:65 offset1:66
	ds_read2_b64 v[4:7], v104 offset0:67 offset1:68
	;; [unrolled: 1-line block ×3, first 2 shown]
	v_pk_add_f32 v[12:13], v[202:203], v[198:199]
	v_mov_b32_e32 v14, v113
	v_pk_add_f32 v[12:13], v[12:13], v[200:201]
	v_mov_b32_e32 v17, v15
	v_pk_mul_f32 v[14:15], v[108:109], v[14:15] op_sel:[1,0] op_sel_hi:[0,0]
	v_pk_add_f32 v[12:13], v[12:13], v[16:17]
	v_pk_fma_f32 v[16:17], v[108:109], v[112:113], v[14:15] neg_lo:[0,0,1] neg_hi:[0,0,1]
	v_pk_fma_f32 v[14:15], v[108:109], v[112:113], v[14:15] op_sel_hi:[1,0,1]
	s_nop 0
	v_mov_b32_e32 v17, v15
	s_waitcnt vmcnt(2) lgkmcnt(2)
	v_pk_mul_f32 v[14:15], v[0:1], v[184:185] op_sel:[1,1] op_sel_hi:[0,1]
	v_pk_add_f32 v[12:13], v[12:13], v[16:17]
	v_pk_fma_f32 v[16:17], v[0:1], v[184:185], v[14:15] neg_lo:[0,0,1] neg_hi:[0,0,1]
	v_pk_fma_f32 v[0:1], v[0:1], v[184:185], v[14:15] op_sel_hi:[1,0,1]
	s_nop 0
	v_mov_b32_e32 v17, v1
	v_pk_add_f32 v[0:1], v[12:13], v[16:17]
	v_mov_b32_e32 v12, v187
	v_pk_mul_f32 v[12:13], v[2:3], v[12:13] op_sel:[1,0] op_sel_hi:[0,0]
	v_pk_fma_f32 v[14:15], v[2:3], v[186:187], v[12:13] neg_lo:[0,0,1] neg_hi:[0,0,1]
	v_pk_fma_f32 v[2:3], v[2:3], v[186:187], v[12:13] op_sel_hi:[1,0,1]
	s_nop 0
	v_mov_b32_e32 v15, v3
	s_waitcnt vmcnt(1) lgkmcnt(1)
	v_pk_mul_f32 v[2:3], v[4:5], v[188:189] op_sel:[1,1] op_sel_hi:[0,1]
	v_pk_fma_f32 v[12:13], v[4:5], v[188:189], v[2:3] neg_lo:[0,0,1] neg_hi:[0,0,1]
	v_pk_fma_f32 v[2:3], v[4:5], v[188:189], v[2:3] op_sel_hi:[1,0,1]
	v_pk_add_f32 v[0:1], v[0:1], v[14:15]
	v_mov_b32_e32 v2, v191
	v_mov_b32_e32 v13, v3
	v_pk_mul_f32 v[2:3], v[6:7], v[2:3] op_sel:[1,0] op_sel_hi:[0,0]
	v_pk_fma_f32 v[4:5], v[6:7], v[190:191], v[2:3] neg_lo:[0,0,1] neg_hi:[0,0,1]
	v_pk_fma_f32 v[2:3], v[6:7], v[190:191], v[2:3] op_sel_hi:[1,0,1]
	v_pk_add_f32 v[0:1], v[0:1], v[12:13]
	v_mov_b32_e32 v5, v3
	s_waitcnt vmcnt(0) lgkmcnt(0)
	v_pk_mul_f32 v[2:3], v[8:9], v[192:193] op_sel:[1,1] op_sel_hi:[0,1]
	v_pk_add_f32 v[0:1], v[0:1], v[4:5]
	v_pk_fma_f32 v[4:5], v[8:9], v[192:193], v[2:3] neg_lo:[0,0,1] neg_hi:[0,0,1]
	v_pk_fma_f32 v[2:3], v[8:9], v[192:193], v[2:3] op_sel_hi:[1,0,1]
	s_nop 0
	v_mov_b32_e32 v2, v195
	v_mov_b32_e32 v5, v3
	v_pk_mul_f32 v[2:3], v[10:11], v[2:3] op_sel:[1,0] op_sel_hi:[0,0]
	v_pk_add_f32 v[0:1], v[0:1], v[4:5]
	v_pk_fma_f32 v[4:5], v[10:11], v[194:195], v[2:3] neg_lo:[0,0,1] neg_hi:[0,0,1]
	v_pk_fma_f32 v[2:3], v[10:11], v[194:195], v[2:3] op_sel_hi:[1,0,1]
	s_nop 0
	v_mov_b32_e32 v5, v3
	v_pk_add_f32 v[0:1], v[0:1], v[4:5]
	s_nop 0
	v_pk_add_f32 v[0:1], v[196:197], v[0:1] neg_lo:[0,1] neg_hi:[0,1]
	scratch_store_dwordx2 off, v[0:1], off
	s_cbranch_vccz .LBB98_292
; %bb.224:
	v_mov_b32_e32 v0, 0
	global_load_dword v1, v0, s[8:9] offset:132
	s_waitcnt vmcnt(0)
	v_readfirstlane_b32 s0, v1
	s_add_i32 s0, s0, -1
	s_cmp_lg_u32 s0, 33
	s_cbranch_scc0 .LBB98_226
; %bb.225:
	s_lshl_b32 s0, s0, 3
	s_nop 0
	scratch_load_dwordx2 v[2:3], off, s0
	scratch_load_dwordx2 v[4:5], off, off offset:264
	s_waitcnt vmcnt(1)
	scratch_store_dwordx2 off, v[2:3], off offset:264
	s_waitcnt vmcnt(1)
	scratch_store_dwordx2 off, v[4:5], s0
.LBB98_226:
	global_load_dword v0, v0, s[8:9] offset:128
	s_waitcnt vmcnt(0)
	v_readfirstlane_b32 s0, v0
	s_add_i32 s0, s0, -1
	s_cmp_eq_u32 s0, 32
	s_cbranch_scc1 .LBB98_228
; %bb.227:
	s_lshl_b32 s0, s0, 3
	s_nop 0
	scratch_load_dwordx2 v[0:1], off, s0
	scratch_load_dwordx2 v[2:3], off, off offset:256
	s_waitcnt vmcnt(1)
	scratch_store_dwordx2 off, v[0:1], off offset:256
	s_waitcnt vmcnt(1)
	scratch_store_dwordx2 off, v[2:3], s0
.LBB98_228:
	v_mov_b32_e32 v0, 0
	global_load_dword v1, v0, s[8:9] offset:124
	s_waitcnt vmcnt(0)
	v_readfirstlane_b32 s0, v1
	s_add_i32 s0, s0, -1
	s_cmp_eq_u32 s0, 31
	s_cbranch_scc1 .LBB98_230
; %bb.229:
	s_lshl_b32 s0, s0, 3
	s_nop 0
	scratch_load_dwordx2 v[2:3], off, s0
	scratch_load_dwordx2 v[4:5], off, off offset:248
	s_waitcnt vmcnt(1)
	scratch_store_dwordx2 off, v[2:3], off offset:248
	s_waitcnt vmcnt(1)
	scratch_store_dwordx2 off, v[4:5], s0
.LBB98_230:
	global_load_dword v0, v0, s[8:9] offset:120
	s_waitcnt vmcnt(0)
	v_readfirstlane_b32 s0, v0
	s_add_i32 s0, s0, -1
	s_cmp_eq_u32 s0, 30
	s_cbranch_scc1 .LBB98_232
; %bb.231:
	s_lshl_b32 s0, s0, 3
	s_nop 0
	scratch_load_dwordx2 v[0:1], off, s0
	scratch_load_dwordx2 v[2:3], off, off offset:240
	s_waitcnt vmcnt(1)
	scratch_store_dwordx2 off, v[0:1], off offset:240
	s_waitcnt vmcnt(1)
	scratch_store_dwordx2 off, v[2:3], s0
.LBB98_232:
	v_mov_b32_e32 v0, 0
	global_load_dword v1, v0, s[8:9] offset:116
	s_waitcnt vmcnt(0)
	v_readfirstlane_b32 s0, v1
	s_add_i32 s0, s0, -1
	s_cmp_eq_u32 s0, 29
	s_cbranch_scc1 .LBB98_234
; %bb.233:
	s_lshl_b32 s0, s0, 3
	s_nop 0
	scratch_load_dwordx2 v[2:3], off, s0
	scratch_load_dwordx2 v[4:5], off, off offset:232
	s_waitcnt vmcnt(1)
	scratch_store_dwordx2 off, v[2:3], off offset:232
	s_waitcnt vmcnt(1)
	scratch_store_dwordx2 off, v[4:5], s0
.LBB98_234:
	;; [unrolled: 33-line block ×16, first 2 shown]
	global_load_dword v2, v0, s[8:9]
	s_nop 0
	scratch_load_dwordx2 v[0:1], off, off
	s_waitcnt vmcnt(1)
	v_readfirstlane_b32 s0, v2
	s_add_i32 s0, s0, -1
	s_cmp_eq_u32 s0, 0
	s_cbranch_scc1 .LBB98_292
; %bb.291:
	s_lshl_b32 s0, s0, 3
	s_nop 0
	scratch_load_dwordx2 v[2:3], off, s0
	s_waitcnt vmcnt(0)
	scratch_store_dwordx2 off, v[2:3], off
	scratch_store_dwordx2 off, v[0:1], s0
	scratch_load_dwordx2 v[0:1], off, off
.LBB98_292:
	s_waitcnt vmcnt(0)
	flat_store_dwordx2 v[114:115], v[0:1]
	scratch_load_dwordx2 v[0:1], off, off offset:8
	s_waitcnt vmcnt(0)
	flat_store_dwordx2 v[116:117], v[0:1]
	scratch_load_dwordx2 v[0:1], off, off offset:16
	;; [unrolled: 3-line block ×34, first 2 shown]
	s_waitcnt vmcnt(0)
	flat_store_dwordx2 v[182:183], v[0:1]
	s_endpgm
	.section	.rodata,"a",@progbits
	.p2align	6, 0x0
	.amdhsa_kernel _ZN9rocsolver6v33100L18getri_kernel_smallILi35E19rocblas_complex_numIfEPKPS3_EEvT1_iilPiilS8_bb
		.amdhsa_group_segment_fixed_size 568
		.amdhsa_private_segment_fixed_size 288
		.amdhsa_kernarg_size 60
		.amdhsa_user_sgpr_count 2
		.amdhsa_user_sgpr_dispatch_ptr 0
		.amdhsa_user_sgpr_queue_ptr 0
		.amdhsa_user_sgpr_kernarg_segment_ptr 1
		.amdhsa_user_sgpr_dispatch_id 0
		.amdhsa_user_sgpr_kernarg_preload_length 0
		.amdhsa_user_sgpr_kernarg_preload_offset 0
		.amdhsa_user_sgpr_private_segment_size 0
		.amdhsa_uses_dynamic_stack 0
		.amdhsa_enable_private_segment 1
		.amdhsa_system_sgpr_workgroup_id_x 1
		.amdhsa_system_sgpr_workgroup_id_y 0
		.amdhsa_system_sgpr_workgroup_id_z 0
		.amdhsa_system_sgpr_workgroup_info 0
		.amdhsa_system_vgpr_workitem_id 0
		.amdhsa_next_free_vgpr 211
		.amdhsa_next_free_sgpr 17
		.amdhsa_accum_offset 212
		.amdhsa_reserve_vcc 1
		.amdhsa_float_round_mode_32 0
		.amdhsa_float_round_mode_16_64 0
		.amdhsa_float_denorm_mode_32 3
		.amdhsa_float_denorm_mode_16_64 3
		.amdhsa_dx10_clamp 1
		.amdhsa_ieee_mode 1
		.amdhsa_fp16_overflow 0
		.amdhsa_tg_split 0
		.amdhsa_exception_fp_ieee_invalid_op 0
		.amdhsa_exception_fp_denorm_src 0
		.amdhsa_exception_fp_ieee_div_zero 0
		.amdhsa_exception_fp_ieee_overflow 0
		.amdhsa_exception_fp_ieee_underflow 0
		.amdhsa_exception_fp_ieee_inexact 0
		.amdhsa_exception_int_div_zero 0
	.end_amdhsa_kernel
	.section	.text._ZN9rocsolver6v33100L18getri_kernel_smallILi35E19rocblas_complex_numIfEPKPS3_EEvT1_iilPiilS8_bb,"axG",@progbits,_ZN9rocsolver6v33100L18getri_kernel_smallILi35E19rocblas_complex_numIfEPKPS3_EEvT1_iilPiilS8_bb,comdat
.Lfunc_end98:
	.size	_ZN9rocsolver6v33100L18getri_kernel_smallILi35E19rocblas_complex_numIfEPKPS3_EEvT1_iilPiilS8_bb, .Lfunc_end98-_ZN9rocsolver6v33100L18getri_kernel_smallILi35E19rocblas_complex_numIfEPKPS3_EEvT1_iilPiilS8_bb
                                        ; -- End function
	.set _ZN9rocsolver6v33100L18getri_kernel_smallILi35E19rocblas_complex_numIfEPKPS3_EEvT1_iilPiilS8_bb.num_vgpr, 211
	.set _ZN9rocsolver6v33100L18getri_kernel_smallILi35E19rocblas_complex_numIfEPKPS3_EEvT1_iilPiilS8_bb.num_agpr, 0
	.set _ZN9rocsolver6v33100L18getri_kernel_smallILi35E19rocblas_complex_numIfEPKPS3_EEvT1_iilPiilS8_bb.numbered_sgpr, 17
	.set _ZN9rocsolver6v33100L18getri_kernel_smallILi35E19rocblas_complex_numIfEPKPS3_EEvT1_iilPiilS8_bb.num_named_barrier, 0
	.set _ZN9rocsolver6v33100L18getri_kernel_smallILi35E19rocblas_complex_numIfEPKPS3_EEvT1_iilPiilS8_bb.private_seg_size, 288
	.set _ZN9rocsolver6v33100L18getri_kernel_smallILi35E19rocblas_complex_numIfEPKPS3_EEvT1_iilPiilS8_bb.uses_vcc, 1
	.set _ZN9rocsolver6v33100L18getri_kernel_smallILi35E19rocblas_complex_numIfEPKPS3_EEvT1_iilPiilS8_bb.uses_flat_scratch, 0
	.set _ZN9rocsolver6v33100L18getri_kernel_smallILi35E19rocblas_complex_numIfEPKPS3_EEvT1_iilPiilS8_bb.has_dyn_sized_stack, 0
	.set _ZN9rocsolver6v33100L18getri_kernel_smallILi35E19rocblas_complex_numIfEPKPS3_EEvT1_iilPiilS8_bb.has_recursion, 0
	.set _ZN9rocsolver6v33100L18getri_kernel_smallILi35E19rocblas_complex_numIfEPKPS3_EEvT1_iilPiilS8_bb.has_indirect_call, 0
	.section	.AMDGPU.csdata,"",@progbits
; Kernel info:
; codeLenInByte = 41416
; TotalNumSgprs: 23
; NumVgprs: 211
; NumAgprs: 0
; TotalNumVgprs: 211
; ScratchSize: 288
; MemoryBound: 0
; FloatMode: 240
; IeeeMode: 1
; LDSByteSize: 568 bytes/workgroup (compile time only)
; SGPRBlocks: 2
; VGPRBlocks: 26
; NumSGPRsForWavesPerEU: 23
; NumVGPRsForWavesPerEU: 211
; AccumOffset: 212
; Occupancy: 2
; WaveLimiterHint : 1
; COMPUTE_PGM_RSRC2:SCRATCH_EN: 1
; COMPUTE_PGM_RSRC2:USER_SGPR: 2
; COMPUTE_PGM_RSRC2:TRAP_HANDLER: 0
; COMPUTE_PGM_RSRC2:TGID_X_EN: 1
; COMPUTE_PGM_RSRC2:TGID_Y_EN: 0
; COMPUTE_PGM_RSRC2:TGID_Z_EN: 0
; COMPUTE_PGM_RSRC2:TIDIG_COMP_CNT: 0
; COMPUTE_PGM_RSRC3_GFX90A:ACCUM_OFFSET: 52
; COMPUTE_PGM_RSRC3_GFX90A:TG_SPLIT: 0
	.section	.text._ZN9rocsolver6v33100L18getri_kernel_smallILi36E19rocblas_complex_numIfEPKPS3_EEvT1_iilPiilS8_bb,"axG",@progbits,_ZN9rocsolver6v33100L18getri_kernel_smallILi36E19rocblas_complex_numIfEPKPS3_EEvT1_iilPiilS8_bb,comdat
	.globl	_ZN9rocsolver6v33100L18getri_kernel_smallILi36E19rocblas_complex_numIfEPKPS3_EEvT1_iilPiilS8_bb ; -- Begin function _ZN9rocsolver6v33100L18getri_kernel_smallILi36E19rocblas_complex_numIfEPKPS3_EEvT1_iilPiilS8_bb
	.p2align	8
	.type	_ZN9rocsolver6v33100L18getri_kernel_smallILi36E19rocblas_complex_numIfEPKPS3_EEvT1_iilPiilS8_bb,@function
_ZN9rocsolver6v33100L18getri_kernel_smallILi36E19rocblas_complex_numIfEPKPS3_EEvT1_iilPiilS8_bb: ; @_ZN9rocsolver6v33100L18getri_kernel_smallILi36E19rocblas_complex_numIfEPKPS3_EEvT1_iilPiilS8_bb
; %bb.0:
	v_cmp_gt_u32_e32 vcc, 36, v0
	s_and_saveexec_b64 s[4:5], vcc
	s_cbranch_execz .LBB99_158
; %bb.1:
	s_load_dword s14, s[0:1], 0x38
	s_load_dwordx2 s[8:9], s[0:1], 0x0
	s_load_dwordx4 s[4:7], s[0:1], 0x28
	s_waitcnt lgkmcnt(0)
	s_bitcmp1_b32 s14, 8
	s_cselect_b64 s[10:11], -1, 0
	s_ashr_i32 s3, s2, 31
	s_lshl_b64 s[12:13], s[2:3], 3
	s_add_u32 s8, s8, s12
	s_addc_u32 s9, s9, s13
	s_load_dwordx2 s[12:13], s[8:9], 0x0
	s_bfe_u32 s8, s14, 0x10008
	s_cmp_eq_u32 s8, 0
                                        ; implicit-def: $sgpr8_sgpr9
	s_cbranch_scc1 .LBB99_3
; %bb.2:
	s_load_dword s8, s[0:1], 0x20
	s_load_dwordx2 s[14:15], s[0:1], 0x18
	s_mul_i32 s9, s4, s3
	s_mul_hi_u32 s16, s4, s2
	s_add_i32 s16, s16, s9
	s_mul_i32 s5, s5, s2
	s_add_i32 s5, s16, s5
	s_mul_i32 s4, s4, s2
	s_waitcnt lgkmcnt(0)
	s_ashr_i32 s9, s8, 31
	s_lshl_b64 s[4:5], s[4:5], 2
	s_add_u32 s14, s14, s4
	s_addc_u32 s15, s15, s5
	s_lshl_b64 s[4:5], s[8:9], 2
	s_add_u32 s8, s14, s4
	s_addc_u32 s9, s15, s5
.LBB99_3:
	s_load_dwordx2 s[4:5], s[0:1], 0x8
	s_load_dword s14, s[0:1], 0x38
	v_lshlrev_b32_e32 v2, 3, v0
	v_mov_b32_e32 v3, 0
	s_waitcnt lgkmcnt(0)
	s_ashr_i32 s1, s4, 31
	s_mov_b32 s0, s4
	s_lshl_b64 s[0:1], s[0:1], 3
	s_add_u32 s0, s12, s0
	s_addc_u32 s1, s13, s1
	v_lshl_add_u64 v[114:115], s[0:1], 0, v[2:3]
	flat_load_dwordx2 v[4:5], v[114:115]
	s_mov_b32 s12, s5
	s_ashr_i32 s13, s5, 31
	v_lshl_add_u64 v[116:117], s[12:13], 3, v[114:115]
	s_add_i32 s4, s5, s5
	v_add_u32_e32 v6, s4, v0
	v_ashrrev_i32_e32 v7, 31, v6
	v_lshl_add_u64 v[118:119], v[6:7], 3, s[0:1]
	v_add_u32_e32 v6, s5, v6
	v_ashrrev_i32_e32 v7, 31, v6
	v_lshl_add_u64 v[120:121], v[6:7], 3, s[0:1]
	;; [unrolled: 3-line block ×25, first 2 shown]
	s_waitcnt vmcnt(0) lgkmcnt(0)
	scratch_store_dwordx2 off, v[4:5], off
	flat_load_dwordx2 v[4:5], v[116:117]
	v_add_u32_e32 v6, s5, v6
	v_ashrrev_i32_e32 v7, 31, v6
	v_lshl_add_u64 v[168:169], v[6:7], 3, s[0:1]
	v_add_u32_e32 v6, s5, v6
	v_ashrrev_i32_e32 v7, 31, v6
	v_lshl_add_u64 v[170:171], v[6:7], 3, s[0:1]
	;; [unrolled: 3-line block ×9, first 2 shown]
	s_bitcmp0_b32 s14, 0
	s_mov_b64 s[4:5], -1
	s_waitcnt vmcnt(0) lgkmcnt(0)
	scratch_store_dwordx2 off, v[4:5], off offset:8
	flat_load_dwordx2 v[4:5], v[118:119]
	s_waitcnt vmcnt(0) lgkmcnt(0)
	scratch_store_dwordx2 off, v[4:5], off offset:16
	flat_load_dwordx2 v[4:5], v[120:121]
	;; [unrolled: 3-line block ×34, first 2 shown]
	s_waitcnt vmcnt(0) lgkmcnt(0)
	scratch_store_dwordx2 off, v[4:5], off offset:280
	s_cbranch_scc1 .LBB99_156
; %bb.4:
	v_cmp_eq_u32_e64 s[0:1], 0, v0
	s_and_saveexec_b64 s[4:5], s[0:1]
; %bb.5:
	v_mov_b32_e32 v1, 0
	ds_write_b32 v1, v1 offset:576
; %bb.6:
	s_or_b64 exec, exec, s[4:5]
	s_waitcnt lgkmcnt(0)
	; wave barrier
	scratch_load_dwordx2 v[4:5], v2, off
	s_waitcnt vmcnt(0)
	v_cmp_eq_f32_e32 vcc, 0, v4
	v_cmp_eq_f32_e64 s[4:5], 0, v5
	s_and_b64 s[4:5], vcc, s[4:5]
	s_and_saveexec_b64 s[12:13], s[4:5]
	s_cbranch_execz .LBB99_10
; %bb.7:
	v_mov_b32_e32 v1, 0
	ds_read_b32 v4, v1 offset:576
	v_add_u32_e32 v3, 1, v0
	s_waitcnt lgkmcnt(0)
	v_readfirstlane_b32 s4, v4
	s_cmp_eq_u32 s4, 0
	s_cselect_b64 s[14:15], -1, 0
	v_cmp_gt_i32_e32 vcc, s4, v3
	s_or_b64 s[14:15], s[14:15], vcc
	s_and_b64 exec, exec, s[14:15]
	s_cbranch_execz .LBB99_10
; %bb.8:
	s_mov_b64 s[14:15], 0
	v_mov_b32_e32 v4, s4
.LBB99_9:                               ; =>This Inner Loop Header: Depth=1
	ds_cmpst_rtn_b32 v4, v1, v4, v3 offset:576
	s_waitcnt lgkmcnt(0)
	v_cmp_ne_u32_e32 vcc, 0, v4
	v_cmp_le_i32_e64 s[4:5], v4, v3
	s_and_b64 s[4:5], vcc, s[4:5]
	s_and_b64 s[4:5], exec, s[4:5]
	s_or_b64 s[14:15], s[4:5], s[14:15]
	s_andn2_b64 exec, exec, s[14:15]
	s_cbranch_execnz .LBB99_9
.LBB99_10:
	s_or_b64 exec, exec, s[12:13]
	v_mov_b32_e32 v3, 0
	; wave barrier
	ds_read_b32 v1, v3 offset:576
	s_and_saveexec_b64 s[4:5], s[0:1]
	s_cbranch_execz .LBB99_12
; %bb.11:
	s_lshl_b64 s[12:13], s[2:3], 2
	s_add_u32 s12, s6, s12
	s_addc_u32 s13, s7, s13
	s_waitcnt lgkmcnt(0)
	global_store_dword v3, v1, s[12:13]
.LBB99_12:
	s_or_b64 exec, exec, s[4:5]
	s_waitcnt lgkmcnt(0)
	v_cmp_ne_u32_e32 vcc, 0, v1
	s_mov_b64 s[4:5], 0
	s_cbranch_vccnz .LBB99_156
; %bb.13:
	v_mov_b32_e32 v3, v2
	scratch_load_dwordx2 v[4:5], v3, off
                                        ; implicit-def: $vgpr7
                                        ; implicit-def: $vgpr8
	s_waitcnt vmcnt(0)
	v_cmp_ngt_f32_e64 s[4:5], |v4|, |v5|
	s_and_saveexec_b64 s[12:13], s[4:5]
	s_xor_b64 s[4:5], exec, s[12:13]
	s_cbranch_execz .LBB99_15
; %bb.14:
	v_div_scale_f32 v1, s[12:13], v5, v5, v4
	v_rcp_f32_e32 v6, v1
	v_div_scale_f32 v7, vcc, v4, v5, v4
	v_fma_f32 v8, -v1, v6, 1.0
	v_fmac_f32_e32 v6, v8, v6
	v_mul_f32_e32 v8, v7, v6
	v_fma_f32 v9, -v1, v8, v7
	v_fmac_f32_e32 v8, v9, v6
	v_fma_f32 v1, -v1, v8, v7
	v_div_fmas_f32 v1, v1, v6, v8
	v_div_fixup_f32 v1, v1, v5, v4
	v_fmac_f32_e32 v5, v4, v1
	v_div_scale_f32 v4, s[12:13], v5, v5, -1.0
	v_rcp_f32_e32 v6, v4
	s_nop 0
	v_fma_f32 v7, -v4, v6, 1.0
	v_fmac_f32_e32 v6, v7, v6
	v_div_scale_f32 v7, vcc, -1.0, v5, -1.0
	v_mul_f32_e32 v8, v7, v6
	v_fma_f32 v9, -v4, v8, v7
	v_fmac_f32_e32 v8, v9, v6
	v_fma_f32 v4, -v4, v8, v7
	v_div_fmas_f32 v4, v4, v6, v8
	v_div_fixup_f32 v7, v4, v5, -1.0
	v_mul_f32_e32 v8, v1, v7
	v_xor_b32_e32 v6, 0x80000000, v8
                                        ; implicit-def: $vgpr4_vgpr5
.LBB99_15:
	s_andn2_saveexec_b64 s[4:5], s[4:5]
	s_cbranch_execz .LBB99_17
; %bb.16:
	v_div_scale_f32 v1, s[12:13], v4, v4, v5
	v_rcp_f32_e32 v6, v1
	v_div_scale_f32 v7, vcc, v5, v4, v5
	v_fma_f32 v8, -v1, v6, 1.0
	v_fmac_f32_e32 v6, v8, v6
	v_mul_f32_e32 v8, v7, v6
	v_fma_f32 v9, -v1, v8, v7
	v_fmac_f32_e32 v8, v9, v6
	v_fma_f32 v1, -v1, v8, v7
	v_div_fmas_f32 v1, v1, v6, v8
	v_div_fixup_f32 v1, v1, v4, v5
	v_fmac_f32_e32 v4, v5, v1
	v_div_scale_f32 v5, s[12:13], v4, v4, 1.0
	v_rcp_f32_e32 v6, v5
	s_nop 0
	v_fma_f32 v7, -v5, v6, 1.0
	v_fmac_f32_e32 v6, v7, v6
	v_div_scale_f32 v7, vcc, 1.0, v4, 1.0
	v_mul_f32_e32 v8, v7, v6
	v_fma_f32 v9, -v5, v8, v7
	v_fmac_f32_e32 v8, v9, v6
	v_fma_f32 v5, -v5, v8, v7
	v_div_fmas_f32 v5, v5, v6, v8
	v_div_fixup_f32 v6, v5, v4, 1.0
	v_xor_b32_e32 v8, 0x80000000, v6
	v_mul_f32_e64 v7, v1, -v6
.LBB99_17:
	s_or_b64 exec, exec, s[4:5]
	scratch_store_dwordx2 v3, v[6:7], off
	scratch_load_dwordx2 v[4:5], off, off offset:8
	v_xor_b32_e32 v9, 0x80000000, v7
	v_add_u32_e32 v1, 0x120, v2
	s_waitcnt vmcnt(0)
	ds_write2_b64 v2, v[8:9], v[4:5] offset1:36
	s_waitcnt lgkmcnt(0)
	; wave barrier
	s_and_saveexec_b64 s[4:5], s[0:1]
	s_cbranch_execz .LBB99_19
; %bb.18:
	scratch_load_dwordx2 v[4:5], v3, off
	ds_read_b64 v[6:7], v1
	v_mov_b32_e32 v8, 0
	ds_read_b64 v[8:9], v8 offset:8
	s_waitcnt vmcnt(0) lgkmcnt(1)
	v_pk_mul_f32 v[10:11], v[6:7], v[4:5] op_sel:[1,1] op_sel_hi:[0,1]
	v_pk_fma_f32 v[12:13], v[6:7], v[4:5], v[10:11] neg_lo:[0,0,1] neg_hi:[0,0,1]
	v_pk_fma_f32 v[4:5], v[6:7], v[4:5], v[10:11] op_sel_hi:[1,0,1]
	s_nop 0
	v_mov_b32_e32 v13, v5
	v_pk_add_f32 v[4:5], v[12:13], 0 op_sel_hi:[1,0]
	s_waitcnt lgkmcnt(0)
	v_pk_mul_f32 v[6:7], v[4:5], v[8:9] op_sel:[1,1] op_sel_hi:[0,1]
	v_pk_fma_f32 v[10:11], v[4:5], v[8:9], v[6:7] neg_lo:[0,0,1] neg_hi:[0,0,1]
	v_pk_fma_f32 v[4:5], v[4:5], v[8:9], v[6:7] op_sel_hi:[1,0,1]
	s_nop 0
	v_mov_b32_e32 v11, v5
	scratch_store_dwordx2 off, v[10:11], off offset:8
.LBB99_19:
	s_or_b64 exec, exec, s[4:5]
	; wave barrier
	scratch_load_dwordx2 v[4:5], off, off offset:16
	v_cmp_gt_u32_e32 vcc, 2, v0
	s_waitcnt vmcnt(0)
	ds_write_b64 v1, v[4:5]
	s_waitcnt lgkmcnt(0)
	; wave barrier
	s_and_saveexec_b64 s[4:5], vcc
	s_cbranch_execz .LBB99_23
; %bb.20:
	scratch_load_dwordx2 v[4:5], v3, off
	ds_read_b64 v[6:7], v1
	s_waitcnt vmcnt(0) lgkmcnt(0)
	v_pk_mul_f32 v[8:9], v[6:7], v[4:5] op_sel:[1,1] op_sel_hi:[0,1]
	v_pk_fma_f32 v[10:11], v[6:7], v[4:5], v[8:9] neg_lo:[0,0,1] neg_hi:[0,0,1]
	v_pk_fma_f32 v[4:5], v[6:7], v[4:5], v[8:9] op_sel_hi:[1,0,1]
	s_nop 0
	v_mov_b32_e32 v11, v5
	v_pk_add_f32 v[4:5], v[10:11], 0 op_sel_hi:[1,0]
	s_and_saveexec_b64 s[12:13], s[0:1]
	s_cbranch_execz .LBB99_22
; %bb.21:
	scratch_load_dwordx2 v[6:7], off, off offset:8
	v_mov_b32_e32 v3, 0
	ds_read_b64 v[8:9], v3 offset:296
	s_waitcnt vmcnt(0) lgkmcnt(0)
	v_pk_mul_f32 v[10:11], v[8:9], v[6:7] op_sel:[1,1] op_sel_hi:[0,1]
	v_pk_fma_f32 v[12:13], v[8:9], v[6:7], v[10:11] neg_lo:[0,0,1] neg_hi:[0,0,1]
	v_pk_fma_f32 v[6:7], v[8:9], v[6:7], v[10:11] op_sel_hi:[1,0,1]
	s_nop 0
	v_mov_b32_e32 v13, v7
	v_pk_add_f32 v[4:5], v[4:5], v[12:13]
.LBB99_22:
	s_or_b64 exec, exec, s[12:13]
	v_mov_b32_e32 v3, 0
	ds_read_b64 v[6:7], v3 offset:16
	s_waitcnt lgkmcnt(0)
	v_pk_mul_f32 v[8:9], v[4:5], v[6:7] op_sel:[1,1] op_sel_hi:[0,1]
	v_pk_fma_f32 v[10:11], v[4:5], v[6:7], v[8:9] neg_lo:[0,0,1] neg_hi:[0,0,1]
	v_pk_fma_f32 v[4:5], v[4:5], v[6:7], v[8:9] op_sel_hi:[1,0,1]
	s_nop 0
	v_mov_b32_e32 v11, v5
	scratch_store_dwordx2 off, v[10:11], off offset:16
.LBB99_23:
	s_or_b64 exec, exec, s[4:5]
	; wave barrier
	scratch_load_dwordx2 v[4:5], off, off offset:24
	v_cmp_gt_u32_e32 vcc, 3, v0
	v_add_u32_e32 v6, -1, v0
	s_waitcnt vmcnt(0)
	ds_write_b64 v1, v[4:5]
	s_waitcnt lgkmcnt(0)
	; wave barrier
	s_and_saveexec_b64 s[0:1], vcc
	s_cbranch_execz .LBB99_27
; %bb.24:
	v_mov_b32_e32 v4, 0
	v_add_u32_e32 v3, -1, v0
	v_add_u32_e32 v7, 0x120, v2
	v_mov_b32_e32 v8, v2
	s_mov_b64 s[4:5], 0
	v_mov_b32_e32 v5, v4
.LBB99_25:                              ; =>This Inner Loop Header: Depth=1
	scratch_load_dwordx2 v[10:11], v8, off
	ds_read_b64 v[12:13], v7
	v_add_u32_e32 v3, 1, v3
	v_cmp_lt_u32_e32 vcc, 1, v3
	v_add_u32_e32 v7, 8, v7
	v_add_u32_e32 v8, 8, v8
	s_or_b64 s[4:5], vcc, s[4:5]
	s_waitcnt vmcnt(0) lgkmcnt(0)
	v_pk_mul_f32 v[14:15], v[12:13], v[10:11] op_sel:[1,1] op_sel_hi:[0,1]
	v_pk_fma_f32 v[16:17], v[12:13], v[10:11], v[14:15] neg_lo:[0,0,1] neg_hi:[0,0,1]
	v_pk_fma_f32 v[10:11], v[12:13], v[10:11], v[14:15] op_sel_hi:[1,0,1]
	s_nop 0
	v_mov_b32_e32 v17, v11
	v_pk_add_f32 v[4:5], v[4:5], v[16:17]
	s_andn2_b64 exec, exec, s[4:5]
	s_cbranch_execnz .LBB99_25
; %bb.26:
	s_or_b64 exec, exec, s[4:5]
	v_mov_b32_e32 v3, 0
	ds_read_b64 v[8:9], v3 offset:24
	s_waitcnt lgkmcnt(0)
	v_pk_mul_f32 v[10:11], v[4:5], v[8:9] op_sel:[1,1] op_sel_hi:[0,1]
	v_pk_fma_f32 v[12:13], v[4:5], v[8:9], v[10:11] neg_lo:[0,0,1] neg_hi:[0,0,1]
	v_pk_fma_f32 v[4:5], v[4:5], v[8:9], v[10:11] op_sel_hi:[1,0,1]
	s_nop 0
	v_mov_b32_e32 v13, v5
	scratch_store_dwordx2 off, v[12:13], off offset:24
.LBB99_27:
	s_or_b64 exec, exec, s[0:1]
	; wave barrier
	scratch_load_dwordx2 v[4:5], off, off offset:32
	v_cmp_gt_u32_e32 vcc, 4, v0
	s_waitcnt vmcnt(0)
	ds_write_b64 v1, v[4:5]
	s_waitcnt lgkmcnt(0)
	; wave barrier
	s_and_saveexec_b64 s[0:1], vcc
	s_cbranch_execz .LBB99_31
; %bb.28:
	v_mov_b32_e32 v4, 0
	v_add_u32_e32 v3, -1, v0
	v_add_u32_e32 v7, 0x120, v2
	v_mov_b32_e32 v8, v2
	s_mov_b64 s[4:5], 0
	v_mov_b32_e32 v5, v4
.LBB99_29:                              ; =>This Inner Loop Header: Depth=1
	scratch_load_dwordx2 v[10:11], v8, off
	ds_read_b64 v[12:13], v7
	v_add_u32_e32 v3, 1, v3
	v_cmp_lt_u32_e32 vcc, 2, v3
	v_add_u32_e32 v7, 8, v7
	v_add_u32_e32 v8, 8, v8
	s_or_b64 s[4:5], vcc, s[4:5]
	s_waitcnt vmcnt(0) lgkmcnt(0)
	v_pk_mul_f32 v[14:15], v[12:13], v[10:11] op_sel:[1,1] op_sel_hi:[0,1]
	v_pk_fma_f32 v[16:17], v[12:13], v[10:11], v[14:15] neg_lo:[0,0,1] neg_hi:[0,0,1]
	v_pk_fma_f32 v[10:11], v[12:13], v[10:11], v[14:15] op_sel_hi:[1,0,1]
	s_nop 0
	v_mov_b32_e32 v17, v11
	v_pk_add_f32 v[4:5], v[4:5], v[16:17]
	s_andn2_b64 exec, exec, s[4:5]
	s_cbranch_execnz .LBB99_29
; %bb.30:
	s_or_b64 exec, exec, s[4:5]
	v_mov_b32_e32 v3, 0
	ds_read_b64 v[8:9], v3 offset:32
	s_waitcnt lgkmcnt(0)
	v_pk_mul_f32 v[10:11], v[4:5], v[8:9] op_sel:[1,1] op_sel_hi:[0,1]
	v_pk_fma_f32 v[12:13], v[4:5], v[8:9], v[10:11] neg_lo:[0,0,1] neg_hi:[0,0,1]
	v_pk_fma_f32 v[4:5], v[4:5], v[8:9], v[10:11] op_sel_hi:[1,0,1]
	s_nop 0
	v_mov_b32_e32 v13, v5
	scratch_store_dwordx2 off, v[12:13], off offset:32
.LBB99_31:
	s_or_b64 exec, exec, s[0:1]
	; wave barrier
	scratch_load_dwordx2 v[4:5], off, off offset:40
	v_cmp_gt_u32_e32 vcc, 5, v0
	;; [unrolled: 46-line block ×19, first 2 shown]
	s_waitcnt vmcnt(0)
	ds_write_b64 v1, v[4:5]
	s_waitcnt lgkmcnt(0)
	; wave barrier
	s_and_saveexec_b64 s[0:1], vcc
	s_cbranch_execz .LBB99_103
; %bb.100:
	v_mov_b32_e32 v4, 0
	v_add_u32_e32 v3, -1, v0
	v_add_u32_e32 v7, 0x120, v2
	v_mov_b32_e32 v8, v2
	s_mov_b64 s[4:5], 0
	v_mov_b32_e32 v5, v4
.LBB99_101:                             ; =>This Inner Loop Header: Depth=1
	scratch_load_dwordx2 v[10:11], v8, off
	ds_read_b64 v[12:13], v7
	v_add_u32_e32 v3, 1, v3
	v_cmp_lt_u32_e32 vcc, 20, v3
	v_add_u32_e32 v7, 8, v7
	v_add_u32_e32 v8, 8, v8
	s_or_b64 s[4:5], vcc, s[4:5]
	s_waitcnt vmcnt(0) lgkmcnt(0)
	v_pk_mul_f32 v[14:15], v[12:13], v[10:11] op_sel:[1,1] op_sel_hi:[0,1]
	v_pk_fma_f32 v[16:17], v[12:13], v[10:11], v[14:15] neg_lo:[0,0,1] neg_hi:[0,0,1]
	v_pk_fma_f32 v[10:11], v[12:13], v[10:11], v[14:15] op_sel_hi:[1,0,1]
	s_nop 0
	v_mov_b32_e32 v17, v11
	v_pk_add_f32 v[4:5], v[4:5], v[16:17]
	s_andn2_b64 exec, exec, s[4:5]
	s_cbranch_execnz .LBB99_101
; %bb.102:
	s_or_b64 exec, exec, s[4:5]
	v_mov_b32_e32 v3, 0
	ds_read_b64 v[8:9], v3 offset:176
	s_waitcnt lgkmcnt(0)
	v_pk_mul_f32 v[10:11], v[4:5], v[8:9] op_sel:[1,1] op_sel_hi:[0,1]
	v_pk_fma_f32 v[12:13], v[4:5], v[8:9], v[10:11] neg_lo:[0,0,1] neg_hi:[0,0,1]
	v_pk_fma_f32 v[4:5], v[4:5], v[8:9], v[10:11] op_sel_hi:[1,0,1]
	s_nop 0
	v_mov_b32_e32 v13, v5
	scratch_store_dwordx2 off, v[12:13], off offset:176
.LBB99_103:
	s_or_b64 exec, exec, s[0:1]
	; wave barrier
	scratch_load_dwordx2 v[4:5], off, off offset:184
	v_cmp_gt_u32_e32 vcc, 23, v0
	s_waitcnt vmcnt(0)
	ds_write_b64 v1, v[4:5]
	s_waitcnt lgkmcnt(0)
	; wave barrier
	s_and_saveexec_b64 s[0:1], vcc
	s_cbranch_execz .LBB99_107
; %bb.104:
	v_mov_b32_e32 v4, 0
	v_add_u32_e32 v3, -1, v0
	v_add_u32_e32 v7, 0x120, v2
	v_mov_b32_e32 v8, v2
	s_mov_b64 s[4:5], 0
	v_mov_b32_e32 v5, v4
.LBB99_105:                             ; =>This Inner Loop Header: Depth=1
	scratch_load_dwordx2 v[10:11], v8, off
	ds_read_b64 v[12:13], v7
	v_add_u32_e32 v3, 1, v3
	v_cmp_lt_u32_e32 vcc, 21, v3
	v_add_u32_e32 v7, 8, v7
	v_add_u32_e32 v8, 8, v8
	s_or_b64 s[4:5], vcc, s[4:5]
	s_waitcnt vmcnt(0) lgkmcnt(0)
	v_pk_mul_f32 v[14:15], v[12:13], v[10:11] op_sel:[1,1] op_sel_hi:[0,1]
	v_pk_fma_f32 v[16:17], v[12:13], v[10:11], v[14:15] neg_lo:[0,0,1] neg_hi:[0,0,1]
	v_pk_fma_f32 v[10:11], v[12:13], v[10:11], v[14:15] op_sel_hi:[1,0,1]
	s_nop 0
	v_mov_b32_e32 v17, v11
	v_pk_add_f32 v[4:5], v[4:5], v[16:17]
	s_andn2_b64 exec, exec, s[4:5]
	s_cbranch_execnz .LBB99_105
; %bb.106:
	s_or_b64 exec, exec, s[4:5]
	v_mov_b32_e32 v3, 0
	ds_read_b64 v[8:9], v3 offset:184
	s_waitcnt lgkmcnt(0)
	v_pk_mul_f32 v[10:11], v[4:5], v[8:9] op_sel:[1,1] op_sel_hi:[0,1]
	v_pk_fma_f32 v[12:13], v[4:5], v[8:9], v[10:11] neg_lo:[0,0,1] neg_hi:[0,0,1]
	v_pk_fma_f32 v[4:5], v[4:5], v[8:9], v[10:11] op_sel_hi:[1,0,1]
	s_nop 0
	v_mov_b32_e32 v13, v5
	scratch_store_dwordx2 off, v[12:13], off offset:184
.LBB99_107:
	s_or_b64 exec, exec, s[0:1]
	; wave barrier
	scratch_load_dwordx2 v[4:5], off, off offset:192
	v_cmp_gt_u32_e32 vcc, 24, v0
	;; [unrolled: 46-line block ×12, first 2 shown]
	s_waitcnt vmcnt(0)
	ds_write_b64 v1, v[4:5]
	s_waitcnt lgkmcnt(0)
	; wave barrier
	s_and_saveexec_b64 s[0:1], vcc
	s_cbranch_execz .LBB99_151
; %bb.148:
	v_mov_b32_e32 v4, 0
	v_add_u32_e32 v3, -1, v0
	v_add_u32_e32 v7, 0x120, v2
	v_mov_b32_e32 v8, v2
	s_mov_b64 s[4:5], 0
	v_mov_b32_e32 v5, v4
.LBB99_149:                             ; =>This Inner Loop Header: Depth=1
	scratch_load_dwordx2 v[10:11], v8, off
	ds_read_b64 v[12:13], v7
	v_add_u32_e32 v3, 1, v3
	v_cmp_lt_u32_e32 vcc, 32, v3
	v_add_u32_e32 v7, 8, v7
	v_add_u32_e32 v8, 8, v8
	s_or_b64 s[4:5], vcc, s[4:5]
	s_waitcnt vmcnt(0) lgkmcnt(0)
	v_pk_mul_f32 v[14:15], v[12:13], v[10:11] op_sel:[1,1] op_sel_hi:[0,1]
	v_pk_fma_f32 v[16:17], v[12:13], v[10:11], v[14:15] neg_lo:[0,0,1] neg_hi:[0,0,1]
	v_pk_fma_f32 v[10:11], v[12:13], v[10:11], v[14:15] op_sel_hi:[1,0,1]
	s_nop 0
	v_mov_b32_e32 v17, v11
	v_pk_add_f32 v[4:5], v[4:5], v[16:17]
	s_andn2_b64 exec, exec, s[4:5]
	s_cbranch_execnz .LBB99_149
; %bb.150:
	s_or_b64 exec, exec, s[4:5]
	v_mov_b32_e32 v3, 0
	ds_read_b64 v[8:9], v3 offset:272
	s_waitcnt lgkmcnt(0)
	v_pk_mul_f32 v[10:11], v[4:5], v[8:9] op_sel:[1,1] op_sel_hi:[0,1]
	v_pk_fma_f32 v[12:13], v[4:5], v[8:9], v[10:11] neg_lo:[0,0,1] neg_hi:[0,0,1]
	v_pk_fma_f32 v[4:5], v[4:5], v[8:9], v[10:11] op_sel_hi:[1,0,1]
	s_nop 0
	v_mov_b32_e32 v13, v5
	scratch_store_dwordx2 off, v[12:13], off offset:272
.LBB99_151:
	s_or_b64 exec, exec, s[0:1]
	; wave barrier
	scratch_load_dwordx2 v[4:5], off, off offset:280
	v_cmp_ne_u32_e32 vcc, 35, v0
	s_waitcnt vmcnt(0)
	ds_write_b64 v1, v[4:5]
	s_waitcnt lgkmcnt(0)
	; wave barrier
	s_and_saveexec_b64 s[0:1], vcc
	s_cbranch_execz .LBB99_155
; %bb.152:
	v_add_u32_e32 v1, 0x120, v2
	v_mov_b32_e32 v4, v2
	v_mov_b32_e32 v2, 0
	s_mov_b64 s[4:5], 0
	v_mov_b32_e32 v3, v2
.LBB99_153:                             ; =>This Inner Loop Header: Depth=1
	scratch_load_dwordx2 v[8:9], v4, off
	ds_read_b64 v[10:11], v1
	v_add_u32_e32 v6, 1, v6
	v_cmp_lt_u32_e32 vcc, 33, v6
	v_add_u32_e32 v1, 8, v1
	v_add_u32_e32 v4, 8, v4
	s_or_b64 s[4:5], vcc, s[4:5]
	s_waitcnt vmcnt(0) lgkmcnt(0)
	v_pk_mul_f32 v[12:13], v[10:11], v[8:9] op_sel:[1,1] op_sel_hi:[0,1]
	v_pk_fma_f32 v[14:15], v[10:11], v[8:9], v[12:13] neg_lo:[0,0,1] neg_hi:[0,0,1]
	v_pk_fma_f32 v[8:9], v[10:11], v[8:9], v[12:13] op_sel_hi:[1,0,1]
	s_nop 0
	v_mov_b32_e32 v15, v9
	v_pk_add_f32 v[2:3], v[2:3], v[14:15]
	s_andn2_b64 exec, exec, s[4:5]
	s_cbranch_execnz .LBB99_153
; %bb.154:
	s_or_b64 exec, exec, s[4:5]
	v_mov_b32_e32 v1, 0
	ds_read_b64 v[4:5], v1 offset:280
	s_waitcnt lgkmcnt(0)
	v_pk_mul_f32 v[6:7], v[2:3], v[4:5] op_sel:[1,1] op_sel_hi:[0,1]
	v_pk_fma_f32 v[8:9], v[2:3], v[4:5], v[6:7] neg_lo:[0,0,1] neg_hi:[0,0,1]
	v_pk_fma_f32 v[2:3], v[2:3], v[4:5], v[6:7] op_sel_hi:[1,0,1]
	s_nop 0
	v_mov_b32_e32 v9, v3
	scratch_store_dwordx2 off, v[8:9], off offset:280
.LBB99_155:
	s_or_b64 exec, exec, s[0:1]
	s_mov_b64 s[4:5], -1
	; wave barrier
.LBB99_156:
	s_and_b64 vcc, exec, s[4:5]
	s_cbranch_vccz .LBB99_158
; %bb.157:
	s_lshl_b64 s[0:1], s[2:3], 2
	s_add_u32 s0, s6, s0
	s_addc_u32 s1, s7, s1
	v_mov_b32_e32 v1, 0
	global_load_dword v1, v1, s[0:1]
	s_waitcnt vmcnt(0)
	v_cmp_ne_u32_e32 vcc, 0, v1
	s_cbranch_vccz .LBB99_159
.LBB99_158:
	s_endpgm
.LBB99_159:
	v_mov_b32_e32 v1, 0x120
	v_lshl_add_u32 v1, v0, 3, v1
	v_cmp_eq_u32_e32 vcc, 35, v0
	s_and_saveexec_b64 s[0:1], vcc
	s_cbranch_execz .LBB99_161
; %bb.160:
	scratch_load_dwordx2 v[2:3], off, off offset:272
	v_mov_b32_e32 v4, 0
	v_mov_b32_e32 v5, v4
	scratch_store_dwordx2 off, v[4:5], off offset:272
	s_waitcnt vmcnt(1)
	ds_write_b64 v1, v[2:3]
.LBB99_161:
	s_or_b64 exec, exec, s[0:1]
	s_waitcnt lgkmcnt(0)
	; wave barrier
	scratch_load_dwordx2 v[4:5], off, off offset:280
	scratch_load_dwordx2 v[6:7], off, off offset:272
	v_mov_b32_e32 v2, 0
	ds_read_b64 v[8:9], v2 offset:568
	v_cmp_lt_u32_e32 vcc, 33, v0
	s_waitcnt vmcnt(1) lgkmcnt(0)
	v_pk_mul_f32 v[10:11], v[8:9], v[4:5] op_sel:[1,1] op_sel_hi:[0,1]
	v_pk_fma_f32 v[12:13], v[8:9], v[4:5], v[10:11] neg_lo:[0,0,1] neg_hi:[0,0,1]
	v_pk_fma_f32 v[4:5], v[8:9], v[4:5], v[10:11] op_sel_hi:[1,0,1]
	s_nop 0
	v_mov_b32_e32 v13, v5
	v_pk_add_f32 v[4:5], v[12:13], 0 op_sel_hi:[1,0]
	s_waitcnt vmcnt(0)
	v_pk_add_f32 v[4:5], v[6:7], v[4:5] neg_lo:[0,1] neg_hi:[0,1]
	scratch_store_dwordx2 off, v[4:5], off offset:272
	s_and_saveexec_b64 s[0:1], vcc
	s_cbranch_execz .LBB99_163
; %bb.162:
	scratch_load_dwordx2 v[4:5], off, off offset:264
	v_mov_b32_e32 v3, v2
	scratch_store_dwordx2 off, v[2:3], off offset:264
	s_waitcnt vmcnt(1)
	ds_write_b64 v1, v[4:5]
.LBB99_163:
	s_or_b64 exec, exec, s[0:1]
	s_waitcnt lgkmcnt(0)
	; wave barrier
	scratch_load_dwordx4 v[4:7], off, off offset:272
	scratch_load_dwordx2 v[12:13], off, off offset:264
	ds_read_b128 v[8:11], v2 offset:560
	v_cmp_lt_u32_e32 vcc, 32, v0
	s_waitcnt vmcnt(1) lgkmcnt(0)
	v_pk_mul_f32 v[2:3], v[8:9], v[4:5] op_sel:[1,1] op_sel_hi:[0,1]
	v_mov_b32_e32 v14, v7
	v_pk_fma_f32 v[16:17], v[8:9], v[4:5], v[2:3] neg_lo:[0,0,1] neg_hi:[0,0,1]
	v_pk_fma_f32 v[2:3], v[8:9], v[4:5], v[2:3] op_sel_hi:[1,0,1]
	v_pk_mul_f32 v[4:5], v[10:11], v[14:15] op_sel:[1,0] op_sel_hi:[0,0]
	v_mov_b32_e32 v17, v3
	v_pk_fma_f32 v[2:3], v[10:11], v[6:7], v[4:5] neg_lo:[0,0,1] neg_hi:[0,0,1]
	v_pk_fma_f32 v[4:5], v[10:11], v[6:7], v[4:5] op_sel_hi:[1,0,1]
	v_pk_add_f32 v[6:7], v[16:17], 0 op_sel_hi:[1,0]
	v_mov_b32_e32 v3, v5
	v_pk_add_f32 v[2:3], v[6:7], v[2:3]
	s_waitcnt vmcnt(0)
	v_pk_add_f32 v[2:3], v[12:13], v[2:3] neg_lo:[0,1] neg_hi:[0,1]
	scratch_store_dwordx2 off, v[2:3], off offset:264
	s_and_saveexec_b64 s[0:1], vcc
	s_cbranch_execz .LBB99_165
; %bb.164:
	scratch_load_dwordx2 v[2:3], off, off offset:256
	v_mov_b32_e32 v4, 0
	v_mov_b32_e32 v5, v4
	scratch_store_dwordx2 off, v[4:5], off offset:256
	s_waitcnt vmcnt(1)
	ds_write_b64 v1, v[2:3]
.LBB99_165:
	s_or_b64 exec, exec, s[0:1]
	s_waitcnt lgkmcnt(0)
	; wave barrier
	scratch_load_dwordx4 v[4:7], off, off offset:264
	scratch_load_dwordx2 v[12:13], off, off offset:280
	scratch_load_dwordx2 v[14:15], off, off offset:256
	v_mov_b32_e32 v2, 0
	ds_read2_b64 v[8:11], v2 offset0:69 offset1:70
	ds_read_b64 v[16:17], v2 offset:568
	v_cmp_lt_u32_e32 vcc, 31, v0
	s_waitcnt vmcnt(2) lgkmcnt(1)
	v_pk_mul_f32 v[18:19], v[8:9], v[4:5] op_sel:[1,1] op_sel_hi:[0,1]
	v_mov_b32_e32 v20, v7
	v_pk_fma_f32 v[24:25], v[8:9], v[4:5], v[18:19] neg_lo:[0,0,1] neg_hi:[0,0,1]
	v_pk_fma_f32 v[4:5], v[8:9], v[4:5], v[18:19] op_sel_hi:[1,0,1]
	v_pk_mul_f32 v[8:9], v[10:11], v[20:21] op_sel:[1,0] op_sel_hi:[0,0]
	s_waitcnt vmcnt(1) lgkmcnt(0)
	v_pk_mul_f32 v[22:23], v[16:17], v[12:13] op_sel:[1,1] op_sel_hi:[0,1]
	v_mov_b32_e32 v25, v5
	v_pk_fma_f32 v[4:5], v[10:11], v[6:7], v[8:9] neg_lo:[0,0,1] neg_hi:[0,0,1]
	v_pk_fma_f32 v[6:7], v[10:11], v[6:7], v[8:9] op_sel_hi:[1,0,1]
	v_pk_fma_f32 v[18:19], v[16:17], v[12:13], v[22:23] neg_lo:[0,0,1] neg_hi:[0,0,1]
	v_pk_fma_f32 v[12:13], v[16:17], v[12:13], v[22:23] op_sel_hi:[1,0,1]
	v_pk_add_f32 v[8:9], v[24:25], 0 op_sel_hi:[1,0]
	v_mov_b32_e32 v5, v7
	v_mov_b32_e32 v19, v13
	v_pk_add_f32 v[4:5], v[8:9], v[4:5]
	s_nop 0
	v_pk_add_f32 v[4:5], v[4:5], v[18:19]
	s_waitcnt vmcnt(0)
	v_pk_add_f32 v[4:5], v[14:15], v[4:5] neg_lo:[0,1] neg_hi:[0,1]
	scratch_store_dwordx2 off, v[4:5], off offset:256
	s_and_saveexec_b64 s[0:1], vcc
	s_cbranch_execz .LBB99_167
; %bb.166:
	scratch_load_dwordx2 v[4:5], off, off offset:248
	v_mov_b32_e32 v3, v2
	scratch_store_dwordx2 off, v[2:3], off offset:248
	s_waitcnt vmcnt(1)
	ds_write_b64 v1, v[4:5]
.LBB99_167:
	s_or_b64 exec, exec, s[0:1]
	s_waitcnt lgkmcnt(0)
	; wave barrier
	scratch_load_dwordx4 v[4:7], off, off offset:256
	scratch_load_dwordx4 v[8:11], off, off offset:272
	scratch_load_dwordx2 v[20:21], off, off offset:248
	ds_read_b128 v[12:15], v2 offset:544
	ds_read_b128 v[16:19], v2 offset:560
	v_cmp_lt_u32_e32 vcc, 30, v0
	s_waitcnt vmcnt(2) lgkmcnt(1)
	v_pk_mul_f32 v[2:3], v[12:13], v[4:5] op_sel:[1,1] op_sel_hi:[0,1]
	v_mov_b32_e32 v22, v7
	s_waitcnt vmcnt(1) lgkmcnt(0)
	v_pk_mul_f32 v[24:25], v[16:17], v[8:9] op_sel:[1,1] op_sel_hi:[0,1]
	v_mov_b32_e32 v26, v11
	v_pk_fma_f32 v[28:29], v[12:13], v[4:5], v[2:3] neg_lo:[0,0,1] neg_hi:[0,0,1]
	v_pk_fma_f32 v[2:3], v[12:13], v[4:5], v[2:3] op_sel_hi:[1,0,1]
	v_pk_mul_f32 v[4:5], v[14:15], v[22:23] op_sel:[1,0] op_sel_hi:[0,0]
	v_pk_fma_f32 v[12:13], v[16:17], v[8:9], v[24:25] neg_lo:[0,0,1] neg_hi:[0,0,1]
	v_pk_fma_f32 v[8:9], v[16:17], v[8:9], v[24:25] op_sel_hi:[1,0,1]
	v_pk_mul_f32 v[16:17], v[18:19], v[26:27] op_sel:[1,0] op_sel_hi:[0,0]
	v_mov_b32_e32 v29, v3
	v_pk_fma_f32 v[2:3], v[14:15], v[6:7], v[4:5] neg_lo:[0,0,1] neg_hi:[0,0,1]
	v_pk_fma_f32 v[4:5], v[14:15], v[6:7], v[4:5] op_sel_hi:[1,0,1]
	v_mov_b32_e32 v13, v9
	v_pk_fma_f32 v[6:7], v[18:19], v[10:11], v[16:17] neg_lo:[0,0,1] neg_hi:[0,0,1]
	v_pk_fma_f32 v[8:9], v[18:19], v[10:11], v[16:17] op_sel_hi:[1,0,1]
	v_pk_add_f32 v[10:11], v[28:29], 0 op_sel_hi:[1,0]
	v_mov_b32_e32 v3, v5
	v_pk_add_f32 v[2:3], v[10:11], v[2:3]
	v_mov_b32_e32 v7, v9
	v_pk_add_f32 v[2:3], v[2:3], v[12:13]
	s_nop 0
	v_pk_add_f32 v[2:3], v[2:3], v[6:7]
	s_waitcnt vmcnt(0)
	v_pk_add_f32 v[2:3], v[20:21], v[2:3] neg_lo:[0,1] neg_hi:[0,1]
	scratch_store_dwordx2 off, v[2:3], off offset:248
	s_and_saveexec_b64 s[0:1], vcc
	s_cbranch_execz .LBB99_169
; %bb.168:
	scratch_load_dwordx2 v[2:3], off, off offset:240
	v_mov_b32_e32 v4, 0
	v_mov_b32_e32 v5, v4
	scratch_store_dwordx2 off, v[4:5], off offset:240
	s_waitcnt vmcnt(1)
	ds_write_b64 v1, v[2:3]
.LBB99_169:
	s_or_b64 exec, exec, s[0:1]
	s_waitcnt lgkmcnt(0)
	; wave barrier
	scratch_load_dwordx4 v[4:7], off, off offset:248
	scratch_load_dwordx4 v[8:11], off, off offset:264
	scratch_load_dwordx2 v[20:21], off, off offset:280
	scratch_load_dwordx2 v[22:23], off, off offset:240
	v_mov_b32_e32 v2, 0
	ds_read2_b64 v[12:15], v2 offset0:67 offset1:68
	ds_read2_b64 v[16:19], v2 offset0:69 offset1:70
	ds_read_b64 v[24:25], v2 offset:568
	v_cmp_lt_u32_e32 vcc, 29, v0
	s_waitcnt vmcnt(3) lgkmcnt(2)
	v_pk_mul_f32 v[26:27], v[12:13], v[4:5] op_sel:[1,1] op_sel_hi:[0,1]
	v_mov_b32_e32 v28, v7
	v_pk_fma_f32 v[36:37], v[12:13], v[4:5], v[26:27] neg_lo:[0,0,1] neg_hi:[0,0,1]
	v_pk_fma_f32 v[4:5], v[12:13], v[4:5], v[26:27] op_sel_hi:[1,0,1]
	v_pk_mul_f32 v[12:13], v[14:15], v[28:29] op_sel:[1,0] op_sel_hi:[0,0]
	s_waitcnt vmcnt(2) lgkmcnt(1)
	v_pk_mul_f32 v[30:31], v[16:17], v[8:9] op_sel:[1,1] op_sel_hi:[0,1]
	v_mov_b32_e32 v32, v11
	v_mov_b32_e32 v37, v5
	v_pk_fma_f32 v[4:5], v[14:15], v[6:7], v[12:13] neg_lo:[0,0,1] neg_hi:[0,0,1]
	v_pk_fma_f32 v[6:7], v[14:15], v[6:7], v[12:13] op_sel_hi:[1,0,1]
	v_pk_fma_f32 v[26:27], v[16:17], v[8:9], v[30:31] neg_lo:[0,0,1] neg_hi:[0,0,1]
	v_pk_fma_f32 v[8:9], v[16:17], v[8:9], v[30:31] op_sel_hi:[1,0,1]
	v_pk_mul_f32 v[16:17], v[18:19], v[32:33] op_sel:[1,0] op_sel_hi:[0,0]
	v_pk_add_f32 v[12:13], v[36:37], 0 op_sel_hi:[1,0]
	v_mov_b32_e32 v5, v7
	s_waitcnt vmcnt(1) lgkmcnt(0)
	v_pk_mul_f32 v[34:35], v[24:25], v[20:21] op_sel:[1,1] op_sel_hi:[0,1]
	v_mov_b32_e32 v27, v9
	v_pk_fma_f32 v[8:9], v[18:19], v[10:11], v[16:17] neg_lo:[0,0,1] neg_hi:[0,0,1]
	v_pk_fma_f32 v[10:11], v[18:19], v[10:11], v[16:17] op_sel_hi:[1,0,1]
	v_pk_add_f32 v[4:5], v[12:13], v[4:5]
	v_pk_fma_f32 v[28:29], v[24:25], v[20:21], v[34:35] neg_lo:[0,0,1] neg_hi:[0,0,1]
	v_pk_fma_f32 v[20:21], v[24:25], v[20:21], v[34:35] op_sel_hi:[1,0,1]
	v_mov_b32_e32 v9, v11
	v_pk_add_f32 v[4:5], v[4:5], v[26:27]
	v_mov_b32_e32 v29, v21
	v_pk_add_f32 v[4:5], v[4:5], v[8:9]
	s_nop 0
	v_pk_add_f32 v[4:5], v[4:5], v[28:29]
	s_waitcnt vmcnt(0)
	v_pk_add_f32 v[4:5], v[22:23], v[4:5] neg_lo:[0,1] neg_hi:[0,1]
	scratch_store_dwordx2 off, v[4:5], off offset:240
	s_and_saveexec_b64 s[0:1], vcc
	s_cbranch_execz .LBB99_171
; %bb.170:
	scratch_load_dwordx2 v[4:5], off, off offset:232
	v_mov_b32_e32 v3, v2
	scratch_store_dwordx2 off, v[2:3], off offset:232
	s_waitcnt vmcnt(1)
	ds_write_b64 v1, v[4:5]
.LBB99_171:
	s_or_b64 exec, exec, s[0:1]
	s_waitcnt lgkmcnt(0)
	; wave barrier
	scratch_load_dwordx4 v[4:7], off, off offset:240
	scratch_load_dwordx4 v[8:11], off, off offset:256
	;; [unrolled: 1-line block ×3, first 2 shown]
	scratch_load_dwordx2 v[28:29], off, off offset:232
	ds_read_b128 v[16:19], v2 offset:528
	ds_read_b128 v[20:23], v2 offset:544
	;; [unrolled: 1-line block ×3, first 2 shown]
	v_cmp_lt_u32_e32 vcc, 28, v0
	s_waitcnt vmcnt(3) lgkmcnt(2)
	v_pk_mul_f32 v[2:3], v[16:17], v[4:5] op_sel:[1,1] op_sel_hi:[0,1]
	v_mov_b32_e32 v30, v7
	s_waitcnt vmcnt(2) lgkmcnt(1)
	v_pk_mul_f32 v[32:33], v[20:21], v[8:9] op_sel:[1,1] op_sel_hi:[0,1]
	v_mov_b32_e32 v34, v11
	;; [unrolled: 3-line block ×3, first 2 shown]
	v_pk_fma_f32 v[40:41], v[16:17], v[4:5], v[2:3] neg_lo:[0,0,1] neg_hi:[0,0,1]
	v_pk_fma_f32 v[2:3], v[16:17], v[4:5], v[2:3] op_sel_hi:[1,0,1]
	v_pk_mul_f32 v[4:5], v[18:19], v[30:31] op_sel:[1,0] op_sel_hi:[0,0]
	v_pk_fma_f32 v[16:17], v[20:21], v[8:9], v[32:33] neg_lo:[0,0,1] neg_hi:[0,0,1]
	v_pk_fma_f32 v[8:9], v[20:21], v[8:9], v[32:33] op_sel_hi:[1,0,1]
	v_pk_mul_f32 v[20:21], v[22:23], v[34:35] op_sel:[1,0] op_sel_hi:[0,0]
	;; [unrolled: 3-line block ×3, first 2 shown]
	v_mov_b32_e32 v41, v3
	v_pk_fma_f32 v[2:3], v[18:19], v[6:7], v[4:5] neg_lo:[0,0,1] neg_hi:[0,0,1]
	v_pk_fma_f32 v[4:5], v[18:19], v[6:7], v[4:5] op_sel_hi:[1,0,1]
	v_mov_b32_e32 v17, v9
	v_pk_fma_f32 v[6:7], v[22:23], v[10:11], v[20:21] neg_lo:[0,0,1] neg_hi:[0,0,1]
	v_pk_fma_f32 v[8:9], v[22:23], v[10:11], v[20:21] op_sel_hi:[1,0,1]
	;; [unrolled: 3-line block ×3, first 2 shown]
	v_pk_add_f32 v[14:15], v[40:41], 0 op_sel_hi:[1,0]
	v_mov_b32_e32 v3, v5
	v_pk_add_f32 v[2:3], v[14:15], v[2:3]
	v_mov_b32_e32 v7, v9
	v_pk_add_f32 v[2:3], v[2:3], v[16:17]
	;; [unrolled: 2-line block ×3, first 2 shown]
	s_nop 0
	v_pk_add_f32 v[2:3], v[2:3], v[30:31]
	s_nop 0
	v_pk_add_f32 v[2:3], v[2:3], v[10:11]
	s_waitcnt vmcnt(0)
	v_pk_add_f32 v[2:3], v[28:29], v[2:3] neg_lo:[0,1] neg_hi:[0,1]
	scratch_store_dwordx2 off, v[2:3], off offset:232
	s_and_saveexec_b64 s[0:1], vcc
	s_cbranch_execz .LBB99_173
; %bb.172:
	scratch_load_dwordx2 v[2:3], off, off offset:224
	v_mov_b32_e32 v4, 0
	v_mov_b32_e32 v5, v4
	scratch_store_dwordx2 off, v[4:5], off offset:224
	s_waitcnt vmcnt(1)
	ds_write_b64 v1, v[2:3]
.LBB99_173:
	s_or_b64 exec, exec, s[0:1]
	s_waitcnt lgkmcnt(0)
	; wave barrier
	scratch_load_dwordx4 v[4:7], off, off offset:232
	scratch_load_dwordx4 v[8:11], off, off offset:248
	;; [unrolled: 1-line block ×3, first 2 shown]
	scratch_load_dwordx2 v[28:29], off, off offset:280
	scratch_load_dwordx2 v[30:31], off, off offset:224
	v_mov_b32_e32 v2, 0
	ds_read2_b64 v[16:19], v2 offset0:65 offset1:66
	ds_read2_b64 v[20:23], v2 offset0:67 offset1:68
	;; [unrolled: 1-line block ×3, first 2 shown]
	ds_read_b64 v[32:33], v2 offset:568
	v_cmp_lt_u32_e32 vcc, 27, v0
	s_waitcnt vmcnt(4) lgkmcnt(3)
	v_pk_mul_f32 v[34:35], v[16:17], v[4:5] op_sel:[1,1] op_sel_hi:[0,1]
	v_mov_b32_e32 v36, v7
	v_pk_fma_f32 v[48:49], v[16:17], v[4:5], v[34:35] neg_lo:[0,0,1] neg_hi:[0,0,1]
	v_pk_fma_f32 v[4:5], v[16:17], v[4:5], v[34:35] op_sel_hi:[1,0,1]
	v_pk_mul_f32 v[16:17], v[18:19], v[36:37] op_sel:[1,0] op_sel_hi:[0,0]
	s_waitcnt vmcnt(3) lgkmcnt(2)
	v_pk_mul_f32 v[38:39], v[20:21], v[8:9] op_sel:[1,1] op_sel_hi:[0,1]
	v_mov_b32_e32 v40, v11
	v_mov_b32_e32 v49, v5
	v_pk_fma_f32 v[4:5], v[18:19], v[6:7], v[16:17] neg_lo:[0,0,1] neg_hi:[0,0,1]
	v_pk_fma_f32 v[6:7], v[18:19], v[6:7], v[16:17] op_sel_hi:[1,0,1]
	v_pk_fma_f32 v[34:35], v[20:21], v[8:9], v[38:39] neg_lo:[0,0,1] neg_hi:[0,0,1]
	v_pk_fma_f32 v[8:9], v[20:21], v[8:9], v[38:39] op_sel_hi:[1,0,1]
	v_pk_mul_f32 v[20:21], v[22:23], v[40:41] op_sel:[1,0] op_sel_hi:[0,0]
	v_pk_add_f32 v[16:17], v[48:49], 0 op_sel_hi:[1,0]
	v_mov_b32_e32 v5, v7
	s_waitcnt vmcnt(2) lgkmcnt(1)
	v_pk_mul_f32 v[42:43], v[24:25], v[12:13] op_sel:[1,1] op_sel_hi:[0,1]
	v_mov_b32_e32 v44, v15
	v_mov_b32_e32 v35, v9
	v_pk_fma_f32 v[8:9], v[22:23], v[10:11], v[20:21] neg_lo:[0,0,1] neg_hi:[0,0,1]
	v_pk_fma_f32 v[10:11], v[22:23], v[10:11], v[20:21] op_sel_hi:[1,0,1]
	v_pk_add_f32 v[4:5], v[16:17], v[4:5]
	v_pk_fma_f32 v[36:37], v[24:25], v[12:13], v[42:43] neg_lo:[0,0,1] neg_hi:[0,0,1]
	v_pk_fma_f32 v[12:13], v[24:25], v[12:13], v[42:43] op_sel_hi:[1,0,1]
	v_pk_mul_f32 v[24:25], v[26:27], v[44:45] op_sel:[1,0] op_sel_hi:[0,0]
	v_mov_b32_e32 v9, v11
	v_pk_add_f32 v[4:5], v[4:5], v[34:35]
	s_waitcnt vmcnt(1) lgkmcnt(0)
	v_pk_mul_f32 v[46:47], v[32:33], v[28:29] op_sel:[1,1] op_sel_hi:[0,1]
	v_mov_b32_e32 v37, v13
	v_pk_fma_f32 v[12:13], v[26:27], v[14:15], v[24:25] neg_lo:[0,0,1] neg_hi:[0,0,1]
	v_pk_fma_f32 v[14:15], v[26:27], v[14:15], v[24:25] op_sel_hi:[1,0,1]
	v_pk_add_f32 v[4:5], v[4:5], v[8:9]
	v_pk_fma_f32 v[38:39], v[32:33], v[28:29], v[46:47] neg_lo:[0,0,1] neg_hi:[0,0,1]
	v_pk_fma_f32 v[28:29], v[32:33], v[28:29], v[46:47] op_sel_hi:[1,0,1]
	v_mov_b32_e32 v13, v15
	v_pk_add_f32 v[4:5], v[4:5], v[36:37]
	v_mov_b32_e32 v39, v29
	v_pk_add_f32 v[4:5], v[4:5], v[12:13]
	s_nop 0
	v_pk_add_f32 v[4:5], v[4:5], v[38:39]
	s_waitcnt vmcnt(0)
	v_pk_add_f32 v[4:5], v[30:31], v[4:5] neg_lo:[0,1] neg_hi:[0,1]
	scratch_store_dwordx2 off, v[4:5], off offset:224
	s_and_saveexec_b64 s[0:1], vcc
	s_cbranch_execz .LBB99_175
; %bb.174:
	scratch_load_dwordx2 v[4:5], off, off offset:216
	v_mov_b32_e32 v3, v2
	scratch_store_dwordx2 off, v[2:3], off offset:216
	s_waitcnt vmcnt(1)
	ds_write_b64 v1, v[4:5]
.LBB99_175:
	s_or_b64 exec, exec, s[0:1]
	s_waitcnt lgkmcnt(0)
	; wave barrier
	scratch_load_dwordx4 v[4:7], off, off offset:224
	scratch_load_dwordx4 v[8:11], off, off offset:240
	;; [unrolled: 1-line block ×4, first 2 shown]
	scratch_load_dwordx2 v[36:37], off, off offset:216
	ds_read_b128 v[20:23], v2 offset:512
	ds_read_b128 v[24:27], v2 offset:528
	;; [unrolled: 1-line block ×4, first 2 shown]
	v_cmp_lt_u32_e32 vcc, 26, v0
	s_waitcnt vmcnt(4) lgkmcnt(3)
	v_pk_mul_f32 v[2:3], v[20:21], v[4:5] op_sel:[1,1] op_sel_hi:[0,1]
	v_mov_b32_e32 v38, v7
	s_waitcnt vmcnt(3) lgkmcnt(2)
	v_pk_mul_f32 v[40:41], v[24:25], v[8:9] op_sel:[1,1] op_sel_hi:[0,1]
	v_mov_b32_e32 v42, v11
	;; [unrolled: 3-line block ×4, first 2 shown]
	v_pk_fma_f32 v[52:53], v[20:21], v[4:5], v[2:3] neg_lo:[0,0,1] neg_hi:[0,0,1]
	v_pk_fma_f32 v[2:3], v[20:21], v[4:5], v[2:3] op_sel_hi:[1,0,1]
	v_pk_mul_f32 v[4:5], v[22:23], v[38:39] op_sel:[1,0] op_sel_hi:[0,0]
	v_pk_fma_f32 v[20:21], v[24:25], v[8:9], v[40:41] neg_lo:[0,0,1] neg_hi:[0,0,1]
	v_pk_fma_f32 v[8:9], v[24:25], v[8:9], v[40:41] op_sel_hi:[1,0,1]
	v_pk_mul_f32 v[24:25], v[26:27], v[42:43] op_sel:[1,0] op_sel_hi:[0,0]
	;; [unrolled: 3-line block ×4, first 2 shown]
	v_mov_b32_e32 v53, v3
	v_pk_fma_f32 v[2:3], v[22:23], v[6:7], v[4:5] neg_lo:[0,0,1] neg_hi:[0,0,1]
	v_pk_fma_f32 v[4:5], v[22:23], v[6:7], v[4:5] op_sel_hi:[1,0,1]
	v_mov_b32_e32 v21, v9
	v_pk_fma_f32 v[6:7], v[26:27], v[10:11], v[24:25] neg_lo:[0,0,1] neg_hi:[0,0,1]
	v_pk_fma_f32 v[8:9], v[26:27], v[10:11], v[24:25] op_sel_hi:[1,0,1]
	;; [unrolled: 3-line block ×4, first 2 shown]
	v_pk_add_f32 v[18:19], v[52:53], 0 op_sel_hi:[1,0]
	v_mov_b32_e32 v3, v5
	v_pk_add_f32 v[2:3], v[18:19], v[2:3]
	v_mov_b32_e32 v7, v9
	v_pk_add_f32 v[2:3], v[2:3], v[20:21]
	;; [unrolled: 2-line block ×4, first 2 shown]
	s_nop 0
	v_pk_add_f32 v[2:3], v[2:3], v[10:11]
	s_nop 0
	v_pk_add_f32 v[2:3], v[2:3], v[40:41]
	;; [unrolled: 2-line block ×3, first 2 shown]
	s_waitcnt vmcnt(0)
	v_pk_add_f32 v[2:3], v[36:37], v[2:3] neg_lo:[0,1] neg_hi:[0,1]
	scratch_store_dwordx2 off, v[2:3], off offset:216
	s_and_saveexec_b64 s[0:1], vcc
	s_cbranch_execz .LBB99_177
; %bb.176:
	scratch_load_dwordx2 v[2:3], off, off offset:208
	v_mov_b32_e32 v4, 0
	v_mov_b32_e32 v5, v4
	scratch_store_dwordx2 off, v[4:5], off offset:208
	s_waitcnt vmcnt(1)
	ds_write_b64 v1, v[2:3]
.LBB99_177:
	s_or_b64 exec, exec, s[0:1]
	s_waitcnt lgkmcnt(0)
	; wave barrier
	scratch_load_dwordx4 v[4:7], off, off offset:216
	scratch_load_dwordx4 v[8:11], off, off offset:232
	scratch_load_dwordx4 v[12:15], off, off offset:248
	scratch_load_dwordx4 v[16:19], off, off offset:264
	scratch_load_dwordx2 v[36:37], off, off offset:280
	scratch_load_dwordx2 v[38:39], off, off offset:208
	v_mov_b32_e32 v2, 0
	ds_read2_b64 v[20:23], v2 offset0:63 offset1:64
	ds_read2_b64 v[24:27], v2 offset0:65 offset1:66
	;; [unrolled: 1-line block ×4, first 2 shown]
	ds_read_b64 v[40:41], v2 offset:568
	v_cmp_lt_u32_e32 vcc, 25, v0
	s_waitcnt vmcnt(5) lgkmcnt(4)
	v_mul_f32_e32 v43, v20, v5
	v_mul_f32_e32 v3, v21, v5
	v_mov_b32_e32 v44, v7
	s_waitcnt vmcnt(4) lgkmcnt(3)
	v_pk_mul_f32 v[46:47], v[24:25], v[8:9] op_sel:[1,1] op_sel_hi:[0,1]
	v_mov_b32_e32 v48, v11
	s_waitcnt vmcnt(1) lgkmcnt(0)
	v_pk_mul_f32 v[58:59], v[40:41], v[36:37] op_sel:[1,1] op_sel_hi:[0,1]
	v_fmac_f32_e32 v43, v21, v4
	v_fma_f32 v42, v20, v4, -v3
	v_pk_mul_f32 v[4:5], v[22:23], v[44:45] op_sel:[1,0] op_sel_hi:[0,0]
	v_pk_fma_f32 v[20:21], v[24:25], v[8:9], v[46:47] neg_lo:[0,0,1] neg_hi:[0,0,1]
	v_pk_fma_f32 v[8:9], v[24:25], v[8:9], v[46:47] op_sel_hi:[1,0,1]
	v_pk_mul_f32 v[24:25], v[26:27], v[48:49] op_sel:[1,0] op_sel_hi:[0,0]
	v_pk_fma_f32 v[48:49], v[40:41], v[36:37], v[58:59] neg_lo:[0,0,1] neg_hi:[0,0,1]
	v_pk_fma_f32 v[36:37], v[40:41], v[36:37], v[58:59] op_sel_hi:[1,0,1]
	v_pk_add_f32 v[40:41], v[42:43], 0 op_sel_hi:[1,0]
	v_pk_fma_f32 v[42:43], v[22:23], v[6:7], v[4:5] neg_lo:[0,0,1] neg_hi:[0,0,1]
	v_pk_fma_f32 v[4:5], v[22:23], v[6:7], v[4:5] op_sel_hi:[1,0,1]
	v_pk_mul_f32 v[50:51], v[28:29], v[12:13] op_sel:[1,1] op_sel_hi:[0,1]
	v_mov_b32_e32 v43, v5
	v_mov_b32_e32 v52, v15
	;; [unrolled: 1-line block ×3, first 2 shown]
	v_pk_fma_f32 v[6:7], v[26:27], v[10:11], v[24:25] neg_lo:[0,0,1] neg_hi:[0,0,1]
	v_pk_fma_f32 v[8:9], v[26:27], v[10:11], v[24:25] op_sel_hi:[1,0,1]
	v_pk_add_f32 v[4:5], v[40:41], v[42:43]
	v_pk_fma_f32 v[44:45], v[28:29], v[12:13], v[50:51] neg_lo:[0,0,1] neg_hi:[0,0,1]
	v_pk_fma_f32 v[12:13], v[28:29], v[12:13], v[50:51] op_sel_hi:[1,0,1]
	v_pk_mul_f32 v[28:29], v[30:31], v[52:53] op_sel:[1,0] op_sel_hi:[0,0]
	v_mov_b32_e32 v7, v9
	v_pk_add_f32 v[4:5], v[4:5], v[20:21]
	v_pk_mul_f32 v[54:55], v[32:33], v[16:17] op_sel:[1,1] op_sel_hi:[0,1]
	v_mov_b32_e32 v56, v19
	v_mov_b32_e32 v45, v13
	v_pk_fma_f32 v[10:11], v[30:31], v[14:15], v[28:29] neg_lo:[0,0,1] neg_hi:[0,0,1]
	v_pk_fma_f32 v[12:13], v[30:31], v[14:15], v[28:29] op_sel_hi:[1,0,1]
	v_pk_add_f32 v[4:5], v[4:5], v[6:7]
	v_pk_fma_f32 v[46:47], v[32:33], v[16:17], v[54:55] neg_lo:[0,0,1] neg_hi:[0,0,1]
	v_pk_fma_f32 v[16:17], v[32:33], v[16:17], v[54:55] op_sel_hi:[1,0,1]
	v_pk_mul_f32 v[32:33], v[34:35], v[56:57] op_sel:[1,0] op_sel_hi:[0,0]
	v_mov_b32_e32 v11, v13
	v_pk_add_f32 v[4:5], v[4:5], v[44:45]
	v_mov_b32_e32 v47, v17
	v_pk_fma_f32 v[14:15], v[34:35], v[18:19], v[32:33] neg_lo:[0,0,1] neg_hi:[0,0,1]
	v_pk_fma_f32 v[16:17], v[34:35], v[18:19], v[32:33] op_sel_hi:[1,0,1]
	v_pk_add_f32 v[4:5], v[4:5], v[10:11]
	v_mov_b32_e32 v15, v17
	v_pk_add_f32 v[4:5], v[4:5], v[46:47]
	v_mov_b32_e32 v49, v37
	v_pk_add_f32 v[4:5], v[4:5], v[14:15]
	s_nop 0
	v_pk_add_f32 v[4:5], v[4:5], v[48:49]
	s_waitcnt vmcnt(0)
	v_pk_add_f32 v[4:5], v[38:39], v[4:5] neg_lo:[0,1] neg_hi:[0,1]
	scratch_store_dwordx2 off, v[4:5], off offset:208
	s_and_saveexec_b64 s[0:1], vcc
	s_cbranch_execz .LBB99_179
; %bb.178:
	scratch_load_dwordx2 v[4:5], off, off offset:200
	v_mov_b32_e32 v3, v2
	scratch_store_dwordx2 off, v[2:3], off offset:200
	s_waitcnt vmcnt(1)
	ds_write_b64 v1, v[4:5]
.LBB99_179:
	s_or_b64 exec, exec, s[0:1]
	s_waitcnt lgkmcnt(0)
	; wave barrier
	ds_read_b128 v[4:7], v2 offset:496
	ds_read_b128 v[8:11], v2 offset:512
	;; [unrolled: 1-line block ×4, first 2 shown]
	scratch_load_dwordx4 v[20:23], off, off offset:208
	scratch_load_dwordx4 v[24:27], off, off offset:224
	;; [unrolled: 1-line block ×5, first 2 shown]
	v_cmp_lt_u32_e32 vcc, 24, v0
	s_waitcnt vmcnt(4) lgkmcnt(3)
	v_mul_f32_e32 v41, v4, v21
	v_mul_f32_e32 v3, v5, v21
	v_fmac_f32_e32 v41, v5, v20
	v_mul_f32_e32 v43, v6, v23
	v_fma_f32 v40, v4, v20, -v3
	v_mul_f32_e32 v3, v7, v23
	s_waitcnt vmcnt(3) lgkmcnt(2)
	v_pk_mul_f32 v[20:21], v[8:9], v[24:25] op_sel:[1,1] op_sel_hi:[0,1]
	v_fmac_f32_e32 v43, v7, v22
	v_fma_f32 v42, v6, v22, -v3
	v_pk_fma_f32 v[22:23], v[8:9], v[24:25], v[20:21] neg_lo:[0,0,1] neg_hi:[0,0,1]
	v_pk_fma_f32 v[8:9], v[8:9], v[24:25], v[20:21] op_sel_hi:[1,0,1]
	v_pk_add_f32 v[6:7], v[40:41], 0 op_sel_hi:[1,0]
	v_mov_b32_e32 v8, v27
	v_mov_b32_e32 v23, v9
	v_pk_mul_f32 v[8:9], v[10:11], v[8:9] op_sel:[1,0] op_sel_hi:[0,0]
	v_pk_fma_f32 v[20:21], v[10:11], v[26:27], v[8:9] neg_lo:[0,0,1] neg_hi:[0,0,1]
	v_pk_fma_f32 v[8:9], v[10:11], v[26:27], v[8:9] op_sel_hi:[1,0,1]
	v_pk_add_f32 v[6:7], v[6:7], v[42:43]
	v_mov_b32_e32 v21, v9
	s_waitcnt vmcnt(2) lgkmcnt(1)
	v_pk_mul_f32 v[8:9], v[12:13], v[28:29] op_sel:[1,1] op_sel_hi:[0,1]
	v_pk_fma_f32 v[10:11], v[12:13], v[28:29], v[8:9] neg_lo:[0,0,1] neg_hi:[0,0,1]
	v_pk_fma_f32 v[8:9], v[12:13], v[28:29], v[8:9] op_sel_hi:[1,0,1]
	v_pk_add_f32 v[6:7], v[6:7], v[22:23]
	v_mov_b32_e32 v8, v31
	v_pk_add_f32 v[6:7], v[6:7], v[20:21]
	v_mov_b32_e32 v11, v9
	v_pk_mul_f32 v[8:9], v[14:15], v[8:9] op_sel:[1,0] op_sel_hi:[0,0]
	v_pk_add_f32 v[6:7], v[6:7], v[10:11]
	v_pk_fma_f32 v[10:11], v[14:15], v[30:31], v[8:9] neg_lo:[0,0,1] neg_hi:[0,0,1]
	v_pk_fma_f32 v[8:9], v[14:15], v[30:31], v[8:9] op_sel_hi:[1,0,1]
	ds_read_b128 v[2:5], v2 offset:560
	v_mov_b32_e32 v11, v9
	s_waitcnt vmcnt(1) lgkmcnt(1)
	v_pk_mul_f32 v[8:9], v[16:17], v[32:33] op_sel:[1,1] op_sel_hi:[0,1]
	v_pk_add_f32 v[6:7], v[6:7], v[10:11]
	v_pk_fma_f32 v[10:11], v[16:17], v[32:33], v[8:9] neg_lo:[0,0,1] neg_hi:[0,0,1]
	v_pk_fma_f32 v[8:9], v[16:17], v[32:33], v[8:9] op_sel_hi:[1,0,1]
	s_nop 0
	v_mov_b32_e32 v8, v35
	v_mov_b32_e32 v11, v9
	v_pk_mul_f32 v[8:9], v[18:19], v[8:9] op_sel:[1,0] op_sel_hi:[0,0]
	v_pk_add_f32 v[6:7], v[6:7], v[10:11]
	v_pk_fma_f32 v[10:11], v[18:19], v[34:35], v[8:9] neg_lo:[0,0,1] neg_hi:[0,0,1]
	v_pk_fma_f32 v[8:9], v[18:19], v[34:35], v[8:9] op_sel_hi:[1,0,1]
	s_nop 0
	v_mov_b32_e32 v11, v9
	s_waitcnt vmcnt(0) lgkmcnt(0)
	v_pk_mul_f32 v[8:9], v[2:3], v[36:37] op_sel:[1,1] op_sel_hi:[0,1]
	v_pk_add_f32 v[6:7], v[6:7], v[10:11]
	v_pk_fma_f32 v[10:11], v[2:3], v[36:37], v[8:9] neg_lo:[0,0,1] neg_hi:[0,0,1]
	v_pk_fma_f32 v[2:3], v[2:3], v[36:37], v[8:9] op_sel_hi:[1,0,1]
	s_nop 0
	v_mov_b32_e32 v11, v3
	v_pk_add_f32 v[2:3], v[6:7], v[10:11]
	v_mov_b32_e32 v6, v39
	v_pk_mul_f32 v[6:7], v[4:5], v[6:7] op_sel:[1,0] op_sel_hi:[0,0]
	v_pk_fma_f32 v[8:9], v[4:5], v[38:39], v[6:7] neg_lo:[0,0,1] neg_hi:[0,0,1]
	v_pk_fma_f32 v[4:5], v[4:5], v[38:39], v[6:7] op_sel_hi:[1,0,1]
	s_nop 0
	v_mov_b32_e32 v9, v5
	scratch_load_dwordx2 v[4:5], off, off offset:200
	v_pk_add_f32 v[2:3], v[2:3], v[8:9]
	s_waitcnt vmcnt(0)
	v_pk_add_f32 v[2:3], v[4:5], v[2:3] neg_lo:[0,1] neg_hi:[0,1]
	scratch_store_dwordx2 off, v[2:3], off offset:200
	s_and_saveexec_b64 s[0:1], vcc
	s_cbranch_execz .LBB99_181
; %bb.180:
	scratch_load_dwordx2 v[2:3], off, off offset:192
	v_mov_b32_e32 v4, 0
	v_mov_b32_e32 v5, v4
	scratch_store_dwordx2 off, v[4:5], off offset:192
	s_waitcnt vmcnt(1)
	ds_write_b64 v1, v[2:3]
.LBB99_181:
	s_or_b64 exec, exec, s[0:1]
	s_waitcnt lgkmcnt(0)
	; wave barrier
	scratch_load_dwordx4 v[8:11], off, off offset:200
	scratch_load_dwordx4 v[16:19], off, off offset:216
	v_mov_b32_e32 v2, 0
	ds_read2_b64 v[4:7], v2 offset0:61 offset1:62
	ds_read2_b64 v[12:15], v2 offset0:63 offset1:64
	scratch_load_dwordx4 v[20:23], off, off offset:232
	scratch_load_dwordx4 v[24:27], off, off offset:248
	;; [unrolled: 1-line block ×3, first 2 shown]
	scratch_load_dwordx2 v[42:43], off, off offset:280
	v_cmp_lt_u32_e32 vcc, 23, v0
	s_waitcnt vmcnt(5) lgkmcnt(1)
	v_mul_f32_e32 v3, v4, v9
	v_fmac_f32_e32 v3, v5, v8
	v_add_f32_e32 v37, 0, v3
	v_mul_f32_e32 v3, v5, v9
	v_fma_f32 v3, v4, v8, -v3
	v_mul_f32_e32 v39, v6, v11
	v_add_f32_e32 v36, 0, v3
	v_mul_f32_e32 v3, v7, v11
	v_fmac_f32_e32 v39, v7, v10
	s_waitcnt vmcnt(4) lgkmcnt(0)
	v_mul_f32_e32 v41, v12, v17
	v_fma_f32 v38, v6, v10, -v3
	v_mul_f32_e32 v3, v13, v17
	v_fmac_f32_e32 v41, v13, v16
	v_fma_f32 v40, v12, v16, -v3
	v_pk_add_f32 v[16:17], v[36:37], v[38:39]
	v_mov_b32_e32 v36, v19
	v_pk_mul_f32 v[36:37], v[14:15], v[36:37] op_sel:[1,0] op_sel_hi:[0,0]
	ds_read2_b64 v[4:7], v2 offset0:65 offset1:66
	ds_read2_b64 v[8:11], v2 offset0:67 offset1:68
	;; [unrolled: 1-line block ×3, first 2 shown]
	ds_read_b64 v[12:13], v2 offset:568
	v_pk_fma_f32 v[38:39], v[14:15], v[18:19], v[36:37] neg_lo:[0,0,1] neg_hi:[0,0,1]
	v_pk_fma_f32 v[14:15], v[14:15], v[18:19], v[36:37] op_sel_hi:[1,0,1]
	v_pk_add_f32 v[16:17], v[16:17], v[40:41]
	v_mov_b32_e32 v39, v15
	v_pk_add_f32 v[14:15], v[16:17], v[38:39]
	s_waitcnt vmcnt(3) lgkmcnt(3)
	v_pk_mul_f32 v[16:17], v[4:5], v[20:21] op_sel:[1,1] op_sel_hi:[0,1]
	v_pk_fma_f32 v[18:19], v[4:5], v[20:21], v[16:17] neg_lo:[0,0,1] neg_hi:[0,0,1]
	v_pk_fma_f32 v[4:5], v[4:5], v[20:21], v[16:17] op_sel_hi:[1,0,1]
	s_nop 0
	v_mov_b32_e32 v19, v5
	v_pk_add_f32 v[4:5], v[14:15], v[18:19]
	v_mov_b32_e32 v14, v23
	v_pk_mul_f32 v[14:15], v[6:7], v[14:15] op_sel:[1,0] op_sel_hi:[0,0]
	v_pk_fma_f32 v[16:17], v[6:7], v[22:23], v[14:15] neg_lo:[0,0,1] neg_hi:[0,0,1]
	v_pk_fma_f32 v[6:7], v[6:7], v[22:23], v[14:15] op_sel_hi:[1,0,1]
	s_nop 0
	v_mov_b32_e32 v17, v7
	s_waitcnt vmcnt(2) lgkmcnt(2)
	v_pk_mul_f32 v[6:7], v[8:9], v[24:25] op_sel:[1,1] op_sel_hi:[0,1]
	v_pk_fma_f32 v[14:15], v[8:9], v[24:25], v[6:7] neg_lo:[0,0,1] neg_hi:[0,0,1]
	v_pk_fma_f32 v[6:7], v[8:9], v[24:25], v[6:7] op_sel_hi:[1,0,1]
	v_pk_add_f32 v[4:5], v[4:5], v[16:17]
	v_mov_b32_e32 v6, v27
	v_mov_b32_e32 v15, v7
	v_pk_mul_f32 v[6:7], v[10:11], v[6:7] op_sel:[1,0] op_sel_hi:[0,0]
	v_pk_fma_f32 v[8:9], v[10:11], v[26:27], v[6:7] neg_lo:[0,0,1] neg_hi:[0,0,1]
	v_pk_fma_f32 v[6:7], v[10:11], v[26:27], v[6:7] op_sel_hi:[1,0,1]
	v_pk_add_f32 v[4:5], v[4:5], v[14:15]
	v_mov_b32_e32 v9, v7
	s_waitcnt vmcnt(1) lgkmcnt(1)
	v_pk_mul_f32 v[6:7], v[32:33], v[28:29] op_sel:[1,1] op_sel_hi:[0,1]
	v_pk_add_f32 v[4:5], v[4:5], v[8:9]
	v_pk_fma_f32 v[8:9], v[32:33], v[28:29], v[6:7] neg_lo:[0,0,1] neg_hi:[0,0,1]
	v_pk_fma_f32 v[6:7], v[32:33], v[28:29], v[6:7] op_sel_hi:[1,0,1]
	s_nop 0
	v_mov_b32_e32 v6, v31
	v_mov_b32_e32 v9, v7
	v_pk_mul_f32 v[6:7], v[34:35], v[6:7] op_sel:[1,0] op_sel_hi:[0,0]
	v_pk_add_f32 v[4:5], v[4:5], v[8:9]
	v_pk_fma_f32 v[8:9], v[34:35], v[30:31], v[6:7] neg_lo:[0,0,1] neg_hi:[0,0,1]
	v_pk_fma_f32 v[6:7], v[34:35], v[30:31], v[6:7] op_sel_hi:[1,0,1]
	s_nop 0
	v_mov_b32_e32 v9, v7
	s_waitcnt vmcnt(0) lgkmcnt(0)
	v_pk_mul_f32 v[6:7], v[12:13], v[42:43] op_sel:[1,1] op_sel_hi:[0,1]
	v_pk_add_f32 v[4:5], v[4:5], v[8:9]
	v_pk_fma_f32 v[8:9], v[12:13], v[42:43], v[6:7] neg_lo:[0,0,1] neg_hi:[0,0,1]
	v_pk_fma_f32 v[6:7], v[12:13], v[42:43], v[6:7] op_sel_hi:[1,0,1]
	s_nop 0
	v_mov_b32_e32 v9, v7
	scratch_load_dwordx2 v[6:7], off, off offset:192
	v_pk_add_f32 v[4:5], v[4:5], v[8:9]
	s_waitcnt vmcnt(0)
	v_pk_add_f32 v[4:5], v[6:7], v[4:5] neg_lo:[0,1] neg_hi:[0,1]
	scratch_store_dwordx2 off, v[4:5], off offset:192
	s_and_saveexec_b64 s[0:1], vcc
	s_cbranch_execz .LBB99_183
; %bb.182:
	scratch_load_dwordx2 v[4:5], off, off offset:184
	v_mov_b32_e32 v3, v2
	scratch_store_dwordx2 off, v[2:3], off offset:184
	s_waitcnt vmcnt(1)
	ds_write_b64 v1, v[4:5]
.LBB99_183:
	s_or_b64 exec, exec, s[0:1]
	s_waitcnt lgkmcnt(0)
	; wave barrier
	ds_read_b128 v[4:7], v2 offset:480
	ds_read_b128 v[8:11], v2 offset:496
	ds_read_b128 v[12:15], v2 offset:512
	ds_read_b128 v[16:19], v2 offset:528
	scratch_load_dwordx4 v[20:23], off, off offset:192
	v_cmp_lt_u32_e32 vcc, 22, v0
	s_waitcnt vmcnt(0) lgkmcnt(3)
	v_mul_f32_e32 v3, v4, v21
	v_fmac_f32_e32 v3, v5, v20
	v_mul_f32_e32 v24, v6, v23
	v_add_f32_e32 v3, 0, v3
	v_fmac_f32_e32 v24, v7, v22
	v_add_f32_e32 v45, v3, v24
	scratch_load_dwordx4 v[24:27], off, off offset:208
	scratch_load_dwordx4 v[28:31], off, off offset:224
	;; [unrolled: 1-line block ×5, first 2 shown]
	v_mul_f32_e32 v3, v5, v21
	v_fma_f32 v3, v4, v20, -v3
	v_mul_f32_e32 v4, v7, v23
	v_fma_f32 v4, v6, v22, -v4
	v_add_f32_e32 v3, 0, v3
	v_add_f32_e32 v44, v3, v4
	s_waitcnt vmcnt(3) lgkmcnt(1)
	v_pk_mul_f32 v[20:21], v[12:13], v[28:29] op_sel:[1,1] op_sel_hi:[0,1]
	v_pk_fma_f32 v[22:23], v[12:13], v[28:29], v[20:21] neg_lo:[0,0,1] neg_hi:[0,0,1]
	v_pk_fma_f32 v[12:13], v[12:13], v[28:29], v[20:21] op_sel_hi:[1,0,1]
	v_mul_f32_e32 v47, v8, v25
	v_mov_b32_e32 v12, v31
	v_mul_f32_e32 v3, v9, v25
	v_mov_b32_e32 v23, v13
	v_pk_mul_f32 v[12:13], v[14:15], v[12:13] op_sel:[1,0] op_sel_hi:[0,0]
	v_fmac_f32_e32 v47, v9, v24
	v_mul_f32_e32 v49, v10, v27
	v_fma_f32 v46, v8, v24, -v3
	v_mul_f32_e32 v3, v11, v27
	v_pk_fma_f32 v[20:21], v[14:15], v[30:31], v[12:13] neg_lo:[0,0,1] neg_hi:[0,0,1]
	v_pk_fma_f32 v[12:13], v[14:15], v[30:31], v[12:13] op_sel_hi:[1,0,1]
	v_fmac_f32_e32 v49, v11, v26
	v_fma_f32 v48, v10, v26, -v3
	ds_read_b128 v[4:7], v2 offset:544
	ds_read_b128 v[8:11], v2 offset:560
	v_pk_add_f32 v[2:3], v[44:45], v[46:47]
	v_mov_b32_e32 v21, v13
	s_waitcnt vmcnt(2) lgkmcnt(2)
	v_pk_mul_f32 v[12:13], v[16:17], v[32:33] op_sel:[1,1] op_sel_hi:[0,1]
	v_pk_add_f32 v[2:3], v[2:3], v[48:49]
	v_pk_fma_f32 v[14:15], v[16:17], v[32:33], v[12:13] neg_lo:[0,0,1] neg_hi:[0,0,1]
	v_pk_fma_f32 v[12:13], v[16:17], v[32:33], v[12:13] op_sel_hi:[1,0,1]
	v_pk_add_f32 v[2:3], v[2:3], v[22:23]
	v_mov_b32_e32 v12, v35
	v_pk_add_f32 v[2:3], v[2:3], v[20:21]
	v_mov_b32_e32 v15, v13
	v_pk_mul_f32 v[12:13], v[18:19], v[12:13] op_sel:[1,0] op_sel_hi:[0,0]
	v_pk_add_f32 v[2:3], v[2:3], v[14:15]
	v_pk_fma_f32 v[14:15], v[18:19], v[34:35], v[12:13] neg_lo:[0,0,1] neg_hi:[0,0,1]
	v_pk_fma_f32 v[12:13], v[18:19], v[34:35], v[12:13] op_sel_hi:[1,0,1]
	s_nop 0
	v_mov_b32_e32 v15, v13
	s_waitcnt vmcnt(1) lgkmcnt(1)
	v_pk_mul_f32 v[12:13], v[4:5], v[36:37] op_sel:[1,1] op_sel_hi:[0,1]
	v_pk_add_f32 v[2:3], v[2:3], v[14:15]
	v_pk_fma_f32 v[14:15], v[4:5], v[36:37], v[12:13] neg_lo:[0,0,1] neg_hi:[0,0,1]
	v_pk_fma_f32 v[4:5], v[4:5], v[36:37], v[12:13] op_sel_hi:[1,0,1]
	s_nop 0
	v_mov_b32_e32 v4, v39
	v_mov_b32_e32 v15, v5
	v_pk_mul_f32 v[4:5], v[6:7], v[4:5] op_sel:[1,0] op_sel_hi:[0,0]
	v_pk_fma_f32 v[12:13], v[6:7], v[38:39], v[4:5] neg_lo:[0,0,1] neg_hi:[0,0,1]
	v_pk_fma_f32 v[4:5], v[6:7], v[38:39], v[4:5] op_sel_hi:[1,0,1]
	v_pk_add_f32 v[2:3], v[2:3], v[14:15]
	v_mov_b32_e32 v13, v5
	s_waitcnt vmcnt(0) lgkmcnt(0)
	v_pk_mul_f32 v[4:5], v[8:9], v[40:41] op_sel:[1,1] op_sel_hi:[0,1]
	v_pk_fma_f32 v[6:7], v[8:9], v[40:41], v[4:5] neg_lo:[0,0,1] neg_hi:[0,0,1]
	v_pk_fma_f32 v[4:5], v[8:9], v[40:41], v[4:5] op_sel_hi:[1,0,1]
	v_pk_add_f32 v[2:3], v[2:3], v[12:13]
	v_mov_b32_e32 v4, v43
	v_mov_b32_e32 v7, v5
	v_pk_mul_f32 v[4:5], v[10:11], v[4:5] op_sel:[1,0] op_sel_hi:[0,0]
	v_pk_add_f32 v[2:3], v[2:3], v[6:7]
	v_pk_fma_f32 v[6:7], v[10:11], v[42:43], v[4:5] neg_lo:[0,0,1] neg_hi:[0,0,1]
	v_pk_fma_f32 v[4:5], v[10:11], v[42:43], v[4:5] op_sel_hi:[1,0,1]
	s_nop 0
	v_mov_b32_e32 v7, v5
	scratch_load_dwordx2 v[4:5], off, off offset:184
	v_pk_add_f32 v[2:3], v[2:3], v[6:7]
	s_waitcnt vmcnt(0)
	v_pk_add_f32 v[2:3], v[4:5], v[2:3] neg_lo:[0,1] neg_hi:[0,1]
	scratch_store_dwordx2 off, v[2:3], off offset:184
	s_and_saveexec_b64 s[0:1], vcc
	s_cbranch_execz .LBB99_185
; %bb.184:
	scratch_load_dwordx2 v[2:3], off, off offset:176
	v_mov_b32_e32 v4, 0
	v_mov_b32_e32 v5, v4
	scratch_store_dwordx2 off, v[4:5], off offset:176
	s_waitcnt vmcnt(1)
	ds_write_b64 v1, v[2:3]
.LBB99_185:
	s_or_b64 exec, exec, s[0:1]
	s_waitcnt lgkmcnt(0)
	; wave barrier
	scratch_load_dwordx4 v[8:11], off, off offset:184
	scratch_load_dwordx4 v[16:19], off, off offset:200
	v_mov_b32_e32 v2, 0
	ds_read2_b64 v[4:7], v2 offset0:59 offset1:60
	scratch_load_dwordx4 v[24:27], off, off offset:216
	v_cmp_lt_u32_e32 vcc, 21, v0
	s_waitcnt vmcnt(2) lgkmcnt(0)
	v_mul_f32_e32 v3, v4, v9
	v_fmac_f32_e32 v3, v5, v8
	v_mul_f32_e32 v12, v6, v11
	v_add_f32_e32 v3, 0, v3
	v_fmac_f32_e32 v12, v7, v10
	v_add_f32_e32 v3, v3, v12
	ds_read2_b64 v[12:15], v2 offset0:61 offset1:62
	s_waitcnt vmcnt(1) lgkmcnt(0)
	v_mul_f32_e32 v20, v12, v17
	v_fmac_f32_e32 v20, v13, v16
	v_add_f32_e32 v41, v3, v20
	ds_read2_b64 v[20:23], v2 offset0:63 offset1:64
	scratch_load_dwordx4 v[28:31], off, off offset:232
	scratch_load_dwordx4 v[32:35], off, off offset:248
	scratch_load_dwordx4 v[36:39], off, off offset:264
	scratch_load_dwordx2 v[46:47], off, off offset:280
	v_mul_f32_e32 v3, v5, v9
	v_fma_f32 v3, v4, v8, -v3
	v_mul_f32_e32 v4, v7, v11
	v_add_f32_e32 v3, 0, v3
	v_fma_f32 v4, v6, v10, -v4
	v_add_f32_e32 v3, v3, v4
	v_mul_f32_e32 v4, v13, v17
	v_fma_f32 v4, v12, v16, -v4
	v_add_f32_e32 v40, v3, v4
	v_mul_f32_e32 v3, v15, v19
	v_fma_f32 v42, v14, v18, -v3
	s_waitcnt vmcnt(4) lgkmcnt(0)
	v_mul_f32_e32 v3, v21, v25
	v_mul_f32_e32 v43, v14, v19
	;; [unrolled: 1-line block ×3, first 2 shown]
	v_fma_f32 v44, v20, v24, -v3
	v_mov_b32_e32 v20, v27
	v_fmac_f32_e32 v43, v15, v18
	v_fmac_f32_e32 v45, v21, v24
	ds_read2_b64 v[4:7], v2 offset0:65 offset1:66
	ds_read2_b64 v[8:11], v2 offset0:67 offset1:68
	;; [unrolled: 1-line block ×3, first 2 shown]
	ds_read_b64 v[16:17], v2 offset:568
	v_pk_mul_f32 v[20:21], v[22:23], v[20:21] op_sel:[1,0] op_sel_hi:[0,0]
	v_pk_fma_f32 v[24:25], v[22:23], v[26:27], v[20:21] neg_lo:[0,0,1] neg_hi:[0,0,1]
	v_pk_fma_f32 v[20:21], v[22:23], v[26:27], v[20:21] op_sel_hi:[1,0,1]
	v_pk_add_f32 v[18:19], v[40:41], v[42:43]
	v_mov_b32_e32 v25, v21
	v_pk_add_f32 v[18:19], v[18:19], v[44:45]
	s_waitcnt vmcnt(3) lgkmcnt(3)
	v_pk_mul_f32 v[20:21], v[4:5], v[28:29] op_sel:[1,1] op_sel_hi:[0,1]
	v_pk_fma_f32 v[22:23], v[4:5], v[28:29], v[20:21] neg_lo:[0,0,1] neg_hi:[0,0,1]
	v_pk_fma_f32 v[4:5], v[4:5], v[28:29], v[20:21] op_sel_hi:[1,0,1]
	v_pk_add_f32 v[18:19], v[18:19], v[24:25]
	v_mov_b32_e32 v23, v5
	v_pk_add_f32 v[4:5], v[18:19], v[22:23]
	v_mov_b32_e32 v18, v31
	v_pk_mul_f32 v[18:19], v[6:7], v[18:19] op_sel:[1,0] op_sel_hi:[0,0]
	v_pk_fma_f32 v[20:21], v[6:7], v[30:31], v[18:19] neg_lo:[0,0,1] neg_hi:[0,0,1]
	v_pk_fma_f32 v[6:7], v[6:7], v[30:31], v[18:19] op_sel_hi:[1,0,1]
	s_nop 0
	v_mov_b32_e32 v21, v7
	s_waitcnt vmcnt(2) lgkmcnt(2)
	v_pk_mul_f32 v[6:7], v[8:9], v[32:33] op_sel:[1,1] op_sel_hi:[0,1]
	v_pk_fma_f32 v[18:19], v[8:9], v[32:33], v[6:7] neg_lo:[0,0,1] neg_hi:[0,0,1]
	v_pk_fma_f32 v[6:7], v[8:9], v[32:33], v[6:7] op_sel_hi:[1,0,1]
	v_pk_add_f32 v[4:5], v[4:5], v[20:21]
	v_mov_b32_e32 v6, v35
	v_mov_b32_e32 v19, v7
	v_pk_mul_f32 v[6:7], v[10:11], v[6:7] op_sel:[1,0] op_sel_hi:[0,0]
	v_pk_fma_f32 v[8:9], v[10:11], v[34:35], v[6:7] neg_lo:[0,0,1] neg_hi:[0,0,1]
	v_pk_fma_f32 v[6:7], v[10:11], v[34:35], v[6:7] op_sel_hi:[1,0,1]
	v_pk_add_f32 v[4:5], v[4:5], v[18:19]
	v_mov_b32_e32 v9, v7
	s_waitcnt vmcnt(1) lgkmcnt(1)
	v_pk_mul_f32 v[6:7], v[12:13], v[36:37] op_sel:[1,1] op_sel_hi:[0,1]
	v_pk_add_f32 v[4:5], v[4:5], v[8:9]
	v_pk_fma_f32 v[8:9], v[12:13], v[36:37], v[6:7] neg_lo:[0,0,1] neg_hi:[0,0,1]
	v_pk_fma_f32 v[6:7], v[12:13], v[36:37], v[6:7] op_sel_hi:[1,0,1]
	s_nop 0
	v_mov_b32_e32 v6, v39
	v_mov_b32_e32 v9, v7
	v_pk_mul_f32 v[6:7], v[14:15], v[6:7] op_sel:[1,0] op_sel_hi:[0,0]
	v_pk_add_f32 v[4:5], v[4:5], v[8:9]
	v_pk_fma_f32 v[8:9], v[14:15], v[38:39], v[6:7] neg_lo:[0,0,1] neg_hi:[0,0,1]
	v_pk_fma_f32 v[6:7], v[14:15], v[38:39], v[6:7] op_sel_hi:[1,0,1]
	s_nop 0
	v_mov_b32_e32 v9, v7
	s_waitcnt vmcnt(0) lgkmcnt(0)
	v_pk_mul_f32 v[6:7], v[16:17], v[46:47] op_sel:[1,1] op_sel_hi:[0,1]
	v_pk_add_f32 v[4:5], v[4:5], v[8:9]
	v_pk_fma_f32 v[8:9], v[16:17], v[46:47], v[6:7] neg_lo:[0,0,1] neg_hi:[0,0,1]
	v_pk_fma_f32 v[6:7], v[16:17], v[46:47], v[6:7] op_sel_hi:[1,0,1]
	s_nop 0
	v_mov_b32_e32 v9, v7
	scratch_load_dwordx2 v[6:7], off, off offset:176
	v_pk_add_f32 v[4:5], v[4:5], v[8:9]
	s_waitcnt vmcnt(0)
	v_pk_add_f32 v[4:5], v[6:7], v[4:5] neg_lo:[0,1] neg_hi:[0,1]
	scratch_store_dwordx2 off, v[4:5], off offset:176
	s_and_saveexec_b64 s[0:1], vcc
	s_cbranch_execz .LBB99_187
; %bb.186:
	scratch_load_dwordx2 v[4:5], off, off offset:168
	v_mov_b32_e32 v3, v2
	scratch_store_dwordx2 off, v[2:3], off offset:168
	s_waitcnt vmcnt(1)
	ds_write_b64 v1, v[4:5]
.LBB99_187:
	s_or_b64 exec, exec, s[0:1]
	s_waitcnt lgkmcnt(0)
	; wave barrier
	ds_read_b128 v[4:7], v2 offset:464
	ds_read_b128 v[8:11], v2 offset:480
	;; [unrolled: 1-line block ×4, first 2 shown]
	scratch_load_dwordx4 v[20:23], off, off offset:176
	v_cmp_lt_u32_e32 vcc, 20, v0
	s_waitcnt vmcnt(0) lgkmcnt(3)
	v_mul_f32_e32 v3, v4, v21
	v_fmac_f32_e32 v3, v5, v20
	v_mul_f32_e32 v24, v6, v23
	v_add_f32_e32 v3, 0, v3
	v_fmac_f32_e32 v24, v7, v22
	v_add_f32_e32 v3, v3, v24
	scratch_load_dwordx4 v[24:27], off, off offset:192
	s_waitcnt vmcnt(0) lgkmcnt(2)
	v_mul_f32_e32 v28, v8, v25
	v_fmac_f32_e32 v28, v9, v24
	v_add_f32_e32 v3, v3, v28
	v_mul_f32_e32 v28, v10, v27
	v_fmac_f32_e32 v28, v11, v26
	v_add_f32_e32 v49, v3, v28
	scratch_load_dwordx4 v[28:31], off, off offset:208
	scratch_load_dwordx4 v[32:35], off, off offset:224
	;; [unrolled: 1-line block ×5, first 2 shown]
	v_mul_f32_e32 v3, v5, v21
	v_fma_f32 v3, v4, v20, -v3
	v_mul_f32_e32 v4, v7, v23
	v_add_f32_e32 v3, 0, v3
	v_fma_f32 v4, v6, v22, -v4
	v_add_f32_e32 v3, v3, v4
	v_mul_f32_e32 v4, v9, v25
	v_fma_f32 v4, v8, v24, -v4
	v_add_f32_e32 v3, v3, v4
	v_mul_f32_e32 v4, v11, v27
	v_fma_f32 v4, v10, v26, -v4
	v_add_f32_e32 v48, v3, v4
	s_waitcnt vmcnt(3) lgkmcnt(0)
	v_pk_mul_f32 v[20:21], v[16:17], v[32:33] op_sel:[1,1] op_sel_hi:[0,1]
	v_pk_fma_f32 v[22:23], v[16:17], v[32:33], v[20:21] neg_lo:[0,0,1] neg_hi:[0,0,1]
	v_mul_f32_e32 v3, v13, v29
	v_mul_f32_e32 v51, v12, v29
	;; [unrolled: 1-line block ×3, first 2 shown]
	v_fma_f32 v50, v12, v28, -v3
	v_mul_f32_e32 v3, v15, v31
	v_pk_fma_f32 v[16:17], v[16:17], v[32:33], v[20:21] op_sel_hi:[1,0,1]
	v_fmac_f32_e32 v51, v13, v28
	v_fmac_f32_e32 v53, v15, v30
	v_fma_f32 v52, v14, v30, -v3
	ds_read_b128 v[4:7], v2 offset:528
	ds_read_b128 v[8:11], v2 offset:544
	ds_read_b128 v[12:15], v2 offset:560
	v_mov_b32_e32 v16, v35
	v_mov_b32_e32 v23, v17
	v_pk_mul_f32 v[16:17], v[18:19], v[16:17] op_sel:[1,0] op_sel_hi:[0,0]
	v_pk_fma_f32 v[20:21], v[18:19], v[34:35], v[16:17] neg_lo:[0,0,1] neg_hi:[0,0,1]
	v_pk_fma_f32 v[16:17], v[18:19], v[34:35], v[16:17] op_sel_hi:[1,0,1]
	v_pk_add_f32 v[2:3], v[48:49], v[50:51]
	v_mov_b32_e32 v21, v17
	s_waitcnt vmcnt(2) lgkmcnt(2)
	v_pk_mul_f32 v[16:17], v[4:5], v[36:37] op_sel:[1,1] op_sel_hi:[0,1]
	v_pk_fma_f32 v[18:19], v[4:5], v[36:37], v[16:17] neg_lo:[0,0,1] neg_hi:[0,0,1]
	v_pk_fma_f32 v[4:5], v[4:5], v[36:37], v[16:17] op_sel_hi:[1,0,1]
	v_pk_add_f32 v[2:3], v[2:3], v[52:53]
	v_mov_b32_e32 v4, v39
	v_mov_b32_e32 v19, v5
	v_pk_mul_f32 v[4:5], v[6:7], v[4:5] op_sel:[1,0] op_sel_hi:[0,0]
	v_pk_fma_f32 v[16:17], v[6:7], v[38:39], v[4:5] neg_lo:[0,0,1] neg_hi:[0,0,1]
	v_pk_fma_f32 v[4:5], v[6:7], v[38:39], v[4:5] op_sel_hi:[1,0,1]
	v_pk_add_f32 v[2:3], v[2:3], v[22:23]
	v_mov_b32_e32 v17, v5
	s_waitcnt vmcnt(1) lgkmcnt(1)
	v_pk_mul_f32 v[4:5], v[8:9], v[40:41] op_sel:[1,1] op_sel_hi:[0,1]
	v_pk_add_f32 v[2:3], v[2:3], v[20:21]
	v_pk_fma_f32 v[6:7], v[8:9], v[40:41], v[4:5] neg_lo:[0,0,1] neg_hi:[0,0,1]
	v_pk_fma_f32 v[4:5], v[8:9], v[40:41], v[4:5] op_sel_hi:[1,0,1]
	v_pk_add_f32 v[2:3], v[2:3], v[18:19]
	v_mov_b32_e32 v4, v43
	v_pk_add_f32 v[2:3], v[2:3], v[16:17]
	v_mov_b32_e32 v7, v5
	v_pk_mul_f32 v[4:5], v[10:11], v[4:5] op_sel:[1,0] op_sel_hi:[0,0]
	v_pk_add_f32 v[2:3], v[2:3], v[6:7]
	v_pk_fma_f32 v[6:7], v[10:11], v[42:43], v[4:5] neg_lo:[0,0,1] neg_hi:[0,0,1]
	v_pk_fma_f32 v[4:5], v[10:11], v[42:43], v[4:5] op_sel_hi:[1,0,1]
	s_nop 0
	v_mov_b32_e32 v7, v5
	s_waitcnt vmcnt(0) lgkmcnt(0)
	v_pk_mul_f32 v[4:5], v[12:13], v[44:45] op_sel:[1,1] op_sel_hi:[0,1]
	v_pk_add_f32 v[2:3], v[2:3], v[6:7]
	v_pk_fma_f32 v[6:7], v[12:13], v[44:45], v[4:5] neg_lo:[0,0,1] neg_hi:[0,0,1]
	v_pk_fma_f32 v[4:5], v[12:13], v[44:45], v[4:5] op_sel_hi:[1,0,1]
	s_nop 0
	v_mov_b32_e32 v4, v47
	v_mov_b32_e32 v7, v5
	v_pk_mul_f32 v[4:5], v[14:15], v[4:5] op_sel:[1,0] op_sel_hi:[0,0]
	v_pk_add_f32 v[2:3], v[2:3], v[6:7]
	v_pk_fma_f32 v[6:7], v[14:15], v[46:47], v[4:5] neg_lo:[0,0,1] neg_hi:[0,0,1]
	v_pk_fma_f32 v[4:5], v[14:15], v[46:47], v[4:5] op_sel_hi:[1,0,1]
	s_nop 0
	v_mov_b32_e32 v7, v5
	scratch_load_dwordx2 v[4:5], off, off offset:168
	v_pk_add_f32 v[2:3], v[2:3], v[6:7]
	s_waitcnt vmcnt(0)
	v_pk_add_f32 v[2:3], v[4:5], v[2:3] neg_lo:[0,1] neg_hi:[0,1]
	scratch_store_dwordx2 off, v[2:3], off offset:168
	s_and_saveexec_b64 s[0:1], vcc
	s_cbranch_execz .LBB99_189
; %bb.188:
	scratch_load_dwordx2 v[2:3], off, off offset:160
	v_mov_b32_e32 v4, 0
	v_mov_b32_e32 v5, v4
	scratch_store_dwordx2 off, v[4:5], off offset:160
	s_waitcnt vmcnt(1)
	ds_write_b64 v1, v[2:3]
.LBB99_189:
	s_or_b64 exec, exec, s[0:1]
	s_waitcnt lgkmcnt(0)
	; wave barrier
	scratch_load_dwordx4 v[8:11], off, off offset:168
	scratch_load_dwordx4 v[16:19], off, off offset:184
	;; [unrolled: 1-line block ×4, first 2 shown]
	v_mov_b32_e32 v2, 0
	ds_read2_b64 v[4:7], v2 offset0:57 offset1:58
	v_cmp_lt_u32_e32 vcc, 19, v0
	s_waitcnt vmcnt(3) lgkmcnt(0)
	v_mul_f32_e32 v3, v4, v9
	v_fmac_f32_e32 v3, v5, v8
	v_mul_f32_e32 v12, v6, v11
	v_add_f32_e32 v3, 0, v3
	v_fmac_f32_e32 v12, v7, v10
	v_add_f32_e32 v3, v3, v12
	ds_read2_b64 v[12:15], v2 offset0:59 offset1:60
	s_waitcnt vmcnt(2) lgkmcnt(0)
	v_mul_f32_e32 v20, v12, v17
	v_fmac_f32_e32 v20, v13, v16
	v_add_f32_e32 v3, v3, v20
	v_mul_f32_e32 v20, v14, v19
	v_fmac_f32_e32 v20, v15, v18
	v_add_f32_e32 v3, v3, v20
	ds_read2_b64 v[20:23], v2 offset0:61 offset1:62
	s_waitcnt vmcnt(1) lgkmcnt(0)
	v_mul_f32_e32 v28, v20, v25
	v_fmac_f32_e32 v28, v21, v24
	v_add_f32_e32 v49, v3, v28
	ds_read2_b64 v[28:31], v2 offset0:63 offset1:64
	scratch_load_dwordx4 v[36:39], off, off offset:232
	scratch_load_dwordx4 v[40:43], off, off offset:248
	;; [unrolled: 1-line block ×3, first 2 shown]
	scratch_load_dwordx2 v[54:55], off, off offset:280
	v_mul_f32_e32 v3, v5, v9
	v_fma_f32 v3, v4, v8, -v3
	v_mul_f32_e32 v4, v7, v11
	v_add_f32_e32 v3, 0, v3
	v_fma_f32 v4, v6, v10, -v4
	v_add_f32_e32 v3, v3, v4
	v_mul_f32_e32 v4, v13, v17
	v_fma_f32 v4, v12, v16, -v4
	v_add_f32_e32 v3, v3, v4
	v_mul_f32_e32 v4, v15, v19
	;; [unrolled: 3-line block ×3, first 2 shown]
	v_fma_f32 v4, v20, v24, -v4
	v_mul_f32_e32 v51, v22, v27
	v_add_f32_e32 v48, v3, v4
	v_mul_f32_e32 v3, v23, v27
	s_waitcnt vmcnt(4)
	v_mov_b32_e32 v20, v35
	v_fmac_f32_e32 v51, v23, v26
	s_waitcnt lgkmcnt(0)
	v_mul_f32_e32 v53, v28, v33
	v_fma_f32 v50, v22, v26, -v3
	v_mul_f32_e32 v3, v29, v33
	ds_read2_b64 v[4:7], v2 offset0:65 offset1:66
	ds_read2_b64 v[8:11], v2 offset0:67 offset1:68
	;; [unrolled: 1-line block ×3, first 2 shown]
	ds_read_b64 v[16:17], v2 offset:568
	v_pk_mul_f32 v[20:21], v[30:31], v[20:21] op_sel:[1,0] op_sel_hi:[0,0]
	v_fmac_f32_e32 v53, v29, v32
	v_fma_f32 v52, v28, v32, -v3
	v_pk_add_f32 v[18:19], v[48:49], v[50:51]
	v_pk_fma_f32 v[22:23], v[30:31], v[34:35], v[20:21] neg_lo:[0,0,1] neg_hi:[0,0,1]
	v_pk_fma_f32 v[20:21], v[30:31], v[34:35], v[20:21] op_sel_hi:[1,0,1]
	v_pk_add_f32 v[18:19], v[18:19], v[52:53]
	v_mov_b32_e32 v23, v21
	v_pk_add_f32 v[18:19], v[18:19], v[22:23]
	s_waitcnt vmcnt(3) lgkmcnt(3)
	v_pk_mul_f32 v[20:21], v[4:5], v[36:37] op_sel:[1,1] op_sel_hi:[0,1]
	v_pk_fma_f32 v[22:23], v[4:5], v[36:37], v[20:21] neg_lo:[0,0,1] neg_hi:[0,0,1]
	v_pk_fma_f32 v[4:5], v[4:5], v[36:37], v[20:21] op_sel_hi:[1,0,1]
	s_nop 0
	v_mov_b32_e32 v23, v5
	v_pk_add_f32 v[4:5], v[18:19], v[22:23]
	v_mov_b32_e32 v18, v39
	v_pk_mul_f32 v[18:19], v[6:7], v[18:19] op_sel:[1,0] op_sel_hi:[0,0]
	v_pk_fma_f32 v[20:21], v[6:7], v[38:39], v[18:19] neg_lo:[0,0,1] neg_hi:[0,0,1]
	v_pk_fma_f32 v[6:7], v[6:7], v[38:39], v[18:19] op_sel_hi:[1,0,1]
	s_nop 0
	v_mov_b32_e32 v21, v7
	s_waitcnt vmcnt(2) lgkmcnt(2)
	v_pk_mul_f32 v[6:7], v[8:9], v[40:41] op_sel:[1,1] op_sel_hi:[0,1]
	v_pk_fma_f32 v[18:19], v[8:9], v[40:41], v[6:7] neg_lo:[0,0,1] neg_hi:[0,0,1]
	v_pk_fma_f32 v[6:7], v[8:9], v[40:41], v[6:7] op_sel_hi:[1,0,1]
	v_pk_add_f32 v[4:5], v[4:5], v[20:21]
	v_mov_b32_e32 v6, v43
	v_mov_b32_e32 v19, v7
	v_pk_mul_f32 v[6:7], v[10:11], v[6:7] op_sel:[1,0] op_sel_hi:[0,0]
	v_pk_fma_f32 v[8:9], v[10:11], v[42:43], v[6:7] neg_lo:[0,0,1] neg_hi:[0,0,1]
	v_pk_fma_f32 v[6:7], v[10:11], v[42:43], v[6:7] op_sel_hi:[1,0,1]
	v_pk_add_f32 v[4:5], v[4:5], v[18:19]
	v_mov_b32_e32 v9, v7
	s_waitcnt vmcnt(1) lgkmcnt(1)
	v_pk_mul_f32 v[6:7], v[12:13], v[44:45] op_sel:[1,1] op_sel_hi:[0,1]
	v_pk_add_f32 v[4:5], v[4:5], v[8:9]
	v_pk_fma_f32 v[8:9], v[12:13], v[44:45], v[6:7] neg_lo:[0,0,1] neg_hi:[0,0,1]
	v_pk_fma_f32 v[6:7], v[12:13], v[44:45], v[6:7] op_sel_hi:[1,0,1]
	s_nop 0
	v_mov_b32_e32 v6, v47
	v_mov_b32_e32 v9, v7
	v_pk_mul_f32 v[6:7], v[14:15], v[6:7] op_sel:[1,0] op_sel_hi:[0,0]
	v_pk_add_f32 v[4:5], v[4:5], v[8:9]
	v_pk_fma_f32 v[8:9], v[14:15], v[46:47], v[6:7] neg_lo:[0,0,1] neg_hi:[0,0,1]
	v_pk_fma_f32 v[6:7], v[14:15], v[46:47], v[6:7] op_sel_hi:[1,0,1]
	s_nop 0
	v_mov_b32_e32 v9, v7
	s_waitcnt vmcnt(0) lgkmcnt(0)
	v_pk_mul_f32 v[6:7], v[16:17], v[54:55] op_sel:[1,1] op_sel_hi:[0,1]
	v_pk_add_f32 v[4:5], v[4:5], v[8:9]
	v_pk_fma_f32 v[8:9], v[16:17], v[54:55], v[6:7] neg_lo:[0,0,1] neg_hi:[0,0,1]
	v_pk_fma_f32 v[6:7], v[16:17], v[54:55], v[6:7] op_sel_hi:[1,0,1]
	s_nop 0
	v_mov_b32_e32 v9, v7
	scratch_load_dwordx2 v[6:7], off, off offset:160
	v_pk_add_f32 v[4:5], v[4:5], v[8:9]
	s_waitcnt vmcnt(0)
	v_pk_add_f32 v[4:5], v[6:7], v[4:5] neg_lo:[0,1] neg_hi:[0,1]
	scratch_store_dwordx2 off, v[4:5], off offset:160
	s_and_saveexec_b64 s[0:1], vcc
	s_cbranch_execz .LBB99_191
; %bb.190:
	scratch_load_dwordx2 v[4:5], off, off offset:152
	v_mov_b32_e32 v3, v2
	scratch_store_dwordx2 off, v[2:3], off offset:152
	s_waitcnt vmcnt(1)
	ds_write_b64 v1, v[4:5]
.LBB99_191:
	s_or_b64 exec, exec, s[0:1]
	s_waitcnt lgkmcnt(0)
	; wave barrier
	ds_read_b128 v[4:7], v2 offset:448
	ds_read_b128 v[8:11], v2 offset:464
	;; [unrolled: 1-line block ×4, first 2 shown]
	scratch_load_dwordx4 v[20:23], off, off offset:160
	v_cmp_lt_u32_e32 vcc, 18, v0
	s_waitcnt vmcnt(0) lgkmcnt(3)
	v_mul_f32_e32 v3, v4, v21
	v_fmac_f32_e32 v3, v5, v20
	v_mul_f32_e32 v24, v6, v23
	v_add_f32_e32 v3, 0, v3
	v_fmac_f32_e32 v24, v7, v22
	v_add_f32_e32 v3, v3, v24
	scratch_load_dwordx4 v[24:27], off, off offset:176
	s_waitcnt vmcnt(0) lgkmcnt(2)
	v_mul_f32_e32 v28, v8, v25
	v_fmac_f32_e32 v28, v9, v24
	v_add_f32_e32 v3, v3, v28
	v_mul_f32_e32 v28, v10, v27
	v_fmac_f32_e32 v28, v11, v26
	v_add_f32_e32 v3, v3, v28
	scratch_load_dwordx4 v[28:31], off, off offset:192
	s_waitcnt vmcnt(0) lgkmcnt(1)
	v_mul_f32_e32 v32, v12, v29
	v_fmac_f32_e32 v32, v13, v28
	v_add_f32_e32 v3, v3, v32
	v_mul_f32_e32 v32, v14, v31
	v_fmac_f32_e32 v32, v15, v30
	v_add_f32_e32 v53, v3, v32
	scratch_load_dwordx4 v[32:35], off, off offset:208
	scratch_load_dwordx4 v[36:39], off, off offset:224
	;; [unrolled: 1-line block ×5, first 2 shown]
	v_mul_f32_e32 v3, v5, v21
	v_fma_f32 v3, v4, v20, -v3
	v_mul_f32_e32 v4, v7, v23
	v_add_f32_e32 v3, 0, v3
	v_fma_f32 v4, v6, v22, -v4
	v_add_f32_e32 v3, v3, v4
	v_mul_f32_e32 v4, v9, v25
	v_fma_f32 v4, v8, v24, -v4
	v_add_f32_e32 v3, v3, v4
	v_mul_f32_e32 v4, v11, v27
	;; [unrolled: 3-line block ×4, first 2 shown]
	v_fma_f32 v4, v14, v30, -v4
	v_add_f32_e32 v52, v3, v4
	s_waitcnt vmcnt(4) lgkmcnt(0)
	v_mul_f32_e32 v3, v17, v33
	v_mul_f32_e32 v55, v16, v33
	;; [unrolled: 1-line block ×3, first 2 shown]
	v_fma_f32 v54, v16, v32, -v3
	v_mul_f32_e32 v3, v19, v35
	v_fmac_f32_e32 v55, v17, v32
	v_fmac_f32_e32 v57, v19, v34
	v_fma_f32 v56, v18, v34, -v3
	ds_read_b128 v[4:7], v2 offset:512
	ds_read_b128 v[8:11], v2 offset:528
	;; [unrolled: 1-line block ×4, first 2 shown]
	v_pk_add_f32 v[2:3], v[52:53], v[54:55]
	s_waitcnt vmcnt(3) lgkmcnt(3)
	v_pk_mul_f32 v[20:21], v[4:5], v[36:37] op_sel:[1,1] op_sel_hi:[0,1]
	v_pk_fma_f32 v[22:23], v[4:5], v[36:37], v[20:21] neg_lo:[0,0,1] neg_hi:[0,0,1]
	v_pk_fma_f32 v[4:5], v[4:5], v[36:37], v[20:21] op_sel_hi:[1,0,1]
	v_pk_add_f32 v[2:3], v[2:3], v[56:57]
	v_mov_b32_e32 v4, v39
	v_mov_b32_e32 v23, v5
	v_pk_mul_f32 v[4:5], v[6:7], v[4:5] op_sel:[1,0] op_sel_hi:[0,0]
	v_pk_fma_f32 v[20:21], v[6:7], v[38:39], v[4:5] neg_lo:[0,0,1] neg_hi:[0,0,1]
	v_pk_fma_f32 v[4:5], v[6:7], v[38:39], v[4:5] op_sel_hi:[1,0,1]
	v_pk_add_f32 v[2:3], v[2:3], v[22:23]
	v_mov_b32_e32 v21, v5
	s_waitcnt vmcnt(2) lgkmcnt(2)
	v_pk_mul_f32 v[4:5], v[8:9], v[40:41] op_sel:[1,1] op_sel_hi:[0,1]
	v_pk_fma_f32 v[6:7], v[8:9], v[40:41], v[4:5] neg_lo:[0,0,1] neg_hi:[0,0,1]
	v_pk_fma_f32 v[4:5], v[8:9], v[40:41], v[4:5] op_sel_hi:[1,0,1]
	v_pk_add_f32 v[2:3], v[2:3], v[20:21]
	v_mov_b32_e32 v4, v43
	v_mov_b32_e32 v7, v5
	v_pk_mul_f32 v[4:5], v[10:11], v[4:5] op_sel:[1,0] op_sel_hi:[0,0]
	v_pk_add_f32 v[2:3], v[2:3], v[6:7]
	v_pk_fma_f32 v[6:7], v[10:11], v[42:43], v[4:5] neg_lo:[0,0,1] neg_hi:[0,0,1]
	v_pk_fma_f32 v[4:5], v[10:11], v[42:43], v[4:5] op_sel_hi:[1,0,1]
	s_nop 0
	v_mov_b32_e32 v7, v5
	s_waitcnt vmcnt(1) lgkmcnt(1)
	v_pk_mul_f32 v[4:5], v[12:13], v[44:45] op_sel:[1,1] op_sel_hi:[0,1]
	v_pk_add_f32 v[2:3], v[2:3], v[6:7]
	v_pk_fma_f32 v[6:7], v[12:13], v[44:45], v[4:5] neg_lo:[0,0,1] neg_hi:[0,0,1]
	v_pk_fma_f32 v[4:5], v[12:13], v[44:45], v[4:5] op_sel_hi:[1,0,1]
	s_nop 0
	v_mov_b32_e32 v4, v47
	v_mov_b32_e32 v7, v5
	v_pk_mul_f32 v[4:5], v[14:15], v[4:5] op_sel:[1,0] op_sel_hi:[0,0]
	v_pk_add_f32 v[2:3], v[2:3], v[6:7]
	v_pk_fma_f32 v[6:7], v[14:15], v[46:47], v[4:5] neg_lo:[0,0,1] neg_hi:[0,0,1]
	v_pk_fma_f32 v[4:5], v[14:15], v[46:47], v[4:5] op_sel_hi:[1,0,1]
	s_nop 0
	v_mov_b32_e32 v7, v5
	s_waitcnt vmcnt(0) lgkmcnt(0)
	v_pk_mul_f32 v[4:5], v[16:17], v[48:49] op_sel:[1,1] op_sel_hi:[0,1]
	v_pk_add_f32 v[2:3], v[2:3], v[6:7]
	v_pk_fma_f32 v[6:7], v[16:17], v[48:49], v[4:5] neg_lo:[0,0,1] neg_hi:[0,0,1]
	v_pk_fma_f32 v[4:5], v[16:17], v[48:49], v[4:5] op_sel_hi:[1,0,1]
	s_nop 0
	v_mov_b32_e32 v4, v51
	v_mov_b32_e32 v7, v5
	v_pk_mul_f32 v[4:5], v[18:19], v[4:5] op_sel:[1,0] op_sel_hi:[0,0]
	v_pk_add_f32 v[2:3], v[2:3], v[6:7]
	v_pk_fma_f32 v[6:7], v[18:19], v[50:51], v[4:5] neg_lo:[0,0,1] neg_hi:[0,0,1]
	v_pk_fma_f32 v[4:5], v[18:19], v[50:51], v[4:5] op_sel_hi:[1,0,1]
	s_nop 0
	v_mov_b32_e32 v7, v5
	scratch_load_dwordx2 v[4:5], off, off offset:152
	v_pk_add_f32 v[2:3], v[2:3], v[6:7]
	s_waitcnt vmcnt(0)
	v_pk_add_f32 v[2:3], v[4:5], v[2:3] neg_lo:[0,1] neg_hi:[0,1]
	scratch_store_dwordx2 off, v[2:3], off offset:152
	s_and_saveexec_b64 s[0:1], vcc
	s_cbranch_execz .LBB99_193
; %bb.192:
	scratch_load_dwordx2 v[2:3], off, off offset:144
	v_mov_b32_e32 v4, 0
	v_mov_b32_e32 v5, v4
	scratch_store_dwordx2 off, v[4:5], off offset:144
	s_waitcnt vmcnt(1)
	ds_write_b64 v1, v[2:3]
.LBB99_193:
	s_or_b64 exec, exec, s[0:1]
	s_waitcnt lgkmcnt(0)
	; wave barrier
	scratch_load_dwordx4 v[4:7], off, off offset:152
	scratch_load_dwordx4 v[8:11], off, off offset:168
	;; [unrolled: 1-line block ×8, first 2 shown]
	scratch_load_dwordx2 v[68:69], off, off offset:280
	scratch_load_dwordx2 v[70:71], off, off offset:144
	v_mov_b32_e32 v2, 0
	ds_read2_b64 v[36:39], v2 offset0:55 offset1:56
	ds_read2_b64 v[40:43], v2 offset0:57 offset1:58
	;; [unrolled: 1-line block ×8, first 2 shown]
	ds_read_b64 v[72:73], v2 offset:568
	v_cmp_lt_u32_e32 vcc, 17, v0
	s_waitcnt vmcnt(9) lgkmcnt(8)
	v_mul_f32_e32 v79, v38, v7
	v_mul_f32_e32 v3, v36, v5
	s_waitcnt vmcnt(8) lgkmcnt(7)
	v_mul_f32_e32 v83, v40, v9
	s_waitcnt vmcnt(7) lgkmcnt(6)
	v_mul_f32_e32 v87, v44, v13
	v_mul_f32_e32 v5, v37, v5
	;; [unrolled: 1-line block ×5, first 2 shown]
	s_waitcnt vmcnt(5)
	v_mov_b32_e32 v78, v23
	s_waitcnt vmcnt(3) lgkmcnt(2)
	v_pk_mul_f32 v[84:85], v[60:61], v[28:29] op_sel:[1,1] op_sel_hi:[0,1]
	v_fmac_f32_e32 v79, v39, v6
	v_mul_f32_e32 v86, v42, v11
	v_mul_f32_e32 v89, v48, v17
	v_mul_f32_e32 v11, v43, v11
	v_mul_f32_e32 v17, v49, v17
	v_fmac_f32_e32 v3, v37, v4
	v_fmac_f32_e32 v87, v45, v12
	v_fma_f32 v36, v36, v4, -v5
	v_fma_f32 v37, v38, v6, -v7
	v_fma_f32 v38, v40, v8, -v9
	v_fma_f32 v40, v44, v12, -v13
	v_pk_mul_f32 v[4:5], v[54:55], v[78:79] op_sel:[1,0] op_sel_hi:[0,0]
	v_pk_fma_f32 v[12:13], v[60:61], v[28:29], v[84:85] neg_lo:[0,0,1] neg_hi:[0,0,1]
	v_fmac_f32_e32 v89, v49, v16
	v_fma_f32 v39, v42, v10, -v11
	v_fma_f32 v42, v48, v16, -v17
	v_add_f32_e32 v3, 0, v3
	v_add_f32_e32 v13, 0, v36
	v_pk_fma_f32 v[16:17], v[54:55], v[22:23], v[4:5] neg_lo:[0,0,1] neg_hi:[0,0,1]
	v_pk_fma_f32 v[4:5], v[54:55], v[22:23], v[4:5] op_sel_hi:[1,0,1]
	v_fmac_f32_e32 v83, v41, v8
	v_add_f32_e32 v3, v3, v79
	v_add_f32_e32 v4, v13, v37
	v_fmac_f32_e32 v86, v43, v10
	v_add_f32_e32 v3, v3, v83
	v_add_f32_e32 v4, v4, v38
	v_mul_f32_e32 v88, v46, v15
	v_mul_f32_e32 v15, v47, v15
	v_add_f32_e32 v3, v3, v86
	v_add_f32_e32 v4, v4, v39
	v_fmac_f32_e32 v88, v47, v14
	v_fma_f32 v41, v46, v14, -v15
	v_add_f32_e32 v3, v3, v87
	v_add_f32_e32 v4, v4, v40
	v_mul_f32_e32 v75, v50, v19
	v_mul_f32_e32 v19, v51, v19
	v_add_f32_e32 v3, v3, v88
	v_add_f32_e32 v4, v4, v41
	v_mul_f32_e32 v77, v52, v21
	v_mul_f32_e32 v21, v53, v21
	v_fmac_f32_e32 v75, v51, v18
	v_fma_f32 v74, v50, v18, -v19
	v_mov_b32_e32 v17, v5
	v_add_f32_e32 v5, v3, v89
	v_add_f32_e32 v4, v4, v42
	v_pk_mul_f32 v[80:81], v[56:57], v[24:25] op_sel:[1,1] op_sel_hi:[0,1]
	v_fmac_f32_e32 v77, v53, v20
	v_fma_f32 v76, v52, v20, -v21
	v_pk_add_f32 v[4:5], v[4:5], v[74:75]
	v_mov_b32_e32 v82, v27
	v_pk_fma_f32 v[6:7], v[56:57], v[24:25], v[80:81] neg_lo:[0,0,1] neg_hi:[0,0,1]
	v_pk_fma_f32 v[8:9], v[56:57], v[24:25], v[80:81] op_sel_hi:[1,0,1]
	v_pk_add_f32 v[4:5], v[4:5], v[76:77]
	v_pk_mul_f32 v[10:11], v[58:59], v[82:83] op_sel:[1,0] op_sel_hi:[0,0]
	v_mov_b32_e32 v7, v9
	v_pk_add_f32 v[4:5], v[4:5], v[16:17]
	v_pk_fma_f32 v[8:9], v[58:59], v[26:27], v[10:11] neg_lo:[0,0,1] neg_hi:[0,0,1]
	v_pk_fma_f32 v[10:11], v[58:59], v[26:27], v[10:11] op_sel_hi:[1,0,1]
	v_pk_add_f32 v[4:5], v[4:5], v[6:7]
	v_mov_b32_e32 v6, v31
	v_pk_fma_f32 v[14:15], v[60:61], v[28:29], v[84:85] op_sel_hi:[1,0,1]
	v_mov_b32_e32 v9, v11
	v_pk_mul_f32 v[6:7], v[62:63], v[6:7] op_sel:[1,0] op_sel_hi:[0,0]
	v_pk_add_f32 v[4:5], v[4:5], v[8:9]
	v_mov_b32_e32 v13, v15
	v_pk_fma_f32 v[8:9], v[62:63], v[30:31], v[6:7] neg_lo:[0,0,1] neg_hi:[0,0,1]
	v_pk_fma_f32 v[6:7], v[62:63], v[30:31], v[6:7] op_sel_hi:[1,0,1]
	v_pk_add_f32 v[4:5], v[4:5], v[12:13]
	v_mov_b32_e32 v9, v7
	s_waitcnt vmcnt(2) lgkmcnt(1)
	v_pk_mul_f32 v[6:7], v[64:65], v[32:33] op_sel:[1,1] op_sel_hi:[0,1]
	v_pk_add_f32 v[4:5], v[4:5], v[8:9]
	v_pk_fma_f32 v[8:9], v[64:65], v[32:33], v[6:7] neg_lo:[0,0,1] neg_hi:[0,0,1]
	v_pk_fma_f32 v[6:7], v[64:65], v[32:33], v[6:7] op_sel_hi:[1,0,1]
	s_nop 0
	v_mov_b32_e32 v6, v35
	v_mov_b32_e32 v9, v7
	v_pk_mul_f32 v[6:7], v[66:67], v[6:7] op_sel:[1,0] op_sel_hi:[0,0]
	v_pk_add_f32 v[4:5], v[4:5], v[8:9]
	v_pk_fma_f32 v[8:9], v[66:67], v[34:35], v[6:7] neg_lo:[0,0,1] neg_hi:[0,0,1]
	v_pk_fma_f32 v[6:7], v[66:67], v[34:35], v[6:7] op_sel_hi:[1,0,1]
	s_nop 0
	v_mov_b32_e32 v9, v7
	s_waitcnt vmcnt(1) lgkmcnt(0)
	v_pk_mul_f32 v[6:7], v[72:73], v[68:69] op_sel:[1,1] op_sel_hi:[0,1]
	v_pk_add_f32 v[4:5], v[4:5], v[8:9]
	v_pk_fma_f32 v[8:9], v[72:73], v[68:69], v[6:7] neg_lo:[0,0,1] neg_hi:[0,0,1]
	v_pk_fma_f32 v[6:7], v[72:73], v[68:69], v[6:7] op_sel_hi:[1,0,1]
	s_nop 0
	v_mov_b32_e32 v9, v7
	v_pk_add_f32 v[4:5], v[4:5], v[8:9]
	s_waitcnt vmcnt(0)
	v_pk_add_f32 v[4:5], v[70:71], v[4:5] neg_lo:[0,1] neg_hi:[0,1]
	scratch_store_dwordx2 off, v[4:5], off offset:144
	s_and_saveexec_b64 s[0:1], vcc
	s_cbranch_execz .LBB99_195
; %bb.194:
	scratch_load_dwordx2 v[4:5], off, off offset:136
	v_mov_b32_e32 v3, v2
	scratch_store_dwordx2 off, v[2:3], off offset:136
	s_waitcnt vmcnt(1)
	ds_write_b64 v1, v[4:5]
.LBB99_195:
	s_or_b64 exec, exec, s[0:1]
	s_waitcnt lgkmcnt(0)
	; wave barrier
	scratch_load_dwordx4 v[4:7], off, off offset:144
	scratch_load_dwordx4 v[8:11], off, off offset:160
	;; [unrolled: 1-line block ×7, first 2 shown]
	ds_read_b128 v[32:35], v2 offset:432
	ds_read_b128 v[36:39], v2 offset:448
	ds_read_b128 v[40:43], v2 offset:464
	ds_read_b128 v[44:47], v2 offset:480
	scratch_load_dwordx4 v[48:51], off, off offset:256
	scratch_load_dwordx4 v[52:55], off, off offset:272
	ds_read_b128 v[56:59], v2 offset:496
	ds_read_b128 v[60:63], v2 offset:512
	;; [unrolled: 1-line block ×5, first 2 shown]
	scratch_load_dwordx2 v[2:3], off, off offset:136
	v_cmp_lt_u32_e32 vcc, 16, v0
	s_waitcnt vmcnt(9) lgkmcnt(8)
	v_mul_f32_e32 v83, v32, v5
	v_mul_f32_e32 v86, v34, v7
	s_waitcnt vmcnt(8) lgkmcnt(7)
	v_mul_f32_e32 v87, v36, v9
	s_waitcnt vmcnt(7) lgkmcnt(6)
	v_mul_f32_e32 v89, v40, v13
	v_mul_f32_e32 v5, v33, v5
	;; [unrolled: 1-line block ×5, first 2 shown]
	s_waitcnt vmcnt(4) lgkmcnt(3)
	v_pk_mul_f32 v[80:81], v[60:61], v[24:25] op_sel:[1,1] op_sel_hi:[0,1]
	v_mov_b32_e32 v82, v27
	s_waitcnt vmcnt(3) lgkmcnt(2)
	v_pk_mul_f32 v[84:85], v[64:65], v[28:29] op_sel:[1,1] op_sel_hi:[0,1]
	v_fmac_f32_e32 v83, v33, v4
	v_mul_f32_e32 v90, v42, v15
	v_mul_f32_e32 v91, v44, v17
	;; [unrolled: 1-line block ×4, first 2 shown]
	v_fmac_f32_e32 v86, v35, v6
	v_fmac_f32_e32 v87, v37, v8
	;; [unrolled: 1-line block ×3, first 2 shown]
	v_fma_f32 v32, v32, v4, -v5
	v_fma_f32 v33, v34, v6, -v7
	;; [unrolled: 1-line block ×4, first 2 shown]
	v_pk_fma_f32 v[4:5], v[60:61], v[24:25], v[80:81] neg_lo:[0,0,1] neg_hi:[0,0,1]
	v_pk_fma_f32 v[6:7], v[60:61], v[24:25], v[80:81] op_sel_hi:[1,0,1]
	v_pk_mul_f32 v[8:9], v[62:63], v[82:83] op_sel:[1,0] op_sel_hi:[0,0]
	v_pk_fma_f32 v[12:13], v[64:65], v[28:29], v[84:85] op_sel_hi:[1,0,1]
	v_fmac_f32_e32 v90, v43, v14
	v_fma_f32 v14, v42, v14, -v15
	v_fma_f32 v15, v44, v16, -v17
	v_add_f32_e32 v12, 0, v83
	v_add_f32_e32 v17, 0, v32
	v_mov_b32_e32 v5, v7
	v_pk_fma_f32 v[6:7], v[62:63], v[26:27], v[8:9] neg_lo:[0,0,1] neg_hi:[0,0,1]
	v_pk_fma_f32 v[8:9], v[62:63], v[26:27], v[8:9] op_sel_hi:[1,0,1]
	v_mul_f32_e32 v88, v38, v11
	v_mul_f32_e32 v11, v39, v11
	v_add_f32_e32 v8, v12, v86
	v_add_f32_e32 v12, v17, v33
	v_fmac_f32_e32 v88, v39, v10
	v_fma_f32 v35, v38, v10, -v11
	v_mov_b32_e32 v7, v9
	v_add_f32_e32 v8, v8, v87
	v_add_f32_e32 v9, v12, v34
	v_add_f32_e32 v8, v8, v88
	v_add_f32_e32 v9, v9, v35
	v_add_f32_e32 v8, v8, v89
	v_add_f32_e32 v9, v9, v36
	v_mul_f32_e32 v92, v46, v19
	v_mul_f32_e32 v19, v47, v19
	v_fmac_f32_e32 v91, v45, v16
	v_add_f32_e32 v8, v8, v90
	v_add_f32_e32 v9, v9, v14
	v_mul_f32_e32 v77, v56, v21
	v_mul_f32_e32 v21, v57, v21
	v_fmac_f32_e32 v92, v47, v18
	v_fma_f32 v16, v46, v18, -v19
	v_add_f32_e32 v8, v8, v91
	v_add_f32_e32 v12, v9, v15
	v_mul_f32_e32 v79, v58, v23
	v_mul_f32_e32 v23, v59, v23
	v_fmac_f32_e32 v77, v57, v20
	v_fma_f32 v76, v56, v20, -v21
	v_add_f32_e32 v9, v8, v92
	v_add_f32_e32 v8, v12, v16
	v_fmac_f32_e32 v79, v59, v22
	v_fma_f32 v78, v58, v22, -v23
	v_pk_add_f32 v[8:9], v[8:9], v[76:77]
	v_pk_fma_f32 v[10:11], v[64:65], v[28:29], v[84:85] neg_lo:[0,0,1] neg_hi:[0,0,1]
	v_pk_add_f32 v[8:9], v[8:9], v[78:79]
	v_mov_b32_e32 v11, v13
	v_pk_add_f32 v[4:5], v[8:9], v[4:5]
	s_nop 0
	v_pk_add_f32 v[4:5], v[4:5], v[6:7]
	v_mov_b32_e32 v6, v31
	v_pk_mul_f32 v[6:7], v[66:67], v[6:7] op_sel:[1,0] op_sel_hi:[0,0]
	v_pk_fma_f32 v[8:9], v[66:67], v[30:31], v[6:7] neg_lo:[0,0,1] neg_hi:[0,0,1]
	v_pk_fma_f32 v[6:7], v[66:67], v[30:31], v[6:7] op_sel_hi:[1,0,1]
	v_pk_add_f32 v[4:5], v[4:5], v[10:11]
	v_mov_b32_e32 v9, v7
	s_waitcnt vmcnt(2) lgkmcnt(1)
	v_pk_mul_f32 v[6:7], v[68:69], v[48:49] op_sel:[1,1] op_sel_hi:[0,1]
	v_pk_add_f32 v[4:5], v[4:5], v[8:9]
	v_pk_fma_f32 v[8:9], v[68:69], v[48:49], v[6:7] neg_lo:[0,0,1] neg_hi:[0,0,1]
	v_pk_fma_f32 v[6:7], v[68:69], v[48:49], v[6:7] op_sel_hi:[1,0,1]
	s_nop 0
	v_mov_b32_e32 v6, v51
	v_mov_b32_e32 v9, v7
	v_pk_mul_f32 v[6:7], v[70:71], v[6:7] op_sel:[1,0] op_sel_hi:[0,0]
	v_pk_add_f32 v[4:5], v[4:5], v[8:9]
	v_pk_fma_f32 v[8:9], v[70:71], v[50:51], v[6:7] neg_lo:[0,0,1] neg_hi:[0,0,1]
	v_pk_fma_f32 v[6:7], v[70:71], v[50:51], v[6:7] op_sel_hi:[1,0,1]
	s_nop 0
	v_mov_b32_e32 v9, v7
	s_waitcnt vmcnt(1) lgkmcnt(0)
	v_pk_mul_f32 v[6:7], v[72:73], v[52:53] op_sel:[1,1] op_sel_hi:[0,1]
	v_pk_add_f32 v[4:5], v[4:5], v[8:9]
	v_pk_fma_f32 v[8:9], v[72:73], v[52:53], v[6:7] neg_lo:[0,0,1] neg_hi:[0,0,1]
	v_pk_fma_f32 v[6:7], v[72:73], v[52:53], v[6:7] op_sel_hi:[1,0,1]
	s_nop 0
	v_mov_b32_e32 v6, v55
	v_mov_b32_e32 v9, v7
	v_pk_mul_f32 v[6:7], v[74:75], v[6:7] op_sel:[1,0] op_sel_hi:[0,0]
	v_pk_add_f32 v[4:5], v[4:5], v[8:9]
	v_pk_fma_f32 v[8:9], v[74:75], v[54:55], v[6:7] neg_lo:[0,0,1] neg_hi:[0,0,1]
	v_pk_fma_f32 v[6:7], v[74:75], v[54:55], v[6:7] op_sel_hi:[1,0,1]
	s_nop 0
	v_mov_b32_e32 v9, v7
	v_pk_add_f32 v[4:5], v[4:5], v[8:9]
	s_waitcnt vmcnt(0)
	v_pk_add_f32 v[2:3], v[2:3], v[4:5] neg_lo:[0,1] neg_hi:[0,1]
	scratch_store_dwordx2 off, v[2:3], off offset:136
	s_and_saveexec_b64 s[0:1], vcc
	s_cbranch_execz .LBB99_197
; %bb.196:
	scratch_load_dwordx2 v[2:3], off, off offset:128
	v_mov_b32_e32 v4, 0
	v_mov_b32_e32 v5, v4
	scratch_store_dwordx2 off, v[4:5], off offset:128
	s_waitcnt vmcnt(1)
	ds_write_b64 v1, v[2:3]
.LBB99_197:
	s_or_b64 exec, exec, s[0:1]
	s_waitcnt lgkmcnt(0)
	; wave barrier
	scratch_load_dwordx4 v[4:7], off, off offset:136
	scratch_load_dwordx4 v[8:11], off, off offset:152
	;; [unrolled: 1-line block ×9, first 2 shown]
	scratch_load_dwordx2 v[76:77], off, off offset:280
	scratch_load_dwordx2 v[78:79], off, off offset:128
	v_mov_b32_e32 v2, 0
	ds_read2_b64 v[40:43], v2 offset0:53 offset1:54
	ds_read2_b64 v[44:47], v2 offset0:55 offset1:56
	;; [unrolled: 1-line block ×9, first 2 shown]
	ds_read_b64 v[80:81], v2 offset:568
	v_cmp_lt_u32_e32 vcc, 15, v0
	s_waitcnt vmcnt(10) lgkmcnt(9)
	v_mul_f32_e32 v87, v42, v7
	v_mul_f32_e32 v3, v40, v5
	;; [unrolled: 1-line block ×3, first 2 shown]
	v_fmac_f32_e32 v87, v43, v6
	s_waitcnt vmcnt(9) lgkmcnt(8)
	v_mul_f32_e32 v88, v44, v9
	s_waitcnt vmcnt(5)
	v_mov_b32_e32 v86, v27
	v_mul_f32_e32 v89, v46, v11
	s_waitcnt lgkmcnt(7)
	v_mul_f32_e32 v91, v50, v15
	v_mul_f32_e32 v7, v43, v7
	;; [unrolled: 1-line block ×5, first 2 shown]
	v_fmac_f32_e32 v3, v41, v4
	v_fma_f32 v40, v40, v4, -v5
	s_waitcnt lgkmcnt(4)
	v_pk_mul_f32 v[4:5], v[62:63], v[86:87] op_sel:[1,0] op_sel_hi:[0,0]
	v_fmac_f32_e32 v88, v45, v8
	v_fma_f32 v41, v42, v6, -v7
	v_fma_f32 v8, v44, v8, -v9
	;; [unrolled: 1-line block ×4, first 2 shown]
	v_add_f32_e32 v3, 0, v3
	v_add_f32_e32 v15, 0, v40
	v_pk_fma_f32 v[6:7], v[62:63], v[26:27], v[4:5] neg_lo:[0,0,1] neg_hi:[0,0,1]
	v_pk_fma_f32 v[4:5], v[62:63], v[26:27], v[4:5] op_sel_hi:[1,0,1]
	v_add_f32_e32 v3, v3, v87
	v_add_f32_e32 v4, v15, v41
	v_mul_f32_e32 v90, v48, v13
	v_mul_f32_e32 v13, v49, v13
	v_fmac_f32_e32 v89, v47, v10
	v_add_f32_e32 v3, v3, v88
	v_add_f32_e32 v4, v4, v8
	v_fmac_f32_e32 v90, v49, v12
	v_fma_f32 v10, v48, v12, -v13
	v_add_f32_e32 v3, v3, v89
	v_add_f32_e32 v4, v4, v9
	v_mul_f32_e32 v92, v52, v17
	v_mul_f32_e32 v17, v53, v17
	v_fmac_f32_e32 v91, v51, v14
	v_add_f32_e32 v3, v3, v90
	v_add_f32_e32 v4, v4, v10
	v_mul_f32_e32 v93, v54, v19
	v_mul_f32_e32 v19, v55, v19
	v_fmac_f32_e32 v92, v53, v16
	v_fma_f32 v12, v52, v16, -v17
	v_add_f32_e32 v3, v3, v91
	v_add_f32_e32 v4, v4, v11
	v_mul_f32_e32 v94, v56, v21
	v_mul_f32_e32 v21, v57, v21
	v_fmac_f32_e32 v93, v55, v18
	v_fma_f32 v13, v54, v18, -v19
	;; [unrolled: 6-line block ×4, first 2 shown]
	v_mov_b32_e32 v7, v5
	v_add_f32_e32 v5, v3, v94
	v_add_f32_e32 v4, v4, v14
	v_fmac_f32_e32 v85, v61, v24
	v_fma_f32 v84, v60, v24, -v25
	v_pk_add_f32 v[4:5], v[4:5], v[82:83]
	s_nop 0
	v_pk_add_f32 v[4:5], v[4:5], v[84:85]
	s_nop 0
	v_pk_add_f32 v[4:5], v[4:5], v[6:7]
	s_waitcnt vmcnt(4) lgkmcnt(3)
	v_pk_mul_f32 v[6:7], v[64:65], v[28:29] op_sel:[1,1] op_sel_hi:[0,1]
	v_pk_fma_f32 v[8:9], v[64:65], v[28:29], v[6:7] neg_lo:[0,0,1] neg_hi:[0,0,1]
	v_pk_fma_f32 v[6:7], v[64:65], v[28:29], v[6:7] op_sel_hi:[1,0,1]
	s_nop 0
	v_mov_b32_e32 v6, v31
	v_mov_b32_e32 v9, v7
	v_pk_mul_f32 v[6:7], v[66:67], v[6:7] op_sel:[1,0] op_sel_hi:[0,0]
	v_pk_add_f32 v[4:5], v[4:5], v[8:9]
	v_pk_fma_f32 v[8:9], v[66:67], v[30:31], v[6:7] neg_lo:[0,0,1] neg_hi:[0,0,1]
	v_pk_fma_f32 v[6:7], v[66:67], v[30:31], v[6:7] op_sel_hi:[1,0,1]
	s_nop 0
	v_mov_b32_e32 v9, v7
	s_waitcnt vmcnt(3) lgkmcnt(2)
	v_pk_mul_f32 v[6:7], v[68:69], v[32:33] op_sel:[1,1] op_sel_hi:[0,1]
	v_pk_add_f32 v[4:5], v[4:5], v[8:9]
	v_pk_fma_f32 v[8:9], v[68:69], v[32:33], v[6:7] neg_lo:[0,0,1] neg_hi:[0,0,1]
	v_pk_fma_f32 v[6:7], v[68:69], v[32:33], v[6:7] op_sel_hi:[1,0,1]
	s_nop 0
	v_mov_b32_e32 v6, v35
	v_mov_b32_e32 v9, v7
	v_pk_mul_f32 v[6:7], v[70:71], v[6:7] op_sel:[1,0] op_sel_hi:[0,0]
	v_pk_add_f32 v[4:5], v[4:5], v[8:9]
	v_pk_fma_f32 v[8:9], v[70:71], v[34:35], v[6:7] neg_lo:[0,0,1] neg_hi:[0,0,1]
	v_pk_fma_f32 v[6:7], v[70:71], v[34:35], v[6:7] op_sel_hi:[1,0,1]
	s_nop 0
	v_mov_b32_e32 v9, v7
	s_waitcnt vmcnt(2) lgkmcnt(1)
	v_pk_mul_f32 v[6:7], v[72:73], v[36:37] op_sel:[1,1] op_sel_hi:[0,1]
	v_pk_add_f32 v[4:5], v[4:5], v[8:9]
	;; [unrolled: 14-line block ×3, first 2 shown]
	v_pk_fma_f32 v[8:9], v[80:81], v[76:77], v[6:7] neg_lo:[0,0,1] neg_hi:[0,0,1]
	v_pk_fma_f32 v[6:7], v[80:81], v[76:77], v[6:7] op_sel_hi:[1,0,1]
	s_nop 0
	v_mov_b32_e32 v9, v7
	v_pk_add_f32 v[4:5], v[4:5], v[8:9]
	s_waitcnt vmcnt(0)
	v_pk_add_f32 v[4:5], v[78:79], v[4:5] neg_lo:[0,1] neg_hi:[0,1]
	scratch_store_dwordx2 off, v[4:5], off offset:128
	s_and_saveexec_b64 s[0:1], vcc
	s_cbranch_execz .LBB99_199
; %bb.198:
	scratch_load_dwordx2 v[4:5], off, off offset:120
	v_mov_b32_e32 v3, v2
	scratch_store_dwordx2 off, v[2:3], off offset:120
	s_waitcnt vmcnt(1)
	ds_write_b64 v1, v[4:5]
.LBB99_199:
	s_or_b64 exec, exec, s[0:1]
	s_waitcnt lgkmcnt(0)
	; wave barrier
	ds_read_b128 v[4:7], v2 offset:416
	ds_read_b128 v[8:11], v2 offset:432
	;; [unrolled: 1-line block ×4, first 2 shown]
	scratch_load_dwordx4 v[20:23], off, off offset:128
	scratch_load_dwordx4 v[40:43], off, off offset:192
	v_cmp_lt_u32_e32 vcc, 14, v0
	scratch_load_dwordx4 v[48:51], off, off offset:208
	s_waitcnt vmcnt(2) lgkmcnt(3)
	v_mul_f32_e32 v3, v4, v21
	v_fmac_f32_e32 v3, v5, v20
	v_mul_f32_e32 v24, v6, v23
	v_add_f32_e32 v3, 0, v3
	v_fmac_f32_e32 v24, v7, v22
	v_add_f32_e32 v3, v3, v24
	scratch_load_dwordx4 v[24:27], off, off offset:144
	s_waitcnt vmcnt(0) lgkmcnt(2)
	v_mul_f32_e32 v28, v8, v25
	v_fmac_f32_e32 v28, v9, v24
	v_add_f32_e32 v3, v3, v28
	v_mul_f32_e32 v28, v10, v27
	v_fmac_f32_e32 v28, v11, v26
	v_add_f32_e32 v3, v3, v28
	scratch_load_dwordx4 v[28:31], off, off offset:160
	s_waitcnt vmcnt(0) lgkmcnt(1)
	v_mul_f32_e32 v32, v12, v29
	v_fmac_f32_e32 v32, v13, v28
	v_add_f32_e32 v3, v3, v32
	v_mul_f32_e32 v32, v14, v31
	;; [unrolled: 8-line block ×3, first 2 shown]
	v_fmac_f32_e32 v36, v19, v34
	v_add_f32_e32 v3, v3, v36
	ds_read_b128 v[36:39], v2 offset:480
	s_waitcnt lgkmcnt(0)
	v_mul_f32_e32 v44, v36, v41
	v_fmac_f32_e32 v44, v37, v40
	v_add_f32_e32 v3, v3, v44
	v_mul_f32_e32 v44, v38, v43
	v_fmac_f32_e32 v44, v39, v42
	v_add_f32_e32 v69, v3, v44
	ds_read_b128 v[44:47], v2 offset:496
	scratch_load_dwordx4 v[52:55], off, off offset:224
	scratch_load_dwordx4 v[56:59], off, off offset:240
	;; [unrolled: 1-line block ×4, first 2 shown]
	v_mul_f32_e32 v3, v5, v21
	v_fma_f32 v3, v4, v20, -v3
	v_mul_f32_e32 v4, v7, v23
	v_add_f32_e32 v3, 0, v3
	v_fma_f32 v4, v6, v22, -v4
	v_add_f32_e32 v3, v3, v4
	v_mul_f32_e32 v4, v9, v25
	v_fma_f32 v4, v8, v24, -v4
	v_add_f32_e32 v3, v3, v4
	v_mul_f32_e32 v4, v11, v27
	;; [unrolled: 3-line block ×8, first 2 shown]
	v_fma_f32 v4, v38, v42, -v4
	v_add_f32_e32 v68, v3, v4
	ds_read_b128 v[4:7], v2 offset:512
	ds_read_b128 v[8:11], v2 offset:528
	;; [unrolled: 1-line block ×4, first 2 shown]
	s_waitcnt lgkmcnt(4)
	v_mul_f32_e32 v71, v44, v49
	v_mul_f32_e32 v3, v45, v49
	v_fmac_f32_e32 v71, v45, v48
	v_mul_f32_e32 v73, v46, v51
	v_fma_f32 v70, v44, v48, -v3
	v_mul_f32_e32 v3, v47, v51
	v_fmac_f32_e32 v73, v47, v50
	v_fma_f32 v72, v46, v50, -v3
	v_pk_add_f32 v[2:3], v[68:69], v[70:71]
	s_waitcnt vmcnt(3) lgkmcnt(3)
	v_pk_mul_f32 v[20:21], v[4:5], v[52:53] op_sel:[1,1] op_sel_hi:[0,1]
	v_pk_fma_f32 v[22:23], v[4:5], v[52:53], v[20:21] neg_lo:[0,0,1] neg_hi:[0,0,1]
	v_pk_fma_f32 v[4:5], v[4:5], v[52:53], v[20:21] op_sel_hi:[1,0,1]
	v_pk_add_f32 v[2:3], v[2:3], v[72:73]
	v_mov_b32_e32 v4, v55
	v_mov_b32_e32 v23, v5
	v_pk_mul_f32 v[4:5], v[6:7], v[4:5] op_sel:[1,0] op_sel_hi:[0,0]
	v_pk_fma_f32 v[20:21], v[6:7], v[54:55], v[4:5] neg_lo:[0,0,1] neg_hi:[0,0,1]
	v_pk_fma_f32 v[4:5], v[6:7], v[54:55], v[4:5] op_sel_hi:[1,0,1]
	v_pk_add_f32 v[2:3], v[2:3], v[22:23]
	v_mov_b32_e32 v21, v5
	s_waitcnt vmcnt(2) lgkmcnt(2)
	v_pk_mul_f32 v[4:5], v[8:9], v[56:57] op_sel:[1,1] op_sel_hi:[0,1]
	v_pk_fma_f32 v[6:7], v[8:9], v[56:57], v[4:5] neg_lo:[0,0,1] neg_hi:[0,0,1]
	v_pk_fma_f32 v[4:5], v[8:9], v[56:57], v[4:5] op_sel_hi:[1,0,1]
	v_pk_add_f32 v[2:3], v[2:3], v[20:21]
	v_mov_b32_e32 v4, v59
	v_mov_b32_e32 v7, v5
	v_pk_mul_f32 v[4:5], v[10:11], v[4:5] op_sel:[1,0] op_sel_hi:[0,0]
	v_pk_add_f32 v[2:3], v[2:3], v[6:7]
	v_pk_fma_f32 v[6:7], v[10:11], v[58:59], v[4:5] neg_lo:[0,0,1] neg_hi:[0,0,1]
	v_pk_fma_f32 v[4:5], v[10:11], v[58:59], v[4:5] op_sel_hi:[1,0,1]
	s_nop 0
	v_mov_b32_e32 v7, v5
	s_waitcnt vmcnt(1) lgkmcnt(1)
	v_pk_mul_f32 v[4:5], v[12:13], v[60:61] op_sel:[1,1] op_sel_hi:[0,1]
	v_pk_add_f32 v[2:3], v[2:3], v[6:7]
	v_pk_fma_f32 v[6:7], v[12:13], v[60:61], v[4:5] neg_lo:[0,0,1] neg_hi:[0,0,1]
	v_pk_fma_f32 v[4:5], v[12:13], v[60:61], v[4:5] op_sel_hi:[1,0,1]
	s_nop 0
	v_mov_b32_e32 v4, v63
	v_mov_b32_e32 v7, v5
	v_pk_mul_f32 v[4:5], v[14:15], v[4:5] op_sel:[1,0] op_sel_hi:[0,0]
	v_pk_add_f32 v[2:3], v[2:3], v[6:7]
	v_pk_fma_f32 v[6:7], v[14:15], v[62:63], v[4:5] neg_lo:[0,0,1] neg_hi:[0,0,1]
	v_pk_fma_f32 v[4:5], v[14:15], v[62:63], v[4:5] op_sel_hi:[1,0,1]
	s_nop 0
	v_mov_b32_e32 v7, v5
	s_waitcnt vmcnt(0) lgkmcnt(0)
	v_pk_mul_f32 v[4:5], v[16:17], v[64:65] op_sel:[1,1] op_sel_hi:[0,1]
	v_pk_add_f32 v[2:3], v[2:3], v[6:7]
	v_pk_fma_f32 v[6:7], v[16:17], v[64:65], v[4:5] neg_lo:[0,0,1] neg_hi:[0,0,1]
	v_pk_fma_f32 v[4:5], v[16:17], v[64:65], v[4:5] op_sel_hi:[1,0,1]
	s_nop 0
	v_mov_b32_e32 v4, v67
	v_mov_b32_e32 v7, v5
	v_pk_mul_f32 v[4:5], v[18:19], v[4:5] op_sel:[1,0] op_sel_hi:[0,0]
	v_pk_add_f32 v[2:3], v[2:3], v[6:7]
	v_pk_fma_f32 v[6:7], v[18:19], v[66:67], v[4:5] neg_lo:[0,0,1] neg_hi:[0,0,1]
	v_pk_fma_f32 v[4:5], v[18:19], v[66:67], v[4:5] op_sel_hi:[1,0,1]
	s_nop 0
	v_mov_b32_e32 v7, v5
	scratch_load_dwordx2 v[4:5], off, off offset:120
	v_pk_add_f32 v[2:3], v[2:3], v[6:7]
	s_waitcnt vmcnt(0)
	v_pk_add_f32 v[2:3], v[4:5], v[2:3] neg_lo:[0,1] neg_hi:[0,1]
	scratch_store_dwordx2 off, v[2:3], off offset:120
	s_and_saveexec_b64 s[0:1], vcc
	s_cbranch_execz .LBB99_201
; %bb.200:
	scratch_load_dwordx2 v[2:3], off, off offset:112
	v_mov_b32_e32 v4, 0
	v_mov_b32_e32 v5, v4
	scratch_store_dwordx2 off, v[4:5], off offset:112
	s_waitcnt vmcnt(1)
	ds_write_b64 v1, v[2:3]
.LBB99_201:
	s_or_b64 exec, exec, s[0:1]
	s_waitcnt lgkmcnt(0)
	; wave barrier
	scratch_load_dwordx4 v[2:5], off, off offset:120
	scratch_load_dwordx4 v[8:11], off, off offset:136
	;; [unrolled: 1-line block ×10, first 2 shown]
	scratch_load_dwordx2 v[76:77], off, off offset:280
	scratch_load_dwordx2 v[78:79], off, off offset:112
	v_mov_b32_e32 v6, 0
	ds_read2_b64 v[44:47], v6 offset0:51 offset1:52
	ds_read2_b64 v[48:51], v6 offset0:53 offset1:54
	;; [unrolled: 1-line block ×8, first 2 shown]
	v_cmp_lt_u32_e32 vcc, 13, v0
	s_waitcnt vmcnt(11) lgkmcnt(7)
	v_mul_f32_e32 v7, v44, v3
	v_mul_f32_e32 v3, v45, v3
	;; [unrolled: 1-line block ×4, first 2 shown]
	v_fmac_f32_e32 v7, v45, v2
	v_fma_f32 v2, v44, v2, -v3
	s_waitcnt vmcnt(10) lgkmcnt(6)
	v_mul_f32_e32 v82, v48, v9
	v_mul_f32_e32 v9, v49, v9
	v_fma_f32 v3, v46, v4, -v5
	v_add_f32_e32 v2, 0, v2
	v_mul_f32_e32 v84, v50, v11
	v_mul_f32_e32 v11, v51, v11
	v_fmac_f32_e32 v80, v47, v4
	v_fma_f32 v4, v48, v8, -v9
	v_add_f32_e32 v7, 0, v7
	v_add_f32_e32 v2, v2, v3
	s_waitcnt vmcnt(9) lgkmcnt(5)
	v_mul_f32_e32 v85, v52, v13
	v_mul_f32_e32 v13, v53, v13
	v_fmac_f32_e32 v82, v49, v8
	v_fma_f32 v5, v50, v10, -v11
	v_add_f32_e32 v7, v7, v80
	v_add_f32_e32 v2, v2, v4
	v_mul_f32_e32 v86, v54, v15
	v_mul_f32_e32 v15, v55, v15
	v_fmac_f32_e32 v84, v51, v10
	v_fma_f32 v8, v52, v12, -v13
	v_add_f32_e32 v3, v7, v82
	v_add_f32_e32 v2, v2, v5
	s_waitcnt vmcnt(8) lgkmcnt(4)
	v_mul_f32_e32 v87, v56, v17
	v_mul_f32_e32 v17, v57, v17
	v_fmac_f32_e32 v85, v53, v12
	v_fma_f32 v9, v54, v14, -v15
	v_add_f32_e32 v3, v3, v84
	;; [unrolled: 13-line block ×4, first 2 shown]
	v_add_f32_e32 v2, v2, v12
	v_fmac_f32_e32 v90, v63, v22
	v_fma_f32 v14, v64, v24, -v25
	v_add_f32_e32 v3, v3, v89
	v_add_f32_e32 v2, v2, v13
	v_mul_f32_e32 v81, v66, v27
	v_fmac_f32_e32 v91, v65, v24
	v_add_f32_e32 v3, v3, v90
	v_add_f32_e32 v12, v2, v14
	v_mul_f32_e32 v2, v67, v27
	s_waitcnt vmcnt(5)
	v_mov_b32_e32 v16, v31
	s_waitcnt lgkmcnt(1)
	v_mul_f32_e32 v83, v68, v29
	v_fmac_f32_e32 v81, v67, v26
	v_add_f32_e32 v13, v3, v91
	v_fma_f32 v80, v66, v26, -v2
	v_mul_f32_e32 v2, v69, v29
	v_pk_mul_f32 v[16:17], v[70:71], v[16:17] op_sel:[1,0] op_sel_hi:[0,0]
	v_fmac_f32_e32 v83, v69, v28
	v_fma_f32 v82, v68, v28, -v2
	v_pk_add_f32 v[12:13], v[12:13], v[80:81]
	v_pk_fma_f32 v[18:19], v[70:71], v[30:31], v[16:17] neg_lo:[0,0,1] neg_hi:[0,0,1]
	v_pk_fma_f32 v[16:17], v[70:71], v[30:31], v[16:17] op_sel_hi:[1,0,1]
	v_pk_add_f32 v[12:13], v[12:13], v[82:83]
	v_mov_b32_e32 v19, v17
	s_waitcnt vmcnt(4) lgkmcnt(0)
	v_pk_mul_f32 v[16:17], v[72:73], v[32:33] op_sel:[1,1] op_sel_hi:[0,1]
	v_pk_add_f32 v[12:13], v[12:13], v[18:19]
	v_pk_fma_f32 v[18:19], v[72:73], v[32:33], v[16:17] neg_lo:[0,0,1] neg_hi:[0,0,1]
	v_pk_fma_f32 v[16:17], v[72:73], v[32:33], v[16:17] op_sel_hi:[1,0,1]
	ds_read2_b64 v[2:5], v6 offset0:67 offset1:68
	ds_read2_b64 v[8:11], v6 offset0:69 offset1:70
	ds_read_b64 v[14:15], v6 offset:568
	v_mov_b32_e32 v16, v35
	v_mov_b32_e32 v19, v17
	v_pk_mul_f32 v[16:17], v[74:75], v[16:17] op_sel:[1,0] op_sel_hi:[0,0]
	v_pk_add_f32 v[12:13], v[12:13], v[18:19]
	v_pk_fma_f32 v[18:19], v[74:75], v[34:35], v[16:17] neg_lo:[0,0,1] neg_hi:[0,0,1]
	v_pk_fma_f32 v[16:17], v[74:75], v[34:35], v[16:17] op_sel_hi:[1,0,1]
	s_nop 0
	v_mov_b32_e32 v19, v17
	s_waitcnt vmcnt(3) lgkmcnt(2)
	v_pk_mul_f32 v[16:17], v[2:3], v[36:37] op_sel:[1,1] op_sel_hi:[0,1]
	v_pk_add_f32 v[12:13], v[12:13], v[18:19]
	v_pk_fma_f32 v[18:19], v[2:3], v[36:37], v[16:17] neg_lo:[0,0,1] neg_hi:[0,0,1]
	v_pk_fma_f32 v[2:3], v[2:3], v[36:37], v[16:17] op_sel_hi:[1,0,1]
	s_nop 0
	v_mov_b32_e32 v19, v3
	v_pk_add_f32 v[2:3], v[12:13], v[18:19]
	v_mov_b32_e32 v12, v39
	v_pk_mul_f32 v[12:13], v[4:5], v[12:13] op_sel:[1,0] op_sel_hi:[0,0]
	v_pk_fma_f32 v[16:17], v[4:5], v[38:39], v[12:13] neg_lo:[0,0,1] neg_hi:[0,0,1]
	v_pk_fma_f32 v[4:5], v[4:5], v[38:39], v[12:13] op_sel_hi:[1,0,1]
	s_nop 0
	v_mov_b32_e32 v17, v5
	s_waitcnt vmcnt(2) lgkmcnt(1)
	v_pk_mul_f32 v[4:5], v[8:9], v[40:41] op_sel:[1,1] op_sel_hi:[0,1]
	v_pk_fma_f32 v[12:13], v[8:9], v[40:41], v[4:5] neg_lo:[0,0,1] neg_hi:[0,0,1]
	v_pk_fma_f32 v[4:5], v[8:9], v[40:41], v[4:5] op_sel_hi:[1,0,1]
	v_pk_add_f32 v[2:3], v[2:3], v[16:17]
	v_mov_b32_e32 v4, v43
	v_mov_b32_e32 v13, v5
	v_pk_mul_f32 v[4:5], v[10:11], v[4:5] op_sel:[1,0] op_sel_hi:[0,0]
	v_pk_fma_f32 v[8:9], v[10:11], v[42:43], v[4:5] neg_lo:[0,0,1] neg_hi:[0,0,1]
	v_pk_fma_f32 v[4:5], v[10:11], v[42:43], v[4:5] op_sel_hi:[1,0,1]
	v_pk_add_f32 v[2:3], v[2:3], v[12:13]
	v_mov_b32_e32 v9, v5
	s_waitcnt vmcnt(1) lgkmcnt(0)
	v_pk_mul_f32 v[4:5], v[14:15], v[76:77] op_sel:[1,1] op_sel_hi:[0,1]
	v_pk_add_f32 v[2:3], v[2:3], v[8:9]
	v_pk_fma_f32 v[8:9], v[14:15], v[76:77], v[4:5] neg_lo:[0,0,1] neg_hi:[0,0,1]
	v_pk_fma_f32 v[4:5], v[14:15], v[76:77], v[4:5] op_sel_hi:[1,0,1]
	s_nop 0
	v_mov_b32_e32 v9, v5
	v_pk_add_f32 v[2:3], v[2:3], v[8:9]
	s_waitcnt vmcnt(0)
	v_pk_add_f32 v[2:3], v[78:79], v[2:3] neg_lo:[0,1] neg_hi:[0,1]
	scratch_store_dwordx2 off, v[2:3], off offset:112
	s_and_saveexec_b64 s[0:1], vcc
	s_cbranch_execz .LBB99_203
; %bb.202:
	scratch_load_dwordx2 v[2:3], off, off offset:104
	v_mov_b32_e32 v7, v6
	scratch_store_dwordx2 off, v[6:7], off offset:104
	s_waitcnt vmcnt(1)
	ds_write_b64 v1, v[2:3]
.LBB99_203:
	s_or_b64 exec, exec, s[0:1]
	s_waitcnt lgkmcnt(0)
	; wave barrier
	scratch_load_dwordx4 v[8:11], off, off offset:112
	scratch_load_dwordx4 v[12:15], off, off offset:128
	scratch_load_dwordx4 v[16:19], off, off offset:144
	scratch_load_dwordx4 v[20:23], off, off offset:160
	scratch_load_dwordx4 v[24:27], off, off offset:176
	scratch_load_dwordx4 v[28:31], off, off offset:192
	scratch_load_dwordx4 v[32:35], off, off offset:208
	ds_read_b128 v[36:39], v6 offset:400
	ds_read_b128 v[40:43], v6 offset:416
	ds_read_b128 v[44:47], v6 offset:432
	ds_read_b128 v[48:51], v6 offset:448
	ds_read_b128 v[52:55], v6 offset:464
	ds_read_b128 v[56:59], v6 offset:480
	scratch_load_dwordx4 v[60:63], off, off offset:224
	scratch_load_dwordx4 v[64:67], off, off offset:240
	;; [unrolled: 1-line block ×4, first 2 shown]
	ds_read_b128 v[72:75], v6 offset:496
	ds_read_b128 v[76:79], v6 offset:512
	scratch_load_dwordx2 v[80:81], off, off offset:104
	v_cmp_lt_u32_e32 vcc, 12, v0
	s_waitcnt vmcnt(11) lgkmcnt(7)
	v_mul_f32_e32 v7, v36, v9
	v_mul_f32_e32 v82, v38, v11
	v_mul_f32_e32 v9, v37, v9
	v_fmac_f32_e32 v7, v37, v8
	s_waitcnt vmcnt(10) lgkmcnt(6)
	v_mul_f32_e32 v84, v40, v13
	v_mul_f32_e32 v11, v39, v11
	v_fmac_f32_e32 v82, v39, v10
	v_fma_f32 v8, v36, v8, -v9
	v_add_f32_e32 v7, 0, v7
	v_mul_f32_e32 v86, v42, v15
	v_mul_f32_e32 v13, v41, v13
	v_fmac_f32_e32 v84, v41, v12
	v_fma_f32 v9, v38, v10, -v11
	v_add_f32_e32 v8, 0, v8
	v_add_f32_e32 v7, v7, v82
	s_waitcnt vmcnt(9) lgkmcnt(5)
	v_mul_f32_e32 v87, v44, v17
	v_mul_f32_e32 v15, v43, v15
	v_fmac_f32_e32 v86, v43, v14
	v_fma_f32 v10, v40, v12, -v13
	v_add_f32_e32 v8, v8, v9
	v_add_f32_e32 v7, v7, v84
	v_mul_f32_e32 v88, v46, v19
	v_mul_f32_e32 v17, v45, v17
	v_fmac_f32_e32 v87, v45, v16
	v_fma_f32 v11, v42, v14, -v15
	v_add_f32_e32 v8, v8, v10
	v_add_f32_e32 v7, v7, v86
	s_waitcnt vmcnt(8) lgkmcnt(4)
	v_mul_f32_e32 v89, v48, v21
	v_mul_f32_e32 v19, v47, v19
	v_fmac_f32_e32 v88, v47, v18
	v_fma_f32 v12, v44, v16, -v17
	v_add_f32_e32 v8, v8, v11
	;; [unrolled: 13-line block ×4, first 2 shown]
	v_add_f32_e32 v7, v7, v91
	v_mul_f32_e32 v94, v58, v31
	v_mul_f32_e32 v29, v57, v29
	v_fmac_f32_e32 v93, v57, v28
	v_fma_f32 v17, v54, v26, -v27
	v_add_f32_e32 v8, v8, v16
	v_add_f32_e32 v7, v7, v92
	v_fmac_f32_e32 v94, v59, v30
	v_fma_f32 v18, v56, v28, -v29
	v_add_f32_e32 v8, v8, v17
	v_add_f32_e32 v7, v7, v93
	;; [unrolled: 1-line block ×4, first 2 shown]
	v_mul_f32_e32 v8, v59, v31
	v_fma_f32 v8, v58, v30, -v8
	s_waitcnt vmcnt(5) lgkmcnt(1)
	v_mul_f32_e32 v83, v72, v33
	v_add_f32_e32 v20, v7, v8
	v_mul_f32_e32 v7, v73, v33
	v_fmac_f32_e32 v83, v73, v32
	v_fma_f32 v82, v72, v32, -v7
	v_mul_f32_e32 v7, v75, v35
	v_fma_f32 v84, v74, v34, -v7
	ds_read_b128 v[8:11], v6 offset:528
	ds_read_b128 v[12:15], v6 offset:544
	;; [unrolled: 1-line block ×3, first 2 shown]
	v_pk_add_f32 v[6:7], v[20:21], v[82:83]
	s_waitcnt vmcnt(4) lgkmcnt(3)
	v_pk_mul_f32 v[20:21], v[76:77], v[60:61] op_sel:[1,1] op_sel_hi:[0,1]
	v_mul_f32_e32 v85, v74, v35
	v_pk_fma_f32 v[22:23], v[76:77], v[60:61], v[20:21] neg_lo:[0,0,1] neg_hi:[0,0,1]
	v_pk_fma_f32 v[20:21], v[76:77], v[60:61], v[20:21] op_sel_hi:[1,0,1]
	v_fmac_f32_e32 v85, v75, v34
	v_mov_b32_e32 v20, v63
	v_pk_add_f32 v[6:7], v[6:7], v[84:85]
	v_mov_b32_e32 v23, v21
	v_pk_mul_f32 v[20:21], v[78:79], v[20:21] op_sel:[1,0] op_sel_hi:[0,0]
	v_pk_add_f32 v[6:7], v[6:7], v[22:23]
	v_pk_fma_f32 v[22:23], v[78:79], v[62:63], v[20:21] neg_lo:[0,0,1] neg_hi:[0,0,1]
	v_pk_fma_f32 v[20:21], v[78:79], v[62:63], v[20:21] op_sel_hi:[1,0,1]
	s_nop 0
	v_mov_b32_e32 v23, v21
	s_waitcnt vmcnt(3) lgkmcnt(2)
	v_pk_mul_f32 v[20:21], v[8:9], v[64:65] op_sel:[1,1] op_sel_hi:[0,1]
	v_pk_add_f32 v[6:7], v[6:7], v[22:23]
	v_pk_fma_f32 v[22:23], v[8:9], v[64:65], v[20:21] neg_lo:[0,0,1] neg_hi:[0,0,1]
	v_pk_fma_f32 v[8:9], v[8:9], v[64:65], v[20:21] op_sel_hi:[1,0,1]
	s_nop 0
	v_mov_b32_e32 v8, v67
	v_mov_b32_e32 v23, v9
	v_pk_mul_f32 v[8:9], v[10:11], v[8:9] op_sel:[1,0] op_sel_hi:[0,0]
	v_pk_fma_f32 v[20:21], v[10:11], v[66:67], v[8:9] neg_lo:[0,0,1] neg_hi:[0,0,1]
	v_pk_fma_f32 v[8:9], v[10:11], v[66:67], v[8:9] op_sel_hi:[1,0,1]
	v_pk_add_f32 v[6:7], v[6:7], v[22:23]
	v_mov_b32_e32 v21, v9
	s_waitcnt vmcnt(2) lgkmcnt(1)
	v_pk_mul_f32 v[8:9], v[12:13], v[68:69] op_sel:[1,1] op_sel_hi:[0,1]
	v_pk_fma_f32 v[10:11], v[12:13], v[68:69], v[8:9] neg_lo:[0,0,1] neg_hi:[0,0,1]
	v_pk_fma_f32 v[8:9], v[12:13], v[68:69], v[8:9] op_sel_hi:[1,0,1]
	v_pk_add_f32 v[6:7], v[6:7], v[20:21]
	v_mov_b32_e32 v8, v71
	v_mov_b32_e32 v11, v9
	v_pk_mul_f32 v[8:9], v[14:15], v[8:9] op_sel:[1,0] op_sel_hi:[0,0]
	v_pk_add_f32 v[6:7], v[6:7], v[10:11]
	v_pk_fma_f32 v[10:11], v[14:15], v[70:71], v[8:9] neg_lo:[0,0,1] neg_hi:[0,0,1]
	v_pk_fma_f32 v[8:9], v[14:15], v[70:71], v[8:9] op_sel_hi:[1,0,1]
	s_nop 0
	v_mov_b32_e32 v11, v9
	s_waitcnt vmcnt(1) lgkmcnt(0)
	v_pk_mul_f32 v[8:9], v[16:17], v[2:3] op_sel:[1,1] op_sel_hi:[0,1]
	v_pk_add_f32 v[6:7], v[6:7], v[10:11]
	v_pk_fma_f32 v[10:11], v[16:17], v[2:3], v[8:9] neg_lo:[0,0,1] neg_hi:[0,0,1]
	v_pk_fma_f32 v[2:3], v[16:17], v[2:3], v[8:9] op_sel_hi:[1,0,1]
	s_nop 0
	v_mov_b32_e32 v11, v3
	v_pk_add_f32 v[2:3], v[6:7], v[10:11]
	v_mov_b32_e32 v6, v5
	v_pk_mul_f32 v[6:7], v[18:19], v[6:7] op_sel:[1,0] op_sel_hi:[0,0]
	v_pk_fma_f32 v[8:9], v[18:19], v[4:5], v[6:7] neg_lo:[0,0,1] neg_hi:[0,0,1]
	v_pk_fma_f32 v[4:5], v[18:19], v[4:5], v[6:7] op_sel_hi:[1,0,1]
	s_nop 0
	v_mov_b32_e32 v9, v5
	v_pk_add_f32 v[2:3], v[2:3], v[8:9]
	s_waitcnt vmcnt(0)
	v_pk_add_f32 v[2:3], v[80:81], v[2:3] neg_lo:[0,1] neg_hi:[0,1]
	scratch_store_dwordx2 off, v[2:3], off offset:104
	s_and_saveexec_b64 s[0:1], vcc
	s_cbranch_execz .LBB99_205
; %bb.204:
	scratch_load_dwordx2 v[2:3], off, off offset:96
	v_mov_b32_e32 v4, 0
	v_mov_b32_e32 v5, v4
	scratch_store_dwordx2 off, v[4:5], off offset:96
	s_waitcnt vmcnt(1)
	ds_write_b64 v1, v[2:3]
.LBB99_205:
	s_or_b64 exec, exec, s[0:1]
	s_waitcnt lgkmcnt(0)
	; wave barrier
	scratch_load_dwordx4 v[8:11], off, off offset:104
	scratch_load_dwordx4 v[16:19], off, off offset:120
	;; [unrolled: 1-line block ×8, first 2 shown]
	v_mov_b32_e32 v2, 0
	ds_read2_b64 v[4:7], v2 offset0:49 offset1:50
	v_cmp_lt_u32_e32 vcc, 11, v0
	s_waitcnt vmcnt(7) lgkmcnt(0)
	v_mul_f32_e32 v3, v4, v9
	v_fmac_f32_e32 v3, v5, v8
	v_mul_f32_e32 v12, v6, v11
	v_add_f32_e32 v3, 0, v3
	v_fmac_f32_e32 v12, v7, v10
	v_add_f32_e32 v3, v3, v12
	ds_read2_b64 v[12:15], v2 offset0:51 offset1:52
	s_waitcnt vmcnt(6) lgkmcnt(0)
	v_mul_f32_e32 v20, v12, v17
	v_fmac_f32_e32 v20, v13, v16
	v_add_f32_e32 v3, v3, v20
	v_mul_f32_e32 v20, v14, v19
	v_fmac_f32_e32 v20, v15, v18
	v_add_f32_e32 v3, v3, v20
	ds_read2_b64 v[20:23], v2 offset0:53 offset1:54
	s_waitcnt vmcnt(5) lgkmcnt(0)
	v_mul_f32_e32 v28, v20, v25
	v_fmac_f32_e32 v28, v21, v24
	v_add_f32_e32 v3, v3, v28
	v_mul_f32_e32 v28, v22, v27
	;; [unrolled: 8-line block ×5, first 2 shown]
	v_fmac_f32_e32 v52, v47, v50
	v_add_f32_e32 v3, v3, v52
	ds_read2_b64 v[52:55], v2 offset0:61 offset1:62
	s_waitcnt vmcnt(1) lgkmcnt(0)
	v_mul_f32_e32 v60, v52, v57
	v_fmac_f32_e32 v60, v53, v56
	v_add_f32_e32 v81, v3, v60
	ds_read2_b64 v[60:63], v2 offset0:63 offset1:64
	scratch_load_dwordx4 v[68:71], off, off offset:232
	scratch_load_dwordx4 v[72:75], off, off offset:248
	;; [unrolled: 1-line block ×3, first 2 shown]
	scratch_load_dwordx2 v[86:87], off, off offset:280
	v_mul_f32_e32 v3, v5, v9
	v_fma_f32 v3, v4, v8, -v3
	v_mul_f32_e32 v4, v7, v11
	v_add_f32_e32 v3, 0, v3
	v_fma_f32 v4, v6, v10, -v4
	v_add_f32_e32 v3, v3, v4
	v_mul_f32_e32 v4, v13, v17
	v_fma_f32 v4, v12, v16, -v4
	v_add_f32_e32 v3, v3, v4
	v_mul_f32_e32 v4, v15, v19
	;; [unrolled: 3-line block ×11, first 2 shown]
	v_fma_f32 v4, v52, v56, -v4
	v_mul_f32_e32 v83, v54, v59
	v_add_f32_e32 v80, v3, v4
	v_mul_f32_e32 v3, v55, v59
	s_waitcnt vmcnt(4)
	v_mov_b32_e32 v20, v67
	v_fmac_f32_e32 v83, v55, v58
	s_waitcnt lgkmcnt(0)
	v_mul_f32_e32 v85, v60, v65
	v_fma_f32 v82, v54, v58, -v3
	v_mul_f32_e32 v3, v61, v65
	ds_read2_b64 v[4:7], v2 offset0:65 offset1:66
	ds_read2_b64 v[8:11], v2 offset0:67 offset1:68
	;; [unrolled: 1-line block ×3, first 2 shown]
	ds_read_b64 v[16:17], v2 offset:568
	v_pk_mul_f32 v[20:21], v[62:63], v[20:21] op_sel:[1,0] op_sel_hi:[0,0]
	v_fmac_f32_e32 v85, v61, v64
	v_fma_f32 v84, v60, v64, -v3
	v_pk_add_f32 v[18:19], v[80:81], v[82:83]
	v_pk_fma_f32 v[22:23], v[62:63], v[66:67], v[20:21] neg_lo:[0,0,1] neg_hi:[0,0,1]
	v_pk_fma_f32 v[20:21], v[62:63], v[66:67], v[20:21] op_sel_hi:[1,0,1]
	v_pk_add_f32 v[18:19], v[18:19], v[84:85]
	v_mov_b32_e32 v23, v21
	v_pk_add_f32 v[18:19], v[18:19], v[22:23]
	s_waitcnt vmcnt(3) lgkmcnt(3)
	v_pk_mul_f32 v[20:21], v[4:5], v[68:69] op_sel:[1,1] op_sel_hi:[0,1]
	v_pk_fma_f32 v[22:23], v[4:5], v[68:69], v[20:21] neg_lo:[0,0,1] neg_hi:[0,0,1]
	v_pk_fma_f32 v[4:5], v[4:5], v[68:69], v[20:21] op_sel_hi:[1,0,1]
	s_nop 0
	v_mov_b32_e32 v23, v5
	v_pk_add_f32 v[4:5], v[18:19], v[22:23]
	v_mov_b32_e32 v18, v71
	v_pk_mul_f32 v[18:19], v[6:7], v[18:19] op_sel:[1,0] op_sel_hi:[0,0]
	v_pk_fma_f32 v[20:21], v[6:7], v[70:71], v[18:19] neg_lo:[0,0,1] neg_hi:[0,0,1]
	v_pk_fma_f32 v[6:7], v[6:7], v[70:71], v[18:19] op_sel_hi:[1,0,1]
	s_nop 0
	v_mov_b32_e32 v21, v7
	s_waitcnt vmcnt(2) lgkmcnt(2)
	v_pk_mul_f32 v[6:7], v[8:9], v[72:73] op_sel:[1,1] op_sel_hi:[0,1]
	v_pk_fma_f32 v[18:19], v[8:9], v[72:73], v[6:7] neg_lo:[0,0,1] neg_hi:[0,0,1]
	v_pk_fma_f32 v[6:7], v[8:9], v[72:73], v[6:7] op_sel_hi:[1,0,1]
	v_pk_add_f32 v[4:5], v[4:5], v[20:21]
	v_mov_b32_e32 v6, v75
	v_mov_b32_e32 v19, v7
	v_pk_mul_f32 v[6:7], v[10:11], v[6:7] op_sel:[1,0] op_sel_hi:[0,0]
	v_pk_fma_f32 v[8:9], v[10:11], v[74:75], v[6:7] neg_lo:[0,0,1] neg_hi:[0,0,1]
	v_pk_fma_f32 v[6:7], v[10:11], v[74:75], v[6:7] op_sel_hi:[1,0,1]
	v_pk_add_f32 v[4:5], v[4:5], v[18:19]
	v_mov_b32_e32 v9, v7
	s_waitcnt vmcnt(1) lgkmcnt(1)
	v_pk_mul_f32 v[6:7], v[12:13], v[76:77] op_sel:[1,1] op_sel_hi:[0,1]
	v_pk_add_f32 v[4:5], v[4:5], v[8:9]
	v_pk_fma_f32 v[8:9], v[12:13], v[76:77], v[6:7] neg_lo:[0,0,1] neg_hi:[0,0,1]
	v_pk_fma_f32 v[6:7], v[12:13], v[76:77], v[6:7] op_sel_hi:[1,0,1]
	s_nop 0
	v_mov_b32_e32 v6, v79
	v_mov_b32_e32 v9, v7
	v_pk_mul_f32 v[6:7], v[14:15], v[6:7] op_sel:[1,0] op_sel_hi:[0,0]
	v_pk_add_f32 v[4:5], v[4:5], v[8:9]
	v_pk_fma_f32 v[8:9], v[14:15], v[78:79], v[6:7] neg_lo:[0,0,1] neg_hi:[0,0,1]
	v_pk_fma_f32 v[6:7], v[14:15], v[78:79], v[6:7] op_sel_hi:[1,0,1]
	s_nop 0
	v_mov_b32_e32 v9, v7
	s_waitcnt vmcnt(0) lgkmcnt(0)
	v_pk_mul_f32 v[6:7], v[16:17], v[86:87] op_sel:[1,1] op_sel_hi:[0,1]
	v_pk_add_f32 v[4:5], v[4:5], v[8:9]
	v_pk_fma_f32 v[8:9], v[16:17], v[86:87], v[6:7] neg_lo:[0,0,1] neg_hi:[0,0,1]
	v_pk_fma_f32 v[6:7], v[16:17], v[86:87], v[6:7] op_sel_hi:[1,0,1]
	s_nop 0
	v_mov_b32_e32 v9, v7
	scratch_load_dwordx2 v[6:7], off, off offset:96
	v_pk_add_f32 v[4:5], v[4:5], v[8:9]
	s_waitcnt vmcnt(0)
	v_pk_add_f32 v[4:5], v[6:7], v[4:5] neg_lo:[0,1] neg_hi:[0,1]
	scratch_store_dwordx2 off, v[4:5], off offset:96
	s_and_saveexec_b64 s[0:1], vcc
	s_cbranch_execz .LBB99_207
; %bb.206:
	scratch_load_dwordx2 v[4:5], off, off offset:88
	v_mov_b32_e32 v3, v2
	scratch_store_dwordx2 off, v[2:3], off offset:88
	s_waitcnt vmcnt(1)
	ds_write_b64 v1, v[4:5]
.LBB99_207:
	s_or_b64 exec, exec, s[0:1]
	s_waitcnt lgkmcnt(0)
	; wave barrier
	ds_read_b128 v[4:7], v2 offset:384
	ds_read_b128 v[8:11], v2 offset:400
	;; [unrolled: 1-line block ×4, first 2 shown]
	scratch_load_dwordx4 v[20:23], off, off offset:96
	scratch_load_dwordx4 v[40:43], off, off offset:160
	v_cmp_lt_u32_e32 vcc, 10, v0
	scratch_load_dwordx4 v[48:51], off, off offset:176
	scratch_load_dwordx4 v[56:59], off, off offset:192
	;; [unrolled: 1-line block ×3, first 2 shown]
	s_waitcnt vmcnt(4) lgkmcnt(3)
	v_mul_f32_e32 v3, v4, v21
	v_fmac_f32_e32 v3, v5, v20
	v_mul_f32_e32 v24, v6, v23
	v_add_f32_e32 v3, 0, v3
	v_fmac_f32_e32 v24, v7, v22
	v_add_f32_e32 v3, v3, v24
	scratch_load_dwordx4 v[24:27], off, off offset:112
	s_waitcnt vmcnt(0) lgkmcnt(2)
	v_mul_f32_e32 v28, v8, v25
	v_fmac_f32_e32 v28, v9, v24
	v_add_f32_e32 v3, v3, v28
	v_mul_f32_e32 v28, v10, v27
	v_fmac_f32_e32 v28, v11, v26
	v_add_f32_e32 v3, v3, v28
	scratch_load_dwordx4 v[28:31], off, off offset:128
	s_waitcnt vmcnt(0) lgkmcnt(1)
	v_mul_f32_e32 v32, v12, v29
	v_fmac_f32_e32 v32, v13, v28
	v_add_f32_e32 v3, v3, v32
	v_mul_f32_e32 v32, v14, v31
	;; [unrolled: 8-line block ×3, first 2 shown]
	v_fmac_f32_e32 v36, v19, v34
	v_add_f32_e32 v3, v3, v36
	ds_read_b128 v[36:39], v2 offset:448
	s_waitcnt lgkmcnt(0)
	v_mul_f32_e32 v44, v36, v41
	v_fmac_f32_e32 v44, v37, v40
	v_add_f32_e32 v3, v3, v44
	v_mul_f32_e32 v44, v38, v43
	v_fmac_f32_e32 v44, v39, v42
	v_add_f32_e32 v3, v3, v44
	ds_read_b128 v[44:47], v2 offset:464
	s_waitcnt lgkmcnt(0)
	v_mul_f32_e32 v52, v44, v49
	v_fmac_f32_e32 v52, v45, v48
	v_add_f32_e32 v3, v3, v52
	v_mul_f32_e32 v52, v46, v51
	;; [unrolled: 8-line block ×3, first 2 shown]
	v_fmac_f32_e32 v60, v55, v58
	v_add_f32_e32 v85, v3, v60
	ds_read_b128 v[60:63], v2 offset:496
	scratch_load_dwordx4 v[68:71], off, off offset:224
	scratch_load_dwordx4 v[72:75], off, off offset:240
	;; [unrolled: 1-line block ×4, first 2 shown]
	v_mul_f32_e32 v3, v5, v21
	v_fma_f32 v3, v4, v20, -v3
	v_mul_f32_e32 v4, v7, v23
	v_add_f32_e32 v3, 0, v3
	v_fma_f32 v4, v6, v22, -v4
	v_add_f32_e32 v3, v3, v4
	v_mul_f32_e32 v4, v9, v25
	v_fma_f32 v4, v8, v24, -v4
	v_add_f32_e32 v3, v3, v4
	v_mul_f32_e32 v4, v11, v27
	;; [unrolled: 3-line block ×12, first 2 shown]
	v_fma_f32 v4, v54, v58, -v4
	v_add_f32_e32 v84, v3, v4
	ds_read_b128 v[4:7], v2 offset:512
	ds_read_b128 v[8:11], v2 offset:528
	;; [unrolled: 1-line block ×4, first 2 shown]
	s_waitcnt lgkmcnt(4)
	v_mul_f32_e32 v87, v60, v65
	v_mul_f32_e32 v3, v61, v65
	v_fmac_f32_e32 v87, v61, v64
	v_mul_f32_e32 v89, v62, v67
	v_fma_f32 v86, v60, v64, -v3
	v_mul_f32_e32 v3, v63, v67
	v_fmac_f32_e32 v89, v63, v66
	v_fma_f32 v88, v62, v66, -v3
	v_pk_add_f32 v[2:3], v[84:85], v[86:87]
	s_waitcnt vmcnt(3) lgkmcnt(3)
	v_pk_mul_f32 v[20:21], v[4:5], v[68:69] op_sel:[1,1] op_sel_hi:[0,1]
	v_pk_fma_f32 v[22:23], v[4:5], v[68:69], v[20:21] neg_lo:[0,0,1] neg_hi:[0,0,1]
	v_pk_fma_f32 v[4:5], v[4:5], v[68:69], v[20:21] op_sel_hi:[1,0,1]
	v_pk_add_f32 v[2:3], v[2:3], v[88:89]
	v_mov_b32_e32 v4, v71
	v_mov_b32_e32 v23, v5
	v_pk_mul_f32 v[4:5], v[6:7], v[4:5] op_sel:[1,0] op_sel_hi:[0,0]
	v_pk_fma_f32 v[20:21], v[6:7], v[70:71], v[4:5] neg_lo:[0,0,1] neg_hi:[0,0,1]
	v_pk_fma_f32 v[4:5], v[6:7], v[70:71], v[4:5] op_sel_hi:[1,0,1]
	v_pk_add_f32 v[2:3], v[2:3], v[22:23]
	v_mov_b32_e32 v21, v5
	s_waitcnt vmcnt(2) lgkmcnt(2)
	v_pk_mul_f32 v[4:5], v[8:9], v[72:73] op_sel:[1,1] op_sel_hi:[0,1]
	v_pk_fma_f32 v[6:7], v[8:9], v[72:73], v[4:5] neg_lo:[0,0,1] neg_hi:[0,0,1]
	v_pk_fma_f32 v[4:5], v[8:9], v[72:73], v[4:5] op_sel_hi:[1,0,1]
	v_pk_add_f32 v[2:3], v[2:3], v[20:21]
	v_mov_b32_e32 v4, v75
	v_mov_b32_e32 v7, v5
	v_pk_mul_f32 v[4:5], v[10:11], v[4:5] op_sel:[1,0] op_sel_hi:[0,0]
	v_pk_add_f32 v[2:3], v[2:3], v[6:7]
	v_pk_fma_f32 v[6:7], v[10:11], v[74:75], v[4:5] neg_lo:[0,0,1] neg_hi:[0,0,1]
	v_pk_fma_f32 v[4:5], v[10:11], v[74:75], v[4:5] op_sel_hi:[1,0,1]
	s_nop 0
	v_mov_b32_e32 v7, v5
	s_waitcnt vmcnt(1) lgkmcnt(1)
	v_pk_mul_f32 v[4:5], v[12:13], v[76:77] op_sel:[1,1] op_sel_hi:[0,1]
	v_pk_add_f32 v[2:3], v[2:3], v[6:7]
	v_pk_fma_f32 v[6:7], v[12:13], v[76:77], v[4:5] neg_lo:[0,0,1] neg_hi:[0,0,1]
	v_pk_fma_f32 v[4:5], v[12:13], v[76:77], v[4:5] op_sel_hi:[1,0,1]
	s_nop 0
	v_mov_b32_e32 v4, v79
	v_mov_b32_e32 v7, v5
	v_pk_mul_f32 v[4:5], v[14:15], v[4:5] op_sel:[1,0] op_sel_hi:[0,0]
	v_pk_add_f32 v[2:3], v[2:3], v[6:7]
	v_pk_fma_f32 v[6:7], v[14:15], v[78:79], v[4:5] neg_lo:[0,0,1] neg_hi:[0,0,1]
	v_pk_fma_f32 v[4:5], v[14:15], v[78:79], v[4:5] op_sel_hi:[1,0,1]
	s_nop 0
	v_mov_b32_e32 v7, v5
	s_waitcnt vmcnt(0) lgkmcnt(0)
	v_pk_mul_f32 v[4:5], v[16:17], v[80:81] op_sel:[1,1] op_sel_hi:[0,1]
	v_pk_add_f32 v[2:3], v[2:3], v[6:7]
	v_pk_fma_f32 v[6:7], v[16:17], v[80:81], v[4:5] neg_lo:[0,0,1] neg_hi:[0,0,1]
	v_pk_fma_f32 v[4:5], v[16:17], v[80:81], v[4:5] op_sel_hi:[1,0,1]
	s_nop 0
	v_mov_b32_e32 v4, v83
	v_mov_b32_e32 v7, v5
	v_pk_mul_f32 v[4:5], v[18:19], v[4:5] op_sel:[1,0] op_sel_hi:[0,0]
	v_pk_add_f32 v[2:3], v[2:3], v[6:7]
	v_pk_fma_f32 v[6:7], v[18:19], v[82:83], v[4:5] neg_lo:[0,0,1] neg_hi:[0,0,1]
	v_pk_fma_f32 v[4:5], v[18:19], v[82:83], v[4:5] op_sel_hi:[1,0,1]
	s_nop 0
	v_mov_b32_e32 v7, v5
	scratch_load_dwordx2 v[4:5], off, off offset:88
	v_pk_add_f32 v[2:3], v[2:3], v[6:7]
	s_waitcnt vmcnt(0)
	v_pk_add_f32 v[2:3], v[4:5], v[2:3] neg_lo:[0,1] neg_hi:[0,1]
	scratch_store_dwordx2 off, v[2:3], off offset:88
	s_and_saveexec_b64 s[0:1], vcc
	s_cbranch_execz .LBB99_209
; %bb.208:
	scratch_load_dwordx2 v[2:3], off, off offset:80
	v_mov_b32_e32 v4, 0
	v_mov_b32_e32 v5, v4
	scratch_store_dwordx2 off, v[4:5], off offset:80
	s_waitcnt vmcnt(1)
	ds_write_b64 v1, v[2:3]
.LBB99_209:
	s_or_b64 exec, exec, s[0:1]
	s_waitcnt lgkmcnt(0)
	; wave barrier
	scratch_load_dwordx4 v[8:11], off, off offset:88
	scratch_load_dwordx4 v[16:19], off, off offset:104
	;; [unrolled: 1-line block ×8, first 2 shown]
	v_mov_b32_e32 v2, 0
	ds_read2_b64 v[4:7], v2 offset0:47 offset1:48
	scratch_load_dwordx4 v[72:75], off, off offset:216
	v_cmp_lt_u32_e32 vcc, 9, v0
	s_waitcnt vmcnt(8) lgkmcnt(0)
	v_mul_f32_e32 v3, v4, v9
	v_fmac_f32_e32 v3, v5, v8
	v_mul_f32_e32 v12, v6, v11
	v_add_f32_e32 v3, 0, v3
	v_fmac_f32_e32 v12, v7, v10
	v_add_f32_e32 v3, v3, v12
	ds_read2_b64 v[12:15], v2 offset0:49 offset1:50
	s_waitcnt vmcnt(7) lgkmcnt(0)
	v_mul_f32_e32 v20, v12, v17
	v_fmac_f32_e32 v20, v13, v16
	v_add_f32_e32 v3, v3, v20
	v_mul_f32_e32 v20, v14, v19
	v_fmac_f32_e32 v20, v15, v18
	v_add_f32_e32 v3, v3, v20
	ds_read2_b64 v[20:23], v2 offset0:51 offset1:52
	s_waitcnt vmcnt(6) lgkmcnt(0)
	v_mul_f32_e32 v28, v20, v25
	v_fmac_f32_e32 v28, v21, v24
	v_add_f32_e32 v3, v3, v28
	v_mul_f32_e32 v28, v22, v27
	;; [unrolled: 8-line block ×6, first 2 shown]
	v_fmac_f32_e32 v60, v55, v58
	v_add_f32_e32 v3, v3, v60
	ds_read2_b64 v[60:63], v2 offset0:61 offset1:62
	s_waitcnt vmcnt(1) lgkmcnt(0)
	v_mul_f32_e32 v68, v60, v65
	v_fmac_f32_e32 v68, v61, v64
	v_add_f32_e32 v89, v3, v68
	ds_read2_b64 v[68:71], v2 offset0:63 offset1:64
	scratch_load_dwordx4 v[76:79], off, off offset:232
	scratch_load_dwordx4 v[80:83], off, off offset:248
	scratch_load_dwordx4 v[84:87], off, off offset:264
	scratch_load_dwordx2 v[94:95], off, off offset:280
	v_mul_f32_e32 v3, v5, v9
	v_fma_f32 v3, v4, v8, -v3
	v_mul_f32_e32 v4, v7, v11
	v_add_f32_e32 v3, 0, v3
	v_fma_f32 v4, v6, v10, -v4
	v_add_f32_e32 v3, v3, v4
	v_mul_f32_e32 v4, v13, v17
	v_fma_f32 v4, v12, v16, -v4
	v_add_f32_e32 v3, v3, v4
	v_mul_f32_e32 v4, v15, v19
	v_fma_f32 v4, v14, v18, -v4
	v_add_f32_e32 v3, v3, v4
	v_mul_f32_e32 v4, v21, v25
	v_fma_f32 v4, v20, v24, -v4
	v_add_f32_e32 v3, v3, v4
	v_mul_f32_e32 v4, v23, v27
	v_fma_f32 v4, v22, v26, -v4
	v_add_f32_e32 v3, v3, v4
	v_mul_f32_e32 v4, v29, v33
	v_fma_f32 v4, v28, v32, -v4
	v_add_f32_e32 v3, v3, v4
	v_mul_f32_e32 v4, v31, v35
	v_fma_f32 v4, v30, v34, -v4
	v_add_f32_e32 v3, v3, v4
	v_mul_f32_e32 v4, v37, v41
	v_fma_f32 v4, v36, v40, -v4
	v_add_f32_e32 v3, v3, v4
	v_mul_f32_e32 v4, v39, v43
	v_fma_f32 v4, v38, v42, -v4
	v_add_f32_e32 v3, v3, v4
	v_mul_f32_e32 v4, v45, v49
	v_fma_f32 v4, v44, v48, -v4
	v_add_f32_e32 v3, v3, v4
	v_mul_f32_e32 v4, v47, v51
	v_fma_f32 v4, v46, v50, -v4
	v_add_f32_e32 v3, v3, v4
	v_mul_f32_e32 v4, v53, v57
	v_fma_f32 v4, v52, v56, -v4
	v_add_f32_e32 v3, v3, v4
	v_mul_f32_e32 v4, v55, v59
	v_fma_f32 v4, v54, v58, -v4
	v_add_f32_e32 v3, v3, v4
	v_mul_f32_e32 v4, v61, v65
	v_fma_f32 v4, v60, v64, -v4
	v_mul_f32_e32 v91, v62, v67
	v_add_f32_e32 v88, v3, v4
	v_mul_f32_e32 v3, v63, v67
	s_waitcnt vmcnt(4)
	v_mov_b32_e32 v20, v75
	v_fmac_f32_e32 v91, v63, v66
	s_waitcnt lgkmcnt(0)
	v_mul_f32_e32 v93, v68, v73
	v_fma_f32 v90, v62, v66, -v3
	v_mul_f32_e32 v3, v69, v73
	ds_read2_b64 v[4:7], v2 offset0:65 offset1:66
	ds_read2_b64 v[8:11], v2 offset0:67 offset1:68
	;; [unrolled: 1-line block ×3, first 2 shown]
	ds_read_b64 v[16:17], v2 offset:568
	v_pk_mul_f32 v[20:21], v[70:71], v[20:21] op_sel:[1,0] op_sel_hi:[0,0]
	v_fmac_f32_e32 v93, v69, v72
	v_fma_f32 v92, v68, v72, -v3
	v_pk_add_f32 v[18:19], v[88:89], v[90:91]
	v_pk_fma_f32 v[22:23], v[70:71], v[74:75], v[20:21] neg_lo:[0,0,1] neg_hi:[0,0,1]
	v_pk_fma_f32 v[20:21], v[70:71], v[74:75], v[20:21] op_sel_hi:[1,0,1]
	v_pk_add_f32 v[18:19], v[18:19], v[92:93]
	v_mov_b32_e32 v23, v21
	v_pk_add_f32 v[18:19], v[18:19], v[22:23]
	s_waitcnt vmcnt(3) lgkmcnt(3)
	v_pk_mul_f32 v[20:21], v[4:5], v[76:77] op_sel:[1,1] op_sel_hi:[0,1]
	v_pk_fma_f32 v[22:23], v[4:5], v[76:77], v[20:21] neg_lo:[0,0,1] neg_hi:[0,0,1]
	v_pk_fma_f32 v[4:5], v[4:5], v[76:77], v[20:21] op_sel_hi:[1,0,1]
	s_nop 0
	v_mov_b32_e32 v23, v5
	v_pk_add_f32 v[4:5], v[18:19], v[22:23]
	v_mov_b32_e32 v18, v79
	v_pk_mul_f32 v[18:19], v[6:7], v[18:19] op_sel:[1,0] op_sel_hi:[0,0]
	v_pk_fma_f32 v[20:21], v[6:7], v[78:79], v[18:19] neg_lo:[0,0,1] neg_hi:[0,0,1]
	v_pk_fma_f32 v[6:7], v[6:7], v[78:79], v[18:19] op_sel_hi:[1,0,1]
	s_nop 0
	v_mov_b32_e32 v21, v7
	s_waitcnt vmcnt(2) lgkmcnt(2)
	v_pk_mul_f32 v[6:7], v[8:9], v[80:81] op_sel:[1,1] op_sel_hi:[0,1]
	v_pk_fma_f32 v[18:19], v[8:9], v[80:81], v[6:7] neg_lo:[0,0,1] neg_hi:[0,0,1]
	v_pk_fma_f32 v[6:7], v[8:9], v[80:81], v[6:7] op_sel_hi:[1,0,1]
	v_pk_add_f32 v[4:5], v[4:5], v[20:21]
	v_mov_b32_e32 v6, v83
	v_mov_b32_e32 v19, v7
	v_pk_mul_f32 v[6:7], v[10:11], v[6:7] op_sel:[1,0] op_sel_hi:[0,0]
	v_pk_fma_f32 v[8:9], v[10:11], v[82:83], v[6:7] neg_lo:[0,0,1] neg_hi:[0,0,1]
	v_pk_fma_f32 v[6:7], v[10:11], v[82:83], v[6:7] op_sel_hi:[1,0,1]
	v_pk_add_f32 v[4:5], v[4:5], v[18:19]
	v_mov_b32_e32 v9, v7
	s_waitcnt vmcnt(1) lgkmcnt(1)
	v_pk_mul_f32 v[6:7], v[12:13], v[84:85] op_sel:[1,1] op_sel_hi:[0,1]
	v_pk_add_f32 v[4:5], v[4:5], v[8:9]
	v_pk_fma_f32 v[8:9], v[12:13], v[84:85], v[6:7] neg_lo:[0,0,1] neg_hi:[0,0,1]
	v_pk_fma_f32 v[6:7], v[12:13], v[84:85], v[6:7] op_sel_hi:[1,0,1]
	s_nop 0
	v_mov_b32_e32 v6, v87
	v_mov_b32_e32 v9, v7
	v_pk_mul_f32 v[6:7], v[14:15], v[6:7] op_sel:[1,0] op_sel_hi:[0,0]
	v_pk_add_f32 v[4:5], v[4:5], v[8:9]
	v_pk_fma_f32 v[8:9], v[14:15], v[86:87], v[6:7] neg_lo:[0,0,1] neg_hi:[0,0,1]
	v_pk_fma_f32 v[6:7], v[14:15], v[86:87], v[6:7] op_sel_hi:[1,0,1]
	s_nop 0
	v_mov_b32_e32 v9, v7
	s_waitcnt vmcnt(0) lgkmcnt(0)
	v_pk_mul_f32 v[6:7], v[16:17], v[94:95] op_sel:[1,1] op_sel_hi:[0,1]
	v_pk_add_f32 v[4:5], v[4:5], v[8:9]
	v_pk_fma_f32 v[8:9], v[16:17], v[94:95], v[6:7] neg_lo:[0,0,1] neg_hi:[0,0,1]
	v_pk_fma_f32 v[6:7], v[16:17], v[94:95], v[6:7] op_sel_hi:[1,0,1]
	s_nop 0
	v_mov_b32_e32 v9, v7
	scratch_load_dwordx2 v[6:7], off, off offset:80
	v_pk_add_f32 v[4:5], v[4:5], v[8:9]
	s_waitcnt vmcnt(0)
	v_pk_add_f32 v[4:5], v[6:7], v[4:5] neg_lo:[0,1] neg_hi:[0,1]
	scratch_store_dwordx2 off, v[4:5], off offset:80
	s_and_saveexec_b64 s[0:1], vcc
	s_cbranch_execz .LBB99_211
; %bb.210:
	scratch_load_dwordx2 v[4:5], off, off offset:72
	v_mov_b32_e32 v3, v2
	scratch_store_dwordx2 off, v[2:3], off offset:72
	s_waitcnt vmcnt(1)
	ds_write_b64 v1, v[4:5]
.LBB99_211:
	s_or_b64 exec, exec, s[0:1]
	s_waitcnt lgkmcnt(0)
	; wave barrier
	ds_read_b128 v[4:7], v2 offset:368
	ds_read_b128 v[8:11], v2 offset:384
	;; [unrolled: 1-line block ×4, first 2 shown]
	scratch_load_dwordx4 v[20:23], off, off offset:80
	scratch_load_dwordx4 v[40:43], off, off offset:144
	;; [unrolled: 1-line block ×3, first 2 shown]
	v_cmp_lt_u32_e32 vcc, 8, v0
	scratch_load_dwordx4 v[48:51], off, off offset:160
	scratch_load_dwordx4 v[56:59], off, off offset:176
	;; [unrolled: 1-line block ×3, first 2 shown]
	s_waitcnt vmcnt(5) lgkmcnt(3)
	v_mul_f32_e32 v3, v4, v21
	v_fmac_f32_e32 v3, v5, v20
	v_mul_f32_e32 v24, v6, v23
	v_add_f32_e32 v3, 0, v3
	v_fmac_f32_e32 v24, v7, v22
	v_add_f32_e32 v3, v3, v24
	scratch_load_dwordx4 v[24:27], off, off offset:96
	s_waitcnt vmcnt(0) lgkmcnt(2)
	v_mul_f32_e32 v28, v8, v25
	v_fmac_f32_e32 v28, v9, v24
	v_add_f32_e32 v3, v3, v28
	v_mul_f32_e32 v28, v10, v27
	v_fmac_f32_e32 v28, v11, v26
	v_add_f32_e32 v3, v3, v28
	scratch_load_dwordx4 v[28:31], off, off offset:112
	s_waitcnt vmcnt(0) lgkmcnt(1)
	v_mul_f32_e32 v32, v12, v29
	v_fmac_f32_e32 v32, v13, v28
	v_add_f32_e32 v3, v3, v32
	v_mul_f32_e32 v32, v14, v31
	;; [unrolled: 8-line block ×3, first 2 shown]
	v_fmac_f32_e32 v36, v19, v34
	v_add_f32_e32 v3, v3, v36
	ds_read_b128 v[36:39], v2 offset:432
	s_waitcnt lgkmcnt(0)
	v_mul_f32_e32 v44, v36, v41
	v_fmac_f32_e32 v44, v37, v40
	v_add_f32_e32 v3, v3, v44
	v_mul_f32_e32 v44, v38, v43
	v_fmac_f32_e32 v44, v39, v42
	v_add_f32_e32 v3, v3, v44
	ds_read_b128 v[44:47], v2 offset:448
	s_waitcnt lgkmcnt(0)
	v_mul_f32_e32 v52, v44, v49
	v_fmac_f32_e32 v52, v45, v48
	v_add_f32_e32 v3, v3, v52
	v_mul_f32_e32 v52, v46, v51
	;; [unrolled: 8-line block ×4, first 2 shown]
	v_fmac_f32_e32 v68, v63, v66
	v_add_f32_e32 v93, v3, v68
	ds_read_b128 v[68:71], v2 offset:496
	scratch_load_dwordx4 v[76:79], off, off offset:224
	scratch_load_dwordx4 v[80:83], off, off offset:240
	scratch_load_dwordx4 v[84:87], off, off offset:256
	scratch_load_dwordx4 v[88:91], off, off offset:272
	v_mul_f32_e32 v3, v5, v21
	v_fma_f32 v3, v4, v20, -v3
	v_mul_f32_e32 v4, v7, v23
	v_add_f32_e32 v3, 0, v3
	v_fma_f32 v4, v6, v22, -v4
	v_add_f32_e32 v3, v3, v4
	v_mul_f32_e32 v4, v9, v25
	v_fma_f32 v4, v8, v24, -v4
	v_add_f32_e32 v3, v3, v4
	v_mul_f32_e32 v4, v11, v27
	;; [unrolled: 3-line block ×14, first 2 shown]
	v_fma_f32 v4, v62, v66, -v4
	v_add_f32_e32 v92, v3, v4
	ds_read_b128 v[4:7], v2 offset:512
	ds_read_b128 v[8:11], v2 offset:528
	;; [unrolled: 1-line block ×4, first 2 shown]
	s_waitcnt lgkmcnt(4)
	v_mul_f32_e32 v95, v68, v73
	v_mul_f32_e32 v3, v69, v73
	v_fmac_f32_e32 v95, v69, v72
	v_mul_f32_e32 v97, v70, v75
	v_fma_f32 v94, v68, v72, -v3
	v_mul_f32_e32 v3, v71, v75
	v_fmac_f32_e32 v97, v71, v74
	v_fma_f32 v96, v70, v74, -v3
	v_pk_add_f32 v[2:3], v[92:93], v[94:95]
	s_waitcnt vmcnt(3) lgkmcnt(3)
	v_pk_mul_f32 v[20:21], v[4:5], v[76:77] op_sel:[1,1] op_sel_hi:[0,1]
	v_pk_fma_f32 v[22:23], v[4:5], v[76:77], v[20:21] neg_lo:[0,0,1] neg_hi:[0,0,1]
	v_pk_fma_f32 v[4:5], v[4:5], v[76:77], v[20:21] op_sel_hi:[1,0,1]
	v_pk_add_f32 v[2:3], v[2:3], v[96:97]
	v_mov_b32_e32 v4, v79
	v_mov_b32_e32 v23, v5
	v_pk_mul_f32 v[4:5], v[6:7], v[4:5] op_sel:[1,0] op_sel_hi:[0,0]
	v_pk_fma_f32 v[20:21], v[6:7], v[78:79], v[4:5] neg_lo:[0,0,1] neg_hi:[0,0,1]
	v_pk_fma_f32 v[4:5], v[6:7], v[78:79], v[4:5] op_sel_hi:[1,0,1]
	v_pk_add_f32 v[2:3], v[2:3], v[22:23]
	v_mov_b32_e32 v21, v5
	s_waitcnt vmcnt(2) lgkmcnt(2)
	v_pk_mul_f32 v[4:5], v[8:9], v[80:81] op_sel:[1,1] op_sel_hi:[0,1]
	v_pk_fma_f32 v[6:7], v[8:9], v[80:81], v[4:5] neg_lo:[0,0,1] neg_hi:[0,0,1]
	v_pk_fma_f32 v[4:5], v[8:9], v[80:81], v[4:5] op_sel_hi:[1,0,1]
	v_pk_add_f32 v[2:3], v[2:3], v[20:21]
	v_mov_b32_e32 v4, v83
	v_mov_b32_e32 v7, v5
	v_pk_mul_f32 v[4:5], v[10:11], v[4:5] op_sel:[1,0] op_sel_hi:[0,0]
	v_pk_add_f32 v[2:3], v[2:3], v[6:7]
	v_pk_fma_f32 v[6:7], v[10:11], v[82:83], v[4:5] neg_lo:[0,0,1] neg_hi:[0,0,1]
	v_pk_fma_f32 v[4:5], v[10:11], v[82:83], v[4:5] op_sel_hi:[1,0,1]
	s_nop 0
	v_mov_b32_e32 v7, v5
	s_waitcnt vmcnt(1) lgkmcnt(1)
	v_pk_mul_f32 v[4:5], v[12:13], v[84:85] op_sel:[1,1] op_sel_hi:[0,1]
	v_pk_add_f32 v[2:3], v[2:3], v[6:7]
	v_pk_fma_f32 v[6:7], v[12:13], v[84:85], v[4:5] neg_lo:[0,0,1] neg_hi:[0,0,1]
	v_pk_fma_f32 v[4:5], v[12:13], v[84:85], v[4:5] op_sel_hi:[1,0,1]
	s_nop 0
	v_mov_b32_e32 v4, v87
	v_mov_b32_e32 v7, v5
	v_pk_mul_f32 v[4:5], v[14:15], v[4:5] op_sel:[1,0] op_sel_hi:[0,0]
	v_pk_add_f32 v[2:3], v[2:3], v[6:7]
	v_pk_fma_f32 v[6:7], v[14:15], v[86:87], v[4:5] neg_lo:[0,0,1] neg_hi:[0,0,1]
	v_pk_fma_f32 v[4:5], v[14:15], v[86:87], v[4:5] op_sel_hi:[1,0,1]
	s_nop 0
	v_mov_b32_e32 v7, v5
	s_waitcnt vmcnt(0) lgkmcnt(0)
	v_pk_mul_f32 v[4:5], v[16:17], v[88:89] op_sel:[1,1] op_sel_hi:[0,1]
	v_pk_add_f32 v[2:3], v[2:3], v[6:7]
	v_pk_fma_f32 v[6:7], v[16:17], v[88:89], v[4:5] neg_lo:[0,0,1] neg_hi:[0,0,1]
	v_pk_fma_f32 v[4:5], v[16:17], v[88:89], v[4:5] op_sel_hi:[1,0,1]
	s_nop 0
	v_mov_b32_e32 v4, v91
	v_mov_b32_e32 v7, v5
	v_pk_mul_f32 v[4:5], v[18:19], v[4:5] op_sel:[1,0] op_sel_hi:[0,0]
	v_pk_add_f32 v[2:3], v[2:3], v[6:7]
	v_pk_fma_f32 v[6:7], v[18:19], v[90:91], v[4:5] neg_lo:[0,0,1] neg_hi:[0,0,1]
	v_pk_fma_f32 v[4:5], v[18:19], v[90:91], v[4:5] op_sel_hi:[1,0,1]
	s_nop 0
	v_mov_b32_e32 v7, v5
	scratch_load_dwordx2 v[4:5], off, off offset:72
	v_pk_add_f32 v[2:3], v[2:3], v[6:7]
	s_waitcnt vmcnt(0)
	v_pk_add_f32 v[2:3], v[4:5], v[2:3] neg_lo:[0,1] neg_hi:[0,1]
	scratch_store_dwordx2 off, v[2:3], off offset:72
	s_and_saveexec_b64 s[0:1], vcc
	s_cbranch_execz .LBB99_213
; %bb.212:
	scratch_load_dwordx2 v[2:3], off, off offset:64
	v_mov_b32_e32 v4, 0
	v_mov_b32_e32 v5, v4
	scratch_store_dwordx2 off, v[4:5], off offset:64
	s_waitcnt vmcnt(1)
	ds_write_b64 v1, v[2:3]
.LBB99_213:
	s_or_b64 exec, exec, s[0:1]
	s_waitcnt lgkmcnt(0)
	; wave barrier
	scratch_load_dwordx4 v[10:13], off, off offset:72
	scratch_load_dwordx4 v[30:33], off, off offset:88
	scratch_load_dwordx4 v[2:5], off, off offset:104
	scratch_load_dwordx4 v[6:9], off, off offset:120
	scratch_load_dwordx4 v[18:21], off, off offset:136
	scratch_load_dwordx4 v[22:25], off, off offset:152
	scratch_load_dwordx4 v[34:37], off, off offset:168
	scratch_load_dwordx4 v[38:41], off, off offset:184
	scratch_load_dwordx4 v[50:53], off, off offset:200
	scratch_load_dwordx4 v[46:49], off, off offset:216
	scratch_load_dwordx4 v[42:45], off, off offset:232
	scratch_load_dwordx4 v[26:29], off, off offset:248
	scratch_load_dwordx4 v[14:17], off, off offset:264
	scratch_load_dwordx2 v[54:55], off, off offset:280
	scratch_load_dwordx2 v[80:81], off, off offset:64
	v_mov_b32_e32 v82, 0
	ds_read2_b64 v[56:59], v82 offset0:45 offset1:46
	ds_read2_b64 v[60:63], v82 offset0:47 offset1:48
	;; [unrolled: 1-line block ×10, first 2 shown]
	v_cmp_lt_u32_e32 vcc, 7, v0
	s_waitcnt vmcnt(14) lgkmcnt(9)
	v_mul_f32_e32 v83, v56, v11
	v_mul_f32_e32 v100, v58, v13
	s_waitcnt vmcnt(12) lgkmcnt(7)
	v_mul_f32_e32 v105, v64, v3
	v_mul_f32_e32 v3, v65, v3
	v_fmac_f32_e32 v83, v57, v10
	v_mul_f32_e32 v102, v60, v31
	v_fmac_f32_e32 v100, v59, v12
	v_fmac_f32_e32 v105, v65, v2
	v_fma_f32 v2, v64, v2, -v3
	v_add_f32_e32 v3, 0, v83
	v_mul_f32_e32 v104, v62, v33
	v_fmac_f32_e32 v102, v61, v30
	v_add_f32_e32 v3, v3, v100
	v_fmac_f32_e32 v104, v63, v32
	v_add_f32_e32 v3, v3, v102
	v_mul_f32_e32 v106, v66, v5
	v_add_f32_e32 v3, v3, v104
	s_waitcnt vmcnt(11) lgkmcnt(6)
	v_mul_f32_e32 v107, v68, v7
	v_fmac_f32_e32 v106, v67, v4
	v_add_f32_e32 v3, v3, v105
	v_mul_f32_e32 v108, v70, v9
	v_fmac_f32_e32 v107, v69, v6
	v_add_f32_e32 v3, v3, v106
	s_waitcnt vmcnt(10) lgkmcnt(5)
	v_mul_f32_e32 v109, v72, v19
	v_fmac_f32_e32 v108, v71, v8
	v_add_f32_e32 v3, v3, v107
	v_mul_f32_e32 v110, v74, v21
	v_fmac_f32_e32 v109, v73, v18
	;; [unrolled: 7-line block ×3, first 2 shown]
	v_add_f32_e32 v3, v3, v110
	s_waitcnt vmcnt(8) lgkmcnt(3)
	v_mul_f32_e32 v113, v84, v35
	v_mul_f32_e32 v11, v57, v11
	v_fmac_f32_e32 v112, v79, v24
	v_add_f32_e32 v3, v3, v111
	v_mul_f32_e32 v186, v86, v37
	v_mul_f32_e32 v13, v59, v13
	v_fmac_f32_e32 v113, v85, v34
	v_fma_f32 v10, v56, v10, -v11
	v_add_f32_e32 v3, v3, v112
	s_waitcnt vmcnt(7) lgkmcnt(2)
	v_mul_f32_e32 v187, v88, v39
	v_mul_f32_e32 v31, v61, v31
	v_fmac_f32_e32 v186, v87, v36
	v_fma_f32 v11, v58, v12, -v13
	v_add_f32_e32 v10, 0, v10
	v_add_f32_e32 v3, v3, v113
	v_mul_f32_e32 v188, v90, v41
	v_mul_f32_e32 v33, v63, v33
	v_fmac_f32_e32 v187, v89, v38
	v_fma_f32 v12, v60, v30, -v31
	v_add_f32_e32 v10, v10, v11
	v_add_f32_e32 v3, v3, v186
	s_waitcnt vmcnt(6) lgkmcnt(1)
	v_mul_f32_e32 v189, v92, v51
	v_fmac_f32_e32 v188, v91, v40
	v_fma_f32 v13, v62, v32, -v33
	v_add_f32_e32 v10, v10, v12
	v_add_f32_e32 v3, v3, v187
	v_mul_f32_e32 v5, v67, v5
	v_fmac_f32_e32 v189, v93, v50
	v_add_f32_e32 v10, v10, v13
	v_add_f32_e32 v3, v3, v188
	;; [unrolled: 1-line block ×4, first 2 shown]
	v_fma_f32 v3, v66, v4, -v5
	v_add_f32_e32 v2, v2, v3
	v_mul_f32_e32 v3, v69, v7
	v_fma_f32 v3, v68, v6, -v3
	v_add_f32_e32 v2, v2, v3
	v_mul_f32_e32 v3, v71, v9
	;; [unrolled: 3-line block ×12, first 2 shown]
	v_mul_f32_e32 v101, v94, v53
	v_fma_f32 v100, v94, v52, -v2
	s_waitcnt vmcnt(5) lgkmcnt(0)
	v_mul_f32_e32 v2, v97, v47
	v_mov_b32_e32 v22, v49
	v_mul_f32_e32 v103, v96, v47
	v_fmac_f32_e32 v101, v95, v52
	v_fma_f32 v102, v96, v46, -v2
	ds_read2_b64 v[2:5], v82 offset0:65 offset1:66
	ds_read2_b64 v[6:9], v82 offset0:67 offset1:68
	;; [unrolled: 1-line block ×3, first 2 shown]
	ds_read_b64 v[18:19], v82 offset:568
	v_pk_mul_f32 v[22:23], v[98:99], v[22:23] op_sel:[1,0] op_sel_hi:[0,0]
	v_fmac_f32_e32 v103, v97, v46
	v_pk_add_f32 v[20:21], v[30:31], v[100:101]
	v_pk_fma_f32 v[24:25], v[98:99], v[48:49], v[22:23] neg_lo:[0,0,1] neg_hi:[0,0,1]
	v_pk_fma_f32 v[22:23], v[98:99], v[48:49], v[22:23] op_sel_hi:[1,0,1]
	v_pk_add_f32 v[20:21], v[20:21], v[102:103]
	v_mov_b32_e32 v25, v23
	s_waitcnt vmcnt(4) lgkmcnt(3)
	v_pk_mul_f32 v[22:23], v[2:3], v[42:43] op_sel:[1,1] op_sel_hi:[0,1]
	v_pk_add_f32 v[20:21], v[20:21], v[24:25]
	v_pk_fma_f32 v[24:25], v[2:3], v[42:43], v[22:23] neg_lo:[0,0,1] neg_hi:[0,0,1]
	v_pk_fma_f32 v[2:3], v[2:3], v[42:43], v[22:23] op_sel_hi:[1,0,1]
	s_nop 0
	v_mov_b32_e32 v25, v3
	v_pk_add_f32 v[2:3], v[20:21], v[24:25]
	v_mov_b32_e32 v20, v45
	v_pk_mul_f32 v[20:21], v[4:5], v[20:21] op_sel:[1,0] op_sel_hi:[0,0]
	v_pk_fma_f32 v[22:23], v[4:5], v[44:45], v[20:21] neg_lo:[0,0,1] neg_hi:[0,0,1]
	v_pk_fma_f32 v[4:5], v[4:5], v[44:45], v[20:21] op_sel_hi:[1,0,1]
	s_nop 0
	v_mov_b32_e32 v23, v5
	s_waitcnt vmcnt(3) lgkmcnt(2)
	v_pk_mul_f32 v[4:5], v[6:7], v[26:27] op_sel:[1,1] op_sel_hi:[0,1]
	v_pk_fma_f32 v[20:21], v[6:7], v[26:27], v[4:5] neg_lo:[0,0,1] neg_hi:[0,0,1]
	v_pk_fma_f32 v[4:5], v[6:7], v[26:27], v[4:5] op_sel_hi:[1,0,1]
	v_pk_add_f32 v[2:3], v[2:3], v[22:23]
	v_mov_b32_e32 v4, v29
	v_mov_b32_e32 v21, v5
	v_pk_mul_f32 v[4:5], v[8:9], v[4:5] op_sel:[1,0] op_sel_hi:[0,0]
	v_pk_fma_f32 v[6:7], v[8:9], v[28:29], v[4:5] neg_lo:[0,0,1] neg_hi:[0,0,1]
	v_pk_fma_f32 v[4:5], v[8:9], v[28:29], v[4:5] op_sel_hi:[1,0,1]
	v_pk_add_f32 v[2:3], v[2:3], v[20:21]
	v_mov_b32_e32 v7, v5
	s_waitcnt vmcnt(2) lgkmcnt(1)
	v_pk_mul_f32 v[4:5], v[10:11], v[14:15] op_sel:[1,1] op_sel_hi:[0,1]
	v_pk_add_f32 v[2:3], v[2:3], v[6:7]
	v_pk_fma_f32 v[6:7], v[10:11], v[14:15], v[4:5] neg_lo:[0,0,1] neg_hi:[0,0,1]
	v_pk_fma_f32 v[4:5], v[10:11], v[14:15], v[4:5] op_sel_hi:[1,0,1]
	s_nop 0
	v_mov_b32_e32 v4, v17
	v_mov_b32_e32 v7, v5
	v_pk_mul_f32 v[4:5], v[12:13], v[4:5] op_sel:[1,0] op_sel_hi:[0,0]
	v_pk_add_f32 v[2:3], v[2:3], v[6:7]
	v_pk_fma_f32 v[6:7], v[12:13], v[16:17], v[4:5] neg_lo:[0,0,1] neg_hi:[0,0,1]
	v_pk_fma_f32 v[4:5], v[12:13], v[16:17], v[4:5] op_sel_hi:[1,0,1]
	s_nop 0
	v_mov_b32_e32 v7, v5
	s_waitcnt vmcnt(1) lgkmcnt(0)
	v_pk_mul_f32 v[4:5], v[18:19], v[54:55] op_sel:[1,1] op_sel_hi:[0,1]
	v_pk_add_f32 v[2:3], v[2:3], v[6:7]
	v_pk_fma_f32 v[6:7], v[18:19], v[54:55], v[4:5] neg_lo:[0,0,1] neg_hi:[0,0,1]
	v_pk_fma_f32 v[4:5], v[18:19], v[54:55], v[4:5] op_sel_hi:[1,0,1]
	s_nop 0
	v_mov_b32_e32 v7, v5
	v_pk_add_f32 v[2:3], v[2:3], v[6:7]
	s_waitcnt vmcnt(0)
	v_pk_add_f32 v[2:3], v[80:81], v[2:3] neg_lo:[0,1] neg_hi:[0,1]
	scratch_store_dwordx2 off, v[2:3], off offset:64
	s_and_saveexec_b64 s[0:1], vcc
	s_cbranch_execz .LBB99_215
; %bb.214:
	scratch_load_dwordx2 v[2:3], off, off offset:56
	v_mov_b32_e32 v83, v82
	scratch_store_dwordx2 off, v[82:83], off offset:56
	s_waitcnt vmcnt(1)
	ds_write_b64 v1, v[2:3]
.LBB99_215:
	s_or_b64 exec, exec, s[0:1]
	s_waitcnt lgkmcnt(0)
	; wave barrier
	scratch_load_dwordx4 v[18:21], off, off offset:64
	scratch_load_dwordx4 v[34:37], off, off offset:80
	;; [unrolled: 1-line block ×10, first 2 shown]
	ds_read_b128 v[84:87], v82 offset:352
	ds_read_b128 v[88:91], v82 offset:368
	;; [unrolled: 1-line block ×10, first 2 shown]
	scratch_load_dwordx4 v[54:57], off, off offset:224
	scratch_load_dwordx4 v[46:49], off, off offset:240
	;; [unrolled: 1-line block ×4, first 2 shown]
	scratch_load_dwordx2 v[100:101], off, off offset:56
	v_cmp_lt_u32_e32 vcc, 6, v0
	s_waitcnt vmcnt(14) lgkmcnt(9)
	v_mul_f32_e32 v83, v84, v19
	v_mul_f32_e32 v102, v86, v21
	s_waitcnt vmcnt(12) lgkmcnt(7)
	v_mul_f32_e32 v107, v92, v3
	v_mul_f32_e32 v3, v93, v3
	v_fmac_f32_e32 v83, v85, v18
	v_mul_f32_e32 v104, v88, v35
	v_fmac_f32_e32 v102, v87, v20
	v_fmac_f32_e32 v107, v93, v2
	v_fma_f32 v2, v92, v2, -v3
	v_add_f32_e32 v3, 0, v83
	v_mul_f32_e32 v106, v90, v37
	v_fmac_f32_e32 v104, v89, v34
	v_add_f32_e32 v3, v3, v102
	v_fmac_f32_e32 v106, v91, v36
	v_add_f32_e32 v3, v3, v104
	v_mul_f32_e32 v108, v94, v5
	v_add_f32_e32 v3, v3, v106
	s_waitcnt vmcnt(11) lgkmcnt(6)
	v_mul_f32_e32 v109, v96, v7
	v_fmac_f32_e32 v108, v95, v4
	v_add_f32_e32 v3, v3, v107
	v_mul_f32_e32 v110, v98, v9
	v_fmac_f32_e32 v109, v97, v6
	v_add_f32_e32 v3, v3, v108
	s_waitcnt vmcnt(10) lgkmcnt(5)
	v_mul_f32_e32 v111, v78, v11
	v_fmac_f32_e32 v110, v99, v8
	v_add_f32_e32 v3, v3, v109
	v_mul_f32_e32 v112, v80, v13
	v_fmac_f32_e32 v111, v79, v10
	;; [unrolled: 7-line block ×4, first 2 shown]
	v_add_f32_e32 v3, v3, v186
	s_waitcnt vmcnt(7) lgkmcnt(2)
	v_mul_f32_e32 v189, v66, v39
	v_mul_f32_e32 v19, v85, v19
	v_fmac_f32_e32 v188, v73, v28
	v_add_f32_e32 v3, v3, v187
	v_mul_f32_e32 v190, v68, v41
	v_mul_f32_e32 v21, v87, v21
	v_fmac_f32_e32 v189, v67, v38
	v_fma_f32 v18, v84, v18, -v19
	v_add_f32_e32 v3, v3, v188
	s_waitcnt vmcnt(6) lgkmcnt(1)
	v_mul_f32_e32 v191, v62, v43
	v_mul_f32_e32 v35, v89, v35
	v_fmac_f32_e32 v190, v69, v40
	v_fma_f32 v19, v86, v20, -v21
	v_add_f32_e32 v18, 0, v18
	v_add_f32_e32 v3, v3, v189
	v_mul_f32_e32 v192, v64, v45
	v_mul_f32_e32 v37, v91, v37
	v_fmac_f32_e32 v191, v63, v42
	v_fma_f32 v20, v88, v34, -v35
	v_add_f32_e32 v18, v18, v19
	v_add_f32_e32 v3, v3, v190
	v_fmac_f32_e32 v192, v65, v44
	v_fma_f32 v21, v90, v36, -v37
	v_add_f32_e32 v18, v18, v20
	v_add_f32_e32 v3, v3, v191
	;; [unrolled: 1-line block ×4, first 2 shown]
	v_mul_f32_e32 v3, v95, v5
	v_add_f32_e32 v2, v18, v2
	v_fma_f32 v3, v94, v4, -v3
	v_add_f32_e32 v2, v2, v3
	v_mul_f32_e32 v3, v97, v7
	v_fma_f32 v3, v96, v6, -v3
	v_add_f32_e32 v2, v2, v3
	v_mul_f32_e32 v3, v99, v9
	;; [unrolled: 3-line block ×12, first 2 shown]
	v_fma_f32 v3, v64, v44, -v3
	v_add_f32_e32 v34, v2, v3
	s_waitcnt vmcnt(5) lgkmcnt(0)
	v_mul_f32_e32 v2, v59, v51
	v_fma_f32 v102, v58, v50, -v2
	v_mul_f32_e32 v2, v61, v53
	v_fma_f32 v104, v60, v52, -v2
	ds_read_b128 v[2:5], v82 offset:512
	ds_read_b128 v[6:9], v82 offset:528
	;; [unrolled: 1-line block ×4, first 2 shown]
	v_mul_f32_e32 v103, v58, v51
	v_mul_f32_e32 v105, v60, v53
	v_fmac_f32_e32 v103, v59, v50
	s_waitcnt vmcnt(4) lgkmcnt(3)
	v_pk_mul_f32 v[24:25], v[2:3], v[54:55] op_sel:[1,1] op_sel_hi:[0,1]
	v_fmac_f32_e32 v105, v61, v52
	v_pk_add_f32 v[22:23], v[34:35], v[102:103]
	v_pk_fma_f32 v[26:27], v[2:3], v[54:55], v[24:25] neg_lo:[0,0,1] neg_hi:[0,0,1]
	v_pk_fma_f32 v[2:3], v[2:3], v[54:55], v[24:25] op_sel_hi:[1,0,1]
	v_pk_add_f32 v[22:23], v[22:23], v[104:105]
	v_mov_b32_e32 v27, v3
	v_pk_add_f32 v[2:3], v[22:23], v[26:27]
	v_mov_b32_e32 v22, v57
	v_pk_mul_f32 v[22:23], v[4:5], v[22:23] op_sel:[1,0] op_sel_hi:[0,0]
	v_pk_fma_f32 v[24:25], v[4:5], v[56:57], v[22:23] neg_lo:[0,0,1] neg_hi:[0,0,1]
	v_pk_fma_f32 v[4:5], v[4:5], v[56:57], v[22:23] op_sel_hi:[1,0,1]
	s_nop 0
	v_mov_b32_e32 v25, v5
	s_waitcnt vmcnt(3) lgkmcnt(2)
	v_pk_mul_f32 v[4:5], v[6:7], v[46:47] op_sel:[1,1] op_sel_hi:[0,1]
	v_pk_fma_f32 v[22:23], v[6:7], v[46:47], v[4:5] neg_lo:[0,0,1] neg_hi:[0,0,1]
	v_pk_fma_f32 v[4:5], v[6:7], v[46:47], v[4:5] op_sel_hi:[1,0,1]
	v_pk_add_f32 v[2:3], v[2:3], v[24:25]
	v_mov_b32_e32 v4, v49
	v_mov_b32_e32 v23, v5
	v_pk_mul_f32 v[4:5], v[8:9], v[4:5] op_sel:[1,0] op_sel_hi:[0,0]
	v_pk_fma_f32 v[6:7], v[8:9], v[48:49], v[4:5] neg_lo:[0,0,1] neg_hi:[0,0,1]
	v_pk_fma_f32 v[4:5], v[8:9], v[48:49], v[4:5] op_sel_hi:[1,0,1]
	v_pk_add_f32 v[2:3], v[2:3], v[22:23]
	v_mov_b32_e32 v7, v5
	s_waitcnt vmcnt(2) lgkmcnt(1)
	v_pk_mul_f32 v[4:5], v[10:11], v[30:31] op_sel:[1,1] op_sel_hi:[0,1]
	v_pk_add_f32 v[2:3], v[2:3], v[6:7]
	v_pk_fma_f32 v[6:7], v[10:11], v[30:31], v[4:5] neg_lo:[0,0,1] neg_hi:[0,0,1]
	v_pk_fma_f32 v[4:5], v[10:11], v[30:31], v[4:5] op_sel_hi:[1,0,1]
	s_nop 0
	v_mov_b32_e32 v4, v33
	v_mov_b32_e32 v7, v5
	v_pk_mul_f32 v[4:5], v[12:13], v[4:5] op_sel:[1,0] op_sel_hi:[0,0]
	v_pk_add_f32 v[2:3], v[2:3], v[6:7]
	v_pk_fma_f32 v[6:7], v[12:13], v[32:33], v[4:5] neg_lo:[0,0,1] neg_hi:[0,0,1]
	v_pk_fma_f32 v[4:5], v[12:13], v[32:33], v[4:5] op_sel_hi:[1,0,1]
	s_nop 0
	v_mov_b32_e32 v7, v5
	s_waitcnt vmcnt(1) lgkmcnt(0)
	v_pk_mul_f32 v[4:5], v[18:19], v[14:15] op_sel:[1,1] op_sel_hi:[0,1]
	v_pk_add_f32 v[2:3], v[2:3], v[6:7]
	v_pk_fma_f32 v[6:7], v[18:19], v[14:15], v[4:5] neg_lo:[0,0,1] neg_hi:[0,0,1]
	v_pk_fma_f32 v[4:5], v[18:19], v[14:15], v[4:5] op_sel_hi:[1,0,1]
	s_nop 0
	v_mov_b32_e32 v4, v17
	v_mov_b32_e32 v7, v5
	v_pk_mul_f32 v[4:5], v[20:21], v[4:5] op_sel:[1,0] op_sel_hi:[0,0]
	v_pk_add_f32 v[2:3], v[2:3], v[6:7]
	v_pk_fma_f32 v[6:7], v[20:21], v[16:17], v[4:5] neg_lo:[0,0,1] neg_hi:[0,0,1]
	v_pk_fma_f32 v[4:5], v[20:21], v[16:17], v[4:5] op_sel_hi:[1,0,1]
	s_nop 0
	v_mov_b32_e32 v7, v5
	v_pk_add_f32 v[2:3], v[2:3], v[6:7]
	s_waitcnt vmcnt(0)
	v_pk_add_f32 v[2:3], v[100:101], v[2:3] neg_lo:[0,1] neg_hi:[0,1]
	scratch_store_dwordx2 off, v[2:3], off offset:56
	s_and_saveexec_b64 s[0:1], vcc
	s_cbranch_execz .LBB99_217
; %bb.216:
	scratch_load_dwordx2 v[2:3], off, off offset:48
	v_mov_b32_e32 v4, 0
	v_mov_b32_e32 v5, v4
	scratch_store_dwordx2 off, v[4:5], off offset:48
	s_waitcnt vmcnt(1)
	ds_write_b64 v1, v[2:3]
.LBB99_217:
	s_or_b64 exec, exec, s[0:1]
	s_waitcnt lgkmcnt(0)
	; wave barrier
	scratch_load_dwordx4 v[18:21], off, off offset:56
	scratch_load_dwordx4 v[2:5], off, off offset:72
	;; [unrolled: 1-line block ×14, first 2 shown]
	scratch_load_dwordx2 v[58:59], off, off offset:280
	scratch_load_dwordx2 v[100:101], off, off offset:48
	v_mov_b32_e32 v102, 0
	ds_read2_b64 v[60:63], v102 offset0:43 offset1:44
	ds_read2_b64 v[64:67], v102 offset0:45 offset1:46
	;; [unrolled: 1-line block ×12, first 2 shown]
	v_cmp_lt_u32_e32 vcc, 5, v0
	s_waitcnt vmcnt(15) lgkmcnt(11)
	v_mul_f32_e32 v103, v60, v19
	v_mul_f32_e32 v112, v62, v21
	s_waitcnt vmcnt(14) lgkmcnt(10)
	v_mul_f32_e32 v186, v64, v3
	v_mul_f32_e32 v3, v65, v3
	v_fmac_f32_e32 v103, v61, v18
	v_fmac_f32_e32 v112, v63, v20
	;; [unrolled: 1-line block ×3, first 2 shown]
	v_fma_f32 v2, v64, v2, -v3
	v_add_f32_e32 v3, 0, v103
	v_mul_f32_e32 v188, v66, v5
	v_add_f32_e32 v3, v3, v112
	s_waitcnt vmcnt(13) lgkmcnt(9)
	v_mul_f32_e32 v189, v68, v7
	v_fmac_f32_e32 v188, v67, v4
	v_add_f32_e32 v3, v3, v186
	v_mul_f32_e32 v190, v70, v9
	v_fmac_f32_e32 v189, v69, v6
	v_add_f32_e32 v3, v3, v188
	s_waitcnt vmcnt(12) lgkmcnt(8)
	v_mul_f32_e32 v191, v72, v11
	v_fmac_f32_e32 v190, v71, v8
	v_add_f32_e32 v3, v3, v189
	v_mul_f32_e32 v192, v74, v13
	v_fmac_f32_e32 v191, v73, v10
	;; [unrolled: 7-line block ×6, first 2 shown]
	v_add_f32_e32 v3, v3, v198
	s_waitcnt vmcnt(7) lgkmcnt(3)
	v_mul_f32_e32 v201, v92, v43
	v_fmac_f32_e32 v200, v91, v40
	v_add_f32_e32 v3, v3, v199
	v_mul_f32_e32 v202, v94, v45
	v_mul_f32_e32 v19, v61, v19
	v_fmac_f32_e32 v201, v93, v42
	v_add_f32_e32 v3, v3, v200
	s_waitcnt vmcnt(6) lgkmcnt(2)
	v_mul_f32_e32 v203, v96, v51
	v_mul_f32_e32 v21, v63, v21
	v_fmac_f32_e32 v202, v95, v44
	v_fma_f32 v18, v60, v18, -v19
	v_add_f32_e32 v3, v3, v201
	v_fmac_f32_e32 v203, v97, v50
	v_fma_f32 v19, v62, v20, -v21
	v_add_f32_e32 v18, 0, v18
	v_add_f32_e32 v3, v3, v202
	;; [unrolled: 1-line block ×4, first 2 shown]
	v_mul_f32_e32 v3, v67, v5
	v_add_f32_e32 v2, v18, v2
	v_fma_f32 v3, v66, v4, -v3
	v_add_f32_e32 v2, v2, v3
	v_mul_f32_e32 v3, v69, v7
	v_fma_f32 v3, v68, v6, -v3
	v_add_f32_e32 v2, v2, v3
	v_mul_f32_e32 v3, v71, v9
	;; [unrolled: 3-line block ×15, first 2 shown]
	v_fma_f32 v3, v96, v50, -v3
	v_mul_f32_e32 v113, v98, v53
	v_add_f32_e32 v18, v2, v3
	v_mul_f32_e32 v2, v99, v53
	s_waitcnt vmcnt(5)
	v_mov_b32_e32 v14, v57
	s_waitcnt lgkmcnt(1)
	v_mul_f32_e32 v187, v104, v55
	v_fmac_f32_e32 v113, v99, v52
	v_fma_f32 v112, v98, v52, -v2
	v_mul_f32_e32 v2, v105, v55
	v_pk_mul_f32 v[14:15], v[106:107], v[14:15] op_sel:[1,0] op_sel_hi:[0,0]
	v_fmac_f32_e32 v187, v105, v54
	v_fma_f32 v186, v104, v54, -v2
	v_pk_add_f32 v[12:13], v[18:19], v[112:113]
	v_pk_fma_f32 v[16:17], v[106:107], v[56:57], v[14:15] neg_lo:[0,0,1] neg_hi:[0,0,1]
	v_pk_fma_f32 v[14:15], v[106:107], v[56:57], v[14:15] op_sel_hi:[1,0,1]
	v_pk_add_f32 v[12:13], v[12:13], v[186:187]
	v_mov_b32_e32 v17, v15
	s_waitcnt vmcnt(4) lgkmcnt(0)
	v_pk_mul_f32 v[14:15], v[108:109], v[46:47] op_sel:[1,1] op_sel_hi:[0,1]
	v_pk_add_f32 v[12:13], v[12:13], v[16:17]
	v_pk_fma_f32 v[16:17], v[108:109], v[46:47], v[14:15] neg_lo:[0,0,1] neg_hi:[0,0,1]
	v_pk_fma_f32 v[14:15], v[108:109], v[46:47], v[14:15] op_sel_hi:[1,0,1]
	ds_read2_b64 v[2:5], v102 offset0:67 offset1:68
	ds_read2_b64 v[6:9], v102 offset0:69 offset1:70
	ds_read_b64 v[10:11], v102 offset:568
	v_mov_b32_e32 v14, v49
	v_mov_b32_e32 v17, v15
	v_pk_mul_f32 v[14:15], v[110:111], v[14:15] op_sel:[1,0] op_sel_hi:[0,0]
	v_pk_add_f32 v[12:13], v[12:13], v[16:17]
	v_pk_fma_f32 v[16:17], v[110:111], v[48:49], v[14:15] neg_lo:[0,0,1] neg_hi:[0,0,1]
	v_pk_fma_f32 v[14:15], v[110:111], v[48:49], v[14:15] op_sel_hi:[1,0,1]
	s_nop 0
	v_mov_b32_e32 v17, v15
	s_waitcnt vmcnt(3) lgkmcnt(2)
	v_pk_mul_f32 v[14:15], v[2:3], v[34:35] op_sel:[1,1] op_sel_hi:[0,1]
	v_pk_add_f32 v[12:13], v[12:13], v[16:17]
	v_pk_fma_f32 v[16:17], v[2:3], v[34:35], v[14:15] neg_lo:[0,0,1] neg_hi:[0,0,1]
	v_pk_fma_f32 v[2:3], v[2:3], v[34:35], v[14:15] op_sel_hi:[1,0,1]
	s_nop 0
	v_mov_b32_e32 v17, v3
	v_pk_add_f32 v[2:3], v[12:13], v[16:17]
	v_mov_b32_e32 v12, v37
	v_pk_mul_f32 v[12:13], v[4:5], v[12:13] op_sel:[1,0] op_sel_hi:[0,0]
	v_pk_fma_f32 v[14:15], v[4:5], v[36:37], v[12:13] neg_lo:[0,0,1] neg_hi:[0,0,1]
	v_pk_fma_f32 v[4:5], v[4:5], v[36:37], v[12:13] op_sel_hi:[1,0,1]
	s_nop 0
	v_mov_b32_e32 v15, v5
	s_waitcnt vmcnt(2) lgkmcnt(1)
	v_pk_mul_f32 v[4:5], v[6:7], v[22:23] op_sel:[1,1] op_sel_hi:[0,1]
	v_pk_fma_f32 v[12:13], v[6:7], v[22:23], v[4:5] neg_lo:[0,0,1] neg_hi:[0,0,1]
	v_pk_fma_f32 v[4:5], v[6:7], v[22:23], v[4:5] op_sel_hi:[1,0,1]
	v_pk_add_f32 v[2:3], v[2:3], v[14:15]
	v_mov_b32_e32 v4, v25
	v_mov_b32_e32 v13, v5
	v_pk_mul_f32 v[4:5], v[8:9], v[4:5] op_sel:[1,0] op_sel_hi:[0,0]
	v_pk_fma_f32 v[6:7], v[8:9], v[24:25], v[4:5] neg_lo:[0,0,1] neg_hi:[0,0,1]
	v_pk_fma_f32 v[4:5], v[8:9], v[24:25], v[4:5] op_sel_hi:[1,0,1]
	v_pk_add_f32 v[2:3], v[2:3], v[12:13]
	v_mov_b32_e32 v7, v5
	s_waitcnt vmcnt(1) lgkmcnt(0)
	v_pk_mul_f32 v[4:5], v[10:11], v[58:59] op_sel:[1,1] op_sel_hi:[0,1]
	v_pk_add_f32 v[2:3], v[2:3], v[6:7]
	v_pk_fma_f32 v[6:7], v[10:11], v[58:59], v[4:5] neg_lo:[0,0,1] neg_hi:[0,0,1]
	v_pk_fma_f32 v[4:5], v[10:11], v[58:59], v[4:5] op_sel_hi:[1,0,1]
	s_nop 0
	v_mov_b32_e32 v7, v5
	v_pk_add_f32 v[2:3], v[2:3], v[6:7]
	s_waitcnt vmcnt(0)
	v_pk_add_f32 v[2:3], v[100:101], v[2:3] neg_lo:[0,1] neg_hi:[0,1]
	scratch_store_dwordx2 off, v[2:3], off offset:48
	s_and_saveexec_b64 s[0:1], vcc
	s_cbranch_execz .LBB99_219
; %bb.218:
	scratch_load_dwordx2 v[2:3], off, off offset:40
	v_mov_b32_e32 v103, v102
	scratch_store_dwordx2 off, v[102:103], off offset:40
	s_waitcnt vmcnt(1)
	ds_write_b64 v1, v[2:3]
.LBB99_219:
	s_or_b64 exec, exec, s[0:1]
	s_waitcnt lgkmcnt(0)
	; wave barrier
	scratch_load_dwordx4 v[22:25], off, off offset:48
	scratch_load_dwordx4 v[2:5], off, off offset:64
	;; [unrolled: 1-line block ×11, first 2 shown]
	ds_read_b128 v[104:107], v102 offset:336
	ds_read_b128 v[98:101], v102 offset:352
	;; [unrolled: 1-line block ×10, first 2 shown]
	scratch_load_dwordx4 v[58:61], off, off offset:224
	scratch_load_dwordx4 v[50:53], off, off offset:240
	scratch_load_dwordx4 v[38:41], off, off offset:256
	scratch_load_dwordx4 v[26:29], off, off offset:272
	ds_read_b128 v[78:81], v102 offset:496
	ds_read_b128 v[108:111], v102 offset:512
	scratch_load_dwordx2 v[112:113], off, off offset:40
	v_cmp_lt_u32_e32 vcc, 4, v0
	s_waitcnt vmcnt(15) lgkmcnt(11)
	v_mul_f32_e32 v103, v104, v23
	v_mul_f32_e32 v186, v106, v25
	s_waitcnt vmcnt(14) lgkmcnt(10)
	v_mul_f32_e32 v188, v98, v3
	v_mul_f32_e32 v3, v99, v3
	v_fmac_f32_e32 v103, v105, v22
	v_fmac_f32_e32 v186, v107, v24
	v_fmac_f32_e32 v188, v99, v2
	v_fma_f32 v2, v98, v2, -v3
	v_add_f32_e32 v3, 0, v103
	v_mul_f32_e32 v190, v100, v5
	v_add_f32_e32 v3, v3, v186
	s_waitcnt vmcnt(13) lgkmcnt(9)
	v_mul_f32_e32 v191, v94, v7
	v_fmac_f32_e32 v190, v101, v4
	v_add_f32_e32 v3, v3, v188
	v_mul_f32_e32 v192, v96, v9
	v_fmac_f32_e32 v191, v95, v6
	v_add_f32_e32 v3, v3, v190
	s_waitcnt vmcnt(12) lgkmcnt(8)
	v_mul_f32_e32 v193, v90, v11
	v_fmac_f32_e32 v192, v97, v8
	v_add_f32_e32 v3, v3, v191
	v_mul_f32_e32 v194, v92, v13
	v_fmac_f32_e32 v193, v91, v10
	v_add_f32_e32 v3, v3, v192
	s_waitcnt vmcnt(11) lgkmcnt(7)
	v_mul_f32_e32 v195, v86, v15
	v_fmac_f32_e32 v194, v93, v12
	v_add_f32_e32 v3, v3, v193
	v_mul_f32_e32 v196, v88, v17
	v_fmac_f32_e32 v195, v87, v14
	v_add_f32_e32 v3, v3, v194
	s_waitcnt vmcnt(10) lgkmcnt(6)
	v_mul_f32_e32 v197, v82, v19
	v_fmac_f32_e32 v196, v89, v16
	v_add_f32_e32 v3, v3, v195
	v_mul_f32_e32 v198, v84, v21
	v_fmac_f32_e32 v197, v83, v18
	v_add_f32_e32 v3, v3, v196
	s_waitcnt vmcnt(9) lgkmcnt(5)
	v_mul_f32_e32 v199, v74, v31
	v_fmac_f32_e32 v198, v85, v20
	v_add_f32_e32 v3, v3, v197
	v_mul_f32_e32 v200, v76, v33
	v_fmac_f32_e32 v199, v75, v30
	v_add_f32_e32 v3, v3, v198
	s_waitcnt vmcnt(8) lgkmcnt(4)
	v_mul_f32_e32 v201, v70, v35
	v_fmac_f32_e32 v200, v77, v32
	v_add_f32_e32 v3, v3, v199
	v_mul_f32_e32 v202, v72, v37
	v_fmac_f32_e32 v201, v71, v34
	v_add_f32_e32 v3, v3, v200
	s_waitcnt vmcnt(7) lgkmcnt(3)
	v_mul_f32_e32 v203, v66, v43
	v_fmac_f32_e32 v202, v73, v36
	v_add_f32_e32 v3, v3, v201
	v_mul_f32_e32 v204, v68, v45
	v_fmac_f32_e32 v203, v67, v42
	v_add_f32_e32 v3, v3, v202
	s_waitcnt vmcnt(6) lgkmcnt(2)
	v_mul_f32_e32 v205, v62, v47
	v_mul_f32_e32 v23, v105, v23
	v_fmac_f32_e32 v204, v69, v44
	v_add_f32_e32 v3, v3, v203
	v_mul_f32_e32 v206, v64, v49
	v_mul_f32_e32 v25, v107, v25
	v_fmac_f32_e32 v205, v63, v46
	v_fma_f32 v22, v104, v22, -v23
	v_add_f32_e32 v3, v3, v204
	v_fmac_f32_e32 v206, v65, v48
	v_fma_f32 v23, v106, v24, -v25
	v_add_f32_e32 v22, 0, v22
	v_add_f32_e32 v3, v3, v205
	;; [unrolled: 1-line block ×4, first 2 shown]
	v_mul_f32_e32 v3, v101, v5
	v_add_f32_e32 v2, v22, v2
	v_fma_f32 v3, v100, v4, -v3
	v_add_f32_e32 v2, v2, v3
	v_mul_f32_e32 v3, v95, v7
	v_fma_f32 v3, v94, v6, -v3
	v_add_f32_e32 v2, v2, v3
	v_mul_f32_e32 v3, v97, v9
	;; [unrolled: 3-line block ×16, first 2 shown]
	v_fma_f32 v3, v64, v48, -v3
	s_waitcnt vmcnt(5) lgkmcnt(1)
	v_mul_f32_e32 v187, v78, v55
	v_add_f32_e32 v22, v2, v3
	v_mul_f32_e32 v2, v79, v55
	s_waitcnt vmcnt(4) lgkmcnt(0)
	v_pk_mul_f32 v[16:17], v[108:109], v[58:59] op_sel:[1,1] op_sel_hi:[0,1]
	v_mul_f32_e32 v189, v80, v57
	v_fmac_f32_e32 v187, v79, v54
	v_fma_f32 v186, v78, v54, -v2
	v_mul_f32_e32 v2, v81, v57
	v_pk_fma_f32 v[18:19], v[108:109], v[58:59], v[16:17] neg_lo:[0,0,1] neg_hi:[0,0,1]
	v_pk_fma_f32 v[16:17], v[108:109], v[58:59], v[16:17] op_sel_hi:[1,0,1]
	v_fmac_f32_e32 v189, v81, v56
	v_fma_f32 v188, v80, v56, -v2
	ds_read_b128 v[2:5], v102 offset:528
	ds_read_b128 v[6:9], v102 offset:544
	ds_read_b128 v[10:13], v102 offset:560
	v_pk_add_f32 v[14:15], v[22:23], v[186:187]
	v_mov_b32_e32 v16, v61
	v_pk_add_f32 v[14:15], v[14:15], v[188:189]
	v_mov_b32_e32 v19, v17
	v_pk_mul_f32 v[16:17], v[110:111], v[16:17] op_sel:[1,0] op_sel_hi:[0,0]
	v_pk_add_f32 v[14:15], v[14:15], v[18:19]
	v_pk_fma_f32 v[18:19], v[110:111], v[60:61], v[16:17] neg_lo:[0,0,1] neg_hi:[0,0,1]
	v_pk_fma_f32 v[16:17], v[110:111], v[60:61], v[16:17] op_sel_hi:[1,0,1]
	s_nop 0
	v_mov_b32_e32 v19, v17
	s_waitcnt vmcnt(3) lgkmcnt(2)
	v_pk_mul_f32 v[16:17], v[2:3], v[50:51] op_sel:[1,1] op_sel_hi:[0,1]
	v_pk_add_f32 v[14:15], v[14:15], v[18:19]
	v_pk_fma_f32 v[18:19], v[2:3], v[50:51], v[16:17] neg_lo:[0,0,1] neg_hi:[0,0,1]
	v_pk_fma_f32 v[2:3], v[2:3], v[50:51], v[16:17] op_sel_hi:[1,0,1]
	s_nop 0
	v_mov_b32_e32 v19, v3
	v_pk_add_f32 v[2:3], v[14:15], v[18:19]
	v_mov_b32_e32 v14, v53
	v_pk_mul_f32 v[14:15], v[4:5], v[14:15] op_sel:[1,0] op_sel_hi:[0,0]
	v_pk_fma_f32 v[16:17], v[4:5], v[52:53], v[14:15] neg_lo:[0,0,1] neg_hi:[0,0,1]
	v_pk_fma_f32 v[4:5], v[4:5], v[52:53], v[14:15] op_sel_hi:[1,0,1]
	s_nop 0
	v_mov_b32_e32 v17, v5
	s_waitcnt vmcnt(2) lgkmcnt(1)
	v_pk_mul_f32 v[4:5], v[6:7], v[38:39] op_sel:[1,1] op_sel_hi:[0,1]
	v_pk_fma_f32 v[14:15], v[6:7], v[38:39], v[4:5] neg_lo:[0,0,1] neg_hi:[0,0,1]
	v_pk_fma_f32 v[4:5], v[6:7], v[38:39], v[4:5] op_sel_hi:[1,0,1]
	v_pk_add_f32 v[2:3], v[2:3], v[16:17]
	v_mov_b32_e32 v4, v41
	v_mov_b32_e32 v15, v5
	v_pk_mul_f32 v[4:5], v[8:9], v[4:5] op_sel:[1,0] op_sel_hi:[0,0]
	v_pk_fma_f32 v[6:7], v[8:9], v[40:41], v[4:5] neg_lo:[0,0,1] neg_hi:[0,0,1]
	v_pk_fma_f32 v[4:5], v[8:9], v[40:41], v[4:5] op_sel_hi:[1,0,1]
	v_pk_add_f32 v[2:3], v[2:3], v[14:15]
	v_mov_b32_e32 v7, v5
	s_waitcnt vmcnt(1) lgkmcnt(0)
	v_pk_mul_f32 v[4:5], v[10:11], v[26:27] op_sel:[1,1] op_sel_hi:[0,1]
	v_pk_add_f32 v[2:3], v[2:3], v[6:7]
	v_pk_fma_f32 v[6:7], v[10:11], v[26:27], v[4:5] neg_lo:[0,0,1] neg_hi:[0,0,1]
	v_pk_fma_f32 v[4:5], v[10:11], v[26:27], v[4:5] op_sel_hi:[1,0,1]
	s_nop 0
	v_mov_b32_e32 v4, v29
	v_mov_b32_e32 v7, v5
	v_pk_mul_f32 v[4:5], v[12:13], v[4:5] op_sel:[1,0] op_sel_hi:[0,0]
	v_pk_add_f32 v[2:3], v[2:3], v[6:7]
	v_pk_fma_f32 v[6:7], v[12:13], v[28:29], v[4:5] neg_lo:[0,0,1] neg_hi:[0,0,1]
	v_pk_fma_f32 v[4:5], v[12:13], v[28:29], v[4:5] op_sel_hi:[1,0,1]
	s_nop 0
	v_mov_b32_e32 v7, v5
	v_pk_add_f32 v[2:3], v[2:3], v[6:7]
	s_waitcnt vmcnt(0)
	v_pk_add_f32 v[2:3], v[112:113], v[2:3] neg_lo:[0,1] neg_hi:[0,1]
	scratch_store_dwordx2 off, v[2:3], off offset:40
	s_and_saveexec_b64 s[0:1], vcc
	s_cbranch_execz .LBB99_221
; %bb.220:
	scratch_load_dwordx2 v[2:3], off, off offset:32
	v_mov_b32_e32 v4, 0
	v_mov_b32_e32 v5, v4
	scratch_store_dwordx2 off, v[4:5], off offset:32
	s_waitcnt vmcnt(1)
	ds_write_b64 v1, v[2:3]
.LBB99_221:
	s_or_b64 exec, exec, s[0:1]
	s_waitcnt lgkmcnt(0)
	; wave barrier
	scratch_load_dwordx4 v[2:5], off, off offset:40
	scratch_load_dwordx4 v[6:9], off, off offset:56
	;; [unrolled: 1-line block ×15, first 2 shown]
	scratch_load_dwordx2 v[62:63], off, off offset:280
	scratch_load_dwordx2 v[112:113], off, off offset:32
	v_mov_b32_e32 v186, 0
	ds_read2_b64 v[64:67], v186 offset0:41 offset1:42
	ds_read2_b64 v[68:71], v186 offset0:43 offset1:44
	;; [unrolled: 1-line block ×12, first 2 shown]
	v_cmp_lt_u32_e32 vcc, 3, v0
	s_waitcnt vmcnt(16) lgkmcnt(11)
	v_mul_f32_e32 v187, v64, v3
	v_mul_f32_e32 v188, v66, v5
	;; [unrolled: 1-line block ×3, first 2 shown]
	v_fmac_f32_e32 v187, v65, v2
	s_waitcnt vmcnt(15) lgkmcnt(10)
	v_mul_f32_e32 v190, v68, v7
	v_fmac_f32_e32 v188, v67, v4
	v_fma_f32 v2, v64, v2, -v3
	v_add_f32_e32 v3, 0, v187
	v_mul_f32_e32 v192, v70, v9
	v_fmac_f32_e32 v190, v69, v6
	v_add_f32_e32 v3, v3, v188
	s_waitcnt vmcnt(14) lgkmcnt(9)
	v_mul_f32_e32 v193, v72, v11
	v_fmac_f32_e32 v192, v71, v8
	v_add_f32_e32 v3, v3, v190
	v_mul_f32_e32 v194, v74, v13
	v_fmac_f32_e32 v193, v73, v10
	v_add_f32_e32 v3, v3, v192
	s_waitcnt vmcnt(13) lgkmcnt(8)
	v_mul_f32_e32 v195, v76, v15
	v_fmac_f32_e32 v194, v75, v12
	;; [unrolled: 7-line block ×9, first 2 shown]
	v_add_f32_e32 v3, v3, v207
	v_mul_f32_e32 v5, v67, v5
	v_fmac_f32_e32 v209, v105, v58
	v_add_f32_e32 v3, v3, v208
	v_add_f32_e32 v2, 0, v2
	;; [unrolled: 1-line block ×3, first 2 shown]
	v_fma_f32 v3, v66, v4, -v5
	v_add_f32_e32 v2, v2, v3
	v_mul_f32_e32 v3, v69, v7
	v_fma_f32 v3, v68, v6, -v3
	v_add_f32_e32 v2, v2, v3
	v_mul_f32_e32 v3, v71, v9
	;; [unrolled: 3-line block ×20, first 2 shown]
	v_mul_f32_e32 v189, v106, v61
	v_fma_f32 v188, v106, v60, -v2
	s_waitcnt vmcnt(5) lgkmcnt(0)
	v_mul_f32_e32 v2, v109, v55
	v_mov_b32_e32 v18, v57
	v_mul_f32_e32 v191, v108, v55
	v_fmac_f32_e32 v189, v107, v60
	v_fma_f32 v190, v108, v54, -v2
	ds_read2_b64 v[2:5], v186 offset0:65 offset1:66
	ds_read2_b64 v[6:9], v186 offset0:67 offset1:68
	ds_read2_b64 v[10:13], v186 offset0:69 offset1:70
	ds_read_b64 v[14:15], v186 offset:568
	v_pk_mul_f32 v[18:19], v[110:111], v[18:19] op_sel:[1,0] op_sel_hi:[0,0]
	v_fmac_f32_e32 v191, v109, v54
	v_pk_add_f32 v[16:17], v[64:65], v[188:189]
	v_pk_fma_f32 v[20:21], v[110:111], v[56:57], v[18:19] neg_lo:[0,0,1] neg_hi:[0,0,1]
	v_pk_fma_f32 v[18:19], v[110:111], v[56:57], v[18:19] op_sel_hi:[1,0,1]
	v_pk_add_f32 v[16:17], v[16:17], v[190:191]
	v_mov_b32_e32 v21, v19
	s_waitcnt vmcnt(4) lgkmcnt(3)
	v_pk_mul_f32 v[18:19], v[2:3], v[50:51] op_sel:[1,1] op_sel_hi:[0,1]
	v_pk_add_f32 v[16:17], v[16:17], v[20:21]
	v_pk_fma_f32 v[20:21], v[2:3], v[50:51], v[18:19] neg_lo:[0,0,1] neg_hi:[0,0,1]
	v_pk_fma_f32 v[2:3], v[2:3], v[50:51], v[18:19] op_sel_hi:[1,0,1]
	s_nop 0
	v_mov_b32_e32 v21, v3
	v_pk_add_f32 v[2:3], v[16:17], v[20:21]
	v_mov_b32_e32 v16, v53
	v_pk_mul_f32 v[16:17], v[4:5], v[16:17] op_sel:[1,0] op_sel_hi:[0,0]
	v_pk_fma_f32 v[18:19], v[4:5], v[52:53], v[16:17] neg_lo:[0,0,1] neg_hi:[0,0,1]
	v_pk_fma_f32 v[4:5], v[4:5], v[52:53], v[16:17] op_sel_hi:[1,0,1]
	s_nop 0
	v_mov_b32_e32 v19, v5
	s_waitcnt vmcnt(3) lgkmcnt(2)
	v_pk_mul_f32 v[4:5], v[6:7], v[38:39] op_sel:[1,1] op_sel_hi:[0,1]
	v_pk_fma_f32 v[16:17], v[6:7], v[38:39], v[4:5] neg_lo:[0,0,1] neg_hi:[0,0,1]
	v_pk_fma_f32 v[4:5], v[6:7], v[38:39], v[4:5] op_sel_hi:[1,0,1]
	v_pk_add_f32 v[2:3], v[2:3], v[18:19]
	v_mov_b32_e32 v4, v41
	v_mov_b32_e32 v17, v5
	v_pk_mul_f32 v[4:5], v[8:9], v[4:5] op_sel:[1,0] op_sel_hi:[0,0]
	v_pk_fma_f32 v[6:7], v[8:9], v[40:41], v[4:5] neg_lo:[0,0,1] neg_hi:[0,0,1]
	v_pk_fma_f32 v[4:5], v[8:9], v[40:41], v[4:5] op_sel_hi:[1,0,1]
	v_pk_add_f32 v[2:3], v[2:3], v[16:17]
	v_mov_b32_e32 v7, v5
	s_waitcnt vmcnt(2) lgkmcnt(1)
	v_pk_mul_f32 v[4:5], v[10:11], v[26:27] op_sel:[1,1] op_sel_hi:[0,1]
	v_pk_add_f32 v[2:3], v[2:3], v[6:7]
	v_pk_fma_f32 v[6:7], v[10:11], v[26:27], v[4:5] neg_lo:[0,0,1] neg_hi:[0,0,1]
	v_pk_fma_f32 v[4:5], v[10:11], v[26:27], v[4:5] op_sel_hi:[1,0,1]
	s_nop 0
	v_mov_b32_e32 v4, v29
	v_mov_b32_e32 v7, v5
	v_pk_mul_f32 v[4:5], v[12:13], v[4:5] op_sel:[1,0] op_sel_hi:[0,0]
	v_pk_add_f32 v[2:3], v[2:3], v[6:7]
	v_pk_fma_f32 v[6:7], v[12:13], v[28:29], v[4:5] neg_lo:[0,0,1] neg_hi:[0,0,1]
	v_pk_fma_f32 v[4:5], v[12:13], v[28:29], v[4:5] op_sel_hi:[1,0,1]
	s_nop 0
	v_mov_b32_e32 v7, v5
	s_waitcnt vmcnt(1) lgkmcnt(0)
	v_pk_mul_f32 v[4:5], v[14:15], v[62:63] op_sel:[1,1] op_sel_hi:[0,1]
	v_pk_add_f32 v[2:3], v[2:3], v[6:7]
	v_pk_fma_f32 v[6:7], v[14:15], v[62:63], v[4:5] neg_lo:[0,0,1] neg_hi:[0,0,1]
	v_pk_fma_f32 v[4:5], v[14:15], v[62:63], v[4:5] op_sel_hi:[1,0,1]
	s_nop 0
	v_mov_b32_e32 v7, v5
	v_pk_add_f32 v[2:3], v[2:3], v[6:7]
	s_waitcnt vmcnt(0)
	v_pk_add_f32 v[2:3], v[112:113], v[2:3] neg_lo:[0,1] neg_hi:[0,1]
	scratch_store_dwordx2 off, v[2:3], off offset:32
	s_and_saveexec_b64 s[0:1], vcc
	s_cbranch_execz .LBB99_223
; %bb.222:
	scratch_load_dwordx2 v[2:3], off, off offset:24
	v_mov_b32_e32 v187, v186
	scratch_store_dwordx2 off, v[186:187], off offset:24
	s_waitcnt vmcnt(1)
	ds_write_b64 v1, v[2:3]
.LBB99_223:
	s_or_b64 exec, exec, s[0:1]
	s_waitcnt lgkmcnt(0)
	; wave barrier
	scratch_load_dwordx4 v[2:5], off, off offset:32
	scratch_load_dwordx4 v[6:9], off, off offset:48
	;; [unrolled: 1-line block ×12, first 2 shown]
	ds_read_b128 v[110:113], v186 offset:320
	ds_read_b128 v[106:109], v186 offset:336
	;; [unrolled: 1-line block ×12, first 2 shown]
	scratch_load_dwordx4 v[62:65], off, off offset:224
	scratch_load_dwordx4 v[54:57], off, off offset:240
	;; [unrolled: 1-line block ×4, first 2 shown]
	scratch_load_dwordx2 v[188:189], off, off offset:24
	v_cmp_lt_u32_e32 vcc, 2, v0
	s_waitcnt vmcnt(16) lgkmcnt(11)
	v_mul_f32_e32 v187, v110, v3
	v_mul_f32_e32 v190, v112, v5
	;; [unrolled: 1-line block ×3, first 2 shown]
	v_fmac_f32_e32 v187, v111, v2
	s_waitcnt vmcnt(15) lgkmcnt(10)
	v_mul_f32_e32 v192, v106, v7
	v_fmac_f32_e32 v190, v113, v4
	v_fma_f32 v2, v110, v2, -v3
	v_add_f32_e32 v3, 0, v187
	v_mul_f32_e32 v194, v108, v9
	v_fmac_f32_e32 v192, v107, v6
	v_add_f32_e32 v3, v3, v190
	s_waitcnt vmcnt(14) lgkmcnt(9)
	v_mul_f32_e32 v195, v102, v11
	v_fmac_f32_e32 v194, v109, v8
	v_add_f32_e32 v3, v3, v192
	v_mul_f32_e32 v196, v104, v13
	v_fmac_f32_e32 v195, v103, v10
	v_add_f32_e32 v3, v3, v194
	s_waitcnt vmcnt(13) lgkmcnt(8)
	v_mul_f32_e32 v197, v98, v15
	v_fmac_f32_e32 v196, v105, v12
	;; [unrolled: 7-line block ×9, first 2 shown]
	v_add_f32_e32 v3, v3, v209
	v_mul_f32_e32 v212, v72, v53
	v_fmac_f32_e32 v211, v71, v50
	v_add_f32_e32 v3, v3, v210
	v_fmac_f32_e32 v212, v73, v52
	v_add_f32_e32 v3, v3, v211
	v_add_f32_e32 v111, v3, v212
	v_mul_f32_e32 v3, v113, v5
	v_add_f32_e32 v2, 0, v2
	v_fma_f32 v3, v112, v4, -v3
	v_add_f32_e32 v2, v2, v3
	v_mul_f32_e32 v3, v107, v7
	v_fma_f32 v3, v106, v6, -v3
	v_add_f32_e32 v2, v2, v3
	v_mul_f32_e32 v3, v109, v9
	;; [unrolled: 3-line block ×20, first 2 shown]
	v_fma_f32 v3, v72, v52, -v3
	v_add_f32_e32 v110, v2, v3
	s_waitcnt vmcnt(5) lgkmcnt(0)
	v_mul_f32_e32 v2, v67, v59
	v_fma_f32 v190, v66, v58, -v2
	v_mul_f32_e32 v2, v69, v61
	v_fma_f32 v192, v68, v60, -v2
	ds_read_b128 v[2:5], v186 offset:512
	ds_read_b128 v[6:9], v186 offset:528
	;; [unrolled: 1-line block ×4, first 2 shown]
	v_mul_f32_e32 v191, v66, v59
	v_mul_f32_e32 v193, v68, v61
	v_fmac_f32_e32 v191, v67, v58
	s_waitcnt vmcnt(4) lgkmcnt(3)
	v_pk_mul_f32 v[20:21], v[2:3], v[62:63] op_sel:[1,1] op_sel_hi:[0,1]
	v_fmac_f32_e32 v193, v69, v60
	v_pk_add_f32 v[18:19], v[110:111], v[190:191]
	v_pk_fma_f32 v[22:23], v[2:3], v[62:63], v[20:21] neg_lo:[0,0,1] neg_hi:[0,0,1]
	v_pk_fma_f32 v[2:3], v[2:3], v[62:63], v[20:21] op_sel_hi:[1,0,1]
	v_pk_add_f32 v[18:19], v[18:19], v[192:193]
	v_mov_b32_e32 v23, v3
	v_pk_add_f32 v[2:3], v[18:19], v[22:23]
	v_mov_b32_e32 v18, v65
	v_pk_mul_f32 v[18:19], v[4:5], v[18:19] op_sel:[1,0] op_sel_hi:[0,0]
	v_pk_fma_f32 v[20:21], v[4:5], v[64:65], v[18:19] neg_lo:[0,0,1] neg_hi:[0,0,1]
	v_pk_fma_f32 v[4:5], v[4:5], v[64:65], v[18:19] op_sel_hi:[1,0,1]
	s_nop 0
	v_mov_b32_e32 v21, v5
	s_waitcnt vmcnt(3) lgkmcnt(2)
	v_pk_mul_f32 v[4:5], v[6:7], v[54:55] op_sel:[1,1] op_sel_hi:[0,1]
	v_pk_fma_f32 v[18:19], v[6:7], v[54:55], v[4:5] neg_lo:[0,0,1] neg_hi:[0,0,1]
	v_pk_fma_f32 v[4:5], v[6:7], v[54:55], v[4:5] op_sel_hi:[1,0,1]
	v_pk_add_f32 v[2:3], v[2:3], v[20:21]
	v_mov_b32_e32 v4, v57
	v_mov_b32_e32 v19, v5
	v_pk_mul_f32 v[4:5], v[8:9], v[4:5] op_sel:[1,0] op_sel_hi:[0,0]
	v_pk_fma_f32 v[6:7], v[8:9], v[56:57], v[4:5] neg_lo:[0,0,1] neg_hi:[0,0,1]
	v_pk_fma_f32 v[4:5], v[8:9], v[56:57], v[4:5] op_sel_hi:[1,0,1]
	v_pk_add_f32 v[2:3], v[2:3], v[18:19]
	v_mov_b32_e32 v7, v5
	s_waitcnt vmcnt(2) lgkmcnt(1)
	v_pk_mul_f32 v[4:5], v[10:11], v[42:43] op_sel:[1,1] op_sel_hi:[0,1]
	v_pk_add_f32 v[2:3], v[2:3], v[6:7]
	v_pk_fma_f32 v[6:7], v[10:11], v[42:43], v[4:5] neg_lo:[0,0,1] neg_hi:[0,0,1]
	v_pk_fma_f32 v[4:5], v[10:11], v[42:43], v[4:5] op_sel_hi:[1,0,1]
	s_nop 0
	v_mov_b32_e32 v4, v45
	v_mov_b32_e32 v7, v5
	v_pk_mul_f32 v[4:5], v[12:13], v[4:5] op_sel:[1,0] op_sel_hi:[0,0]
	v_pk_add_f32 v[2:3], v[2:3], v[6:7]
	v_pk_fma_f32 v[6:7], v[12:13], v[44:45], v[4:5] neg_lo:[0,0,1] neg_hi:[0,0,1]
	v_pk_fma_f32 v[4:5], v[12:13], v[44:45], v[4:5] op_sel_hi:[1,0,1]
	s_nop 0
	v_mov_b32_e32 v7, v5
	s_waitcnt vmcnt(1) lgkmcnt(0)
	v_pk_mul_f32 v[4:5], v[14:15], v[34:35] op_sel:[1,1] op_sel_hi:[0,1]
	v_pk_add_f32 v[2:3], v[2:3], v[6:7]
	v_pk_fma_f32 v[6:7], v[14:15], v[34:35], v[4:5] neg_lo:[0,0,1] neg_hi:[0,0,1]
	v_pk_fma_f32 v[4:5], v[14:15], v[34:35], v[4:5] op_sel_hi:[1,0,1]
	s_nop 0
	v_mov_b32_e32 v4, v37
	v_mov_b32_e32 v7, v5
	v_pk_mul_f32 v[4:5], v[16:17], v[4:5] op_sel:[1,0] op_sel_hi:[0,0]
	v_pk_add_f32 v[2:3], v[2:3], v[6:7]
	v_pk_fma_f32 v[6:7], v[16:17], v[36:37], v[4:5] neg_lo:[0,0,1] neg_hi:[0,0,1]
	v_pk_fma_f32 v[4:5], v[16:17], v[36:37], v[4:5] op_sel_hi:[1,0,1]
	s_nop 0
	v_mov_b32_e32 v7, v5
	v_pk_add_f32 v[2:3], v[2:3], v[6:7]
	s_waitcnt vmcnt(0)
	v_pk_add_f32 v[2:3], v[188:189], v[2:3] neg_lo:[0,1] neg_hi:[0,1]
	scratch_store_dwordx2 off, v[2:3], off offset:24
	s_and_saveexec_b64 s[0:1], vcc
	s_cbranch_execz .LBB99_225
; %bb.224:
	scratch_load_dwordx2 v[2:3], off, off offset:16
	v_mov_b32_e32 v4, 0
	v_mov_b32_e32 v5, v4
	scratch_store_dwordx2 off, v[4:5], off offset:16
	s_waitcnt vmcnt(1)
	ds_write_b64 v1, v[2:3]
.LBB99_225:
	s_or_b64 exec, exec, s[0:1]
	s_waitcnt lgkmcnt(0)
	; wave barrier
	scratch_load_dwordx4 v[2:5], off, off offset:24
	scratch_load_dwordx4 v[6:9], off, off offset:40
	scratch_load_dwordx4 v[10:13], off, off offset:56
	scratch_load_dwordx4 v[14:17], off, off offset:72
	scratch_load_dwordx4 v[18:21], off, off offset:88
	scratch_load_dwordx4 v[22:25], off, off offset:104
	scratch_load_dwordx4 v[26:29], off, off offset:120
	scratch_load_dwordx4 v[30:33], off, off offset:136
	scratch_load_dwordx4 v[34:37], off, off offset:152
	scratch_load_dwordx4 v[38:41], off, off offset:168
	scratch_load_dwordx4 v[42:45], off, off offset:184
	scratch_load_dwordx4 v[46:49], off, off offset:200
	scratch_load_dwordx4 v[50:53], off, off offset:216
	v_mov_b32_e32 v106, 0
	scratch_load_dwordx2 v[112:113], off, off offset:16
	ds_read2_b64 v[54:57], v106 offset0:39 offset1:40
	ds_read2_b64 v[58:61], v106 offset0:41 offset1:42
	;; [unrolled: 1-line block ×14, first 2 shown]
	v_cmp_lt_u32_e32 vcc, 1, v0
	s_waitcnt vmcnt(13) lgkmcnt(13)
	v_mul_f32_e32 v107, v54, v3
	v_mul_f32_e32 v186, v56, v5
	v_fmac_f32_e32 v107, v55, v2
	s_waitcnt vmcnt(12) lgkmcnt(12)
	v_mul_f32_e32 v187, v58, v7
	v_fmac_f32_e32 v186, v57, v4
	v_add_f32_e32 v107, 0, v107
	v_mul_f32_e32 v188, v60, v9
	v_fmac_f32_e32 v187, v59, v6
	v_add_f32_e32 v107, v107, v186
	s_waitcnt vmcnt(11) lgkmcnt(11)
	v_mul_f32_e32 v189, v62, v11
	v_fmac_f32_e32 v188, v61, v8
	v_add_f32_e32 v107, v107, v187
	v_mul_f32_e32 v190, v64, v13
	v_fmac_f32_e32 v189, v63, v10
	v_add_f32_e32 v107, v107, v188
	;; [unrolled: 7-line block ×8, first 2 shown]
	s_waitcnt vmcnt(4) lgkmcnt(4)
	v_mul_f32_e32 v205, v90, v39
	v_fmac_f32_e32 v204, v89, v36
	v_add_f32_e32 v107, v107, v203
	v_fmac_f32_e32 v205, v91, v38
	v_add_f32_e32 v107, v107, v204
	v_add_f32_e32 v107, v107, v205
	scratch_load_dwordx4 v[186:189], off, off offset:232
	scratch_load_dwordx4 v[190:193], off, off offset:248
	;; [unrolled: 1-line block ×3, first 2 shown]
	scratch_load_dwordx2 v[204:205], off, off offset:280
	v_mul_f32_e32 v3, v55, v3
	v_fma_f32 v2, v54, v2, -v3
	v_mul_f32_e32 v3, v57, v5
	v_add_f32_e32 v2, 0, v2
	v_fma_f32 v3, v56, v4, -v3
	v_add_f32_e32 v2, v2, v3
	v_mul_f32_e32 v3, v59, v7
	v_fma_f32 v3, v58, v6, -v3
	v_add_f32_e32 v2, v2, v3
	v_mul_f32_e32 v3, v61, v9
	;; [unrolled: 3-line block ×18, first 2 shown]
	v_fma_f32 v3, v92, v40, -v3
	v_add_f32_e32 v2, v2, v3
	s_waitcnt vmcnt(7) lgkmcnt(3)
	v_mul_f32_e32 v3, v95, v43
	v_fma_f32 v3, v94, v42, -v3
	v_mul_f32_e32 v206, v92, v41
	v_add_f32_e32 v2, v2, v3
	v_mul_f32_e32 v3, v97, v45
	v_mul_f32_e32 v207, v94, v43
	v_fmac_f32_e32 v206, v93, v40
	v_fma_f32 v3, v96, v44, -v3
	v_mul_f32_e32 v208, v96, v45
	v_fmac_f32_e32 v207, v95, v42
	v_add_f32_e32 v107, v107, v206
	v_add_f32_e32 v2, v2, v3
	s_waitcnt vmcnt(6) lgkmcnt(2)
	v_mul_f32_e32 v3, v99, v47
	v_mul_f32_e32 v209, v98, v47
	v_fmac_f32_e32 v208, v97, v44
	v_add_f32_e32 v107, v107, v207
	v_fma_f32 v3, v98, v46, -v3
	v_mul_f32_e32 v199, v100, v49
	v_fmac_f32_e32 v209, v99, v46
	v_add_f32_e32 v107, v107, v208
	v_add_f32_e32 v202, v2, v3
	v_mul_f32_e32 v2, v101, v49
	s_waitcnt vmcnt(5)
	v_mov_b32_e32 v14, v53
	s_waitcnt lgkmcnt(1)
	v_mul_f32_e32 v201, v102, v51
	v_fmac_f32_e32 v199, v101, v48
	v_add_f32_e32 v203, v107, v209
	v_fma_f32 v198, v100, v48, -v2
	v_mul_f32_e32 v2, v103, v51
	v_pk_mul_f32 v[14:15], v[104:105], v[14:15] op_sel:[1,0] op_sel_hi:[0,0]
	v_fmac_f32_e32 v201, v103, v50
	v_fma_f32 v200, v102, v50, -v2
	v_pk_add_f32 v[12:13], v[202:203], v[198:199]
	v_pk_fma_f32 v[16:17], v[104:105], v[52:53], v[14:15] neg_lo:[0,0,1] neg_hi:[0,0,1]
	v_pk_fma_f32 v[14:15], v[104:105], v[52:53], v[14:15] op_sel_hi:[1,0,1]
	v_pk_add_f32 v[12:13], v[12:13], v[200:201]
	v_mov_b32_e32 v17, v15
	s_waitcnt vmcnt(3) lgkmcnt(0)
	v_pk_mul_f32 v[14:15], v[108:109], v[186:187] op_sel:[1,1] op_sel_hi:[0,1]
	v_pk_add_f32 v[12:13], v[12:13], v[16:17]
	v_pk_fma_f32 v[16:17], v[108:109], v[186:187], v[14:15] neg_lo:[0,0,1] neg_hi:[0,0,1]
	v_pk_fma_f32 v[14:15], v[108:109], v[186:187], v[14:15] op_sel_hi:[1,0,1]
	ds_read2_b64 v[2:5], v106 offset0:67 offset1:68
	ds_read2_b64 v[6:9], v106 offset0:69 offset1:70
	ds_read_b64 v[10:11], v106 offset:568
	v_mov_b32_e32 v14, v189
	v_mov_b32_e32 v17, v15
	v_pk_mul_f32 v[14:15], v[110:111], v[14:15] op_sel:[1,0] op_sel_hi:[0,0]
	v_pk_add_f32 v[12:13], v[12:13], v[16:17]
	v_pk_fma_f32 v[16:17], v[110:111], v[188:189], v[14:15] neg_lo:[0,0,1] neg_hi:[0,0,1]
	v_pk_fma_f32 v[14:15], v[110:111], v[188:189], v[14:15] op_sel_hi:[1,0,1]
	s_nop 0
	v_mov_b32_e32 v17, v15
	s_waitcnt vmcnt(2) lgkmcnt(2)
	v_pk_mul_f32 v[14:15], v[2:3], v[190:191] op_sel:[1,1] op_sel_hi:[0,1]
	v_pk_add_f32 v[12:13], v[12:13], v[16:17]
	v_pk_fma_f32 v[16:17], v[2:3], v[190:191], v[14:15] neg_lo:[0,0,1] neg_hi:[0,0,1]
	v_pk_fma_f32 v[2:3], v[2:3], v[190:191], v[14:15] op_sel_hi:[1,0,1]
	s_nop 0
	v_mov_b32_e32 v17, v3
	v_pk_add_f32 v[2:3], v[12:13], v[16:17]
	v_mov_b32_e32 v12, v193
	v_pk_mul_f32 v[12:13], v[4:5], v[12:13] op_sel:[1,0] op_sel_hi:[0,0]
	v_pk_fma_f32 v[14:15], v[4:5], v[192:193], v[12:13] neg_lo:[0,0,1] neg_hi:[0,0,1]
	v_pk_fma_f32 v[4:5], v[4:5], v[192:193], v[12:13] op_sel_hi:[1,0,1]
	s_nop 0
	v_mov_b32_e32 v15, v5
	s_waitcnt vmcnt(1) lgkmcnt(1)
	v_pk_mul_f32 v[4:5], v[6:7], v[194:195] op_sel:[1,1] op_sel_hi:[0,1]
	v_pk_fma_f32 v[12:13], v[6:7], v[194:195], v[4:5] neg_lo:[0,0,1] neg_hi:[0,0,1]
	v_pk_fma_f32 v[4:5], v[6:7], v[194:195], v[4:5] op_sel_hi:[1,0,1]
	v_pk_add_f32 v[2:3], v[2:3], v[14:15]
	v_mov_b32_e32 v4, v197
	v_mov_b32_e32 v13, v5
	v_pk_mul_f32 v[4:5], v[8:9], v[4:5] op_sel:[1,0] op_sel_hi:[0,0]
	v_pk_fma_f32 v[6:7], v[8:9], v[196:197], v[4:5] neg_lo:[0,0,1] neg_hi:[0,0,1]
	v_pk_fma_f32 v[4:5], v[8:9], v[196:197], v[4:5] op_sel_hi:[1,0,1]
	v_pk_add_f32 v[2:3], v[2:3], v[12:13]
	v_mov_b32_e32 v7, v5
	s_waitcnt vmcnt(0) lgkmcnt(0)
	v_pk_mul_f32 v[4:5], v[10:11], v[204:205] op_sel:[1,1] op_sel_hi:[0,1]
	v_pk_add_f32 v[2:3], v[2:3], v[6:7]
	v_pk_fma_f32 v[6:7], v[10:11], v[204:205], v[4:5] neg_lo:[0,0,1] neg_hi:[0,0,1]
	v_pk_fma_f32 v[4:5], v[10:11], v[204:205], v[4:5] op_sel_hi:[1,0,1]
	s_nop 0
	v_mov_b32_e32 v7, v5
	v_pk_add_f32 v[2:3], v[2:3], v[6:7]
	s_nop 0
	v_pk_add_f32 v[2:3], v[112:113], v[2:3] neg_lo:[0,1] neg_hi:[0,1]
	scratch_store_dwordx2 off, v[2:3], off offset:16
	s_and_saveexec_b64 s[0:1], vcc
	s_cbranch_execz .LBB99_227
; %bb.226:
	scratch_load_dwordx2 v[2:3], off, off offset:8
	v_mov_b32_e32 v107, v106
	scratch_store_dwordx2 off, v[106:107], off offset:8
	s_waitcnt vmcnt(1)
	ds_write_b64 v1, v[2:3]
.LBB99_227:
	s_or_b64 exec, exec, s[0:1]
	s_waitcnt lgkmcnt(0)
	; wave barrier
	scratch_load_dwordx4 v[2:5], off, off offset:16
	scratch_load_dwordx4 v[6:9], off, off offset:32
	;; [unrolled: 1-line block ×13, first 2 shown]
	ds_read_b128 v[102:105], v106 offset:304
	ds_read_b128 v[98:101], v106 offset:320
	;; [unrolled: 1-line block ×14, first 2 shown]
	scratch_load_dwordx2 v[112:113], off, off offset:8
	v_cmp_ne_u32_e32 vcc, 0, v0
	s_waitcnt vmcnt(13) lgkmcnt(13)
	v_mul_f32_e32 v107, v102, v3
	v_mul_f32_e32 v186, v104, v5
	v_fmac_f32_e32 v107, v103, v2
	s_waitcnt vmcnt(12) lgkmcnt(12)
	v_mul_f32_e32 v187, v98, v7
	v_fmac_f32_e32 v186, v105, v4
	v_add_f32_e32 v107, 0, v107
	v_mul_f32_e32 v188, v100, v9
	v_fmac_f32_e32 v187, v99, v6
	v_add_f32_e32 v107, v107, v186
	s_waitcnt vmcnt(11) lgkmcnt(11)
	v_mul_f32_e32 v189, v94, v11
	v_fmac_f32_e32 v188, v101, v8
	v_add_f32_e32 v107, v107, v187
	v_mul_f32_e32 v190, v96, v13
	v_fmac_f32_e32 v189, v95, v10
	v_add_f32_e32 v107, v107, v188
	;; [unrolled: 7-line block ×7, first 2 shown]
	s_waitcnt vmcnt(5) lgkmcnt(5)
	v_mul_f32_e32 v201, v70, v35
	v_fmac_f32_e32 v200, v77, v32
	v_add_f32_e32 v107, v107, v199
	v_fmac_f32_e32 v201, v71, v34
	v_add_f32_e32 v107, v107, v200
	v_add_f32_e32 v107, v107, v201
	scratch_load_dwordx4 v[186:189], off, off offset:224
	scratch_load_dwordx4 v[190:193], off, off offset:240
	scratch_load_dwordx4 v[194:197], off, off offset:256
	scratch_load_dwordx4 v[198:201], off, off offset:272
	v_mul_f32_e32 v3, v103, v3
	v_fma_f32 v2, v102, v2, -v3
	v_mul_f32_e32 v3, v105, v5
	v_add_f32_e32 v2, 0, v2
	v_fma_f32 v3, v104, v4, -v3
	v_add_f32_e32 v2, v2, v3
	v_mul_f32_e32 v3, v99, v7
	v_fma_f32 v3, v98, v6, -v3
	v_add_f32_e32 v2, v2, v3
	v_mul_f32_e32 v3, v101, v9
	;; [unrolled: 3-line block ×16, first 2 shown]
	v_fma_f32 v3, v72, v36, -v3
	v_add_f32_e32 v2, v2, v3
	s_waitcnt vmcnt(8) lgkmcnt(4)
	v_mul_f32_e32 v3, v67, v39
	v_fma_f32 v3, v66, v38, -v3
	v_add_f32_e32 v2, v2, v3
	v_mul_f32_e32 v3, v69, v41
	v_fma_f32 v3, v68, v40, -v3
	v_add_f32_e32 v2, v2, v3
	s_waitcnt vmcnt(7) lgkmcnt(3)
	v_mul_f32_e32 v3, v63, v43
	v_mul_f32_e32 v202, v72, v37
	v_fma_f32 v3, v62, v42, -v3
	v_mul_f32_e32 v204, v66, v39
	v_fmac_f32_e32 v202, v73, v36
	v_add_f32_e32 v2, v2, v3
	v_mul_f32_e32 v3, v65, v45
	v_mul_f32_e32 v206, v68, v41
	v_fmac_f32_e32 v204, v67, v38
	v_add_f32_e32 v107, v107, v202
	v_fma_f32 v3, v64, v44, -v3
	v_mul_f32_e32 v207, v62, v43
	v_fmac_f32_e32 v206, v69, v40
	v_add_f32_e32 v107, v107, v204
	v_add_f32_e32 v2, v2, v3
	s_waitcnt vmcnt(6) lgkmcnt(2)
	v_mul_f32_e32 v3, v59, v47
	v_mul_f32_e32 v208, v64, v45
	v_fmac_f32_e32 v207, v63, v42
	v_add_f32_e32 v107, v107, v206
	v_fma_f32 v3, v58, v46, -v3
	v_mul_f32_e32 v209, v58, v47
	v_fmac_f32_e32 v208, v65, v44
	v_add_f32_e32 v107, v107, v207
	v_add_f32_e32 v2, v2, v3
	v_mul_f32_e32 v3, v61, v49
	v_mul_f32_e32 v210, v60, v49
	v_fmac_f32_e32 v209, v59, v46
	v_add_f32_e32 v107, v107, v208
	v_fma_f32 v3, v60, v48, -v3
	s_waitcnt vmcnt(5) lgkmcnt(1)
	v_mul_f32_e32 v203, v54, v51
	v_fmac_f32_e32 v210, v61, v48
	v_add_f32_e32 v107, v107, v209
	v_add_f32_e32 v206, v2, v3
	v_mul_f32_e32 v2, v55, v51
	s_waitcnt vmcnt(3) lgkmcnt(0)
	v_pk_mul_f32 v[16:17], v[108:109], v[186:187] op_sel:[1,1] op_sel_hi:[0,1]
	v_mul_f32_e32 v205, v56, v53
	v_fmac_f32_e32 v203, v55, v50
	v_add_f32_e32 v207, v107, v210
	v_fma_f32 v202, v54, v50, -v2
	v_mul_f32_e32 v2, v57, v53
	v_pk_fma_f32 v[18:19], v[108:109], v[186:187], v[16:17] neg_lo:[0,0,1] neg_hi:[0,0,1]
	v_pk_fma_f32 v[16:17], v[108:109], v[186:187], v[16:17] op_sel_hi:[1,0,1]
	v_fmac_f32_e32 v205, v57, v52
	v_fma_f32 v204, v56, v52, -v2
	ds_read_b128 v[2:5], v106 offset:528
	ds_read_b128 v[6:9], v106 offset:544
	;; [unrolled: 1-line block ×3, first 2 shown]
	v_pk_add_f32 v[14:15], v[206:207], v[202:203]
	v_mov_b32_e32 v16, v189
	v_pk_add_f32 v[14:15], v[14:15], v[204:205]
	v_mov_b32_e32 v19, v17
	v_pk_mul_f32 v[16:17], v[110:111], v[16:17] op_sel:[1,0] op_sel_hi:[0,0]
	v_pk_add_f32 v[14:15], v[14:15], v[18:19]
	v_pk_fma_f32 v[18:19], v[110:111], v[188:189], v[16:17] neg_lo:[0,0,1] neg_hi:[0,0,1]
	v_pk_fma_f32 v[16:17], v[110:111], v[188:189], v[16:17] op_sel_hi:[1,0,1]
	s_nop 0
	v_mov_b32_e32 v19, v17
	s_waitcnt vmcnt(2) lgkmcnt(2)
	v_pk_mul_f32 v[16:17], v[2:3], v[190:191] op_sel:[1,1] op_sel_hi:[0,1]
	v_pk_add_f32 v[14:15], v[14:15], v[18:19]
	v_pk_fma_f32 v[18:19], v[2:3], v[190:191], v[16:17] neg_lo:[0,0,1] neg_hi:[0,0,1]
	v_pk_fma_f32 v[2:3], v[2:3], v[190:191], v[16:17] op_sel_hi:[1,0,1]
	s_nop 0
	v_mov_b32_e32 v19, v3
	v_pk_add_f32 v[2:3], v[14:15], v[18:19]
	v_mov_b32_e32 v14, v193
	v_pk_mul_f32 v[14:15], v[4:5], v[14:15] op_sel:[1,0] op_sel_hi:[0,0]
	v_pk_fma_f32 v[16:17], v[4:5], v[192:193], v[14:15] neg_lo:[0,0,1] neg_hi:[0,0,1]
	v_pk_fma_f32 v[4:5], v[4:5], v[192:193], v[14:15] op_sel_hi:[1,0,1]
	s_nop 0
	v_mov_b32_e32 v17, v5
	s_waitcnt vmcnt(1) lgkmcnt(1)
	v_pk_mul_f32 v[4:5], v[6:7], v[194:195] op_sel:[1,1] op_sel_hi:[0,1]
	v_pk_fma_f32 v[14:15], v[6:7], v[194:195], v[4:5] neg_lo:[0,0,1] neg_hi:[0,0,1]
	v_pk_fma_f32 v[4:5], v[6:7], v[194:195], v[4:5] op_sel_hi:[1,0,1]
	v_pk_add_f32 v[2:3], v[2:3], v[16:17]
	v_mov_b32_e32 v4, v197
	v_mov_b32_e32 v15, v5
	v_pk_mul_f32 v[4:5], v[8:9], v[4:5] op_sel:[1,0] op_sel_hi:[0,0]
	v_pk_fma_f32 v[6:7], v[8:9], v[196:197], v[4:5] neg_lo:[0,0,1] neg_hi:[0,0,1]
	v_pk_fma_f32 v[4:5], v[8:9], v[196:197], v[4:5] op_sel_hi:[1,0,1]
	v_pk_add_f32 v[2:3], v[2:3], v[14:15]
	v_mov_b32_e32 v7, v5
	s_waitcnt vmcnt(0) lgkmcnt(0)
	v_pk_mul_f32 v[4:5], v[10:11], v[198:199] op_sel:[1,1] op_sel_hi:[0,1]
	v_pk_add_f32 v[2:3], v[2:3], v[6:7]
	v_pk_fma_f32 v[6:7], v[10:11], v[198:199], v[4:5] neg_lo:[0,0,1] neg_hi:[0,0,1]
	v_pk_fma_f32 v[4:5], v[10:11], v[198:199], v[4:5] op_sel_hi:[1,0,1]
	s_nop 0
	v_mov_b32_e32 v4, v201
	v_mov_b32_e32 v7, v5
	v_pk_mul_f32 v[4:5], v[12:13], v[4:5] op_sel:[1,0] op_sel_hi:[0,0]
	v_pk_add_f32 v[2:3], v[2:3], v[6:7]
	v_pk_fma_f32 v[6:7], v[12:13], v[200:201], v[4:5] neg_lo:[0,0,1] neg_hi:[0,0,1]
	v_pk_fma_f32 v[4:5], v[12:13], v[200:201], v[4:5] op_sel_hi:[1,0,1]
	s_nop 0
	v_mov_b32_e32 v7, v5
	v_pk_add_f32 v[2:3], v[2:3], v[6:7]
	s_nop 0
	v_pk_add_f32 v[2:3], v[112:113], v[2:3] neg_lo:[0,1] neg_hi:[0,1]
	scratch_store_dwordx2 off, v[2:3], off offset:8
	s_and_saveexec_b64 s[0:1], vcc
	s_cbranch_execz .LBB99_229
; %bb.228:
	scratch_load_dwordx2 v[2:3], off, off
	v_mov_b32_e32 v4, 0
	v_mov_b32_e32 v5, v4
	scratch_store_dwordx2 off, v[4:5], off
	s_waitcnt vmcnt(1)
	ds_write_b64 v1, v[2:3]
.LBB99_229:
	s_or_b64 exec, exec, s[0:1]
	s_waitcnt lgkmcnt(0)
	; wave barrier
	scratch_load_dwordx4 v[0:3], off, off offset:8
	scratch_load_dwordx4 v[4:7], off, off offset:24
	;; [unrolled: 1-line block ×13, first 2 shown]
	v_mov_b32_e32 v56, 0
	scratch_load_dwordx4 v[52:55], off, off offset:216
	scratch_load_dwordx2 v[198:199], off, off
	ds_read2_b64 v[58:61], v56 offset0:37 offset1:38
	ds_read2_b64 v[62:65], v56 offset0:39 offset1:40
	;; [unrolled: 1-line block ×14, first 2 shown]
	s_and_b64 vcc, exec, s[10:11]
	s_waitcnt vmcnt(14) lgkmcnt(13)
	v_mul_f32_e32 v57, v58, v1
	v_mul_f32_e32 v186, v60, v3
	v_fmac_f32_e32 v57, v59, v0
	s_waitcnt vmcnt(13) lgkmcnt(12)
	v_mul_f32_e32 v187, v62, v5
	v_fmac_f32_e32 v186, v61, v2
	v_add_f32_e32 v57, 0, v57
	v_mul_f32_e32 v188, v64, v7
	v_fmac_f32_e32 v187, v63, v4
	v_add_f32_e32 v57, v57, v186
	s_waitcnt vmcnt(12) lgkmcnt(11)
	v_mul_f32_e32 v189, v66, v9
	v_fmac_f32_e32 v188, v65, v6
	v_add_f32_e32 v57, v57, v187
	v_mul_f32_e32 v190, v68, v11
	v_fmac_f32_e32 v189, v67, v8
	v_add_f32_e32 v57, v57, v188
	;; [unrolled: 7-line block ×6, first 2 shown]
	s_waitcnt vmcnt(7) lgkmcnt(6)
	v_mul_f32_e32 v201, v86, v29
	v_fmac_f32_e32 v200, v85, v26
	v_add_f32_e32 v57, v57, v197
	scratch_load_dwordx4 v[186:189], off, off offset:232
	v_mul_f32_e32 v202, v88, v31
	v_fmac_f32_e32 v201, v87, v28
	v_add_f32_e32 v57, v57, v200
	s_waitcnt vmcnt(7) lgkmcnt(5)
	v_mul_f32_e32 v203, v90, v33
	v_fmac_f32_e32 v202, v89, v30
	v_add_f32_e32 v57, v57, v201
	v_mul_f32_e32 v204, v92, v35
	v_fmac_f32_e32 v203, v91, v32
	v_add_f32_e32 v57, v57, v202
	s_waitcnt vmcnt(6) lgkmcnt(4)
	v_mul_f32_e32 v205, v94, v37
	v_fmac_f32_e32 v204, v93, v34
	v_add_f32_e32 v57, v57, v203
	v_mul_f32_e32 v206, v96, v39
	v_fmac_f32_e32 v205, v95, v36
	v_add_f32_e32 v57, v57, v204
	s_waitcnt vmcnt(5) lgkmcnt(3)
	v_mul_f32_e32 v207, v98, v41
	v_fmac_f32_e32 v206, v97, v38
	v_add_f32_e32 v57, v57, v205
	v_fmac_f32_e32 v207, v99, v40
	v_add_f32_e32 v57, v57, v206
	v_add_f32_e32 v57, v57, v207
	scratch_load_dwordx4 v[190:193], off, off offset:248
	scratch_load_dwordx4 v[194:197], off, off offset:264
	scratch_load_dwordx2 v[206:207], off, off offset:280
	v_mul_f32_e32 v1, v59, v1
	v_fma_f32 v0, v58, v0, -v1
	v_mul_f32_e32 v1, v61, v3
	v_add_f32_e32 v0, 0, v0
	v_fma_f32 v1, v60, v2, -v1
	v_add_f32_e32 v0, v0, v1
	v_mul_f32_e32 v1, v63, v5
	v_fma_f32 v1, v62, v4, -v1
	v_add_f32_e32 v0, v0, v1
	v_mul_f32_e32 v1, v65, v7
	;; [unrolled: 3-line block ×20, first 2 shown]
	v_fma_f32 v1, v100, v42, -v1
	v_add_f32_e32 v0, v0, v1
	s_waitcnt vmcnt(7) lgkmcnt(2)
	v_mul_f32_e32 v1, v103, v45
	v_fma_f32 v1, v102, v44, -v1
	v_add_f32_e32 v0, v0, v1
	v_mul_f32_e32 v1, v105, v47
	v_mul_f32_e32 v208, v100, v43
	v_fma_f32 v1, v104, v46, -v1
	v_mul_f32_e32 v209, v102, v45
	v_fmac_f32_e32 v208, v101, v42
	v_add_f32_e32 v0, v0, v1
	s_waitcnt vmcnt(6) lgkmcnt(1)
	v_mul_f32_e32 v1, v107, v49
	v_mul_f32_e32 v210, v104, v47
	v_fmac_f32_e32 v209, v103, v44
	v_add_f32_e32 v57, v57, v208
	v_fma_f32 v1, v106, v48, -v1
	v_mul_f32_e32 v211, v106, v49
	v_fmac_f32_e32 v210, v105, v46
	v_add_f32_e32 v57, v57, v209
	v_add_f32_e32 v200, v0, v1
	v_mul_f32_e32 v0, v109, v51
	v_fmac_f32_e32 v211, v107, v48
	v_add_f32_e32 v57, v57, v210
	v_mul_f32_e32 v203, v108, v51
	v_fma_f32 v202, v108, v50, -v0
	s_waitcnt vmcnt(5) lgkmcnt(0)
	v_mul_f32_e32 v0, v111, v53
	v_mov_b32_e32 v16, v55
	v_add_f32_e32 v201, v57, v211
	v_fmac_f32_e32 v203, v109, v50
	v_mul_f32_e32 v205, v110, v53
	v_fma_f32 v204, v110, v52, -v0
	ds_read2_b64 v[0:3], v56 offset0:65 offset1:66
	ds_read2_b64 v[4:7], v56 offset0:67 offset1:68
	;; [unrolled: 1-line block ×3, first 2 shown]
	ds_read_b64 v[12:13], v56 offset:568
	v_pk_mul_f32 v[16:17], v[112:113], v[16:17] op_sel:[1,0] op_sel_hi:[0,0]
	v_fmac_f32_e32 v205, v111, v52
	v_pk_add_f32 v[14:15], v[200:201], v[202:203]
	v_pk_fma_f32 v[18:19], v[112:113], v[54:55], v[16:17] neg_lo:[0,0,1] neg_hi:[0,0,1]
	v_pk_fma_f32 v[16:17], v[112:113], v[54:55], v[16:17] op_sel_hi:[1,0,1]
	v_pk_add_f32 v[14:15], v[14:15], v[204:205]
	v_mov_b32_e32 v19, v17
	s_waitcnt vmcnt(3) lgkmcnt(3)
	v_pk_mul_f32 v[16:17], v[0:1], v[186:187] op_sel:[1,1] op_sel_hi:[0,1]
	v_pk_add_f32 v[14:15], v[14:15], v[18:19]
	v_pk_fma_f32 v[18:19], v[0:1], v[186:187], v[16:17] neg_lo:[0,0,1] neg_hi:[0,0,1]
	v_pk_fma_f32 v[0:1], v[0:1], v[186:187], v[16:17] op_sel_hi:[1,0,1]
	s_nop 0
	v_mov_b32_e32 v19, v1
	v_pk_add_f32 v[0:1], v[14:15], v[18:19]
	v_mov_b32_e32 v14, v189
	v_pk_mul_f32 v[14:15], v[2:3], v[14:15] op_sel:[1,0] op_sel_hi:[0,0]
	v_pk_fma_f32 v[16:17], v[2:3], v[188:189], v[14:15] neg_lo:[0,0,1] neg_hi:[0,0,1]
	v_pk_fma_f32 v[2:3], v[2:3], v[188:189], v[14:15] op_sel_hi:[1,0,1]
	s_nop 0
	v_mov_b32_e32 v17, v3
	s_waitcnt vmcnt(2) lgkmcnt(2)
	v_pk_mul_f32 v[2:3], v[4:5], v[190:191] op_sel:[1,1] op_sel_hi:[0,1]
	v_pk_fma_f32 v[14:15], v[4:5], v[190:191], v[2:3] neg_lo:[0,0,1] neg_hi:[0,0,1]
	v_pk_fma_f32 v[2:3], v[4:5], v[190:191], v[2:3] op_sel_hi:[1,0,1]
	v_pk_add_f32 v[0:1], v[0:1], v[16:17]
	v_mov_b32_e32 v2, v193
	v_mov_b32_e32 v15, v3
	v_pk_mul_f32 v[2:3], v[6:7], v[2:3] op_sel:[1,0] op_sel_hi:[0,0]
	v_pk_fma_f32 v[4:5], v[6:7], v[192:193], v[2:3] neg_lo:[0,0,1] neg_hi:[0,0,1]
	v_pk_fma_f32 v[2:3], v[6:7], v[192:193], v[2:3] op_sel_hi:[1,0,1]
	v_pk_add_f32 v[0:1], v[0:1], v[14:15]
	v_mov_b32_e32 v5, v3
	s_waitcnt vmcnt(1) lgkmcnt(1)
	v_pk_mul_f32 v[2:3], v[8:9], v[194:195] op_sel:[1,1] op_sel_hi:[0,1]
	v_pk_add_f32 v[0:1], v[0:1], v[4:5]
	v_pk_fma_f32 v[4:5], v[8:9], v[194:195], v[2:3] neg_lo:[0,0,1] neg_hi:[0,0,1]
	v_pk_fma_f32 v[2:3], v[8:9], v[194:195], v[2:3] op_sel_hi:[1,0,1]
	s_nop 0
	v_mov_b32_e32 v2, v197
	v_mov_b32_e32 v5, v3
	v_pk_mul_f32 v[2:3], v[10:11], v[2:3] op_sel:[1,0] op_sel_hi:[0,0]
	v_pk_add_f32 v[0:1], v[0:1], v[4:5]
	v_pk_fma_f32 v[4:5], v[10:11], v[196:197], v[2:3] neg_lo:[0,0,1] neg_hi:[0,0,1]
	v_pk_fma_f32 v[2:3], v[10:11], v[196:197], v[2:3] op_sel_hi:[1,0,1]
	s_nop 0
	v_mov_b32_e32 v5, v3
	s_waitcnt vmcnt(0) lgkmcnt(0)
	v_pk_mul_f32 v[2:3], v[12:13], v[206:207] op_sel:[1,1] op_sel_hi:[0,1]
	v_pk_add_f32 v[0:1], v[0:1], v[4:5]
	v_pk_fma_f32 v[4:5], v[12:13], v[206:207], v[2:3] neg_lo:[0,0,1] neg_hi:[0,0,1]
	v_pk_fma_f32 v[2:3], v[12:13], v[206:207], v[2:3] op_sel_hi:[1,0,1]
	s_nop 0
	v_mov_b32_e32 v5, v3
	v_pk_add_f32 v[0:1], v[0:1], v[4:5]
	s_nop 0
	v_pk_add_f32 v[0:1], v[198:199], v[0:1] neg_lo:[0,1] neg_hi:[0,1]
	scratch_store_dwordx2 off, v[0:1], off
	s_cbranch_vccz .LBB99_300
; %bb.230:
	global_load_dword v0, v56, s[8:9] offset:136
	s_waitcnt vmcnt(0)
	v_readfirstlane_b32 s0, v0
	s_add_i32 s0, s0, -1
	s_cmp_lg_u32 s0, 34
	s_cbranch_scc0 .LBB99_232
; %bb.231:
	s_lshl_b32 s0, s0, 3
	s_nop 0
	scratch_load_dwordx2 v[0:1], off, s0
	scratch_load_dwordx2 v[2:3], off, off offset:272
	s_waitcnt vmcnt(1)
	scratch_store_dwordx2 off, v[0:1], off offset:272
	s_waitcnt vmcnt(1)
	scratch_store_dwordx2 off, v[2:3], s0
.LBB99_232:
	v_mov_b32_e32 v0, 0
	global_load_dword v1, v0, s[8:9] offset:132
	s_waitcnt vmcnt(0)
	v_readfirstlane_b32 s0, v1
	s_add_i32 s0, s0, -1
	s_cmp_eq_u32 s0, 33
	s_cbranch_scc1 .LBB99_234
; %bb.233:
	s_lshl_b32 s0, s0, 3
	s_nop 0
	scratch_load_dwordx2 v[2:3], off, s0
	scratch_load_dwordx2 v[4:5], off, off offset:264
	s_waitcnt vmcnt(1)
	scratch_store_dwordx2 off, v[2:3], off offset:264
	s_waitcnt vmcnt(1)
	scratch_store_dwordx2 off, v[4:5], s0
.LBB99_234:
	global_load_dword v0, v0, s[8:9] offset:128
	s_waitcnt vmcnt(0)
	v_readfirstlane_b32 s0, v0
	s_add_i32 s0, s0, -1
	s_cmp_eq_u32 s0, 32
	s_cbranch_scc1 .LBB99_236
; %bb.235:
	s_lshl_b32 s0, s0, 3
	s_nop 0
	scratch_load_dwordx2 v[0:1], off, s0
	scratch_load_dwordx2 v[2:3], off, off offset:256
	s_waitcnt vmcnt(1)
	scratch_store_dwordx2 off, v[0:1], off offset:256
	s_waitcnt vmcnt(1)
	scratch_store_dwordx2 off, v[2:3], s0
.LBB99_236:
	v_mov_b32_e32 v0, 0
	global_load_dword v1, v0, s[8:9] offset:124
	s_waitcnt vmcnt(0)
	v_readfirstlane_b32 s0, v1
	s_add_i32 s0, s0, -1
	s_cmp_eq_u32 s0, 31
	s_cbranch_scc1 .LBB99_238
; %bb.237:
	s_lshl_b32 s0, s0, 3
	s_nop 0
	scratch_load_dwordx2 v[2:3], off, s0
	scratch_load_dwordx2 v[4:5], off, off offset:248
	s_waitcnt vmcnt(1)
	scratch_store_dwordx2 off, v[2:3], off offset:248
	s_waitcnt vmcnt(1)
	scratch_store_dwordx2 off, v[4:5], s0
.LBB99_238:
	global_load_dword v0, v0, s[8:9] offset:120
	s_waitcnt vmcnt(0)
	v_readfirstlane_b32 s0, v0
	s_add_i32 s0, s0, -1
	s_cmp_eq_u32 s0, 30
	s_cbranch_scc1 .LBB99_240
; %bb.239:
	s_lshl_b32 s0, s0, 3
	s_nop 0
	scratch_load_dwordx2 v[0:1], off, s0
	scratch_load_dwordx2 v[2:3], off, off offset:240
	s_waitcnt vmcnt(1)
	scratch_store_dwordx2 off, v[0:1], off offset:240
	s_waitcnt vmcnt(1)
	scratch_store_dwordx2 off, v[2:3], s0
.LBB99_240:
	;; [unrolled: 33-line block ×16, first 2 shown]
	v_mov_b32_e32 v0, 0
	global_load_dword v1, v0, s[8:9] offset:4
	s_waitcnt vmcnt(0)
	v_readfirstlane_b32 s0, v1
	s_add_i32 s0, s0, -1
	s_cmp_eq_u32 s0, 1
	s_cbranch_scc1 .LBB99_298
; %bb.297:
	s_lshl_b32 s0, s0, 3
	s_nop 0
	scratch_load_dwordx2 v[2:3], off, s0
	scratch_load_dwordx2 v[4:5], off, off offset:8
	s_waitcnt vmcnt(1)
	scratch_store_dwordx2 off, v[2:3], off offset:8
	s_waitcnt vmcnt(1)
	scratch_store_dwordx2 off, v[4:5], s0
.LBB99_298:
	global_load_dword v2, v0, s[8:9]
	s_nop 0
	scratch_load_dwordx2 v[0:1], off, off
	s_waitcnt vmcnt(1)
	v_readfirstlane_b32 s0, v2
	s_add_i32 s0, s0, -1
	s_cmp_eq_u32 s0, 0
	s_cbranch_scc1 .LBB99_300
; %bb.299:
	s_lshl_b32 s0, s0, 3
	s_nop 0
	scratch_load_dwordx2 v[2:3], off, s0
	s_waitcnt vmcnt(0)
	scratch_store_dwordx2 off, v[2:3], off
	scratch_store_dwordx2 off, v[0:1], s0
	scratch_load_dwordx2 v[0:1], off, off
.LBB99_300:
	s_waitcnt vmcnt(0)
	flat_store_dwordx2 v[114:115], v[0:1]
	scratch_load_dwordx2 v[0:1], off, off offset:8
	s_waitcnt vmcnt(0)
	flat_store_dwordx2 v[116:117], v[0:1]
	scratch_load_dwordx2 v[0:1], off, off offset:16
	;; [unrolled: 3-line block ×35, first 2 shown]
	s_waitcnt vmcnt(0)
	flat_store_dwordx2 v[184:185], v[0:1]
	s_endpgm
	.section	.rodata,"a",@progbits
	.p2align	6, 0x0
	.amdhsa_kernel _ZN9rocsolver6v33100L18getri_kernel_smallILi36E19rocblas_complex_numIfEPKPS3_EEvT1_iilPiilS8_bb
		.amdhsa_group_segment_fixed_size 580
		.amdhsa_private_segment_fixed_size 304
		.amdhsa_kernarg_size 60
		.amdhsa_user_sgpr_count 2
		.amdhsa_user_sgpr_dispatch_ptr 0
		.amdhsa_user_sgpr_queue_ptr 0
		.amdhsa_user_sgpr_kernarg_segment_ptr 1
		.amdhsa_user_sgpr_dispatch_id 0
		.amdhsa_user_sgpr_kernarg_preload_length 0
		.amdhsa_user_sgpr_kernarg_preload_offset 0
		.amdhsa_user_sgpr_private_segment_size 0
		.amdhsa_uses_dynamic_stack 0
		.amdhsa_enable_private_segment 1
		.amdhsa_system_sgpr_workgroup_id_x 1
		.amdhsa_system_sgpr_workgroup_id_y 0
		.amdhsa_system_sgpr_workgroup_id_z 0
		.amdhsa_system_sgpr_workgroup_info 0
		.amdhsa_system_vgpr_workitem_id 0
		.amdhsa_next_free_vgpr 213
		.amdhsa_next_free_sgpr 17
		.amdhsa_accum_offset 216
		.amdhsa_reserve_vcc 1
		.amdhsa_float_round_mode_32 0
		.amdhsa_float_round_mode_16_64 0
		.amdhsa_float_denorm_mode_32 3
		.amdhsa_float_denorm_mode_16_64 3
		.amdhsa_dx10_clamp 1
		.amdhsa_ieee_mode 1
		.amdhsa_fp16_overflow 0
		.amdhsa_tg_split 0
		.amdhsa_exception_fp_ieee_invalid_op 0
		.amdhsa_exception_fp_denorm_src 0
		.amdhsa_exception_fp_ieee_div_zero 0
		.amdhsa_exception_fp_ieee_overflow 0
		.amdhsa_exception_fp_ieee_underflow 0
		.amdhsa_exception_fp_ieee_inexact 0
		.amdhsa_exception_int_div_zero 0
	.end_amdhsa_kernel
	.section	.text._ZN9rocsolver6v33100L18getri_kernel_smallILi36E19rocblas_complex_numIfEPKPS3_EEvT1_iilPiilS8_bb,"axG",@progbits,_ZN9rocsolver6v33100L18getri_kernel_smallILi36E19rocblas_complex_numIfEPKPS3_EEvT1_iilPiilS8_bb,comdat
.Lfunc_end99:
	.size	_ZN9rocsolver6v33100L18getri_kernel_smallILi36E19rocblas_complex_numIfEPKPS3_EEvT1_iilPiilS8_bb, .Lfunc_end99-_ZN9rocsolver6v33100L18getri_kernel_smallILi36E19rocblas_complex_numIfEPKPS3_EEvT1_iilPiilS8_bb
                                        ; -- End function
	.set _ZN9rocsolver6v33100L18getri_kernel_smallILi36E19rocblas_complex_numIfEPKPS3_EEvT1_iilPiilS8_bb.num_vgpr, 213
	.set _ZN9rocsolver6v33100L18getri_kernel_smallILi36E19rocblas_complex_numIfEPKPS3_EEvT1_iilPiilS8_bb.num_agpr, 0
	.set _ZN9rocsolver6v33100L18getri_kernel_smallILi36E19rocblas_complex_numIfEPKPS3_EEvT1_iilPiilS8_bb.numbered_sgpr, 17
	.set _ZN9rocsolver6v33100L18getri_kernel_smallILi36E19rocblas_complex_numIfEPKPS3_EEvT1_iilPiilS8_bb.num_named_barrier, 0
	.set _ZN9rocsolver6v33100L18getri_kernel_smallILi36E19rocblas_complex_numIfEPKPS3_EEvT1_iilPiilS8_bb.private_seg_size, 304
	.set _ZN9rocsolver6v33100L18getri_kernel_smallILi36E19rocblas_complex_numIfEPKPS3_EEvT1_iilPiilS8_bb.uses_vcc, 1
	.set _ZN9rocsolver6v33100L18getri_kernel_smallILi36E19rocblas_complex_numIfEPKPS3_EEvT1_iilPiilS8_bb.uses_flat_scratch, 0
	.set _ZN9rocsolver6v33100L18getri_kernel_smallILi36E19rocblas_complex_numIfEPKPS3_EEvT1_iilPiilS8_bb.has_dyn_sized_stack, 0
	.set _ZN9rocsolver6v33100L18getri_kernel_smallILi36E19rocblas_complex_numIfEPKPS3_EEvT1_iilPiilS8_bb.has_recursion, 0
	.set _ZN9rocsolver6v33100L18getri_kernel_smallILi36E19rocblas_complex_numIfEPKPS3_EEvT1_iilPiilS8_bb.has_indirect_call, 0
	.section	.AMDGPU.csdata,"",@progbits
; Kernel info:
; codeLenInByte = 43284
; TotalNumSgprs: 23
; NumVgprs: 213
; NumAgprs: 0
; TotalNumVgprs: 213
; ScratchSize: 304
; MemoryBound: 0
; FloatMode: 240
; IeeeMode: 1
; LDSByteSize: 580 bytes/workgroup (compile time only)
; SGPRBlocks: 2
; VGPRBlocks: 26
; NumSGPRsForWavesPerEU: 23
; NumVGPRsForWavesPerEU: 213
; AccumOffset: 216
; Occupancy: 2
; WaveLimiterHint : 1
; COMPUTE_PGM_RSRC2:SCRATCH_EN: 1
; COMPUTE_PGM_RSRC2:USER_SGPR: 2
; COMPUTE_PGM_RSRC2:TRAP_HANDLER: 0
; COMPUTE_PGM_RSRC2:TGID_X_EN: 1
; COMPUTE_PGM_RSRC2:TGID_Y_EN: 0
; COMPUTE_PGM_RSRC2:TGID_Z_EN: 0
; COMPUTE_PGM_RSRC2:TIDIG_COMP_CNT: 0
; COMPUTE_PGM_RSRC3_GFX90A:ACCUM_OFFSET: 53
; COMPUTE_PGM_RSRC3_GFX90A:TG_SPLIT: 0
	.section	.text._ZN9rocsolver6v33100L18getri_kernel_smallILi37E19rocblas_complex_numIfEPKPS3_EEvT1_iilPiilS8_bb,"axG",@progbits,_ZN9rocsolver6v33100L18getri_kernel_smallILi37E19rocblas_complex_numIfEPKPS3_EEvT1_iilPiilS8_bb,comdat
	.globl	_ZN9rocsolver6v33100L18getri_kernel_smallILi37E19rocblas_complex_numIfEPKPS3_EEvT1_iilPiilS8_bb ; -- Begin function _ZN9rocsolver6v33100L18getri_kernel_smallILi37E19rocblas_complex_numIfEPKPS3_EEvT1_iilPiilS8_bb
	.p2align	8
	.type	_ZN9rocsolver6v33100L18getri_kernel_smallILi37E19rocblas_complex_numIfEPKPS3_EEvT1_iilPiilS8_bb,@function
_ZN9rocsolver6v33100L18getri_kernel_smallILi37E19rocblas_complex_numIfEPKPS3_EEvT1_iilPiilS8_bb: ; @_ZN9rocsolver6v33100L18getri_kernel_smallILi37E19rocblas_complex_numIfEPKPS3_EEvT1_iilPiilS8_bb
; %bb.0:
	v_cmp_gt_u32_e32 vcc, 37, v0
	s_and_saveexec_b64 s[4:5], vcc
	s_cbranch_execz .LBB100_162
; %bb.1:
	s_load_dword s14, s[0:1], 0x38
	s_load_dwordx2 s[8:9], s[0:1], 0x0
	s_load_dwordx4 s[4:7], s[0:1], 0x28
	s_waitcnt lgkmcnt(0)
	s_bitcmp1_b32 s14, 8
	s_cselect_b64 s[10:11], -1, 0
	s_ashr_i32 s3, s2, 31
	s_lshl_b64 s[12:13], s[2:3], 3
	s_add_u32 s8, s8, s12
	s_addc_u32 s9, s9, s13
	s_load_dwordx2 s[12:13], s[8:9], 0x0
	s_bfe_u32 s8, s14, 0x10008
	s_cmp_eq_u32 s8, 0
                                        ; implicit-def: $sgpr8_sgpr9
	s_cbranch_scc1 .LBB100_3
; %bb.2:
	s_load_dword s8, s[0:1], 0x20
	s_load_dwordx2 s[14:15], s[0:1], 0x18
	s_mul_i32 s9, s4, s3
	s_mul_hi_u32 s16, s4, s2
	s_add_i32 s16, s16, s9
	s_mul_i32 s5, s5, s2
	s_add_i32 s5, s16, s5
	s_mul_i32 s4, s4, s2
	s_waitcnt lgkmcnt(0)
	s_ashr_i32 s9, s8, 31
	s_lshl_b64 s[4:5], s[4:5], 2
	s_add_u32 s14, s14, s4
	s_addc_u32 s15, s15, s5
	s_lshl_b64 s[4:5], s[8:9], 2
	s_add_u32 s8, s14, s4
	s_addc_u32 s9, s15, s5
.LBB100_3:
	s_load_dwordx2 s[4:5], s[0:1], 0x8
	s_load_dword s14, s[0:1], 0x38
	v_lshlrev_b32_e32 v2, 3, v0
	v_mov_b32_e32 v3, 0
	s_waitcnt lgkmcnt(0)
	s_ashr_i32 s1, s4, 31
	s_mov_b32 s0, s4
	s_lshl_b64 s[0:1], s[0:1], 3
	s_add_u32 s0, s12, s0
	s_addc_u32 s1, s13, s1
	v_lshl_add_u64 v[114:115], s[0:1], 0, v[2:3]
	flat_load_dwordx2 v[4:5], v[114:115]
	s_mov_b32 s12, s5
	s_ashr_i32 s13, s5, 31
	v_lshl_add_u64 v[116:117], s[12:13], 3, v[114:115]
	s_add_i32 s4, s5, s5
	v_add_u32_e32 v6, s4, v0
	v_ashrrev_i32_e32 v7, 31, v6
	v_lshl_add_u64 v[118:119], v[6:7], 3, s[0:1]
	v_add_u32_e32 v6, s5, v6
	v_ashrrev_i32_e32 v7, 31, v6
	v_lshl_add_u64 v[120:121], v[6:7], 3, s[0:1]
	v_add_u32_e32 v6, s5, v6
	v_ashrrev_i32_e32 v7, 31, v6
	v_lshl_add_u64 v[122:123], v[6:7], 3, s[0:1]
	v_add_u32_e32 v6, s5, v6
	v_ashrrev_i32_e32 v7, 31, v6
	v_lshl_add_u64 v[124:125], v[6:7], 3, s[0:1]
	v_add_u32_e32 v6, s5, v6
	v_ashrrev_i32_e32 v7, 31, v6
	v_lshl_add_u64 v[126:127], v[6:7], 3, s[0:1]
	v_add_u32_e32 v6, s5, v6
	v_ashrrev_i32_e32 v7, 31, v6
	v_lshl_add_u64 v[128:129], v[6:7], 3, s[0:1]
	v_add_u32_e32 v6, s5, v6
	v_ashrrev_i32_e32 v7, 31, v6
	v_lshl_add_u64 v[130:131], v[6:7], 3, s[0:1]
	v_add_u32_e32 v6, s5, v6
	v_ashrrev_i32_e32 v7, 31, v6
	v_lshl_add_u64 v[132:133], v[6:7], 3, s[0:1]
	v_add_u32_e32 v6, s5, v6
	v_ashrrev_i32_e32 v7, 31, v6
	v_lshl_add_u64 v[134:135], v[6:7], 3, s[0:1]
	v_add_u32_e32 v6, s5, v6
	v_ashrrev_i32_e32 v7, 31, v6
	v_lshl_add_u64 v[136:137], v[6:7], 3, s[0:1]
	v_add_u32_e32 v6, s5, v6
	v_ashrrev_i32_e32 v7, 31, v6
	v_lshl_add_u64 v[138:139], v[6:7], 3, s[0:1]
	v_add_u32_e32 v6, s5, v6
	v_ashrrev_i32_e32 v7, 31, v6
	v_lshl_add_u64 v[140:141], v[6:7], 3, s[0:1]
	v_add_u32_e32 v6, s5, v6
	v_ashrrev_i32_e32 v7, 31, v6
	v_lshl_add_u64 v[142:143], v[6:7], 3, s[0:1]
	v_add_u32_e32 v6, s5, v6
	v_ashrrev_i32_e32 v7, 31, v6
	v_lshl_add_u64 v[144:145], v[6:7], 3, s[0:1]
	v_add_u32_e32 v6, s5, v6
	v_ashrrev_i32_e32 v7, 31, v6
	v_lshl_add_u64 v[146:147], v[6:7], 3, s[0:1]
	v_add_u32_e32 v6, s5, v6
	v_ashrrev_i32_e32 v7, 31, v6
	v_lshl_add_u64 v[148:149], v[6:7], 3, s[0:1]
	v_add_u32_e32 v6, s5, v6
	v_ashrrev_i32_e32 v7, 31, v6
	v_lshl_add_u64 v[150:151], v[6:7], 3, s[0:1]
	v_add_u32_e32 v6, s5, v6
	v_ashrrev_i32_e32 v7, 31, v6
	v_lshl_add_u64 v[152:153], v[6:7], 3, s[0:1]
	v_add_u32_e32 v6, s5, v6
	v_ashrrev_i32_e32 v7, 31, v6
	v_lshl_add_u64 v[154:155], v[6:7], 3, s[0:1]
	v_add_u32_e32 v6, s5, v6
	v_ashrrev_i32_e32 v7, 31, v6
	v_lshl_add_u64 v[156:157], v[6:7], 3, s[0:1]
	v_add_u32_e32 v6, s5, v6
	v_ashrrev_i32_e32 v7, 31, v6
	v_lshl_add_u64 v[158:159], v[6:7], 3, s[0:1]
	v_add_u32_e32 v6, s5, v6
	v_ashrrev_i32_e32 v7, 31, v6
	v_lshl_add_u64 v[160:161], v[6:7], 3, s[0:1]
	v_add_u32_e32 v6, s5, v6
	v_ashrrev_i32_e32 v7, 31, v6
	v_lshl_add_u64 v[162:163], v[6:7], 3, s[0:1]
	v_add_u32_e32 v6, s5, v6
	v_ashrrev_i32_e32 v7, 31, v6
	v_lshl_add_u64 v[164:165], v[6:7], 3, s[0:1]
	v_add_u32_e32 v6, s5, v6
	v_ashrrev_i32_e32 v7, 31, v6
	v_lshl_add_u64 v[166:167], v[6:7], 3, s[0:1]
	s_waitcnt vmcnt(0) lgkmcnt(0)
	scratch_store_dwordx2 off, v[4:5], off
	flat_load_dwordx2 v[4:5], v[116:117]
	v_add_u32_e32 v6, s5, v6
	v_ashrrev_i32_e32 v7, 31, v6
	v_lshl_add_u64 v[168:169], v[6:7], 3, s[0:1]
	v_add_u32_e32 v6, s5, v6
	v_ashrrev_i32_e32 v7, 31, v6
	v_lshl_add_u64 v[170:171], v[6:7], 3, s[0:1]
	;; [unrolled: 3-line block ×10, first 2 shown]
	s_bitcmp0_b32 s14, 0
	s_mov_b64 s[4:5], -1
	s_waitcnt vmcnt(0) lgkmcnt(0)
	scratch_store_dwordx2 off, v[4:5], off offset:8
	flat_load_dwordx2 v[4:5], v[118:119]
	s_waitcnt vmcnt(0) lgkmcnt(0)
	scratch_store_dwordx2 off, v[4:5], off offset:16
	flat_load_dwordx2 v[4:5], v[120:121]
	;; [unrolled: 3-line block ×35, first 2 shown]
	s_waitcnt vmcnt(0) lgkmcnt(0)
	scratch_store_dwordx2 off, v[4:5], off offset:288
	s_cbranch_scc1 .LBB100_160
; %bb.4:
	v_cmp_eq_u32_e64 s[0:1], 0, v0
	s_and_saveexec_b64 s[4:5], s[0:1]
; %bb.5:
	v_mov_b32_e32 v1, 0
	ds_write_b32 v1, v1 offset:296
; %bb.6:
	s_or_b64 exec, exec, s[4:5]
	s_waitcnt lgkmcnt(0)
	; wave barrier
	scratch_load_dwordx2 v[4:5], v2, off
	s_waitcnt vmcnt(0)
	v_cmp_eq_f32_e32 vcc, 0, v4
	v_cmp_eq_f32_e64 s[4:5], 0, v5
	s_and_b64 s[4:5], vcc, s[4:5]
	s_and_saveexec_b64 s[12:13], s[4:5]
	s_cbranch_execz .LBB100_10
; %bb.7:
	v_mov_b32_e32 v1, 0
	ds_read_b32 v4, v1 offset:296
	v_add_u32_e32 v3, 1, v0
	s_waitcnt lgkmcnt(0)
	v_readfirstlane_b32 s4, v4
	s_cmp_eq_u32 s4, 0
	s_cselect_b64 s[14:15], -1, 0
	v_cmp_gt_i32_e32 vcc, s4, v3
	s_or_b64 s[14:15], s[14:15], vcc
	s_and_b64 exec, exec, s[14:15]
	s_cbranch_execz .LBB100_10
; %bb.8:
	s_mov_b64 s[14:15], 0
	v_mov_b32_e32 v4, s4
.LBB100_9:                              ; =>This Inner Loop Header: Depth=1
	ds_cmpst_rtn_b32 v4, v1, v4, v3 offset:296
	s_waitcnt lgkmcnt(0)
	v_cmp_ne_u32_e32 vcc, 0, v4
	v_cmp_le_i32_e64 s[4:5], v4, v3
	s_and_b64 s[4:5], vcc, s[4:5]
	s_and_b64 s[4:5], exec, s[4:5]
	s_or_b64 s[14:15], s[4:5], s[14:15]
	s_andn2_b64 exec, exec, s[14:15]
	s_cbranch_execnz .LBB100_9
.LBB100_10:
	s_or_b64 exec, exec, s[12:13]
	v_mov_b32_e32 v3, 0
	; wave barrier
	ds_read_b32 v1, v3 offset:296
	s_and_saveexec_b64 s[4:5], s[0:1]
	s_cbranch_execz .LBB100_12
; %bb.11:
	s_lshl_b64 s[12:13], s[2:3], 2
	s_add_u32 s12, s6, s12
	s_addc_u32 s13, s7, s13
	s_waitcnt lgkmcnt(0)
	global_store_dword v3, v1, s[12:13]
.LBB100_12:
	s_or_b64 exec, exec, s[4:5]
	s_waitcnt lgkmcnt(0)
	v_cmp_ne_u32_e32 vcc, 0, v1
	s_mov_b64 s[4:5], 0
	s_cbranch_vccnz .LBB100_160
; %bb.13:
	v_mov_b32_e32 v3, v2
	scratch_load_dwordx2 v[4:5], v3, off
                                        ; implicit-def: $vgpr7
                                        ; implicit-def: $vgpr8
	s_waitcnt vmcnt(0)
	v_cmp_ngt_f32_e64 s[4:5], |v4|, |v5|
	s_and_saveexec_b64 s[12:13], s[4:5]
	s_xor_b64 s[4:5], exec, s[12:13]
	s_cbranch_execz .LBB100_15
; %bb.14:
	v_div_scale_f32 v1, s[12:13], v5, v5, v4
	v_rcp_f32_e32 v6, v1
	v_div_scale_f32 v7, vcc, v4, v5, v4
	v_fma_f32 v8, -v1, v6, 1.0
	v_fmac_f32_e32 v6, v8, v6
	v_mul_f32_e32 v8, v7, v6
	v_fma_f32 v9, -v1, v8, v7
	v_fmac_f32_e32 v8, v9, v6
	v_fma_f32 v1, -v1, v8, v7
	v_div_fmas_f32 v1, v1, v6, v8
	v_div_fixup_f32 v1, v1, v5, v4
	v_fmac_f32_e32 v5, v4, v1
	v_div_scale_f32 v4, s[12:13], v5, v5, -1.0
	v_rcp_f32_e32 v6, v4
	s_nop 0
	v_fma_f32 v7, -v4, v6, 1.0
	v_fmac_f32_e32 v6, v7, v6
	v_div_scale_f32 v7, vcc, -1.0, v5, -1.0
	v_mul_f32_e32 v8, v7, v6
	v_fma_f32 v9, -v4, v8, v7
	v_fmac_f32_e32 v8, v9, v6
	v_fma_f32 v4, -v4, v8, v7
	v_div_fmas_f32 v4, v4, v6, v8
	v_div_fixup_f32 v7, v4, v5, -1.0
	v_mul_f32_e32 v8, v1, v7
	v_xor_b32_e32 v6, 0x80000000, v8
                                        ; implicit-def: $vgpr4_vgpr5
.LBB100_15:
	s_andn2_saveexec_b64 s[4:5], s[4:5]
	s_cbranch_execz .LBB100_17
; %bb.16:
	v_div_scale_f32 v1, s[12:13], v4, v4, v5
	v_rcp_f32_e32 v6, v1
	v_div_scale_f32 v7, vcc, v5, v4, v5
	v_fma_f32 v8, -v1, v6, 1.0
	v_fmac_f32_e32 v6, v8, v6
	v_mul_f32_e32 v8, v7, v6
	v_fma_f32 v9, -v1, v8, v7
	v_fmac_f32_e32 v8, v9, v6
	v_fma_f32 v1, -v1, v8, v7
	v_div_fmas_f32 v1, v1, v6, v8
	v_div_fixup_f32 v1, v1, v4, v5
	v_fmac_f32_e32 v4, v5, v1
	v_div_scale_f32 v5, s[12:13], v4, v4, 1.0
	v_rcp_f32_e32 v6, v5
	s_nop 0
	v_fma_f32 v7, -v5, v6, 1.0
	v_fmac_f32_e32 v6, v7, v6
	v_div_scale_f32 v7, vcc, 1.0, v4, 1.0
	v_mul_f32_e32 v8, v7, v6
	v_fma_f32 v9, -v5, v8, v7
	v_fmac_f32_e32 v8, v9, v6
	v_fma_f32 v5, -v5, v8, v7
	v_div_fmas_f32 v5, v5, v6, v8
	v_div_fixup_f32 v6, v5, v4, 1.0
	v_xor_b32_e32 v8, 0x80000000, v6
	v_mul_f32_e64 v7, v1, -v6
.LBB100_17:
	s_or_b64 exec, exec, s[4:5]
	scratch_store_dwordx2 v3, v[6:7], off
	scratch_load_dwordx2 v[4:5], off, off offset:8
	v_xor_b32_e32 v9, 0x80000000, v7
	v_add_u32_e32 v1, 0x130, v2
	s_waitcnt vmcnt(0)
	ds_write2_b64 v2, v[8:9], v[4:5] offset1:38
	s_waitcnt lgkmcnt(0)
	; wave barrier
	s_and_saveexec_b64 s[4:5], s[0:1]
	s_cbranch_execz .LBB100_19
; %bb.18:
	scratch_load_dwordx2 v[4:5], v3, off
	ds_read_b64 v[6:7], v1
	v_mov_b32_e32 v8, 0
	ds_read_b64 v[8:9], v8 offset:8
	s_waitcnt vmcnt(0) lgkmcnt(1)
	v_pk_mul_f32 v[10:11], v[6:7], v[4:5] op_sel:[1,1] op_sel_hi:[0,1]
	v_pk_fma_f32 v[12:13], v[6:7], v[4:5], v[10:11] neg_lo:[0,0,1] neg_hi:[0,0,1]
	v_pk_fma_f32 v[4:5], v[6:7], v[4:5], v[10:11] op_sel_hi:[1,0,1]
	s_nop 0
	v_mov_b32_e32 v13, v5
	v_pk_add_f32 v[4:5], v[12:13], 0 op_sel_hi:[1,0]
	s_waitcnt lgkmcnt(0)
	v_pk_mul_f32 v[6:7], v[4:5], v[8:9] op_sel:[1,1] op_sel_hi:[0,1]
	v_pk_fma_f32 v[10:11], v[4:5], v[8:9], v[6:7] neg_lo:[0,0,1] neg_hi:[0,0,1]
	v_pk_fma_f32 v[4:5], v[4:5], v[8:9], v[6:7] op_sel_hi:[1,0,1]
	s_nop 0
	v_mov_b32_e32 v11, v5
	scratch_store_dwordx2 off, v[10:11], off offset:8
.LBB100_19:
	s_or_b64 exec, exec, s[4:5]
	; wave barrier
	scratch_load_dwordx2 v[4:5], off, off offset:16
	v_cmp_gt_u32_e32 vcc, 2, v0
	s_waitcnt vmcnt(0)
	ds_write_b64 v1, v[4:5]
	s_waitcnt lgkmcnt(0)
	; wave barrier
	s_and_saveexec_b64 s[4:5], vcc
	s_cbranch_execz .LBB100_23
; %bb.20:
	scratch_load_dwordx2 v[4:5], v3, off
	ds_read_b64 v[6:7], v1
	s_waitcnt vmcnt(0) lgkmcnt(0)
	v_pk_mul_f32 v[8:9], v[6:7], v[4:5] op_sel:[1,1] op_sel_hi:[0,1]
	v_pk_fma_f32 v[10:11], v[6:7], v[4:5], v[8:9] neg_lo:[0,0,1] neg_hi:[0,0,1]
	v_pk_fma_f32 v[4:5], v[6:7], v[4:5], v[8:9] op_sel_hi:[1,0,1]
	s_nop 0
	v_mov_b32_e32 v11, v5
	v_pk_add_f32 v[4:5], v[10:11], 0 op_sel_hi:[1,0]
	s_and_saveexec_b64 s[12:13], s[0:1]
	s_cbranch_execz .LBB100_22
; %bb.21:
	scratch_load_dwordx2 v[6:7], off, off offset:8
	v_mov_b32_e32 v3, 0
	ds_read_b64 v[8:9], v3 offset:312
	s_waitcnt vmcnt(0) lgkmcnt(0)
	v_pk_mul_f32 v[10:11], v[8:9], v[6:7] op_sel:[1,1] op_sel_hi:[0,1]
	v_pk_fma_f32 v[12:13], v[8:9], v[6:7], v[10:11] neg_lo:[0,0,1] neg_hi:[0,0,1]
	v_pk_fma_f32 v[6:7], v[8:9], v[6:7], v[10:11] op_sel_hi:[1,0,1]
	s_nop 0
	v_mov_b32_e32 v13, v7
	v_pk_add_f32 v[4:5], v[4:5], v[12:13]
.LBB100_22:
	s_or_b64 exec, exec, s[12:13]
	v_mov_b32_e32 v3, 0
	ds_read_b64 v[6:7], v3 offset:16
	s_waitcnt lgkmcnt(0)
	v_pk_mul_f32 v[8:9], v[4:5], v[6:7] op_sel:[1,1] op_sel_hi:[0,1]
	v_pk_fma_f32 v[10:11], v[4:5], v[6:7], v[8:9] neg_lo:[0,0,1] neg_hi:[0,0,1]
	v_pk_fma_f32 v[4:5], v[4:5], v[6:7], v[8:9] op_sel_hi:[1,0,1]
	s_nop 0
	v_mov_b32_e32 v11, v5
	scratch_store_dwordx2 off, v[10:11], off offset:16
.LBB100_23:
	s_or_b64 exec, exec, s[4:5]
	; wave barrier
	scratch_load_dwordx2 v[4:5], off, off offset:24
	v_cmp_gt_u32_e32 vcc, 3, v0
	v_add_u32_e32 v6, -1, v0
	s_waitcnt vmcnt(0)
	ds_write_b64 v1, v[4:5]
	s_waitcnt lgkmcnt(0)
	; wave barrier
	s_and_saveexec_b64 s[0:1], vcc
	s_cbranch_execz .LBB100_27
; %bb.24:
	v_mov_b32_e32 v4, 0
	v_add_u32_e32 v3, -1, v0
	v_add_u32_e32 v7, 0x130, v2
	v_mov_b32_e32 v8, v2
	s_mov_b64 s[4:5], 0
	v_mov_b32_e32 v5, v4
.LBB100_25:                             ; =>This Inner Loop Header: Depth=1
	scratch_load_dwordx2 v[10:11], v8, off
	ds_read_b64 v[12:13], v7
	v_add_u32_e32 v3, 1, v3
	v_cmp_lt_u32_e32 vcc, 1, v3
	v_add_u32_e32 v7, 8, v7
	v_add_u32_e32 v8, 8, v8
	s_or_b64 s[4:5], vcc, s[4:5]
	s_waitcnt vmcnt(0) lgkmcnt(0)
	v_pk_mul_f32 v[14:15], v[12:13], v[10:11] op_sel:[1,1] op_sel_hi:[0,1]
	v_pk_fma_f32 v[16:17], v[12:13], v[10:11], v[14:15] neg_lo:[0,0,1] neg_hi:[0,0,1]
	v_pk_fma_f32 v[10:11], v[12:13], v[10:11], v[14:15] op_sel_hi:[1,0,1]
	s_nop 0
	v_mov_b32_e32 v17, v11
	v_pk_add_f32 v[4:5], v[4:5], v[16:17]
	s_andn2_b64 exec, exec, s[4:5]
	s_cbranch_execnz .LBB100_25
; %bb.26:
	s_or_b64 exec, exec, s[4:5]
	v_mov_b32_e32 v3, 0
	ds_read_b64 v[8:9], v3 offset:24
	s_waitcnt lgkmcnt(0)
	v_pk_mul_f32 v[10:11], v[4:5], v[8:9] op_sel:[1,1] op_sel_hi:[0,1]
	v_pk_fma_f32 v[12:13], v[4:5], v[8:9], v[10:11] neg_lo:[0,0,1] neg_hi:[0,0,1]
	v_pk_fma_f32 v[4:5], v[4:5], v[8:9], v[10:11] op_sel_hi:[1,0,1]
	s_nop 0
	v_mov_b32_e32 v13, v5
	scratch_store_dwordx2 off, v[12:13], off offset:24
.LBB100_27:
	s_or_b64 exec, exec, s[0:1]
	; wave barrier
	scratch_load_dwordx2 v[4:5], off, off offset:32
	v_cmp_gt_u32_e32 vcc, 4, v0
	s_waitcnt vmcnt(0)
	ds_write_b64 v1, v[4:5]
	s_waitcnt lgkmcnt(0)
	; wave barrier
	s_and_saveexec_b64 s[0:1], vcc
	s_cbranch_execz .LBB100_31
; %bb.28:
	v_mov_b32_e32 v4, 0
	v_add_u32_e32 v3, -1, v0
	v_add_u32_e32 v7, 0x130, v2
	v_mov_b32_e32 v8, v2
	s_mov_b64 s[4:5], 0
	v_mov_b32_e32 v5, v4
.LBB100_29:                             ; =>This Inner Loop Header: Depth=1
	scratch_load_dwordx2 v[10:11], v8, off
	ds_read_b64 v[12:13], v7
	v_add_u32_e32 v3, 1, v3
	v_cmp_lt_u32_e32 vcc, 2, v3
	v_add_u32_e32 v7, 8, v7
	v_add_u32_e32 v8, 8, v8
	s_or_b64 s[4:5], vcc, s[4:5]
	s_waitcnt vmcnt(0) lgkmcnt(0)
	v_pk_mul_f32 v[14:15], v[12:13], v[10:11] op_sel:[1,1] op_sel_hi:[0,1]
	v_pk_fma_f32 v[16:17], v[12:13], v[10:11], v[14:15] neg_lo:[0,0,1] neg_hi:[0,0,1]
	v_pk_fma_f32 v[10:11], v[12:13], v[10:11], v[14:15] op_sel_hi:[1,0,1]
	s_nop 0
	v_mov_b32_e32 v17, v11
	v_pk_add_f32 v[4:5], v[4:5], v[16:17]
	s_andn2_b64 exec, exec, s[4:5]
	s_cbranch_execnz .LBB100_29
; %bb.30:
	s_or_b64 exec, exec, s[4:5]
	v_mov_b32_e32 v3, 0
	ds_read_b64 v[8:9], v3 offset:32
	s_waitcnt lgkmcnt(0)
	v_pk_mul_f32 v[10:11], v[4:5], v[8:9] op_sel:[1,1] op_sel_hi:[0,1]
	v_pk_fma_f32 v[12:13], v[4:5], v[8:9], v[10:11] neg_lo:[0,0,1] neg_hi:[0,0,1]
	v_pk_fma_f32 v[4:5], v[4:5], v[8:9], v[10:11] op_sel_hi:[1,0,1]
	s_nop 0
	v_mov_b32_e32 v13, v5
	scratch_store_dwordx2 off, v[12:13], off offset:32
.LBB100_31:
	s_or_b64 exec, exec, s[0:1]
	; wave barrier
	scratch_load_dwordx2 v[4:5], off, off offset:40
	v_cmp_gt_u32_e32 vcc, 5, v0
	;; [unrolled: 46-line block ×19, first 2 shown]
	s_waitcnt vmcnt(0)
	ds_write_b64 v1, v[4:5]
	s_waitcnt lgkmcnt(0)
	; wave barrier
	s_and_saveexec_b64 s[0:1], vcc
	s_cbranch_execz .LBB100_103
; %bb.100:
	v_mov_b32_e32 v4, 0
	v_add_u32_e32 v3, -1, v0
	v_add_u32_e32 v7, 0x130, v2
	v_mov_b32_e32 v8, v2
	s_mov_b64 s[4:5], 0
	v_mov_b32_e32 v5, v4
.LBB100_101:                            ; =>This Inner Loop Header: Depth=1
	scratch_load_dwordx2 v[10:11], v8, off
	ds_read_b64 v[12:13], v7
	v_add_u32_e32 v3, 1, v3
	v_cmp_lt_u32_e32 vcc, 20, v3
	v_add_u32_e32 v7, 8, v7
	v_add_u32_e32 v8, 8, v8
	s_or_b64 s[4:5], vcc, s[4:5]
	s_waitcnt vmcnt(0) lgkmcnt(0)
	v_pk_mul_f32 v[14:15], v[12:13], v[10:11] op_sel:[1,1] op_sel_hi:[0,1]
	v_pk_fma_f32 v[16:17], v[12:13], v[10:11], v[14:15] neg_lo:[0,0,1] neg_hi:[0,0,1]
	v_pk_fma_f32 v[10:11], v[12:13], v[10:11], v[14:15] op_sel_hi:[1,0,1]
	s_nop 0
	v_mov_b32_e32 v17, v11
	v_pk_add_f32 v[4:5], v[4:5], v[16:17]
	s_andn2_b64 exec, exec, s[4:5]
	s_cbranch_execnz .LBB100_101
; %bb.102:
	s_or_b64 exec, exec, s[4:5]
	v_mov_b32_e32 v3, 0
	ds_read_b64 v[8:9], v3 offset:176
	s_waitcnt lgkmcnt(0)
	v_pk_mul_f32 v[10:11], v[4:5], v[8:9] op_sel:[1,1] op_sel_hi:[0,1]
	v_pk_fma_f32 v[12:13], v[4:5], v[8:9], v[10:11] neg_lo:[0,0,1] neg_hi:[0,0,1]
	v_pk_fma_f32 v[4:5], v[4:5], v[8:9], v[10:11] op_sel_hi:[1,0,1]
	s_nop 0
	v_mov_b32_e32 v13, v5
	scratch_store_dwordx2 off, v[12:13], off offset:176
.LBB100_103:
	s_or_b64 exec, exec, s[0:1]
	; wave barrier
	scratch_load_dwordx2 v[4:5], off, off offset:184
	v_cmp_gt_u32_e32 vcc, 23, v0
	s_waitcnt vmcnt(0)
	ds_write_b64 v1, v[4:5]
	s_waitcnt lgkmcnt(0)
	; wave barrier
	s_and_saveexec_b64 s[0:1], vcc
	s_cbranch_execz .LBB100_107
; %bb.104:
	v_mov_b32_e32 v4, 0
	v_add_u32_e32 v3, -1, v0
	v_add_u32_e32 v7, 0x130, v2
	v_mov_b32_e32 v8, v2
	s_mov_b64 s[4:5], 0
	v_mov_b32_e32 v5, v4
.LBB100_105:                            ; =>This Inner Loop Header: Depth=1
	scratch_load_dwordx2 v[10:11], v8, off
	ds_read_b64 v[12:13], v7
	v_add_u32_e32 v3, 1, v3
	v_cmp_lt_u32_e32 vcc, 21, v3
	v_add_u32_e32 v7, 8, v7
	v_add_u32_e32 v8, 8, v8
	s_or_b64 s[4:5], vcc, s[4:5]
	s_waitcnt vmcnt(0) lgkmcnt(0)
	v_pk_mul_f32 v[14:15], v[12:13], v[10:11] op_sel:[1,1] op_sel_hi:[0,1]
	v_pk_fma_f32 v[16:17], v[12:13], v[10:11], v[14:15] neg_lo:[0,0,1] neg_hi:[0,0,1]
	v_pk_fma_f32 v[10:11], v[12:13], v[10:11], v[14:15] op_sel_hi:[1,0,1]
	s_nop 0
	v_mov_b32_e32 v17, v11
	v_pk_add_f32 v[4:5], v[4:5], v[16:17]
	s_andn2_b64 exec, exec, s[4:5]
	s_cbranch_execnz .LBB100_105
; %bb.106:
	s_or_b64 exec, exec, s[4:5]
	v_mov_b32_e32 v3, 0
	ds_read_b64 v[8:9], v3 offset:184
	s_waitcnt lgkmcnt(0)
	v_pk_mul_f32 v[10:11], v[4:5], v[8:9] op_sel:[1,1] op_sel_hi:[0,1]
	v_pk_fma_f32 v[12:13], v[4:5], v[8:9], v[10:11] neg_lo:[0,0,1] neg_hi:[0,0,1]
	v_pk_fma_f32 v[4:5], v[4:5], v[8:9], v[10:11] op_sel_hi:[1,0,1]
	s_nop 0
	v_mov_b32_e32 v13, v5
	scratch_store_dwordx2 off, v[12:13], off offset:184
.LBB100_107:
	s_or_b64 exec, exec, s[0:1]
	; wave barrier
	scratch_load_dwordx2 v[4:5], off, off offset:192
	v_cmp_gt_u32_e32 vcc, 24, v0
	s_waitcnt vmcnt(0)
	ds_write_b64 v1, v[4:5]
	s_waitcnt lgkmcnt(0)
	; wave barrier
	s_and_saveexec_b64 s[0:1], vcc
	s_cbranch_execz .LBB100_111
; %bb.108:
	v_mov_b32_e32 v4, 0
	v_add_u32_e32 v3, -1, v0
	v_add_u32_e32 v7, 0x130, v2
	v_mov_b32_e32 v8, v2
	s_mov_b64 s[4:5], 0
	v_mov_b32_e32 v5, v4
.LBB100_109:                            ; =>This Inner Loop Header: Depth=1
	scratch_load_dwordx2 v[10:11], v8, off
	ds_read_b64 v[12:13], v7
	v_add_u32_e32 v3, 1, v3
	v_cmp_lt_u32_e32 vcc, 22, v3
	v_add_u32_e32 v7, 8, v7
	v_add_u32_e32 v8, 8, v8
	s_or_b64 s[4:5], vcc, s[4:5]
	s_waitcnt vmcnt(0) lgkmcnt(0)
	v_pk_mul_f32 v[14:15], v[12:13], v[10:11] op_sel:[1,1] op_sel_hi:[0,1]
	v_pk_fma_f32 v[16:17], v[12:13], v[10:11], v[14:15] neg_lo:[0,0,1] neg_hi:[0,0,1]
	v_pk_fma_f32 v[10:11], v[12:13], v[10:11], v[14:15] op_sel_hi:[1,0,1]
	s_nop 0
	v_mov_b32_e32 v17, v11
	v_pk_add_f32 v[4:5], v[4:5], v[16:17]
	s_andn2_b64 exec, exec, s[4:5]
	s_cbranch_execnz .LBB100_109
; %bb.110:
	s_or_b64 exec, exec, s[4:5]
	v_mov_b32_e32 v3, 0
	ds_read_b64 v[8:9], v3 offset:192
	s_waitcnt lgkmcnt(0)
	v_pk_mul_f32 v[10:11], v[4:5], v[8:9] op_sel:[1,1] op_sel_hi:[0,1]
	v_pk_fma_f32 v[12:13], v[4:5], v[8:9], v[10:11] neg_lo:[0,0,1] neg_hi:[0,0,1]
	v_pk_fma_f32 v[4:5], v[4:5], v[8:9], v[10:11] op_sel_hi:[1,0,1]
	s_nop 0
	v_mov_b32_e32 v13, v5
	scratch_store_dwordx2 off, v[12:13], off offset:192
.LBB100_111:
	s_or_b64 exec, exec, s[0:1]
	; wave barrier
	scratch_load_dwordx2 v[4:5], off, off offset:200
	v_cmp_gt_u32_e32 vcc, 25, v0
	s_waitcnt vmcnt(0)
	ds_write_b64 v1, v[4:5]
	s_waitcnt lgkmcnt(0)
	; wave barrier
	s_and_saveexec_b64 s[0:1], vcc
	s_cbranch_execz .LBB100_115
; %bb.112:
	v_mov_b32_e32 v4, 0
	v_add_u32_e32 v3, -1, v0
	v_add_u32_e32 v7, 0x130, v2
	v_mov_b32_e32 v8, v2
	s_mov_b64 s[4:5], 0
	v_mov_b32_e32 v5, v4
.LBB100_113:                            ; =>This Inner Loop Header: Depth=1
	scratch_load_dwordx2 v[10:11], v8, off
	ds_read_b64 v[12:13], v7
	v_add_u32_e32 v3, 1, v3
	v_cmp_lt_u32_e32 vcc, 23, v3
	v_add_u32_e32 v7, 8, v7
	v_add_u32_e32 v8, 8, v8
	s_or_b64 s[4:5], vcc, s[4:5]
	s_waitcnt vmcnt(0) lgkmcnt(0)
	v_pk_mul_f32 v[14:15], v[12:13], v[10:11] op_sel:[1,1] op_sel_hi:[0,1]
	v_pk_fma_f32 v[16:17], v[12:13], v[10:11], v[14:15] neg_lo:[0,0,1] neg_hi:[0,0,1]
	v_pk_fma_f32 v[10:11], v[12:13], v[10:11], v[14:15] op_sel_hi:[1,0,1]
	s_nop 0
	v_mov_b32_e32 v17, v11
	v_pk_add_f32 v[4:5], v[4:5], v[16:17]
	s_andn2_b64 exec, exec, s[4:5]
	s_cbranch_execnz .LBB100_113
; %bb.114:
	s_or_b64 exec, exec, s[4:5]
	v_mov_b32_e32 v3, 0
	ds_read_b64 v[8:9], v3 offset:200
	s_waitcnt lgkmcnt(0)
	v_pk_mul_f32 v[10:11], v[4:5], v[8:9] op_sel:[1,1] op_sel_hi:[0,1]
	v_pk_fma_f32 v[12:13], v[4:5], v[8:9], v[10:11] neg_lo:[0,0,1] neg_hi:[0,0,1]
	v_pk_fma_f32 v[4:5], v[4:5], v[8:9], v[10:11] op_sel_hi:[1,0,1]
	s_nop 0
	v_mov_b32_e32 v13, v5
	scratch_store_dwordx2 off, v[12:13], off offset:200
.LBB100_115:
	s_or_b64 exec, exec, s[0:1]
	; wave barrier
	scratch_load_dwordx2 v[4:5], off, off offset:208
	v_cmp_gt_u32_e32 vcc, 26, v0
	s_waitcnt vmcnt(0)
	ds_write_b64 v1, v[4:5]
	s_waitcnt lgkmcnt(0)
	; wave barrier
	s_and_saveexec_b64 s[0:1], vcc
	s_cbranch_execz .LBB100_119
; %bb.116:
	v_mov_b32_e32 v4, 0
	v_add_u32_e32 v3, -1, v0
	v_add_u32_e32 v7, 0x130, v2
	v_mov_b32_e32 v8, v2
	s_mov_b64 s[4:5], 0
	v_mov_b32_e32 v5, v4
.LBB100_117:                            ; =>This Inner Loop Header: Depth=1
	scratch_load_dwordx2 v[10:11], v8, off
	ds_read_b64 v[12:13], v7
	v_add_u32_e32 v3, 1, v3
	v_cmp_lt_u32_e32 vcc, 24, v3
	v_add_u32_e32 v7, 8, v7
	v_add_u32_e32 v8, 8, v8
	s_or_b64 s[4:5], vcc, s[4:5]
	s_waitcnt vmcnt(0) lgkmcnt(0)
	v_pk_mul_f32 v[14:15], v[12:13], v[10:11] op_sel:[1,1] op_sel_hi:[0,1]
	v_pk_fma_f32 v[16:17], v[12:13], v[10:11], v[14:15] neg_lo:[0,0,1] neg_hi:[0,0,1]
	v_pk_fma_f32 v[10:11], v[12:13], v[10:11], v[14:15] op_sel_hi:[1,0,1]
	s_nop 0
	v_mov_b32_e32 v17, v11
	v_pk_add_f32 v[4:5], v[4:5], v[16:17]
	s_andn2_b64 exec, exec, s[4:5]
	s_cbranch_execnz .LBB100_117
; %bb.118:
	s_or_b64 exec, exec, s[4:5]
	v_mov_b32_e32 v3, 0
	ds_read_b64 v[8:9], v3 offset:208
	s_waitcnt lgkmcnt(0)
	v_pk_mul_f32 v[10:11], v[4:5], v[8:9] op_sel:[1,1] op_sel_hi:[0,1]
	v_pk_fma_f32 v[12:13], v[4:5], v[8:9], v[10:11] neg_lo:[0,0,1] neg_hi:[0,0,1]
	v_pk_fma_f32 v[4:5], v[4:5], v[8:9], v[10:11] op_sel_hi:[1,0,1]
	s_nop 0
	v_mov_b32_e32 v13, v5
	scratch_store_dwordx2 off, v[12:13], off offset:208
.LBB100_119:
	s_or_b64 exec, exec, s[0:1]
	; wave barrier
	scratch_load_dwordx2 v[4:5], off, off offset:216
	v_cmp_gt_u32_e32 vcc, 27, v0
	s_waitcnt vmcnt(0)
	ds_write_b64 v1, v[4:5]
	s_waitcnt lgkmcnt(0)
	; wave barrier
	s_and_saveexec_b64 s[0:1], vcc
	s_cbranch_execz .LBB100_123
; %bb.120:
	v_mov_b32_e32 v4, 0
	v_add_u32_e32 v3, -1, v0
	v_add_u32_e32 v7, 0x130, v2
	v_mov_b32_e32 v8, v2
	s_mov_b64 s[4:5], 0
	v_mov_b32_e32 v5, v4
.LBB100_121:                            ; =>This Inner Loop Header: Depth=1
	scratch_load_dwordx2 v[10:11], v8, off
	ds_read_b64 v[12:13], v7
	v_add_u32_e32 v3, 1, v3
	v_cmp_lt_u32_e32 vcc, 25, v3
	v_add_u32_e32 v7, 8, v7
	v_add_u32_e32 v8, 8, v8
	s_or_b64 s[4:5], vcc, s[4:5]
	s_waitcnt vmcnt(0) lgkmcnt(0)
	v_pk_mul_f32 v[14:15], v[12:13], v[10:11] op_sel:[1,1] op_sel_hi:[0,1]
	v_pk_fma_f32 v[16:17], v[12:13], v[10:11], v[14:15] neg_lo:[0,0,1] neg_hi:[0,0,1]
	v_pk_fma_f32 v[10:11], v[12:13], v[10:11], v[14:15] op_sel_hi:[1,0,1]
	s_nop 0
	v_mov_b32_e32 v17, v11
	v_pk_add_f32 v[4:5], v[4:5], v[16:17]
	s_andn2_b64 exec, exec, s[4:5]
	s_cbranch_execnz .LBB100_121
; %bb.122:
	s_or_b64 exec, exec, s[4:5]
	v_mov_b32_e32 v3, 0
	ds_read_b64 v[8:9], v3 offset:216
	s_waitcnt lgkmcnt(0)
	v_pk_mul_f32 v[10:11], v[4:5], v[8:9] op_sel:[1,1] op_sel_hi:[0,1]
	v_pk_fma_f32 v[12:13], v[4:5], v[8:9], v[10:11] neg_lo:[0,0,1] neg_hi:[0,0,1]
	v_pk_fma_f32 v[4:5], v[4:5], v[8:9], v[10:11] op_sel_hi:[1,0,1]
	s_nop 0
	v_mov_b32_e32 v13, v5
	scratch_store_dwordx2 off, v[12:13], off offset:216
.LBB100_123:
	s_or_b64 exec, exec, s[0:1]
	; wave barrier
	scratch_load_dwordx2 v[4:5], off, off offset:224
	v_cmp_gt_u32_e32 vcc, 28, v0
	s_waitcnt vmcnt(0)
	ds_write_b64 v1, v[4:5]
	s_waitcnt lgkmcnt(0)
	; wave barrier
	s_and_saveexec_b64 s[0:1], vcc
	s_cbranch_execz .LBB100_127
; %bb.124:
	v_mov_b32_e32 v4, 0
	v_add_u32_e32 v3, -1, v0
	v_add_u32_e32 v7, 0x130, v2
	v_mov_b32_e32 v8, v2
	s_mov_b64 s[4:5], 0
	v_mov_b32_e32 v5, v4
.LBB100_125:                            ; =>This Inner Loop Header: Depth=1
	scratch_load_dwordx2 v[10:11], v8, off
	ds_read_b64 v[12:13], v7
	v_add_u32_e32 v3, 1, v3
	v_cmp_lt_u32_e32 vcc, 26, v3
	v_add_u32_e32 v7, 8, v7
	v_add_u32_e32 v8, 8, v8
	s_or_b64 s[4:5], vcc, s[4:5]
	s_waitcnt vmcnt(0) lgkmcnt(0)
	v_pk_mul_f32 v[14:15], v[12:13], v[10:11] op_sel:[1,1] op_sel_hi:[0,1]
	v_pk_fma_f32 v[16:17], v[12:13], v[10:11], v[14:15] neg_lo:[0,0,1] neg_hi:[0,0,1]
	v_pk_fma_f32 v[10:11], v[12:13], v[10:11], v[14:15] op_sel_hi:[1,0,1]
	s_nop 0
	v_mov_b32_e32 v17, v11
	v_pk_add_f32 v[4:5], v[4:5], v[16:17]
	s_andn2_b64 exec, exec, s[4:5]
	s_cbranch_execnz .LBB100_125
; %bb.126:
	s_or_b64 exec, exec, s[4:5]
	v_mov_b32_e32 v3, 0
	ds_read_b64 v[8:9], v3 offset:224
	s_waitcnt lgkmcnt(0)
	v_pk_mul_f32 v[10:11], v[4:5], v[8:9] op_sel:[1,1] op_sel_hi:[0,1]
	v_pk_fma_f32 v[12:13], v[4:5], v[8:9], v[10:11] neg_lo:[0,0,1] neg_hi:[0,0,1]
	v_pk_fma_f32 v[4:5], v[4:5], v[8:9], v[10:11] op_sel_hi:[1,0,1]
	s_nop 0
	v_mov_b32_e32 v13, v5
	scratch_store_dwordx2 off, v[12:13], off offset:224
.LBB100_127:
	s_or_b64 exec, exec, s[0:1]
	; wave barrier
	scratch_load_dwordx2 v[4:5], off, off offset:232
	v_cmp_gt_u32_e32 vcc, 29, v0
	s_waitcnt vmcnt(0)
	ds_write_b64 v1, v[4:5]
	s_waitcnt lgkmcnt(0)
	; wave barrier
	s_and_saveexec_b64 s[0:1], vcc
	s_cbranch_execz .LBB100_131
; %bb.128:
	v_mov_b32_e32 v4, 0
	v_add_u32_e32 v3, -1, v0
	v_add_u32_e32 v7, 0x130, v2
	v_mov_b32_e32 v8, v2
	s_mov_b64 s[4:5], 0
	v_mov_b32_e32 v5, v4
.LBB100_129:                            ; =>This Inner Loop Header: Depth=1
	scratch_load_dwordx2 v[10:11], v8, off
	ds_read_b64 v[12:13], v7
	v_add_u32_e32 v3, 1, v3
	v_cmp_lt_u32_e32 vcc, 27, v3
	v_add_u32_e32 v7, 8, v7
	v_add_u32_e32 v8, 8, v8
	s_or_b64 s[4:5], vcc, s[4:5]
	s_waitcnt vmcnt(0) lgkmcnt(0)
	v_pk_mul_f32 v[14:15], v[12:13], v[10:11] op_sel:[1,1] op_sel_hi:[0,1]
	v_pk_fma_f32 v[16:17], v[12:13], v[10:11], v[14:15] neg_lo:[0,0,1] neg_hi:[0,0,1]
	v_pk_fma_f32 v[10:11], v[12:13], v[10:11], v[14:15] op_sel_hi:[1,0,1]
	s_nop 0
	v_mov_b32_e32 v17, v11
	v_pk_add_f32 v[4:5], v[4:5], v[16:17]
	s_andn2_b64 exec, exec, s[4:5]
	s_cbranch_execnz .LBB100_129
; %bb.130:
	s_or_b64 exec, exec, s[4:5]
	v_mov_b32_e32 v3, 0
	ds_read_b64 v[8:9], v3 offset:232
	s_waitcnt lgkmcnt(0)
	v_pk_mul_f32 v[10:11], v[4:5], v[8:9] op_sel:[1,1] op_sel_hi:[0,1]
	v_pk_fma_f32 v[12:13], v[4:5], v[8:9], v[10:11] neg_lo:[0,0,1] neg_hi:[0,0,1]
	v_pk_fma_f32 v[4:5], v[4:5], v[8:9], v[10:11] op_sel_hi:[1,0,1]
	s_nop 0
	v_mov_b32_e32 v13, v5
	scratch_store_dwordx2 off, v[12:13], off offset:232
.LBB100_131:
	s_or_b64 exec, exec, s[0:1]
	; wave barrier
	scratch_load_dwordx2 v[4:5], off, off offset:240
	v_cmp_gt_u32_e32 vcc, 30, v0
	s_waitcnt vmcnt(0)
	ds_write_b64 v1, v[4:5]
	s_waitcnt lgkmcnt(0)
	; wave barrier
	s_and_saveexec_b64 s[0:1], vcc
	s_cbranch_execz .LBB100_135
; %bb.132:
	v_mov_b32_e32 v4, 0
	v_add_u32_e32 v3, -1, v0
	v_add_u32_e32 v7, 0x130, v2
	v_mov_b32_e32 v8, v2
	s_mov_b64 s[4:5], 0
	v_mov_b32_e32 v5, v4
.LBB100_133:                            ; =>This Inner Loop Header: Depth=1
	scratch_load_dwordx2 v[10:11], v8, off
	ds_read_b64 v[12:13], v7
	v_add_u32_e32 v3, 1, v3
	v_cmp_lt_u32_e32 vcc, 28, v3
	v_add_u32_e32 v7, 8, v7
	v_add_u32_e32 v8, 8, v8
	s_or_b64 s[4:5], vcc, s[4:5]
	s_waitcnt vmcnt(0) lgkmcnt(0)
	v_pk_mul_f32 v[14:15], v[12:13], v[10:11] op_sel:[1,1] op_sel_hi:[0,1]
	v_pk_fma_f32 v[16:17], v[12:13], v[10:11], v[14:15] neg_lo:[0,0,1] neg_hi:[0,0,1]
	v_pk_fma_f32 v[10:11], v[12:13], v[10:11], v[14:15] op_sel_hi:[1,0,1]
	s_nop 0
	v_mov_b32_e32 v17, v11
	v_pk_add_f32 v[4:5], v[4:5], v[16:17]
	s_andn2_b64 exec, exec, s[4:5]
	s_cbranch_execnz .LBB100_133
; %bb.134:
	s_or_b64 exec, exec, s[4:5]
	v_mov_b32_e32 v3, 0
	ds_read_b64 v[8:9], v3 offset:240
	s_waitcnt lgkmcnt(0)
	v_pk_mul_f32 v[10:11], v[4:5], v[8:9] op_sel:[1,1] op_sel_hi:[0,1]
	v_pk_fma_f32 v[12:13], v[4:5], v[8:9], v[10:11] neg_lo:[0,0,1] neg_hi:[0,0,1]
	v_pk_fma_f32 v[4:5], v[4:5], v[8:9], v[10:11] op_sel_hi:[1,0,1]
	s_nop 0
	v_mov_b32_e32 v13, v5
	scratch_store_dwordx2 off, v[12:13], off offset:240
.LBB100_135:
	s_or_b64 exec, exec, s[0:1]
	; wave barrier
	scratch_load_dwordx2 v[4:5], off, off offset:248
	v_cmp_gt_u32_e32 vcc, 31, v0
	s_waitcnt vmcnt(0)
	ds_write_b64 v1, v[4:5]
	s_waitcnt lgkmcnt(0)
	; wave barrier
	s_and_saveexec_b64 s[0:1], vcc
	s_cbranch_execz .LBB100_139
; %bb.136:
	v_mov_b32_e32 v4, 0
	v_add_u32_e32 v3, -1, v0
	v_add_u32_e32 v7, 0x130, v2
	v_mov_b32_e32 v8, v2
	s_mov_b64 s[4:5], 0
	v_mov_b32_e32 v5, v4
.LBB100_137:                            ; =>This Inner Loop Header: Depth=1
	scratch_load_dwordx2 v[10:11], v8, off
	ds_read_b64 v[12:13], v7
	v_add_u32_e32 v3, 1, v3
	v_cmp_lt_u32_e32 vcc, 29, v3
	v_add_u32_e32 v7, 8, v7
	v_add_u32_e32 v8, 8, v8
	s_or_b64 s[4:5], vcc, s[4:5]
	s_waitcnt vmcnt(0) lgkmcnt(0)
	v_pk_mul_f32 v[14:15], v[12:13], v[10:11] op_sel:[1,1] op_sel_hi:[0,1]
	v_pk_fma_f32 v[16:17], v[12:13], v[10:11], v[14:15] neg_lo:[0,0,1] neg_hi:[0,0,1]
	v_pk_fma_f32 v[10:11], v[12:13], v[10:11], v[14:15] op_sel_hi:[1,0,1]
	s_nop 0
	v_mov_b32_e32 v17, v11
	v_pk_add_f32 v[4:5], v[4:5], v[16:17]
	s_andn2_b64 exec, exec, s[4:5]
	s_cbranch_execnz .LBB100_137
; %bb.138:
	s_or_b64 exec, exec, s[4:5]
	v_mov_b32_e32 v3, 0
	ds_read_b64 v[8:9], v3 offset:248
	s_waitcnt lgkmcnt(0)
	v_pk_mul_f32 v[10:11], v[4:5], v[8:9] op_sel:[1,1] op_sel_hi:[0,1]
	v_pk_fma_f32 v[12:13], v[4:5], v[8:9], v[10:11] neg_lo:[0,0,1] neg_hi:[0,0,1]
	v_pk_fma_f32 v[4:5], v[4:5], v[8:9], v[10:11] op_sel_hi:[1,0,1]
	s_nop 0
	v_mov_b32_e32 v13, v5
	scratch_store_dwordx2 off, v[12:13], off offset:248
.LBB100_139:
	s_or_b64 exec, exec, s[0:1]
	; wave barrier
	scratch_load_dwordx2 v[4:5], off, off offset:256
	v_cmp_gt_u32_e32 vcc, 32, v0
	s_waitcnt vmcnt(0)
	ds_write_b64 v1, v[4:5]
	s_waitcnt lgkmcnt(0)
	; wave barrier
	s_and_saveexec_b64 s[0:1], vcc
	s_cbranch_execz .LBB100_143
; %bb.140:
	v_mov_b32_e32 v4, 0
	v_add_u32_e32 v3, -1, v0
	v_add_u32_e32 v7, 0x130, v2
	v_mov_b32_e32 v8, v2
	s_mov_b64 s[4:5], 0
	v_mov_b32_e32 v5, v4
.LBB100_141:                            ; =>This Inner Loop Header: Depth=1
	scratch_load_dwordx2 v[10:11], v8, off
	ds_read_b64 v[12:13], v7
	v_add_u32_e32 v3, 1, v3
	v_cmp_lt_u32_e32 vcc, 30, v3
	v_add_u32_e32 v7, 8, v7
	v_add_u32_e32 v8, 8, v8
	s_or_b64 s[4:5], vcc, s[4:5]
	s_waitcnt vmcnt(0) lgkmcnt(0)
	v_pk_mul_f32 v[14:15], v[12:13], v[10:11] op_sel:[1,1] op_sel_hi:[0,1]
	v_pk_fma_f32 v[16:17], v[12:13], v[10:11], v[14:15] neg_lo:[0,0,1] neg_hi:[0,0,1]
	v_pk_fma_f32 v[10:11], v[12:13], v[10:11], v[14:15] op_sel_hi:[1,0,1]
	s_nop 0
	v_mov_b32_e32 v17, v11
	v_pk_add_f32 v[4:5], v[4:5], v[16:17]
	s_andn2_b64 exec, exec, s[4:5]
	s_cbranch_execnz .LBB100_141
; %bb.142:
	s_or_b64 exec, exec, s[4:5]
	v_mov_b32_e32 v3, 0
	ds_read_b64 v[8:9], v3 offset:256
	s_waitcnt lgkmcnt(0)
	v_pk_mul_f32 v[10:11], v[4:5], v[8:9] op_sel:[1,1] op_sel_hi:[0,1]
	v_pk_fma_f32 v[12:13], v[4:5], v[8:9], v[10:11] neg_lo:[0,0,1] neg_hi:[0,0,1]
	v_pk_fma_f32 v[4:5], v[4:5], v[8:9], v[10:11] op_sel_hi:[1,0,1]
	s_nop 0
	v_mov_b32_e32 v13, v5
	scratch_store_dwordx2 off, v[12:13], off offset:256
.LBB100_143:
	s_or_b64 exec, exec, s[0:1]
	; wave barrier
	scratch_load_dwordx2 v[4:5], off, off offset:264
	v_cmp_gt_u32_e32 vcc, 33, v0
	s_waitcnt vmcnt(0)
	ds_write_b64 v1, v[4:5]
	s_waitcnt lgkmcnt(0)
	; wave barrier
	s_and_saveexec_b64 s[0:1], vcc
	s_cbranch_execz .LBB100_147
; %bb.144:
	v_mov_b32_e32 v4, 0
	v_add_u32_e32 v3, -1, v0
	v_add_u32_e32 v7, 0x130, v2
	v_mov_b32_e32 v8, v2
	s_mov_b64 s[4:5], 0
	v_mov_b32_e32 v5, v4
.LBB100_145:                            ; =>This Inner Loop Header: Depth=1
	scratch_load_dwordx2 v[10:11], v8, off
	ds_read_b64 v[12:13], v7
	v_add_u32_e32 v3, 1, v3
	v_cmp_lt_u32_e32 vcc, 31, v3
	v_add_u32_e32 v7, 8, v7
	v_add_u32_e32 v8, 8, v8
	s_or_b64 s[4:5], vcc, s[4:5]
	s_waitcnt vmcnt(0) lgkmcnt(0)
	v_pk_mul_f32 v[14:15], v[12:13], v[10:11] op_sel:[1,1] op_sel_hi:[0,1]
	v_pk_fma_f32 v[16:17], v[12:13], v[10:11], v[14:15] neg_lo:[0,0,1] neg_hi:[0,0,1]
	v_pk_fma_f32 v[10:11], v[12:13], v[10:11], v[14:15] op_sel_hi:[1,0,1]
	s_nop 0
	v_mov_b32_e32 v17, v11
	v_pk_add_f32 v[4:5], v[4:5], v[16:17]
	s_andn2_b64 exec, exec, s[4:5]
	s_cbranch_execnz .LBB100_145
; %bb.146:
	s_or_b64 exec, exec, s[4:5]
	v_mov_b32_e32 v3, 0
	ds_read_b64 v[8:9], v3 offset:264
	s_waitcnt lgkmcnt(0)
	v_pk_mul_f32 v[10:11], v[4:5], v[8:9] op_sel:[1,1] op_sel_hi:[0,1]
	v_pk_fma_f32 v[12:13], v[4:5], v[8:9], v[10:11] neg_lo:[0,0,1] neg_hi:[0,0,1]
	v_pk_fma_f32 v[4:5], v[4:5], v[8:9], v[10:11] op_sel_hi:[1,0,1]
	s_nop 0
	v_mov_b32_e32 v13, v5
	scratch_store_dwordx2 off, v[12:13], off offset:264
.LBB100_147:
	s_or_b64 exec, exec, s[0:1]
	; wave barrier
	scratch_load_dwordx2 v[4:5], off, off offset:272
	v_cmp_gt_u32_e32 vcc, 34, v0
	s_waitcnt vmcnt(0)
	ds_write_b64 v1, v[4:5]
	s_waitcnt lgkmcnt(0)
	; wave barrier
	s_and_saveexec_b64 s[0:1], vcc
	s_cbranch_execz .LBB100_151
; %bb.148:
	v_mov_b32_e32 v4, 0
	v_add_u32_e32 v3, -1, v0
	v_add_u32_e32 v7, 0x130, v2
	v_mov_b32_e32 v8, v2
	s_mov_b64 s[4:5], 0
	v_mov_b32_e32 v5, v4
.LBB100_149:                            ; =>This Inner Loop Header: Depth=1
	scratch_load_dwordx2 v[10:11], v8, off
	ds_read_b64 v[12:13], v7
	v_add_u32_e32 v3, 1, v3
	v_cmp_lt_u32_e32 vcc, 32, v3
	v_add_u32_e32 v7, 8, v7
	v_add_u32_e32 v8, 8, v8
	s_or_b64 s[4:5], vcc, s[4:5]
	s_waitcnt vmcnt(0) lgkmcnt(0)
	v_pk_mul_f32 v[14:15], v[12:13], v[10:11] op_sel:[1,1] op_sel_hi:[0,1]
	v_pk_fma_f32 v[16:17], v[12:13], v[10:11], v[14:15] neg_lo:[0,0,1] neg_hi:[0,0,1]
	v_pk_fma_f32 v[10:11], v[12:13], v[10:11], v[14:15] op_sel_hi:[1,0,1]
	s_nop 0
	v_mov_b32_e32 v17, v11
	v_pk_add_f32 v[4:5], v[4:5], v[16:17]
	s_andn2_b64 exec, exec, s[4:5]
	s_cbranch_execnz .LBB100_149
; %bb.150:
	s_or_b64 exec, exec, s[4:5]
	v_mov_b32_e32 v3, 0
	ds_read_b64 v[8:9], v3 offset:272
	s_waitcnt lgkmcnt(0)
	v_pk_mul_f32 v[10:11], v[4:5], v[8:9] op_sel:[1,1] op_sel_hi:[0,1]
	v_pk_fma_f32 v[12:13], v[4:5], v[8:9], v[10:11] neg_lo:[0,0,1] neg_hi:[0,0,1]
	v_pk_fma_f32 v[4:5], v[4:5], v[8:9], v[10:11] op_sel_hi:[1,0,1]
	s_nop 0
	v_mov_b32_e32 v13, v5
	scratch_store_dwordx2 off, v[12:13], off offset:272
.LBB100_151:
	s_or_b64 exec, exec, s[0:1]
	; wave barrier
	scratch_load_dwordx2 v[4:5], off, off offset:280
	v_cmp_gt_u32_e32 vcc, 35, v0
	s_waitcnt vmcnt(0)
	ds_write_b64 v1, v[4:5]
	s_waitcnt lgkmcnt(0)
	; wave barrier
	s_and_saveexec_b64 s[0:1], vcc
	s_cbranch_execz .LBB100_155
; %bb.152:
	v_mov_b32_e32 v4, 0
	v_add_u32_e32 v3, -1, v0
	v_add_u32_e32 v7, 0x130, v2
	v_mov_b32_e32 v8, v2
	s_mov_b64 s[4:5], 0
	v_mov_b32_e32 v5, v4
.LBB100_153:                            ; =>This Inner Loop Header: Depth=1
	scratch_load_dwordx2 v[10:11], v8, off
	ds_read_b64 v[12:13], v7
	v_add_u32_e32 v3, 1, v3
	v_cmp_lt_u32_e32 vcc, 33, v3
	v_add_u32_e32 v7, 8, v7
	v_add_u32_e32 v8, 8, v8
	s_or_b64 s[4:5], vcc, s[4:5]
	s_waitcnt vmcnt(0) lgkmcnt(0)
	v_pk_mul_f32 v[14:15], v[12:13], v[10:11] op_sel:[1,1] op_sel_hi:[0,1]
	v_pk_fma_f32 v[16:17], v[12:13], v[10:11], v[14:15] neg_lo:[0,0,1] neg_hi:[0,0,1]
	v_pk_fma_f32 v[10:11], v[12:13], v[10:11], v[14:15] op_sel_hi:[1,0,1]
	s_nop 0
	v_mov_b32_e32 v17, v11
	v_pk_add_f32 v[4:5], v[4:5], v[16:17]
	s_andn2_b64 exec, exec, s[4:5]
	s_cbranch_execnz .LBB100_153
; %bb.154:
	s_or_b64 exec, exec, s[4:5]
	v_mov_b32_e32 v3, 0
	ds_read_b64 v[8:9], v3 offset:280
	s_waitcnt lgkmcnt(0)
	v_pk_mul_f32 v[10:11], v[4:5], v[8:9] op_sel:[1,1] op_sel_hi:[0,1]
	v_pk_fma_f32 v[12:13], v[4:5], v[8:9], v[10:11] neg_lo:[0,0,1] neg_hi:[0,0,1]
	v_pk_fma_f32 v[4:5], v[4:5], v[8:9], v[10:11] op_sel_hi:[1,0,1]
	s_nop 0
	v_mov_b32_e32 v13, v5
	scratch_store_dwordx2 off, v[12:13], off offset:280
.LBB100_155:
	s_or_b64 exec, exec, s[0:1]
	; wave barrier
	scratch_load_dwordx2 v[4:5], off, off offset:288
	v_cmp_ne_u32_e32 vcc, 36, v0
	s_waitcnt vmcnt(0)
	ds_write_b64 v1, v[4:5]
	s_waitcnt lgkmcnt(0)
	; wave barrier
	s_and_saveexec_b64 s[0:1], vcc
	s_cbranch_execz .LBB100_159
; %bb.156:
	v_add_u32_e32 v1, 0x130, v2
	v_mov_b32_e32 v4, v2
	v_mov_b32_e32 v2, 0
	s_mov_b64 s[4:5], 0
	v_mov_b32_e32 v3, v2
.LBB100_157:                            ; =>This Inner Loop Header: Depth=1
	scratch_load_dwordx2 v[8:9], v4, off
	ds_read_b64 v[10:11], v1
	v_add_u32_e32 v6, 1, v6
	v_cmp_lt_u32_e32 vcc, 34, v6
	v_add_u32_e32 v1, 8, v1
	v_add_u32_e32 v4, 8, v4
	s_or_b64 s[4:5], vcc, s[4:5]
	s_waitcnt vmcnt(0) lgkmcnt(0)
	v_pk_mul_f32 v[12:13], v[10:11], v[8:9] op_sel:[1,1] op_sel_hi:[0,1]
	v_pk_fma_f32 v[14:15], v[10:11], v[8:9], v[12:13] neg_lo:[0,0,1] neg_hi:[0,0,1]
	v_pk_fma_f32 v[8:9], v[10:11], v[8:9], v[12:13] op_sel_hi:[1,0,1]
	s_nop 0
	v_mov_b32_e32 v15, v9
	v_pk_add_f32 v[2:3], v[2:3], v[14:15]
	s_andn2_b64 exec, exec, s[4:5]
	s_cbranch_execnz .LBB100_157
; %bb.158:
	s_or_b64 exec, exec, s[4:5]
	v_mov_b32_e32 v1, 0
	ds_read_b64 v[4:5], v1 offset:288
	s_waitcnt lgkmcnt(0)
	v_pk_mul_f32 v[6:7], v[2:3], v[4:5] op_sel:[1,1] op_sel_hi:[0,1]
	v_pk_fma_f32 v[8:9], v[2:3], v[4:5], v[6:7] neg_lo:[0,0,1] neg_hi:[0,0,1]
	v_pk_fma_f32 v[2:3], v[2:3], v[4:5], v[6:7] op_sel_hi:[1,0,1]
	s_nop 0
	v_mov_b32_e32 v9, v3
	scratch_store_dwordx2 off, v[8:9], off offset:288
.LBB100_159:
	s_or_b64 exec, exec, s[0:1]
	s_mov_b64 s[4:5], -1
	; wave barrier
.LBB100_160:
	s_and_b64 vcc, exec, s[4:5]
	s_cbranch_vccz .LBB100_162
; %bb.161:
	s_lshl_b64 s[0:1], s[2:3], 2
	s_add_u32 s0, s6, s0
	s_addc_u32 s1, s7, s1
	v_mov_b32_e32 v1, 0
	global_load_dword v1, v1, s[0:1]
	s_waitcnt vmcnt(0)
	v_cmp_ne_u32_e32 vcc, 0, v1
	s_cbranch_vccz .LBB100_163
.LBB100_162:
	s_endpgm
.LBB100_163:
	v_mov_b32_e32 v1, 0x130
	v_lshl_add_u32 v1, v0, 3, v1
	v_cmp_eq_u32_e32 vcc, 36, v0
	s_and_saveexec_b64 s[0:1], vcc
	s_cbranch_execz .LBB100_165
; %bb.164:
	scratch_load_dwordx2 v[2:3], off, off offset:280
	v_mov_b32_e32 v4, 0
	v_mov_b32_e32 v5, v4
	scratch_store_dwordx2 off, v[4:5], off offset:280
	s_waitcnt vmcnt(1)
	ds_write_b64 v1, v[2:3]
.LBB100_165:
	s_or_b64 exec, exec, s[0:1]
	s_waitcnt lgkmcnt(0)
	; wave barrier
	scratch_load_dwordx2 v[4:5], off, off offset:288
	scratch_load_dwordx2 v[6:7], off, off offset:280
	v_mov_b32_e32 v2, 0
	ds_read_b64 v[8:9], v2 offset:592
	v_cmp_lt_u32_e32 vcc, 34, v0
	s_waitcnt vmcnt(1) lgkmcnt(0)
	v_pk_mul_f32 v[10:11], v[8:9], v[4:5] op_sel:[1,1] op_sel_hi:[0,1]
	v_pk_fma_f32 v[12:13], v[8:9], v[4:5], v[10:11] neg_lo:[0,0,1] neg_hi:[0,0,1]
	v_pk_fma_f32 v[4:5], v[8:9], v[4:5], v[10:11] op_sel_hi:[1,0,1]
	s_nop 0
	v_mov_b32_e32 v13, v5
	v_pk_add_f32 v[4:5], v[12:13], 0 op_sel_hi:[1,0]
	s_waitcnt vmcnt(0)
	v_pk_add_f32 v[4:5], v[6:7], v[4:5] neg_lo:[0,1] neg_hi:[0,1]
	scratch_store_dwordx2 off, v[4:5], off offset:280
	s_and_saveexec_b64 s[0:1], vcc
	s_cbranch_execz .LBB100_167
; %bb.166:
	scratch_load_dwordx2 v[4:5], off, off offset:272
	v_mov_b32_e32 v3, v2
	scratch_store_dwordx2 off, v[2:3], off offset:272
	s_waitcnt vmcnt(1)
	ds_write_b64 v1, v[4:5]
.LBB100_167:
	s_or_b64 exec, exec, s[0:1]
	s_waitcnt lgkmcnt(0)
	; wave barrier
	scratch_load_dwordx4 v[4:7], off, off offset:280
	scratch_load_dwordx2 v[12:13], off, off offset:272
	ds_read2_b64 v[8:11], v2 offset0:73 offset1:74
	v_cmp_lt_u32_e32 vcc, 33, v0
	s_waitcnt vmcnt(1) lgkmcnt(0)
	v_pk_mul_f32 v[2:3], v[8:9], v[4:5] op_sel:[1,1] op_sel_hi:[0,1]
	v_mov_b32_e32 v14, v7
	v_pk_fma_f32 v[16:17], v[8:9], v[4:5], v[2:3] neg_lo:[0,0,1] neg_hi:[0,0,1]
	v_pk_fma_f32 v[2:3], v[8:9], v[4:5], v[2:3] op_sel_hi:[1,0,1]
	v_pk_mul_f32 v[4:5], v[10:11], v[14:15] op_sel:[1,0] op_sel_hi:[0,0]
	v_mov_b32_e32 v17, v3
	v_pk_fma_f32 v[2:3], v[10:11], v[6:7], v[4:5] neg_lo:[0,0,1] neg_hi:[0,0,1]
	v_pk_fma_f32 v[4:5], v[10:11], v[6:7], v[4:5] op_sel_hi:[1,0,1]
	v_pk_add_f32 v[6:7], v[16:17], 0 op_sel_hi:[1,0]
	v_mov_b32_e32 v3, v5
	v_pk_add_f32 v[2:3], v[6:7], v[2:3]
	s_waitcnt vmcnt(0)
	v_pk_add_f32 v[2:3], v[12:13], v[2:3] neg_lo:[0,1] neg_hi:[0,1]
	scratch_store_dwordx2 off, v[2:3], off offset:272
	s_and_saveexec_b64 s[0:1], vcc
	s_cbranch_execz .LBB100_169
; %bb.168:
	scratch_load_dwordx2 v[2:3], off, off offset:264
	v_mov_b32_e32 v4, 0
	v_mov_b32_e32 v5, v4
	scratch_store_dwordx2 off, v[4:5], off offset:264
	s_waitcnt vmcnt(1)
	ds_write_b64 v1, v[2:3]
.LBB100_169:
	s_or_b64 exec, exec, s[0:1]
	s_waitcnt lgkmcnt(0)
	; wave barrier
	scratch_load_dwordx4 v[4:7], off, off offset:272
	scratch_load_dwordx2 v[12:13], off, off offset:288
	scratch_load_dwordx2 v[14:15], off, off offset:264
	v_mov_b32_e32 v2, 0
	ds_read_b128 v[8:11], v2 offset:576
	ds_read_b64 v[16:17], v2 offset:592
	v_cmp_lt_u32_e32 vcc, 32, v0
	s_waitcnt vmcnt(2) lgkmcnt(1)
	v_pk_mul_f32 v[18:19], v[8:9], v[4:5] op_sel:[1,1] op_sel_hi:[0,1]
	v_mov_b32_e32 v20, v7
	v_pk_fma_f32 v[24:25], v[8:9], v[4:5], v[18:19] neg_lo:[0,0,1] neg_hi:[0,0,1]
	v_pk_fma_f32 v[4:5], v[8:9], v[4:5], v[18:19] op_sel_hi:[1,0,1]
	v_pk_mul_f32 v[8:9], v[10:11], v[20:21] op_sel:[1,0] op_sel_hi:[0,0]
	s_waitcnt vmcnt(1) lgkmcnt(0)
	v_pk_mul_f32 v[22:23], v[16:17], v[12:13] op_sel:[1,1] op_sel_hi:[0,1]
	v_mov_b32_e32 v25, v5
	v_pk_fma_f32 v[4:5], v[10:11], v[6:7], v[8:9] neg_lo:[0,0,1] neg_hi:[0,0,1]
	v_pk_fma_f32 v[6:7], v[10:11], v[6:7], v[8:9] op_sel_hi:[1,0,1]
	v_pk_fma_f32 v[18:19], v[16:17], v[12:13], v[22:23] neg_lo:[0,0,1] neg_hi:[0,0,1]
	v_pk_fma_f32 v[12:13], v[16:17], v[12:13], v[22:23] op_sel_hi:[1,0,1]
	v_pk_add_f32 v[8:9], v[24:25], 0 op_sel_hi:[1,0]
	v_mov_b32_e32 v5, v7
	v_mov_b32_e32 v19, v13
	v_pk_add_f32 v[4:5], v[8:9], v[4:5]
	s_nop 0
	v_pk_add_f32 v[4:5], v[4:5], v[18:19]
	s_waitcnt vmcnt(0)
	v_pk_add_f32 v[4:5], v[14:15], v[4:5] neg_lo:[0,1] neg_hi:[0,1]
	scratch_store_dwordx2 off, v[4:5], off offset:264
	s_and_saveexec_b64 s[0:1], vcc
	s_cbranch_execz .LBB100_171
; %bb.170:
	scratch_load_dwordx2 v[4:5], off, off offset:256
	v_mov_b32_e32 v3, v2
	scratch_store_dwordx2 off, v[2:3], off offset:256
	s_waitcnt vmcnt(1)
	ds_write_b64 v1, v[4:5]
.LBB100_171:
	s_or_b64 exec, exec, s[0:1]
	s_waitcnt lgkmcnt(0)
	; wave barrier
	scratch_load_dwordx4 v[4:7], off, off offset:264
	scratch_load_dwordx4 v[8:11], off, off offset:280
	scratch_load_dwordx2 v[20:21], off, off offset:256
	ds_read2_b64 v[12:15], v2 offset0:71 offset1:72
	ds_read2_b64 v[16:19], v2 offset0:73 offset1:74
	v_cmp_lt_u32_e32 vcc, 31, v0
	s_waitcnt vmcnt(2) lgkmcnt(1)
	v_pk_mul_f32 v[2:3], v[12:13], v[4:5] op_sel:[1,1] op_sel_hi:[0,1]
	v_mov_b32_e32 v22, v7
	s_waitcnt vmcnt(1) lgkmcnt(0)
	v_pk_mul_f32 v[24:25], v[16:17], v[8:9] op_sel:[1,1] op_sel_hi:[0,1]
	v_mov_b32_e32 v26, v11
	v_pk_fma_f32 v[28:29], v[12:13], v[4:5], v[2:3] neg_lo:[0,0,1] neg_hi:[0,0,1]
	v_pk_fma_f32 v[2:3], v[12:13], v[4:5], v[2:3] op_sel_hi:[1,0,1]
	v_pk_mul_f32 v[4:5], v[14:15], v[22:23] op_sel:[1,0] op_sel_hi:[0,0]
	v_pk_fma_f32 v[12:13], v[16:17], v[8:9], v[24:25] neg_lo:[0,0,1] neg_hi:[0,0,1]
	v_pk_fma_f32 v[8:9], v[16:17], v[8:9], v[24:25] op_sel_hi:[1,0,1]
	v_pk_mul_f32 v[16:17], v[18:19], v[26:27] op_sel:[1,0] op_sel_hi:[0,0]
	v_mov_b32_e32 v29, v3
	v_pk_fma_f32 v[2:3], v[14:15], v[6:7], v[4:5] neg_lo:[0,0,1] neg_hi:[0,0,1]
	v_pk_fma_f32 v[4:5], v[14:15], v[6:7], v[4:5] op_sel_hi:[1,0,1]
	v_mov_b32_e32 v13, v9
	v_pk_fma_f32 v[6:7], v[18:19], v[10:11], v[16:17] neg_lo:[0,0,1] neg_hi:[0,0,1]
	v_pk_fma_f32 v[8:9], v[18:19], v[10:11], v[16:17] op_sel_hi:[1,0,1]
	v_pk_add_f32 v[10:11], v[28:29], 0 op_sel_hi:[1,0]
	v_mov_b32_e32 v3, v5
	v_pk_add_f32 v[2:3], v[10:11], v[2:3]
	v_mov_b32_e32 v7, v9
	v_pk_add_f32 v[2:3], v[2:3], v[12:13]
	s_nop 0
	v_pk_add_f32 v[2:3], v[2:3], v[6:7]
	s_waitcnt vmcnt(0)
	v_pk_add_f32 v[2:3], v[20:21], v[2:3] neg_lo:[0,1] neg_hi:[0,1]
	scratch_store_dwordx2 off, v[2:3], off offset:256
	s_and_saveexec_b64 s[0:1], vcc
	s_cbranch_execz .LBB100_173
; %bb.172:
	scratch_load_dwordx2 v[2:3], off, off offset:248
	v_mov_b32_e32 v4, 0
	v_mov_b32_e32 v5, v4
	scratch_store_dwordx2 off, v[4:5], off offset:248
	s_waitcnt vmcnt(1)
	ds_write_b64 v1, v[2:3]
.LBB100_173:
	s_or_b64 exec, exec, s[0:1]
	s_waitcnt lgkmcnt(0)
	; wave barrier
	scratch_load_dwordx4 v[4:7], off, off offset:256
	scratch_load_dwordx4 v[8:11], off, off offset:272
	scratch_load_dwordx2 v[20:21], off, off offset:288
	scratch_load_dwordx2 v[22:23], off, off offset:248
	v_mov_b32_e32 v2, 0
	ds_read_b128 v[12:15], v2 offset:560
	ds_read_b128 v[16:19], v2 offset:576
	ds_read_b64 v[24:25], v2 offset:592
	v_cmp_lt_u32_e32 vcc, 30, v0
	s_waitcnt vmcnt(3) lgkmcnt(2)
	v_pk_mul_f32 v[26:27], v[12:13], v[4:5] op_sel:[1,1] op_sel_hi:[0,1]
	v_mov_b32_e32 v28, v7
	v_pk_fma_f32 v[36:37], v[12:13], v[4:5], v[26:27] neg_lo:[0,0,1] neg_hi:[0,0,1]
	v_pk_fma_f32 v[4:5], v[12:13], v[4:5], v[26:27] op_sel_hi:[1,0,1]
	v_pk_mul_f32 v[12:13], v[14:15], v[28:29] op_sel:[1,0] op_sel_hi:[0,0]
	s_waitcnt vmcnt(2) lgkmcnt(1)
	v_pk_mul_f32 v[30:31], v[16:17], v[8:9] op_sel:[1,1] op_sel_hi:[0,1]
	v_mov_b32_e32 v32, v11
	v_mov_b32_e32 v37, v5
	v_pk_fma_f32 v[4:5], v[14:15], v[6:7], v[12:13] neg_lo:[0,0,1] neg_hi:[0,0,1]
	v_pk_fma_f32 v[6:7], v[14:15], v[6:7], v[12:13] op_sel_hi:[1,0,1]
	v_pk_fma_f32 v[26:27], v[16:17], v[8:9], v[30:31] neg_lo:[0,0,1] neg_hi:[0,0,1]
	v_pk_fma_f32 v[8:9], v[16:17], v[8:9], v[30:31] op_sel_hi:[1,0,1]
	v_pk_mul_f32 v[16:17], v[18:19], v[32:33] op_sel:[1,0] op_sel_hi:[0,0]
	v_pk_add_f32 v[12:13], v[36:37], 0 op_sel_hi:[1,0]
	v_mov_b32_e32 v5, v7
	s_waitcnt vmcnt(1) lgkmcnt(0)
	v_pk_mul_f32 v[34:35], v[24:25], v[20:21] op_sel:[1,1] op_sel_hi:[0,1]
	v_mov_b32_e32 v27, v9
	v_pk_fma_f32 v[8:9], v[18:19], v[10:11], v[16:17] neg_lo:[0,0,1] neg_hi:[0,0,1]
	v_pk_fma_f32 v[10:11], v[18:19], v[10:11], v[16:17] op_sel_hi:[1,0,1]
	v_pk_add_f32 v[4:5], v[12:13], v[4:5]
	v_pk_fma_f32 v[28:29], v[24:25], v[20:21], v[34:35] neg_lo:[0,0,1] neg_hi:[0,0,1]
	v_pk_fma_f32 v[20:21], v[24:25], v[20:21], v[34:35] op_sel_hi:[1,0,1]
	v_mov_b32_e32 v9, v11
	v_pk_add_f32 v[4:5], v[4:5], v[26:27]
	v_mov_b32_e32 v29, v21
	v_pk_add_f32 v[4:5], v[4:5], v[8:9]
	s_nop 0
	v_pk_add_f32 v[4:5], v[4:5], v[28:29]
	s_waitcnt vmcnt(0)
	v_pk_add_f32 v[4:5], v[22:23], v[4:5] neg_lo:[0,1] neg_hi:[0,1]
	scratch_store_dwordx2 off, v[4:5], off offset:248
	s_and_saveexec_b64 s[0:1], vcc
	s_cbranch_execz .LBB100_175
; %bb.174:
	scratch_load_dwordx2 v[4:5], off, off offset:240
	v_mov_b32_e32 v3, v2
	scratch_store_dwordx2 off, v[2:3], off offset:240
	s_waitcnt vmcnt(1)
	ds_write_b64 v1, v[4:5]
.LBB100_175:
	s_or_b64 exec, exec, s[0:1]
	s_waitcnt lgkmcnt(0)
	; wave barrier
	scratch_load_dwordx4 v[4:7], off, off offset:248
	scratch_load_dwordx4 v[8:11], off, off offset:264
	;; [unrolled: 1-line block ×3, first 2 shown]
	scratch_load_dwordx2 v[28:29], off, off offset:240
	ds_read2_b64 v[16:19], v2 offset0:69 offset1:70
	ds_read2_b64 v[20:23], v2 offset0:71 offset1:72
	;; [unrolled: 1-line block ×3, first 2 shown]
	v_cmp_lt_u32_e32 vcc, 29, v0
	s_waitcnt vmcnt(3) lgkmcnt(2)
	v_pk_mul_f32 v[2:3], v[16:17], v[4:5] op_sel:[1,1] op_sel_hi:[0,1]
	v_mov_b32_e32 v30, v7
	s_waitcnt vmcnt(2) lgkmcnt(1)
	v_pk_mul_f32 v[32:33], v[20:21], v[8:9] op_sel:[1,1] op_sel_hi:[0,1]
	v_mov_b32_e32 v34, v11
	;; [unrolled: 3-line block ×3, first 2 shown]
	v_pk_fma_f32 v[40:41], v[16:17], v[4:5], v[2:3] neg_lo:[0,0,1] neg_hi:[0,0,1]
	v_pk_fma_f32 v[2:3], v[16:17], v[4:5], v[2:3] op_sel_hi:[1,0,1]
	v_pk_mul_f32 v[4:5], v[18:19], v[30:31] op_sel:[1,0] op_sel_hi:[0,0]
	v_pk_fma_f32 v[16:17], v[20:21], v[8:9], v[32:33] neg_lo:[0,0,1] neg_hi:[0,0,1]
	v_pk_fma_f32 v[8:9], v[20:21], v[8:9], v[32:33] op_sel_hi:[1,0,1]
	v_pk_mul_f32 v[20:21], v[22:23], v[34:35] op_sel:[1,0] op_sel_hi:[0,0]
	;; [unrolled: 3-line block ×3, first 2 shown]
	v_mov_b32_e32 v41, v3
	v_pk_fma_f32 v[2:3], v[18:19], v[6:7], v[4:5] neg_lo:[0,0,1] neg_hi:[0,0,1]
	v_pk_fma_f32 v[4:5], v[18:19], v[6:7], v[4:5] op_sel_hi:[1,0,1]
	v_mov_b32_e32 v17, v9
	v_pk_fma_f32 v[6:7], v[22:23], v[10:11], v[20:21] neg_lo:[0,0,1] neg_hi:[0,0,1]
	v_pk_fma_f32 v[8:9], v[22:23], v[10:11], v[20:21] op_sel_hi:[1,0,1]
	;; [unrolled: 3-line block ×3, first 2 shown]
	v_pk_add_f32 v[14:15], v[40:41], 0 op_sel_hi:[1,0]
	v_mov_b32_e32 v3, v5
	v_pk_add_f32 v[2:3], v[14:15], v[2:3]
	v_mov_b32_e32 v7, v9
	v_pk_add_f32 v[2:3], v[2:3], v[16:17]
	;; [unrolled: 2-line block ×3, first 2 shown]
	s_nop 0
	v_pk_add_f32 v[2:3], v[2:3], v[30:31]
	s_nop 0
	v_pk_add_f32 v[2:3], v[2:3], v[10:11]
	s_waitcnt vmcnt(0)
	v_pk_add_f32 v[2:3], v[28:29], v[2:3] neg_lo:[0,1] neg_hi:[0,1]
	scratch_store_dwordx2 off, v[2:3], off offset:240
	s_and_saveexec_b64 s[0:1], vcc
	s_cbranch_execz .LBB100_177
; %bb.176:
	scratch_load_dwordx2 v[2:3], off, off offset:232
	v_mov_b32_e32 v4, 0
	v_mov_b32_e32 v5, v4
	scratch_store_dwordx2 off, v[4:5], off offset:232
	s_waitcnt vmcnt(1)
	ds_write_b64 v1, v[2:3]
.LBB100_177:
	s_or_b64 exec, exec, s[0:1]
	s_waitcnt lgkmcnt(0)
	; wave barrier
	scratch_load_dwordx4 v[4:7], off, off offset:240
	scratch_load_dwordx4 v[8:11], off, off offset:256
	;; [unrolled: 1-line block ×3, first 2 shown]
	scratch_load_dwordx2 v[28:29], off, off offset:288
	scratch_load_dwordx2 v[30:31], off, off offset:232
	v_mov_b32_e32 v2, 0
	ds_read_b128 v[16:19], v2 offset:544
	ds_read_b128 v[20:23], v2 offset:560
	ds_read_b128 v[24:27], v2 offset:576
	ds_read_b64 v[32:33], v2 offset:592
	v_cmp_lt_u32_e32 vcc, 28, v0
	s_waitcnt vmcnt(4) lgkmcnt(3)
	v_pk_mul_f32 v[34:35], v[16:17], v[4:5] op_sel:[1,1] op_sel_hi:[0,1]
	v_mov_b32_e32 v36, v7
	v_pk_fma_f32 v[48:49], v[16:17], v[4:5], v[34:35] neg_lo:[0,0,1] neg_hi:[0,0,1]
	v_pk_fma_f32 v[4:5], v[16:17], v[4:5], v[34:35] op_sel_hi:[1,0,1]
	v_pk_mul_f32 v[16:17], v[18:19], v[36:37] op_sel:[1,0] op_sel_hi:[0,0]
	s_waitcnt vmcnt(3) lgkmcnt(2)
	v_pk_mul_f32 v[38:39], v[20:21], v[8:9] op_sel:[1,1] op_sel_hi:[0,1]
	v_mov_b32_e32 v40, v11
	v_mov_b32_e32 v49, v5
	v_pk_fma_f32 v[4:5], v[18:19], v[6:7], v[16:17] neg_lo:[0,0,1] neg_hi:[0,0,1]
	v_pk_fma_f32 v[6:7], v[18:19], v[6:7], v[16:17] op_sel_hi:[1,0,1]
	v_pk_fma_f32 v[34:35], v[20:21], v[8:9], v[38:39] neg_lo:[0,0,1] neg_hi:[0,0,1]
	v_pk_fma_f32 v[8:9], v[20:21], v[8:9], v[38:39] op_sel_hi:[1,0,1]
	v_pk_mul_f32 v[20:21], v[22:23], v[40:41] op_sel:[1,0] op_sel_hi:[0,0]
	v_pk_add_f32 v[16:17], v[48:49], 0 op_sel_hi:[1,0]
	v_mov_b32_e32 v5, v7
	s_waitcnt vmcnt(2) lgkmcnt(1)
	v_pk_mul_f32 v[42:43], v[24:25], v[12:13] op_sel:[1,1] op_sel_hi:[0,1]
	v_mov_b32_e32 v44, v15
	v_mov_b32_e32 v35, v9
	v_pk_fma_f32 v[8:9], v[22:23], v[10:11], v[20:21] neg_lo:[0,0,1] neg_hi:[0,0,1]
	v_pk_fma_f32 v[10:11], v[22:23], v[10:11], v[20:21] op_sel_hi:[1,0,1]
	v_pk_add_f32 v[4:5], v[16:17], v[4:5]
	v_pk_fma_f32 v[36:37], v[24:25], v[12:13], v[42:43] neg_lo:[0,0,1] neg_hi:[0,0,1]
	v_pk_fma_f32 v[12:13], v[24:25], v[12:13], v[42:43] op_sel_hi:[1,0,1]
	v_pk_mul_f32 v[24:25], v[26:27], v[44:45] op_sel:[1,0] op_sel_hi:[0,0]
	v_mov_b32_e32 v9, v11
	v_pk_add_f32 v[4:5], v[4:5], v[34:35]
	s_waitcnt vmcnt(1) lgkmcnt(0)
	v_pk_mul_f32 v[46:47], v[32:33], v[28:29] op_sel:[1,1] op_sel_hi:[0,1]
	v_mov_b32_e32 v37, v13
	v_pk_fma_f32 v[12:13], v[26:27], v[14:15], v[24:25] neg_lo:[0,0,1] neg_hi:[0,0,1]
	v_pk_fma_f32 v[14:15], v[26:27], v[14:15], v[24:25] op_sel_hi:[1,0,1]
	v_pk_add_f32 v[4:5], v[4:5], v[8:9]
	v_pk_fma_f32 v[38:39], v[32:33], v[28:29], v[46:47] neg_lo:[0,0,1] neg_hi:[0,0,1]
	v_pk_fma_f32 v[28:29], v[32:33], v[28:29], v[46:47] op_sel_hi:[1,0,1]
	v_mov_b32_e32 v13, v15
	v_pk_add_f32 v[4:5], v[4:5], v[36:37]
	v_mov_b32_e32 v39, v29
	v_pk_add_f32 v[4:5], v[4:5], v[12:13]
	s_nop 0
	v_pk_add_f32 v[4:5], v[4:5], v[38:39]
	s_waitcnt vmcnt(0)
	v_pk_add_f32 v[4:5], v[30:31], v[4:5] neg_lo:[0,1] neg_hi:[0,1]
	scratch_store_dwordx2 off, v[4:5], off offset:232
	s_and_saveexec_b64 s[0:1], vcc
	s_cbranch_execz .LBB100_179
; %bb.178:
	scratch_load_dwordx2 v[4:5], off, off offset:224
	v_mov_b32_e32 v3, v2
	scratch_store_dwordx2 off, v[2:3], off offset:224
	s_waitcnt vmcnt(1)
	ds_write_b64 v1, v[4:5]
.LBB100_179:
	s_or_b64 exec, exec, s[0:1]
	s_waitcnt lgkmcnt(0)
	; wave barrier
	scratch_load_dwordx4 v[4:7], off, off offset:232
	scratch_load_dwordx4 v[8:11], off, off offset:248
	;; [unrolled: 1-line block ×4, first 2 shown]
	scratch_load_dwordx2 v[36:37], off, off offset:224
	ds_read2_b64 v[20:23], v2 offset0:67 offset1:68
	ds_read2_b64 v[24:27], v2 offset0:69 offset1:70
	;; [unrolled: 1-line block ×4, first 2 shown]
	v_cmp_lt_u32_e32 vcc, 27, v0
	s_waitcnt vmcnt(4) lgkmcnt(3)
	v_pk_mul_f32 v[2:3], v[20:21], v[4:5] op_sel:[1,1] op_sel_hi:[0,1]
	v_mov_b32_e32 v38, v7
	s_waitcnt vmcnt(3) lgkmcnt(2)
	v_pk_mul_f32 v[40:41], v[24:25], v[8:9] op_sel:[1,1] op_sel_hi:[0,1]
	v_mov_b32_e32 v42, v11
	;; [unrolled: 3-line block ×4, first 2 shown]
	v_pk_fma_f32 v[52:53], v[20:21], v[4:5], v[2:3] neg_lo:[0,0,1] neg_hi:[0,0,1]
	v_pk_fma_f32 v[2:3], v[20:21], v[4:5], v[2:3] op_sel_hi:[1,0,1]
	v_pk_mul_f32 v[4:5], v[22:23], v[38:39] op_sel:[1,0] op_sel_hi:[0,0]
	v_pk_fma_f32 v[20:21], v[24:25], v[8:9], v[40:41] neg_lo:[0,0,1] neg_hi:[0,0,1]
	v_pk_fma_f32 v[8:9], v[24:25], v[8:9], v[40:41] op_sel_hi:[1,0,1]
	v_pk_mul_f32 v[24:25], v[26:27], v[42:43] op_sel:[1,0] op_sel_hi:[0,0]
	;; [unrolled: 3-line block ×4, first 2 shown]
	v_mov_b32_e32 v53, v3
	v_pk_fma_f32 v[2:3], v[22:23], v[6:7], v[4:5] neg_lo:[0,0,1] neg_hi:[0,0,1]
	v_pk_fma_f32 v[4:5], v[22:23], v[6:7], v[4:5] op_sel_hi:[1,0,1]
	v_mov_b32_e32 v21, v9
	v_pk_fma_f32 v[6:7], v[26:27], v[10:11], v[24:25] neg_lo:[0,0,1] neg_hi:[0,0,1]
	v_pk_fma_f32 v[8:9], v[26:27], v[10:11], v[24:25] op_sel_hi:[1,0,1]
	;; [unrolled: 3-line block ×4, first 2 shown]
	v_pk_add_f32 v[18:19], v[52:53], 0 op_sel_hi:[1,0]
	v_mov_b32_e32 v3, v5
	v_pk_add_f32 v[2:3], v[18:19], v[2:3]
	v_mov_b32_e32 v7, v9
	v_pk_add_f32 v[2:3], v[2:3], v[20:21]
	;; [unrolled: 2-line block ×4, first 2 shown]
	s_nop 0
	v_pk_add_f32 v[2:3], v[2:3], v[10:11]
	s_nop 0
	v_pk_add_f32 v[2:3], v[2:3], v[40:41]
	;; [unrolled: 2-line block ×3, first 2 shown]
	s_waitcnt vmcnt(0)
	v_pk_add_f32 v[2:3], v[36:37], v[2:3] neg_lo:[0,1] neg_hi:[0,1]
	scratch_store_dwordx2 off, v[2:3], off offset:224
	s_and_saveexec_b64 s[0:1], vcc
	s_cbranch_execz .LBB100_181
; %bb.180:
	scratch_load_dwordx2 v[2:3], off, off offset:216
	v_mov_b32_e32 v4, 0
	v_mov_b32_e32 v5, v4
	scratch_store_dwordx2 off, v[4:5], off offset:216
	s_waitcnt vmcnt(1)
	ds_write_b64 v1, v[2:3]
.LBB100_181:
	s_or_b64 exec, exec, s[0:1]
	v_mov_b32_e32 v2, 0
	s_waitcnt lgkmcnt(0)
	; wave barrier
	ds_read_b128 v[4:7], v2 offset:528
	ds_read_b128 v[8:11], v2 offset:544
	;; [unrolled: 1-line block ×4, first 2 shown]
	scratch_load_dwordx4 v[20:23], off, off offset:224
	scratch_load_dwordx4 v[24:27], off, off offset:240
	;; [unrolled: 1-line block ×4, first 2 shown]
	scratch_load_dwordx2 v[38:39], off, off offset:288
	v_cmp_lt_u32_e32 vcc, 26, v0
	s_waitcnt vmcnt(4) lgkmcnt(3)
	v_mul_f32_e32 v37, v4, v21
	v_mul_f32_e32 v3, v5, v21
	v_fmac_f32_e32 v37, v5, v20
	v_fma_f32 v36, v4, v20, -v3
	v_pk_add_f32 v[20:21], v[36:37], 0 op_sel_hi:[1,0]
	v_mov_b32_e32 v36, v23
	v_pk_mul_f32 v[36:37], v[6:7], v[36:37] op_sel:[1,0] op_sel_hi:[0,0]
	v_pk_fma_f32 v[40:41], v[6:7], v[22:23], v[36:37] neg_lo:[0,0,1] neg_hi:[0,0,1]
	v_pk_fma_f32 v[6:7], v[6:7], v[22:23], v[36:37] op_sel_hi:[1,0,1]
	ds_read_b64 v[4:5], v2 offset:592
	v_mov_b32_e32 v41, v7
	v_pk_add_f32 v[6:7], v[20:21], v[40:41]
	s_waitcnt vmcnt(3) lgkmcnt(3)
	v_pk_mul_f32 v[20:21], v[8:9], v[24:25] op_sel:[1,1] op_sel_hi:[0,1]
	v_pk_fma_f32 v[22:23], v[8:9], v[24:25], v[20:21] neg_lo:[0,0,1] neg_hi:[0,0,1]
	v_pk_fma_f32 v[8:9], v[8:9], v[24:25], v[20:21] op_sel_hi:[1,0,1]
	s_nop 0
	v_mov_b32_e32 v8, v27
	v_mov_b32_e32 v23, v9
	v_pk_mul_f32 v[8:9], v[10:11], v[8:9] op_sel:[1,0] op_sel_hi:[0,0]
	v_pk_fma_f32 v[20:21], v[10:11], v[26:27], v[8:9] neg_lo:[0,0,1] neg_hi:[0,0,1]
	v_pk_fma_f32 v[8:9], v[10:11], v[26:27], v[8:9] op_sel_hi:[1,0,1]
	v_pk_add_f32 v[6:7], v[6:7], v[22:23]
	v_mov_b32_e32 v21, v9
	s_waitcnt vmcnt(2) lgkmcnt(2)
	v_pk_mul_f32 v[8:9], v[12:13], v[28:29] op_sel:[1,1] op_sel_hi:[0,1]
	v_pk_fma_f32 v[10:11], v[12:13], v[28:29], v[8:9] neg_lo:[0,0,1] neg_hi:[0,0,1]
	v_pk_fma_f32 v[8:9], v[12:13], v[28:29], v[8:9] op_sel_hi:[1,0,1]
	v_pk_add_f32 v[6:7], v[6:7], v[20:21]
	v_mov_b32_e32 v8, v31
	v_mov_b32_e32 v11, v9
	v_pk_mul_f32 v[8:9], v[14:15], v[8:9] op_sel:[1,0] op_sel_hi:[0,0]
	v_pk_add_f32 v[6:7], v[6:7], v[10:11]
	v_pk_fma_f32 v[10:11], v[14:15], v[30:31], v[8:9] neg_lo:[0,0,1] neg_hi:[0,0,1]
	v_pk_fma_f32 v[8:9], v[14:15], v[30:31], v[8:9] op_sel_hi:[1,0,1]
	s_nop 0
	v_mov_b32_e32 v11, v9
	s_waitcnt vmcnt(1) lgkmcnt(1)
	v_pk_mul_f32 v[8:9], v[16:17], v[32:33] op_sel:[1,1] op_sel_hi:[0,1]
	v_pk_add_f32 v[6:7], v[6:7], v[10:11]
	v_pk_fma_f32 v[10:11], v[16:17], v[32:33], v[8:9] neg_lo:[0,0,1] neg_hi:[0,0,1]
	v_pk_fma_f32 v[8:9], v[16:17], v[32:33], v[8:9] op_sel_hi:[1,0,1]
	s_nop 0
	v_mov_b32_e32 v8, v35
	v_mov_b32_e32 v11, v9
	v_pk_mul_f32 v[8:9], v[18:19], v[8:9] op_sel:[1,0] op_sel_hi:[0,0]
	v_pk_add_f32 v[6:7], v[6:7], v[10:11]
	v_pk_fma_f32 v[10:11], v[18:19], v[34:35], v[8:9] neg_lo:[0,0,1] neg_hi:[0,0,1]
	v_pk_fma_f32 v[8:9], v[18:19], v[34:35], v[8:9] op_sel_hi:[1,0,1]
	s_nop 0
	v_mov_b32_e32 v11, v9
	s_waitcnt vmcnt(0) lgkmcnt(0)
	v_pk_mul_f32 v[8:9], v[4:5], v[38:39] op_sel:[1,1] op_sel_hi:[0,1]
	v_pk_add_f32 v[6:7], v[6:7], v[10:11]
	v_pk_fma_f32 v[10:11], v[4:5], v[38:39], v[8:9] neg_lo:[0,0,1] neg_hi:[0,0,1]
	v_pk_fma_f32 v[4:5], v[4:5], v[38:39], v[8:9] op_sel_hi:[1,0,1]
	s_nop 0
	v_mov_b32_e32 v11, v5
	v_pk_add_f32 v[4:5], v[6:7], v[10:11]
	scratch_load_dwordx2 v[6:7], off, off offset:216
	s_waitcnt vmcnt(0)
	v_pk_add_f32 v[4:5], v[6:7], v[4:5] neg_lo:[0,1] neg_hi:[0,1]
	scratch_store_dwordx2 off, v[4:5], off offset:216
	s_and_saveexec_b64 s[0:1], vcc
	s_cbranch_execz .LBB100_183
; %bb.182:
	scratch_load_dwordx2 v[4:5], off, off offset:208
	v_mov_b32_e32 v3, v2
	scratch_store_dwordx2 off, v[2:3], off offset:208
	s_waitcnt vmcnt(1)
	ds_write_b64 v1, v[4:5]
.LBB100_183:
	s_or_b64 exec, exec, s[0:1]
	s_waitcnt lgkmcnt(0)
	; wave barrier
	scratch_load_dwordx4 v[8:11], off, off offset:216
	ds_read2_b64 v[4:7], v2 offset0:65 offset1:66
	scratch_load_dwordx4 v[12:15], off, off offset:232
	scratch_load_dwordx4 v[16:19], off, off offset:248
	;; [unrolled: 1-line block ×4, first 2 shown]
	v_cmp_lt_u32_e32 vcc, 25, v0
	s_waitcnt vmcnt(4) lgkmcnt(0)
	v_mul_f32_e32 v3, v5, v9
	v_mul_f32_e32 v37, v4, v9
	;; [unrolled: 1-line block ×3, first 2 shown]
	v_fma_f32 v36, v4, v8, -v3
	v_mul_f32_e32 v3, v7, v11
	v_fmac_f32_e32 v37, v5, v8
	v_fmac_f32_e32 v39, v7, v10
	v_fma_f32 v38, v6, v10, -v3
	ds_read2_b64 v[4:7], v2 offset0:67 offset1:68
	ds_read2_b64 v[8:11], v2 offset0:69 offset1:70
	;; [unrolled: 1-line block ×4, first 2 shown]
	v_pk_add_f32 v[2:3], v[36:37], 0 op_sel_hi:[1,0]
	s_waitcnt vmcnt(3) lgkmcnt(3)
	v_pk_mul_f32 v[36:37], v[4:5], v[12:13] op_sel:[1,1] op_sel_hi:[0,1]
	v_pk_add_f32 v[2:3], v[2:3], v[38:39]
	v_pk_fma_f32 v[38:39], v[4:5], v[12:13], v[36:37] neg_lo:[0,0,1] neg_hi:[0,0,1]
	v_pk_fma_f32 v[4:5], v[4:5], v[12:13], v[36:37] op_sel_hi:[1,0,1]
	s_nop 0
	v_mov_b32_e32 v4, v15
	v_mov_b32_e32 v39, v5
	v_pk_mul_f32 v[4:5], v[6:7], v[4:5] op_sel:[1,0] op_sel_hi:[0,0]
	v_pk_fma_f32 v[12:13], v[6:7], v[14:15], v[4:5] neg_lo:[0,0,1] neg_hi:[0,0,1]
	v_pk_fma_f32 v[4:5], v[6:7], v[14:15], v[4:5] op_sel_hi:[1,0,1]
	v_pk_add_f32 v[2:3], v[2:3], v[38:39]
	v_mov_b32_e32 v13, v5
	s_waitcnt vmcnt(2) lgkmcnt(2)
	v_pk_mul_f32 v[4:5], v[8:9], v[16:17] op_sel:[1,1] op_sel_hi:[0,1]
	v_pk_fma_f32 v[6:7], v[8:9], v[16:17], v[4:5] neg_lo:[0,0,1] neg_hi:[0,0,1]
	v_pk_fma_f32 v[4:5], v[8:9], v[16:17], v[4:5] op_sel_hi:[1,0,1]
	v_pk_add_f32 v[2:3], v[2:3], v[12:13]
	v_mov_b32_e32 v4, v19
	v_mov_b32_e32 v7, v5
	v_pk_mul_f32 v[4:5], v[10:11], v[4:5] op_sel:[1,0] op_sel_hi:[0,0]
	v_pk_add_f32 v[2:3], v[2:3], v[6:7]
	v_pk_fma_f32 v[6:7], v[10:11], v[18:19], v[4:5] neg_lo:[0,0,1] neg_hi:[0,0,1]
	v_pk_fma_f32 v[4:5], v[10:11], v[18:19], v[4:5] op_sel_hi:[1,0,1]
	s_nop 0
	v_mov_b32_e32 v7, v5
	s_waitcnt vmcnt(1) lgkmcnt(1)
	v_pk_mul_f32 v[4:5], v[28:29], v[20:21] op_sel:[1,1] op_sel_hi:[0,1]
	v_pk_add_f32 v[2:3], v[2:3], v[6:7]
	v_pk_fma_f32 v[6:7], v[28:29], v[20:21], v[4:5] neg_lo:[0,0,1] neg_hi:[0,0,1]
	v_pk_fma_f32 v[4:5], v[28:29], v[20:21], v[4:5] op_sel_hi:[1,0,1]
	s_nop 0
	v_mov_b32_e32 v4, v23
	v_mov_b32_e32 v7, v5
	v_pk_mul_f32 v[4:5], v[30:31], v[4:5] op_sel:[1,0] op_sel_hi:[0,0]
	v_pk_add_f32 v[2:3], v[2:3], v[6:7]
	v_pk_fma_f32 v[6:7], v[30:31], v[22:23], v[4:5] neg_lo:[0,0,1] neg_hi:[0,0,1]
	v_pk_fma_f32 v[4:5], v[30:31], v[22:23], v[4:5] op_sel_hi:[1,0,1]
	s_nop 0
	v_mov_b32_e32 v7, v5
	s_waitcnt vmcnt(0) lgkmcnt(0)
	v_pk_mul_f32 v[4:5], v[32:33], v[24:25] op_sel:[1,1] op_sel_hi:[0,1]
	v_pk_add_f32 v[2:3], v[2:3], v[6:7]
	v_pk_fma_f32 v[6:7], v[32:33], v[24:25], v[4:5] neg_lo:[0,0,1] neg_hi:[0,0,1]
	v_pk_fma_f32 v[4:5], v[32:33], v[24:25], v[4:5] op_sel_hi:[1,0,1]
	s_nop 0
	v_mov_b32_e32 v4, v27
	v_mov_b32_e32 v7, v5
	v_pk_mul_f32 v[4:5], v[34:35], v[4:5] op_sel:[1,0] op_sel_hi:[0,0]
	v_pk_add_f32 v[2:3], v[2:3], v[6:7]
	v_pk_fma_f32 v[6:7], v[34:35], v[26:27], v[4:5] neg_lo:[0,0,1] neg_hi:[0,0,1]
	v_pk_fma_f32 v[4:5], v[34:35], v[26:27], v[4:5] op_sel_hi:[1,0,1]
	s_nop 0
	v_mov_b32_e32 v7, v5
	scratch_load_dwordx2 v[4:5], off, off offset:208
	v_pk_add_f32 v[2:3], v[2:3], v[6:7]
	s_waitcnt vmcnt(0)
	v_pk_add_f32 v[2:3], v[4:5], v[2:3] neg_lo:[0,1] neg_hi:[0,1]
	scratch_store_dwordx2 off, v[2:3], off offset:208
	s_and_saveexec_b64 s[0:1], vcc
	s_cbranch_execz .LBB100_185
; %bb.184:
	scratch_load_dwordx2 v[2:3], off, off offset:200
	v_mov_b32_e32 v4, 0
	v_mov_b32_e32 v5, v4
	scratch_store_dwordx2 off, v[4:5], off offset:200
	s_waitcnt vmcnt(1)
	ds_write_b64 v1, v[2:3]
.LBB100_185:
	s_or_b64 exec, exec, s[0:1]
	v_mov_b32_e32 v2, 0
	s_waitcnt lgkmcnt(0)
	; wave barrier
	ds_read_b128 v[4:7], v2 offset:512
	ds_read_b128 v[8:11], v2 offset:528
	;; [unrolled: 1-line block ×4, first 2 shown]
	scratch_load_dwordx4 v[20:23], off, off offset:208
	scratch_load_dwordx4 v[24:27], off, off offset:224
	;; [unrolled: 1-line block ×5, first 2 shown]
	scratch_load_dwordx2 v[46:47], off, off offset:288
	v_cmp_lt_u32_e32 vcc, 24, v0
	s_waitcnt vmcnt(5) lgkmcnt(3)
	v_mul_f32_e32 v3, v4, v21
	v_fmac_f32_e32 v3, v5, v20
	v_add_f32_e32 v41, 0, v3
	v_mul_f32_e32 v3, v5, v21
	v_fma_f32 v3, v4, v20, -v3
	v_mul_f32_e32 v43, v6, v23
	v_add_f32_e32 v40, 0, v3
	v_mul_f32_e32 v3, v7, v23
	v_fmac_f32_e32 v43, v7, v22
	v_fma_f32 v42, v6, v22, -v3
	s_waitcnt vmcnt(4)
	v_mov_b32_e32 v22, v27
	s_waitcnt lgkmcnt(2)
	v_mul_f32_e32 v45, v8, v25
	v_mul_f32_e32 v3, v9, v25
	v_pk_mul_f32 v[22:23], v[10:11], v[22:23] op_sel:[1,0] op_sel_hi:[0,0]
	v_fmac_f32_e32 v45, v9, v24
	v_fma_f32 v44, v8, v24, -v3
	v_pk_add_f32 v[20:21], v[40:41], v[42:43]
	v_pk_fma_f32 v[24:25], v[10:11], v[26:27], v[22:23] neg_lo:[0,0,1] neg_hi:[0,0,1]
	v_pk_fma_f32 v[10:11], v[10:11], v[26:27], v[22:23] op_sel_hi:[1,0,1]
	v_pk_add_f32 v[20:21], v[20:21], v[44:45]
	v_mov_b32_e32 v25, v11
	v_pk_add_f32 v[10:11], v[20:21], v[24:25]
	s_waitcnt vmcnt(3) lgkmcnt(1)
	v_pk_mul_f32 v[20:21], v[12:13], v[28:29] op_sel:[1,1] op_sel_hi:[0,1]
	v_pk_fma_f32 v[22:23], v[12:13], v[28:29], v[20:21] neg_lo:[0,0,1] neg_hi:[0,0,1]
	v_pk_fma_f32 v[12:13], v[12:13], v[28:29], v[20:21] op_sel_hi:[1,0,1]
	ds_read_b128 v[4:7], v2 offset:576
	ds_read_b64 v[8:9], v2 offset:592
	v_mov_b32_e32 v12, v31
	v_mov_b32_e32 v23, v13
	v_pk_mul_f32 v[12:13], v[14:15], v[12:13] op_sel:[1,0] op_sel_hi:[0,0]
	v_pk_fma_f32 v[20:21], v[14:15], v[30:31], v[12:13] neg_lo:[0,0,1] neg_hi:[0,0,1]
	v_pk_fma_f32 v[12:13], v[14:15], v[30:31], v[12:13] op_sel_hi:[1,0,1]
	v_pk_add_f32 v[10:11], v[10:11], v[22:23]
	v_mov_b32_e32 v21, v13
	s_waitcnt vmcnt(2) lgkmcnt(2)
	v_pk_mul_f32 v[12:13], v[16:17], v[32:33] op_sel:[1,1] op_sel_hi:[0,1]
	v_pk_fma_f32 v[14:15], v[16:17], v[32:33], v[12:13] neg_lo:[0,0,1] neg_hi:[0,0,1]
	v_pk_fma_f32 v[12:13], v[16:17], v[32:33], v[12:13] op_sel_hi:[1,0,1]
	v_pk_add_f32 v[10:11], v[10:11], v[20:21]
	v_mov_b32_e32 v12, v35
	v_mov_b32_e32 v15, v13
	v_pk_mul_f32 v[12:13], v[18:19], v[12:13] op_sel:[1,0] op_sel_hi:[0,0]
	v_pk_add_f32 v[10:11], v[10:11], v[14:15]
	v_pk_fma_f32 v[14:15], v[18:19], v[34:35], v[12:13] neg_lo:[0,0,1] neg_hi:[0,0,1]
	v_pk_fma_f32 v[12:13], v[18:19], v[34:35], v[12:13] op_sel_hi:[1,0,1]
	s_nop 0
	v_mov_b32_e32 v15, v13
	s_waitcnt vmcnt(1) lgkmcnt(1)
	v_pk_mul_f32 v[12:13], v[4:5], v[36:37] op_sel:[1,1] op_sel_hi:[0,1]
	v_pk_add_f32 v[10:11], v[10:11], v[14:15]
	v_pk_fma_f32 v[14:15], v[4:5], v[36:37], v[12:13] neg_lo:[0,0,1] neg_hi:[0,0,1]
	v_pk_fma_f32 v[4:5], v[4:5], v[36:37], v[12:13] op_sel_hi:[1,0,1]
	s_nop 0
	v_mov_b32_e32 v15, v5
	v_pk_add_f32 v[4:5], v[10:11], v[14:15]
	v_mov_b32_e32 v10, v39
	v_pk_mul_f32 v[10:11], v[6:7], v[10:11] op_sel:[1,0] op_sel_hi:[0,0]
	v_pk_fma_f32 v[12:13], v[6:7], v[38:39], v[10:11] neg_lo:[0,0,1] neg_hi:[0,0,1]
	v_pk_fma_f32 v[6:7], v[6:7], v[38:39], v[10:11] op_sel_hi:[1,0,1]
	s_nop 0
	v_mov_b32_e32 v13, v7
	s_waitcnt vmcnt(0) lgkmcnt(0)
	v_pk_mul_f32 v[6:7], v[8:9], v[46:47] op_sel:[1,1] op_sel_hi:[0,1]
	v_pk_fma_f32 v[10:11], v[8:9], v[46:47], v[6:7] neg_lo:[0,0,1] neg_hi:[0,0,1]
	v_pk_fma_f32 v[6:7], v[8:9], v[46:47], v[6:7] op_sel_hi:[1,0,1]
	v_pk_add_f32 v[4:5], v[4:5], v[12:13]
	v_mov_b32_e32 v11, v7
	scratch_load_dwordx2 v[6:7], off, off offset:200
	v_pk_add_f32 v[4:5], v[4:5], v[10:11]
	s_waitcnt vmcnt(0)
	v_pk_add_f32 v[4:5], v[6:7], v[4:5] neg_lo:[0,1] neg_hi:[0,1]
	scratch_store_dwordx2 off, v[4:5], off offset:200
	s_and_saveexec_b64 s[0:1], vcc
	s_cbranch_execz .LBB100_187
; %bb.186:
	scratch_load_dwordx2 v[4:5], off, off offset:192
	v_mov_b32_e32 v3, v2
	scratch_store_dwordx2 off, v[2:3], off offset:192
	s_waitcnt vmcnt(1)
	ds_write_b64 v1, v[4:5]
.LBB100_187:
	s_or_b64 exec, exec, s[0:1]
	s_waitcnt lgkmcnt(0)
	; wave barrier
	scratch_load_dwordx4 v[8:11], off, off offset:200
	scratch_load_dwordx4 v[16:19], off, off offset:216
	ds_read2_b64 v[4:7], v2 offset0:63 offset1:64
	v_cmp_lt_u32_e32 vcc, 23, v0
	s_waitcnt vmcnt(1) lgkmcnt(0)
	v_mul_f32_e32 v3, v4, v9
	v_fmac_f32_e32 v3, v5, v8
	v_mul_f32_e32 v12, v6, v11
	v_add_f32_e32 v3, 0, v3
	v_fmac_f32_e32 v12, v7, v10
	v_add_f32_e32 v37, v3, v12
	ds_read2_b64 v[12:15], v2 offset0:65 offset1:66
	scratch_load_dwordx4 v[20:23], off, off offset:232
	scratch_load_dwordx4 v[24:27], off, off offset:248
	;; [unrolled: 1-line block ×4, first 2 shown]
	v_mul_f32_e32 v3, v5, v9
	v_fma_f32 v3, v4, v8, -v3
	v_mul_f32_e32 v4, v7, v11
	v_add_f32_e32 v3, 0, v3
	v_fma_f32 v4, v6, v10, -v4
	v_add_f32_e32 v36, v3, v4
	s_waitcnt vmcnt(4) lgkmcnt(0)
	v_mul_f32_e32 v3, v13, v17
	v_mul_f32_e32 v39, v12, v17
	;; [unrolled: 1-line block ×3, first 2 shown]
	v_fma_f32 v38, v12, v16, -v3
	v_mul_f32_e32 v3, v15, v19
	v_fmac_f32_e32 v39, v13, v16
	v_fmac_f32_e32 v41, v15, v18
	v_fma_f32 v40, v14, v18, -v3
	ds_read2_b64 v[4:7], v2 offset0:67 offset1:68
	ds_read2_b64 v[8:11], v2 offset0:69 offset1:70
	;; [unrolled: 1-line block ×4, first 2 shown]
	v_pk_add_f32 v[2:3], v[36:37], v[38:39]
	s_waitcnt vmcnt(3) lgkmcnt(3)
	v_pk_mul_f32 v[36:37], v[4:5], v[20:21] op_sel:[1,1] op_sel_hi:[0,1]
	v_pk_fma_f32 v[38:39], v[4:5], v[20:21], v[36:37] neg_lo:[0,0,1] neg_hi:[0,0,1]
	v_pk_fma_f32 v[4:5], v[4:5], v[20:21], v[36:37] op_sel_hi:[1,0,1]
	v_pk_add_f32 v[2:3], v[2:3], v[40:41]
	v_mov_b32_e32 v4, v23
	v_mov_b32_e32 v39, v5
	v_pk_mul_f32 v[4:5], v[6:7], v[4:5] op_sel:[1,0] op_sel_hi:[0,0]
	v_pk_fma_f32 v[20:21], v[6:7], v[22:23], v[4:5] neg_lo:[0,0,1] neg_hi:[0,0,1]
	v_pk_fma_f32 v[4:5], v[6:7], v[22:23], v[4:5] op_sel_hi:[1,0,1]
	v_pk_add_f32 v[2:3], v[2:3], v[38:39]
	v_mov_b32_e32 v21, v5
	s_waitcnt vmcnt(2) lgkmcnt(2)
	v_pk_mul_f32 v[4:5], v[8:9], v[24:25] op_sel:[1,1] op_sel_hi:[0,1]
	v_pk_fma_f32 v[6:7], v[8:9], v[24:25], v[4:5] neg_lo:[0,0,1] neg_hi:[0,0,1]
	v_pk_fma_f32 v[4:5], v[8:9], v[24:25], v[4:5] op_sel_hi:[1,0,1]
	v_pk_add_f32 v[2:3], v[2:3], v[20:21]
	v_mov_b32_e32 v4, v27
	v_mov_b32_e32 v7, v5
	v_pk_mul_f32 v[4:5], v[10:11], v[4:5] op_sel:[1,0] op_sel_hi:[0,0]
	v_pk_add_f32 v[2:3], v[2:3], v[6:7]
	v_pk_fma_f32 v[6:7], v[10:11], v[26:27], v[4:5] neg_lo:[0,0,1] neg_hi:[0,0,1]
	v_pk_fma_f32 v[4:5], v[10:11], v[26:27], v[4:5] op_sel_hi:[1,0,1]
	s_nop 0
	v_mov_b32_e32 v7, v5
	s_waitcnt vmcnt(1) lgkmcnt(1)
	v_pk_mul_f32 v[4:5], v[12:13], v[28:29] op_sel:[1,1] op_sel_hi:[0,1]
	v_pk_add_f32 v[2:3], v[2:3], v[6:7]
	v_pk_fma_f32 v[6:7], v[12:13], v[28:29], v[4:5] neg_lo:[0,0,1] neg_hi:[0,0,1]
	v_pk_fma_f32 v[4:5], v[12:13], v[28:29], v[4:5] op_sel_hi:[1,0,1]
	s_nop 0
	v_mov_b32_e32 v4, v31
	v_mov_b32_e32 v7, v5
	v_pk_mul_f32 v[4:5], v[14:15], v[4:5] op_sel:[1,0] op_sel_hi:[0,0]
	v_pk_add_f32 v[2:3], v[2:3], v[6:7]
	v_pk_fma_f32 v[6:7], v[14:15], v[30:31], v[4:5] neg_lo:[0,0,1] neg_hi:[0,0,1]
	v_pk_fma_f32 v[4:5], v[14:15], v[30:31], v[4:5] op_sel_hi:[1,0,1]
	s_nop 0
	v_mov_b32_e32 v7, v5
	s_waitcnt vmcnt(0) lgkmcnt(0)
	v_pk_mul_f32 v[4:5], v[16:17], v[32:33] op_sel:[1,1] op_sel_hi:[0,1]
	v_pk_add_f32 v[2:3], v[2:3], v[6:7]
	v_pk_fma_f32 v[6:7], v[16:17], v[32:33], v[4:5] neg_lo:[0,0,1] neg_hi:[0,0,1]
	v_pk_fma_f32 v[4:5], v[16:17], v[32:33], v[4:5] op_sel_hi:[1,0,1]
	s_nop 0
	v_mov_b32_e32 v4, v35
	v_mov_b32_e32 v7, v5
	v_pk_mul_f32 v[4:5], v[18:19], v[4:5] op_sel:[1,0] op_sel_hi:[0,0]
	v_pk_add_f32 v[2:3], v[2:3], v[6:7]
	v_pk_fma_f32 v[6:7], v[18:19], v[34:35], v[4:5] neg_lo:[0,0,1] neg_hi:[0,0,1]
	v_pk_fma_f32 v[4:5], v[18:19], v[34:35], v[4:5] op_sel_hi:[1,0,1]
	s_nop 0
	v_mov_b32_e32 v7, v5
	scratch_load_dwordx2 v[4:5], off, off offset:192
	v_pk_add_f32 v[2:3], v[2:3], v[6:7]
	s_waitcnt vmcnt(0)
	v_pk_add_f32 v[2:3], v[4:5], v[2:3] neg_lo:[0,1] neg_hi:[0,1]
	scratch_store_dwordx2 off, v[2:3], off offset:192
	s_and_saveexec_b64 s[0:1], vcc
	s_cbranch_execz .LBB100_189
; %bb.188:
	scratch_load_dwordx2 v[2:3], off, off offset:184
	v_mov_b32_e32 v4, 0
	v_mov_b32_e32 v5, v4
	scratch_store_dwordx2 off, v[4:5], off offset:184
	s_waitcnt vmcnt(1)
	ds_write_b64 v1, v[2:3]
.LBB100_189:
	s_or_b64 exec, exec, s[0:1]
	v_mov_b32_e32 v2, 0
	s_waitcnt lgkmcnt(0)
	; wave barrier
	ds_read_b128 v[4:7], v2 offset:496
	ds_read_b128 v[8:11], v2 offset:512
	;; [unrolled: 1-line block ×4, first 2 shown]
	scratch_load_dwordx4 v[20:23], off, off offset:192
	v_cmp_lt_u32_e32 vcc, 22, v0
	s_waitcnt vmcnt(0) lgkmcnt(3)
	v_mul_f32_e32 v3, v4, v21
	v_fmac_f32_e32 v3, v5, v20
	v_mul_f32_e32 v24, v6, v23
	v_add_f32_e32 v3, 0, v3
	v_fmac_f32_e32 v24, v7, v22
	v_add_f32_e32 v3, v3, v24
	scratch_load_dwordx4 v[24:27], off, off offset:208
	s_waitcnt vmcnt(0) lgkmcnt(2)
	v_mul_f32_e32 v28, v8, v25
	v_fmac_f32_e32 v28, v9, v24
	v_add_f32_e32 v45, v3, v28
	scratch_load_dwordx4 v[28:31], off, off offset:224
	scratch_load_dwordx4 v[32:35], off, off offset:240
	;; [unrolled: 1-line block ×4, first 2 shown]
	scratch_load_dwordx2 v[50:51], off, off offset:288
	v_mul_f32_e32 v3, v5, v21
	v_fma_f32 v3, v4, v20, -v3
	v_mul_f32_e32 v4, v7, v23
	v_add_f32_e32 v3, 0, v3
	v_fma_f32 v4, v6, v22, -v4
	v_add_f32_e32 v3, v3, v4
	v_mul_f32_e32 v4, v9, v25
	v_fma_f32 v4, v8, v24, -v4
	v_mul_f32_e32 v47, v10, v27
	v_add_f32_e32 v44, v3, v4
	v_mul_f32_e32 v3, v11, v27
	v_fmac_f32_e32 v47, v11, v26
	v_fma_f32 v46, v10, v26, -v3
	v_pk_add_f32 v[20:21], v[44:45], v[46:47]
	s_waitcnt vmcnt(4)
	v_mov_b32_e32 v22, v31
	s_waitcnt lgkmcnt(1)
	v_mul_f32_e32 v49, v12, v29
	v_mul_f32_e32 v3, v13, v29
	v_pk_mul_f32 v[22:23], v[14:15], v[22:23] op_sel:[1,0] op_sel_hi:[0,0]
	v_fmac_f32_e32 v49, v13, v28
	v_fma_f32 v48, v12, v28, -v3
	v_pk_fma_f32 v[24:25], v[14:15], v[30:31], v[22:23] neg_lo:[0,0,1] neg_hi:[0,0,1]
	v_pk_fma_f32 v[14:15], v[14:15], v[30:31], v[22:23] op_sel_hi:[1,0,1]
	v_pk_add_f32 v[20:21], v[20:21], v[48:49]
	v_mov_b32_e32 v25, v15
	v_pk_add_f32 v[14:15], v[20:21], v[24:25]
	s_waitcnt vmcnt(3) lgkmcnt(0)
	v_pk_mul_f32 v[20:21], v[16:17], v[32:33] op_sel:[1,1] op_sel_hi:[0,1]
	v_pk_fma_f32 v[22:23], v[16:17], v[32:33], v[20:21] neg_lo:[0,0,1] neg_hi:[0,0,1]
	v_pk_fma_f32 v[16:17], v[16:17], v[32:33], v[20:21] op_sel_hi:[1,0,1]
	ds_read_b128 v[4:7], v2 offset:560
	ds_read_b128 v[8:11], v2 offset:576
	ds_read_b64 v[12:13], v2 offset:592
	v_mov_b32_e32 v16, v35
	v_mov_b32_e32 v23, v17
	v_pk_mul_f32 v[16:17], v[18:19], v[16:17] op_sel:[1,0] op_sel_hi:[0,0]
	v_pk_fma_f32 v[20:21], v[18:19], v[34:35], v[16:17] neg_lo:[0,0,1] neg_hi:[0,0,1]
	v_pk_fma_f32 v[16:17], v[18:19], v[34:35], v[16:17] op_sel_hi:[1,0,1]
	v_pk_add_f32 v[14:15], v[14:15], v[22:23]
	v_mov_b32_e32 v21, v17
	s_waitcnt vmcnt(2) lgkmcnt(2)
	v_pk_mul_f32 v[16:17], v[4:5], v[36:37] op_sel:[1,1] op_sel_hi:[0,1]
	v_pk_fma_f32 v[18:19], v[4:5], v[36:37], v[16:17] neg_lo:[0,0,1] neg_hi:[0,0,1]
	v_pk_fma_f32 v[4:5], v[4:5], v[36:37], v[16:17] op_sel_hi:[1,0,1]
	v_pk_add_f32 v[14:15], v[14:15], v[20:21]
	v_mov_b32_e32 v19, v5
	v_pk_add_f32 v[4:5], v[14:15], v[18:19]
	v_mov_b32_e32 v14, v39
	v_pk_mul_f32 v[14:15], v[6:7], v[14:15] op_sel:[1,0] op_sel_hi:[0,0]
	v_pk_fma_f32 v[16:17], v[6:7], v[38:39], v[14:15] neg_lo:[0,0,1] neg_hi:[0,0,1]
	v_pk_fma_f32 v[6:7], v[6:7], v[38:39], v[14:15] op_sel_hi:[1,0,1]
	s_nop 0
	v_mov_b32_e32 v17, v7
	s_waitcnt vmcnt(1) lgkmcnt(1)
	v_pk_mul_f32 v[6:7], v[8:9], v[40:41] op_sel:[1,1] op_sel_hi:[0,1]
	v_pk_fma_f32 v[14:15], v[8:9], v[40:41], v[6:7] neg_lo:[0,0,1] neg_hi:[0,0,1]
	v_pk_fma_f32 v[6:7], v[8:9], v[40:41], v[6:7] op_sel_hi:[1,0,1]
	v_pk_add_f32 v[4:5], v[4:5], v[16:17]
	v_mov_b32_e32 v6, v43
	v_mov_b32_e32 v15, v7
	v_pk_mul_f32 v[6:7], v[10:11], v[6:7] op_sel:[1,0] op_sel_hi:[0,0]
	v_pk_fma_f32 v[8:9], v[10:11], v[42:43], v[6:7] neg_lo:[0,0,1] neg_hi:[0,0,1]
	v_pk_fma_f32 v[6:7], v[10:11], v[42:43], v[6:7] op_sel_hi:[1,0,1]
	v_pk_add_f32 v[4:5], v[4:5], v[14:15]
	v_mov_b32_e32 v9, v7
	s_waitcnt vmcnt(0) lgkmcnt(0)
	v_pk_mul_f32 v[6:7], v[12:13], v[50:51] op_sel:[1,1] op_sel_hi:[0,1]
	v_pk_add_f32 v[4:5], v[4:5], v[8:9]
	v_pk_fma_f32 v[8:9], v[12:13], v[50:51], v[6:7] neg_lo:[0,0,1] neg_hi:[0,0,1]
	v_pk_fma_f32 v[6:7], v[12:13], v[50:51], v[6:7] op_sel_hi:[1,0,1]
	s_nop 0
	v_mov_b32_e32 v9, v7
	scratch_load_dwordx2 v[6:7], off, off offset:184
	v_pk_add_f32 v[4:5], v[4:5], v[8:9]
	s_waitcnt vmcnt(0)
	v_pk_add_f32 v[4:5], v[6:7], v[4:5] neg_lo:[0,1] neg_hi:[0,1]
	scratch_store_dwordx2 off, v[4:5], off offset:184
	s_and_saveexec_b64 s[0:1], vcc
	s_cbranch_execz .LBB100_191
; %bb.190:
	scratch_load_dwordx2 v[4:5], off, off offset:176
	v_mov_b32_e32 v3, v2
	scratch_store_dwordx2 off, v[2:3], off offset:176
	s_waitcnt vmcnt(1)
	ds_write_b64 v1, v[4:5]
.LBB100_191:
	s_or_b64 exec, exec, s[0:1]
	s_waitcnt lgkmcnt(0)
	; wave barrier
	scratch_load_dwordx4 v[8:11], off, off offset:184
	scratch_load_dwordx4 v[16:19], off, off offset:200
	ds_read2_b64 v[4:7], v2 offset0:61 offset1:62
	scratch_load_dwordx4 v[24:27], off, off offset:216
	v_cmp_lt_u32_e32 vcc, 21, v0
	s_waitcnt vmcnt(2) lgkmcnt(0)
	v_mul_f32_e32 v3, v4, v9
	v_fmac_f32_e32 v3, v5, v8
	v_mul_f32_e32 v12, v6, v11
	v_add_f32_e32 v3, 0, v3
	v_fmac_f32_e32 v12, v7, v10
	v_add_f32_e32 v3, v3, v12
	ds_read2_b64 v[12:15], v2 offset0:63 offset1:64
	s_waitcnt vmcnt(1) lgkmcnt(0)
	v_mul_f32_e32 v20, v12, v17
	v_fmac_f32_e32 v20, v13, v16
	v_add_f32_e32 v3, v3, v20
	v_mul_f32_e32 v20, v14, v19
	v_fmac_f32_e32 v20, v15, v18
	v_add_f32_e32 v45, v3, v20
	ds_read2_b64 v[20:23], v2 offset0:65 offset1:66
	scratch_load_dwordx4 v[28:31], off, off offset:232
	scratch_load_dwordx4 v[32:35], off, off offset:248
	;; [unrolled: 1-line block ×4, first 2 shown]
	v_mul_f32_e32 v3, v5, v9
	v_fma_f32 v3, v4, v8, -v3
	v_mul_f32_e32 v4, v7, v11
	v_add_f32_e32 v3, 0, v3
	v_fma_f32 v4, v6, v10, -v4
	v_add_f32_e32 v3, v3, v4
	v_mul_f32_e32 v4, v13, v17
	v_fma_f32 v4, v12, v16, -v4
	v_add_f32_e32 v3, v3, v4
	v_mul_f32_e32 v4, v15, v19
	v_fma_f32 v4, v14, v18, -v4
	v_add_f32_e32 v44, v3, v4
	ds_read2_b64 v[4:7], v2 offset0:67 offset1:68
	ds_read2_b64 v[8:11], v2 offset0:69 offset1:70
	;; [unrolled: 1-line block ×4, first 2 shown]
	s_waitcnt vmcnt(4) lgkmcnt(4)
	v_mul_f32_e32 v47, v20, v25
	v_mul_f32_e32 v3, v21, v25
	v_fmac_f32_e32 v47, v21, v24
	v_mul_f32_e32 v49, v22, v27
	v_fma_f32 v46, v20, v24, -v3
	v_mul_f32_e32 v3, v23, v27
	v_fmac_f32_e32 v49, v23, v26
	v_fma_f32 v48, v22, v26, -v3
	v_pk_add_f32 v[2:3], v[44:45], v[46:47]
	s_waitcnt vmcnt(3) lgkmcnt(3)
	v_pk_mul_f32 v[20:21], v[4:5], v[28:29] op_sel:[1,1] op_sel_hi:[0,1]
	v_pk_fma_f32 v[22:23], v[4:5], v[28:29], v[20:21] neg_lo:[0,0,1] neg_hi:[0,0,1]
	v_pk_fma_f32 v[4:5], v[4:5], v[28:29], v[20:21] op_sel_hi:[1,0,1]
	v_pk_add_f32 v[2:3], v[2:3], v[48:49]
	v_mov_b32_e32 v4, v31
	v_mov_b32_e32 v23, v5
	v_pk_mul_f32 v[4:5], v[6:7], v[4:5] op_sel:[1,0] op_sel_hi:[0,0]
	v_pk_fma_f32 v[20:21], v[6:7], v[30:31], v[4:5] neg_lo:[0,0,1] neg_hi:[0,0,1]
	v_pk_fma_f32 v[4:5], v[6:7], v[30:31], v[4:5] op_sel_hi:[1,0,1]
	v_pk_add_f32 v[2:3], v[2:3], v[22:23]
	v_mov_b32_e32 v21, v5
	s_waitcnt vmcnt(2) lgkmcnt(2)
	v_pk_mul_f32 v[4:5], v[8:9], v[32:33] op_sel:[1,1] op_sel_hi:[0,1]
	v_pk_fma_f32 v[6:7], v[8:9], v[32:33], v[4:5] neg_lo:[0,0,1] neg_hi:[0,0,1]
	v_pk_fma_f32 v[4:5], v[8:9], v[32:33], v[4:5] op_sel_hi:[1,0,1]
	v_pk_add_f32 v[2:3], v[2:3], v[20:21]
	v_mov_b32_e32 v4, v35
	v_mov_b32_e32 v7, v5
	v_pk_mul_f32 v[4:5], v[10:11], v[4:5] op_sel:[1,0] op_sel_hi:[0,0]
	v_pk_add_f32 v[2:3], v[2:3], v[6:7]
	v_pk_fma_f32 v[6:7], v[10:11], v[34:35], v[4:5] neg_lo:[0,0,1] neg_hi:[0,0,1]
	v_pk_fma_f32 v[4:5], v[10:11], v[34:35], v[4:5] op_sel_hi:[1,0,1]
	s_nop 0
	v_mov_b32_e32 v7, v5
	s_waitcnt vmcnt(1) lgkmcnt(1)
	v_pk_mul_f32 v[4:5], v[12:13], v[36:37] op_sel:[1,1] op_sel_hi:[0,1]
	v_pk_add_f32 v[2:3], v[2:3], v[6:7]
	v_pk_fma_f32 v[6:7], v[12:13], v[36:37], v[4:5] neg_lo:[0,0,1] neg_hi:[0,0,1]
	v_pk_fma_f32 v[4:5], v[12:13], v[36:37], v[4:5] op_sel_hi:[1,0,1]
	s_nop 0
	v_mov_b32_e32 v4, v39
	v_mov_b32_e32 v7, v5
	v_pk_mul_f32 v[4:5], v[14:15], v[4:5] op_sel:[1,0] op_sel_hi:[0,0]
	v_pk_add_f32 v[2:3], v[2:3], v[6:7]
	v_pk_fma_f32 v[6:7], v[14:15], v[38:39], v[4:5] neg_lo:[0,0,1] neg_hi:[0,0,1]
	v_pk_fma_f32 v[4:5], v[14:15], v[38:39], v[4:5] op_sel_hi:[1,0,1]
	s_nop 0
	v_mov_b32_e32 v7, v5
	s_waitcnt vmcnt(0) lgkmcnt(0)
	v_pk_mul_f32 v[4:5], v[16:17], v[40:41] op_sel:[1,1] op_sel_hi:[0,1]
	v_pk_add_f32 v[2:3], v[2:3], v[6:7]
	v_pk_fma_f32 v[6:7], v[16:17], v[40:41], v[4:5] neg_lo:[0,0,1] neg_hi:[0,0,1]
	v_pk_fma_f32 v[4:5], v[16:17], v[40:41], v[4:5] op_sel_hi:[1,0,1]
	s_nop 0
	v_mov_b32_e32 v4, v43
	v_mov_b32_e32 v7, v5
	v_pk_mul_f32 v[4:5], v[18:19], v[4:5] op_sel:[1,0] op_sel_hi:[0,0]
	v_pk_add_f32 v[2:3], v[2:3], v[6:7]
	v_pk_fma_f32 v[6:7], v[18:19], v[42:43], v[4:5] neg_lo:[0,0,1] neg_hi:[0,0,1]
	v_pk_fma_f32 v[4:5], v[18:19], v[42:43], v[4:5] op_sel_hi:[1,0,1]
	s_nop 0
	v_mov_b32_e32 v7, v5
	scratch_load_dwordx2 v[4:5], off, off offset:176
	v_pk_add_f32 v[2:3], v[2:3], v[6:7]
	s_waitcnt vmcnt(0)
	v_pk_add_f32 v[2:3], v[4:5], v[2:3] neg_lo:[0,1] neg_hi:[0,1]
	scratch_store_dwordx2 off, v[2:3], off offset:176
	s_and_saveexec_b64 s[0:1], vcc
	s_cbranch_execz .LBB100_193
; %bb.192:
	scratch_load_dwordx2 v[2:3], off, off offset:168
	v_mov_b32_e32 v4, 0
	v_mov_b32_e32 v5, v4
	scratch_store_dwordx2 off, v[4:5], off offset:168
	s_waitcnt vmcnt(1)
	ds_write_b64 v1, v[2:3]
.LBB100_193:
	s_or_b64 exec, exec, s[0:1]
	v_mov_b32_e32 v2, 0
	s_waitcnt lgkmcnt(0)
	; wave barrier
	ds_read_b128 v[4:7], v2 offset:480
	ds_read_b128 v[8:11], v2 offset:496
	ds_read_b128 v[12:15], v2 offset:512
	ds_read_b128 v[16:19], v2 offset:528
	scratch_load_dwordx4 v[20:23], off, off offset:176
	v_cmp_lt_u32_e32 vcc, 20, v0
	s_waitcnt vmcnt(0) lgkmcnt(3)
	v_mul_f32_e32 v3, v4, v21
	v_fmac_f32_e32 v3, v5, v20
	v_mul_f32_e32 v24, v6, v23
	v_add_f32_e32 v3, 0, v3
	v_fmac_f32_e32 v24, v7, v22
	v_add_f32_e32 v3, v3, v24
	scratch_load_dwordx4 v[24:27], off, off offset:192
	s_waitcnt vmcnt(0) lgkmcnt(2)
	v_mul_f32_e32 v28, v8, v25
	v_fmac_f32_e32 v28, v9, v24
	v_add_f32_e32 v3, v3, v28
	v_mul_f32_e32 v28, v10, v27
	v_fmac_f32_e32 v28, v11, v26
	v_add_f32_e32 v3, v3, v28
	scratch_load_dwordx4 v[28:31], off, off offset:208
	s_waitcnt vmcnt(0) lgkmcnt(1)
	v_mul_f32_e32 v32, v12, v29
	v_fmac_f32_e32 v32, v13, v28
	v_add_f32_e32 v49, v3, v32
	scratch_load_dwordx4 v[32:35], off, off offset:224
	scratch_load_dwordx4 v[36:39], off, off offset:240
	;; [unrolled: 1-line block ×4, first 2 shown]
	scratch_load_dwordx2 v[54:55], off, off offset:288
	v_mul_f32_e32 v3, v5, v21
	v_fma_f32 v3, v4, v20, -v3
	v_mul_f32_e32 v4, v7, v23
	v_add_f32_e32 v3, 0, v3
	v_fma_f32 v4, v6, v22, -v4
	v_add_f32_e32 v3, v3, v4
	v_mul_f32_e32 v4, v9, v25
	v_fma_f32 v4, v8, v24, -v4
	v_add_f32_e32 v3, v3, v4
	v_mul_f32_e32 v4, v11, v27
	;; [unrolled: 3-line block ×3, first 2 shown]
	v_fma_f32 v4, v12, v28, -v4
	v_mul_f32_e32 v51, v14, v31
	v_add_f32_e32 v48, v3, v4
	v_mul_f32_e32 v3, v15, v31
	v_fmac_f32_e32 v51, v15, v30
	v_fma_f32 v50, v14, v30, -v3
	v_pk_add_f32 v[20:21], v[48:49], v[50:51]
	s_waitcnt vmcnt(4)
	v_mov_b32_e32 v22, v35
	s_waitcnt lgkmcnt(0)
	v_mul_f32_e32 v53, v16, v33
	v_mul_f32_e32 v3, v17, v33
	v_pk_mul_f32 v[22:23], v[18:19], v[22:23] op_sel:[1,0] op_sel_hi:[0,0]
	v_fmac_f32_e32 v53, v17, v32
	v_fma_f32 v52, v16, v32, -v3
	ds_read_b128 v[4:7], v2 offset:544
	ds_read_b128 v[8:11], v2 offset:560
	;; [unrolled: 1-line block ×3, first 2 shown]
	ds_read_b64 v[16:17], v2 offset:592
	v_pk_fma_f32 v[24:25], v[18:19], v[34:35], v[22:23] neg_lo:[0,0,1] neg_hi:[0,0,1]
	v_pk_fma_f32 v[18:19], v[18:19], v[34:35], v[22:23] op_sel_hi:[1,0,1]
	v_pk_add_f32 v[20:21], v[20:21], v[52:53]
	v_mov_b32_e32 v25, v19
	v_pk_add_f32 v[18:19], v[20:21], v[24:25]
	s_waitcnt vmcnt(3) lgkmcnt(3)
	v_pk_mul_f32 v[20:21], v[4:5], v[36:37] op_sel:[1,1] op_sel_hi:[0,1]
	v_pk_fma_f32 v[22:23], v[4:5], v[36:37], v[20:21] neg_lo:[0,0,1] neg_hi:[0,0,1]
	v_pk_fma_f32 v[4:5], v[4:5], v[36:37], v[20:21] op_sel_hi:[1,0,1]
	s_nop 0
	v_mov_b32_e32 v23, v5
	v_pk_add_f32 v[4:5], v[18:19], v[22:23]
	v_mov_b32_e32 v18, v39
	v_pk_mul_f32 v[18:19], v[6:7], v[18:19] op_sel:[1,0] op_sel_hi:[0,0]
	v_pk_fma_f32 v[20:21], v[6:7], v[38:39], v[18:19] neg_lo:[0,0,1] neg_hi:[0,0,1]
	v_pk_fma_f32 v[6:7], v[6:7], v[38:39], v[18:19] op_sel_hi:[1,0,1]
	s_nop 0
	v_mov_b32_e32 v21, v7
	s_waitcnt vmcnt(2) lgkmcnt(2)
	v_pk_mul_f32 v[6:7], v[8:9], v[40:41] op_sel:[1,1] op_sel_hi:[0,1]
	v_pk_fma_f32 v[18:19], v[8:9], v[40:41], v[6:7] neg_lo:[0,0,1] neg_hi:[0,0,1]
	v_pk_fma_f32 v[6:7], v[8:9], v[40:41], v[6:7] op_sel_hi:[1,0,1]
	v_pk_add_f32 v[4:5], v[4:5], v[20:21]
	v_mov_b32_e32 v6, v43
	v_mov_b32_e32 v19, v7
	v_pk_mul_f32 v[6:7], v[10:11], v[6:7] op_sel:[1,0] op_sel_hi:[0,0]
	v_pk_fma_f32 v[8:9], v[10:11], v[42:43], v[6:7] neg_lo:[0,0,1] neg_hi:[0,0,1]
	v_pk_fma_f32 v[6:7], v[10:11], v[42:43], v[6:7] op_sel_hi:[1,0,1]
	v_pk_add_f32 v[4:5], v[4:5], v[18:19]
	v_mov_b32_e32 v9, v7
	s_waitcnt vmcnt(1) lgkmcnt(1)
	v_pk_mul_f32 v[6:7], v[12:13], v[44:45] op_sel:[1,1] op_sel_hi:[0,1]
	v_pk_add_f32 v[4:5], v[4:5], v[8:9]
	v_pk_fma_f32 v[8:9], v[12:13], v[44:45], v[6:7] neg_lo:[0,0,1] neg_hi:[0,0,1]
	v_pk_fma_f32 v[6:7], v[12:13], v[44:45], v[6:7] op_sel_hi:[1,0,1]
	s_nop 0
	v_mov_b32_e32 v6, v47
	v_mov_b32_e32 v9, v7
	v_pk_mul_f32 v[6:7], v[14:15], v[6:7] op_sel:[1,0] op_sel_hi:[0,0]
	v_pk_add_f32 v[4:5], v[4:5], v[8:9]
	v_pk_fma_f32 v[8:9], v[14:15], v[46:47], v[6:7] neg_lo:[0,0,1] neg_hi:[0,0,1]
	v_pk_fma_f32 v[6:7], v[14:15], v[46:47], v[6:7] op_sel_hi:[1,0,1]
	s_nop 0
	v_mov_b32_e32 v9, v7
	s_waitcnt vmcnt(0) lgkmcnt(0)
	v_pk_mul_f32 v[6:7], v[16:17], v[54:55] op_sel:[1,1] op_sel_hi:[0,1]
	v_pk_add_f32 v[4:5], v[4:5], v[8:9]
	v_pk_fma_f32 v[8:9], v[16:17], v[54:55], v[6:7] neg_lo:[0,0,1] neg_hi:[0,0,1]
	v_pk_fma_f32 v[6:7], v[16:17], v[54:55], v[6:7] op_sel_hi:[1,0,1]
	s_nop 0
	v_mov_b32_e32 v9, v7
	scratch_load_dwordx2 v[6:7], off, off offset:168
	v_pk_add_f32 v[4:5], v[4:5], v[8:9]
	s_waitcnt vmcnt(0)
	v_pk_add_f32 v[4:5], v[6:7], v[4:5] neg_lo:[0,1] neg_hi:[0,1]
	scratch_store_dwordx2 off, v[4:5], off offset:168
	s_and_saveexec_b64 s[0:1], vcc
	s_cbranch_execz .LBB100_195
; %bb.194:
	scratch_load_dwordx2 v[4:5], off, off offset:160
	v_mov_b32_e32 v3, v2
	scratch_store_dwordx2 off, v[2:3], off offset:160
	s_waitcnt vmcnt(1)
	ds_write_b64 v1, v[4:5]
.LBB100_195:
	s_or_b64 exec, exec, s[0:1]
	s_waitcnt lgkmcnt(0)
	; wave barrier
	scratch_load_dwordx4 v[4:7], off, off offset:168
	scratch_load_dwordx4 v[8:11], off, off offset:184
	;; [unrolled: 1-line block ×7, first 2 shown]
	ds_read2_b64 v[32:35], v2 offset0:59 offset1:60
	ds_read2_b64 v[36:39], v2 offset0:61 offset1:62
	ds_read2_b64 v[40:43], v2 offset0:63 offset1:64
	ds_read2_b64 v[44:47], v2 offset0:65 offset1:66
	scratch_load_dwordx4 v[48:51], off, off offset:280
	ds_read2_b64 v[52:55], v2 offset0:67 offset1:68
	ds_read2_b64 v[56:59], v2 offset0:69 offset1:70
	;; [unrolled: 1-line block ×4, first 2 shown]
	scratch_load_dwordx2 v[2:3], off, off offset:160
	v_cmp_lt_u32_e32 vcc, 19, v0
	s_waitcnt vmcnt(8) lgkmcnt(7)
	v_mul_f32_e32 v75, v32, v5
	v_mul_f32_e32 v79, v34, v7
	s_waitcnt vmcnt(7) lgkmcnt(6)
	v_mul_f32_e32 v83, v36, v9
	v_mul_f32_e32 v84, v38, v11
	s_waitcnt vmcnt(6) lgkmcnt(5)
	v_mul_f32_e32 v85, v40, v13
	v_mul_f32_e32 v86, v42, v15
	v_mul_f32_e32 v5, v33, v5
	v_mul_f32_e32 v7, v35, v7
	;; [unrolled: 1-line block ×6, first 2 shown]
	s_waitcnt vmcnt(4) lgkmcnt(3)
	v_pk_mul_f32 v[72:73], v[52:53], v[20:21] op_sel:[1,1] op_sel_hi:[0,1]
	v_mov_b32_e32 v74, v23
	s_waitcnt vmcnt(3) lgkmcnt(2)
	v_pk_mul_f32 v[76:77], v[56:57], v[24:25] op_sel:[1,1] op_sel_hi:[0,1]
	v_mov_b32_e32 v78, v27
	v_fmac_f32_e32 v75, v33, v4
	v_fmac_f32_e32 v79, v35, v6
	;; [unrolled: 1-line block ×6, first 2 shown]
	v_fma_f32 v32, v32, v4, -v5
	v_fma_f32 v33, v34, v6, -v7
	;; [unrolled: 1-line block ×6, first 2 shown]
	v_pk_fma_f32 v[4:5], v[52:53], v[20:21], v[72:73] neg_lo:[0,0,1] neg_hi:[0,0,1]
	v_pk_fma_f32 v[6:7], v[52:53], v[20:21], v[72:73] op_sel_hi:[1,0,1]
	v_pk_mul_f32 v[8:9], v[54:55], v[74:75] op_sel:[1,0] op_sel_hi:[0,0]
	v_pk_fma_f32 v[10:11], v[56:57], v[24:25], v[76:77] neg_lo:[0,0,1] neg_hi:[0,0,1]
	v_pk_fma_f32 v[12:13], v[56:57], v[24:25], v[76:77] op_sel_hi:[1,0,1]
	v_pk_mul_f32 v[14:15], v[58:59], v[78:79] op_sel:[1,0] op_sel_hi:[0,0]
	v_add_f32_e32 v24, 0, v75
	v_add_f32_e32 v25, 0, v32
	v_mov_b32_e32 v5, v7
	v_pk_fma_f32 v[6:7], v[54:55], v[22:23], v[8:9] neg_lo:[0,0,1] neg_hi:[0,0,1]
	v_pk_fma_f32 v[8:9], v[54:55], v[22:23], v[8:9] op_sel_hi:[1,0,1]
	v_mov_b32_e32 v11, v13
	v_pk_fma_f32 v[12:13], v[58:59], v[26:27], v[14:15] neg_lo:[0,0,1] neg_hi:[0,0,1]
	v_pk_fma_f32 v[14:15], v[58:59], v[26:27], v[14:15] op_sel_hi:[1,0,1]
	v_add_f32_e32 v8, v24, v79
	v_add_f32_e32 v14, v25, v33
	v_mov_b32_e32 v7, v9
	v_add_f32_e32 v8, v8, v83
	v_add_f32_e32 v9, v14, v34
	;; [unrolled: 1-line block ×4, first 2 shown]
	v_mul_f32_e32 v69, v44, v17
	v_mul_f32_e32 v17, v45, v17
	v_add_f32_e32 v8, v8, v85
	v_add_f32_e32 v14, v9, v36
	v_mul_f32_e32 v71, v46, v19
	v_mul_f32_e32 v19, v47, v19
	v_fmac_f32_e32 v69, v45, v16
	v_fma_f32 v68, v44, v16, -v17
	v_add_f32_e32 v9, v8, v86
	v_add_f32_e32 v8, v14, v37
	v_fmac_f32_e32 v71, v47, v18
	v_fma_f32 v70, v46, v18, -v19
	v_pk_add_f32 v[8:9], v[8:9], v[68:69]
	s_waitcnt vmcnt(2) lgkmcnt(1)
	v_pk_mul_f32 v[80:81], v[60:61], v[28:29] op_sel:[1,1] op_sel_hi:[0,1]
	v_mov_b32_e32 v82, v31
	v_pk_add_f32 v[8:9], v[8:9], v[70:71]
	v_pk_fma_f32 v[16:17], v[60:61], v[28:29], v[80:81] neg_lo:[0,0,1] neg_hi:[0,0,1]
	v_pk_fma_f32 v[18:19], v[60:61], v[28:29], v[80:81] op_sel_hi:[1,0,1]
	v_pk_mul_f32 v[20:21], v[62:63], v[82:83] op_sel:[1,0] op_sel_hi:[0,0]
	v_pk_add_f32 v[4:5], v[8:9], v[4:5]
	v_mov_b32_e32 v17, v19
	v_pk_fma_f32 v[18:19], v[62:63], v[30:31], v[20:21] neg_lo:[0,0,1] neg_hi:[0,0,1]
	v_pk_add_f32 v[4:5], v[4:5], v[6:7]
	v_pk_fma_f32 v[6:7], v[62:63], v[30:31], v[20:21] op_sel_hi:[1,0,1]
	v_mov_b32_e32 v13, v15
	v_pk_add_f32 v[4:5], v[4:5], v[10:11]
	v_mov_b32_e32 v19, v7
	s_waitcnt vmcnt(1) lgkmcnt(0)
	v_pk_mul_f32 v[6:7], v[64:65], v[48:49] op_sel:[1,1] op_sel_hi:[0,1]
	v_pk_add_f32 v[4:5], v[4:5], v[12:13]
	v_pk_fma_f32 v[8:9], v[64:65], v[48:49], v[6:7] neg_lo:[0,0,1] neg_hi:[0,0,1]
	v_pk_fma_f32 v[6:7], v[64:65], v[48:49], v[6:7] op_sel_hi:[1,0,1]
	v_pk_add_f32 v[4:5], v[4:5], v[16:17]
	v_mov_b32_e32 v6, v51
	v_pk_add_f32 v[4:5], v[4:5], v[18:19]
	v_mov_b32_e32 v9, v7
	v_pk_mul_f32 v[6:7], v[66:67], v[6:7] op_sel:[1,0] op_sel_hi:[0,0]
	v_pk_add_f32 v[4:5], v[4:5], v[8:9]
	v_pk_fma_f32 v[8:9], v[66:67], v[50:51], v[6:7] neg_lo:[0,0,1] neg_hi:[0,0,1]
	v_pk_fma_f32 v[6:7], v[66:67], v[50:51], v[6:7] op_sel_hi:[1,0,1]
	s_nop 0
	v_mov_b32_e32 v9, v7
	v_pk_add_f32 v[4:5], v[4:5], v[8:9]
	s_waitcnt vmcnt(0)
	v_pk_add_f32 v[2:3], v[2:3], v[4:5] neg_lo:[0,1] neg_hi:[0,1]
	scratch_store_dwordx2 off, v[2:3], off offset:160
	s_and_saveexec_b64 s[0:1], vcc
	s_cbranch_execz .LBB100_197
; %bb.196:
	scratch_load_dwordx2 v[2:3], off, off offset:152
	v_mov_b32_e32 v4, 0
	v_mov_b32_e32 v5, v4
	scratch_store_dwordx2 off, v[4:5], off offset:152
	s_waitcnt vmcnt(1)
	ds_write_b64 v1, v[2:3]
.LBB100_197:
	s_or_b64 exec, exec, s[0:1]
	s_waitcnt lgkmcnt(0)
	; wave barrier
	scratch_load_dwordx4 v[4:7], off, off offset:160
	scratch_load_dwordx4 v[8:11], off, off offset:176
	;; [unrolled: 1-line block ×8, first 2 shown]
	scratch_load_dwordx2 v[68:69], off, off offset:288
	scratch_load_dwordx2 v[70:71], off, off offset:152
	v_mov_b32_e32 v2, 0
	ds_read_b128 v[36:39], v2 offset:464
	ds_read_b128 v[40:43], v2 offset:480
	;; [unrolled: 1-line block ×8, first 2 shown]
	ds_read_b64 v[72:73], v2 offset:592
	v_cmp_lt_u32_e32 vcc, 18, v0
	s_waitcnt vmcnt(9) lgkmcnt(8)
	v_mul_f32_e32 v79, v38, v7
	v_mul_f32_e32 v3, v36, v5
	s_waitcnt vmcnt(8) lgkmcnt(7)
	v_mul_f32_e32 v83, v40, v9
	s_waitcnt vmcnt(7) lgkmcnt(6)
	v_mul_f32_e32 v87, v44, v13
	v_mul_f32_e32 v5, v37, v5
	;; [unrolled: 1-line block ×5, first 2 shown]
	s_waitcnt vmcnt(5)
	v_mov_b32_e32 v78, v23
	s_waitcnt vmcnt(3) lgkmcnt(2)
	v_pk_mul_f32 v[84:85], v[60:61], v[28:29] op_sel:[1,1] op_sel_hi:[0,1]
	v_fmac_f32_e32 v79, v39, v6
	v_mul_f32_e32 v86, v42, v11
	v_mul_f32_e32 v89, v48, v17
	v_mul_f32_e32 v11, v43, v11
	v_mul_f32_e32 v17, v49, v17
	v_fmac_f32_e32 v3, v37, v4
	v_fmac_f32_e32 v87, v45, v12
	v_fma_f32 v36, v36, v4, -v5
	v_fma_f32 v37, v38, v6, -v7
	v_fma_f32 v38, v40, v8, -v9
	v_fma_f32 v40, v44, v12, -v13
	v_pk_mul_f32 v[4:5], v[54:55], v[78:79] op_sel:[1,0] op_sel_hi:[0,0]
	v_pk_fma_f32 v[12:13], v[60:61], v[28:29], v[84:85] neg_lo:[0,0,1] neg_hi:[0,0,1]
	v_fmac_f32_e32 v89, v49, v16
	v_fma_f32 v39, v42, v10, -v11
	v_fma_f32 v42, v48, v16, -v17
	v_add_f32_e32 v3, 0, v3
	v_add_f32_e32 v13, 0, v36
	v_pk_fma_f32 v[16:17], v[54:55], v[22:23], v[4:5] neg_lo:[0,0,1] neg_hi:[0,0,1]
	v_pk_fma_f32 v[4:5], v[54:55], v[22:23], v[4:5] op_sel_hi:[1,0,1]
	v_fmac_f32_e32 v83, v41, v8
	v_add_f32_e32 v3, v3, v79
	v_add_f32_e32 v4, v13, v37
	v_fmac_f32_e32 v86, v43, v10
	v_add_f32_e32 v3, v3, v83
	v_add_f32_e32 v4, v4, v38
	v_mul_f32_e32 v88, v46, v15
	v_mul_f32_e32 v15, v47, v15
	v_add_f32_e32 v3, v3, v86
	v_add_f32_e32 v4, v4, v39
	v_fmac_f32_e32 v88, v47, v14
	v_fma_f32 v41, v46, v14, -v15
	v_add_f32_e32 v3, v3, v87
	v_add_f32_e32 v4, v4, v40
	v_mul_f32_e32 v75, v50, v19
	v_mul_f32_e32 v19, v51, v19
	v_add_f32_e32 v3, v3, v88
	v_add_f32_e32 v4, v4, v41
	v_mul_f32_e32 v77, v52, v21
	v_mul_f32_e32 v21, v53, v21
	v_fmac_f32_e32 v75, v51, v18
	v_fma_f32 v74, v50, v18, -v19
	v_mov_b32_e32 v17, v5
	v_add_f32_e32 v5, v3, v89
	v_add_f32_e32 v4, v4, v42
	v_pk_mul_f32 v[80:81], v[56:57], v[24:25] op_sel:[1,1] op_sel_hi:[0,1]
	v_fmac_f32_e32 v77, v53, v20
	v_fma_f32 v76, v52, v20, -v21
	v_pk_add_f32 v[4:5], v[4:5], v[74:75]
	v_mov_b32_e32 v82, v27
	v_pk_fma_f32 v[6:7], v[56:57], v[24:25], v[80:81] neg_lo:[0,0,1] neg_hi:[0,0,1]
	v_pk_fma_f32 v[8:9], v[56:57], v[24:25], v[80:81] op_sel_hi:[1,0,1]
	v_pk_add_f32 v[4:5], v[4:5], v[76:77]
	v_pk_mul_f32 v[10:11], v[58:59], v[82:83] op_sel:[1,0] op_sel_hi:[0,0]
	v_mov_b32_e32 v7, v9
	v_pk_add_f32 v[4:5], v[4:5], v[16:17]
	v_pk_fma_f32 v[8:9], v[58:59], v[26:27], v[10:11] neg_lo:[0,0,1] neg_hi:[0,0,1]
	v_pk_fma_f32 v[10:11], v[58:59], v[26:27], v[10:11] op_sel_hi:[1,0,1]
	v_pk_add_f32 v[4:5], v[4:5], v[6:7]
	v_mov_b32_e32 v6, v31
	v_pk_fma_f32 v[14:15], v[60:61], v[28:29], v[84:85] op_sel_hi:[1,0,1]
	v_mov_b32_e32 v9, v11
	v_pk_mul_f32 v[6:7], v[62:63], v[6:7] op_sel:[1,0] op_sel_hi:[0,0]
	v_pk_add_f32 v[4:5], v[4:5], v[8:9]
	v_mov_b32_e32 v13, v15
	v_pk_fma_f32 v[8:9], v[62:63], v[30:31], v[6:7] neg_lo:[0,0,1] neg_hi:[0,0,1]
	v_pk_fma_f32 v[6:7], v[62:63], v[30:31], v[6:7] op_sel_hi:[1,0,1]
	v_pk_add_f32 v[4:5], v[4:5], v[12:13]
	v_mov_b32_e32 v9, v7
	s_waitcnt vmcnt(2) lgkmcnt(1)
	v_pk_mul_f32 v[6:7], v[64:65], v[32:33] op_sel:[1,1] op_sel_hi:[0,1]
	v_pk_add_f32 v[4:5], v[4:5], v[8:9]
	v_pk_fma_f32 v[8:9], v[64:65], v[32:33], v[6:7] neg_lo:[0,0,1] neg_hi:[0,0,1]
	v_pk_fma_f32 v[6:7], v[64:65], v[32:33], v[6:7] op_sel_hi:[1,0,1]
	s_nop 0
	v_mov_b32_e32 v6, v35
	v_mov_b32_e32 v9, v7
	v_pk_mul_f32 v[6:7], v[66:67], v[6:7] op_sel:[1,0] op_sel_hi:[0,0]
	v_pk_add_f32 v[4:5], v[4:5], v[8:9]
	v_pk_fma_f32 v[8:9], v[66:67], v[34:35], v[6:7] neg_lo:[0,0,1] neg_hi:[0,0,1]
	v_pk_fma_f32 v[6:7], v[66:67], v[34:35], v[6:7] op_sel_hi:[1,0,1]
	s_nop 0
	v_mov_b32_e32 v9, v7
	s_waitcnt vmcnt(1) lgkmcnt(0)
	v_pk_mul_f32 v[6:7], v[72:73], v[68:69] op_sel:[1,1] op_sel_hi:[0,1]
	v_pk_add_f32 v[4:5], v[4:5], v[8:9]
	v_pk_fma_f32 v[8:9], v[72:73], v[68:69], v[6:7] neg_lo:[0,0,1] neg_hi:[0,0,1]
	v_pk_fma_f32 v[6:7], v[72:73], v[68:69], v[6:7] op_sel_hi:[1,0,1]
	s_nop 0
	v_mov_b32_e32 v9, v7
	v_pk_add_f32 v[4:5], v[4:5], v[8:9]
	s_waitcnt vmcnt(0)
	v_pk_add_f32 v[4:5], v[70:71], v[4:5] neg_lo:[0,1] neg_hi:[0,1]
	scratch_store_dwordx2 off, v[4:5], off offset:152
	s_and_saveexec_b64 s[0:1], vcc
	s_cbranch_execz .LBB100_199
; %bb.198:
	scratch_load_dwordx2 v[4:5], off, off offset:144
	v_mov_b32_e32 v3, v2
	scratch_store_dwordx2 off, v[2:3], off offset:144
	s_waitcnt vmcnt(1)
	ds_write_b64 v1, v[4:5]
.LBB100_199:
	s_or_b64 exec, exec, s[0:1]
	s_waitcnt lgkmcnt(0)
	; wave barrier
	scratch_load_dwordx4 v[4:7], off, off offset:152
	scratch_load_dwordx4 v[8:11], off, off offset:168
	;; [unrolled: 1-line block ×7, first 2 shown]
	ds_read2_b64 v[32:35], v2 offset0:57 offset1:58
	ds_read2_b64 v[36:39], v2 offset0:59 offset1:60
	ds_read2_b64 v[40:43], v2 offset0:61 offset1:62
	ds_read2_b64 v[44:47], v2 offset0:63 offset1:64
	scratch_load_dwordx4 v[48:51], off, off offset:264
	scratch_load_dwordx4 v[52:55], off, off offset:280
	ds_read2_b64 v[56:59], v2 offset0:65 offset1:66
	ds_read2_b64 v[60:63], v2 offset0:67 offset1:68
	ds_read2_b64 v[64:67], v2 offset0:69 offset1:70
	ds_read2_b64 v[68:71], v2 offset0:71 offset1:72
	ds_read2_b64 v[72:75], v2 offset0:73 offset1:74
	scratch_load_dwordx2 v[2:3], off, off offset:144
	v_cmp_lt_u32_e32 vcc, 17, v0
	s_waitcnt vmcnt(9) lgkmcnt(8)
	v_mul_f32_e32 v83, v32, v5
	v_mul_f32_e32 v86, v34, v7
	s_waitcnt vmcnt(8) lgkmcnt(7)
	v_mul_f32_e32 v87, v36, v9
	s_waitcnt vmcnt(7) lgkmcnt(6)
	v_mul_f32_e32 v89, v40, v13
	v_mul_f32_e32 v5, v33, v5
	;; [unrolled: 1-line block ×5, first 2 shown]
	s_waitcnt vmcnt(4) lgkmcnt(3)
	v_pk_mul_f32 v[80:81], v[60:61], v[24:25] op_sel:[1,1] op_sel_hi:[0,1]
	v_mov_b32_e32 v82, v27
	s_waitcnt vmcnt(3) lgkmcnt(2)
	v_pk_mul_f32 v[84:85], v[64:65], v[28:29] op_sel:[1,1] op_sel_hi:[0,1]
	v_fmac_f32_e32 v83, v33, v4
	v_mul_f32_e32 v90, v42, v15
	v_mul_f32_e32 v91, v44, v17
	v_mul_f32_e32 v15, v43, v15
	v_mul_f32_e32 v17, v45, v17
	v_fmac_f32_e32 v86, v35, v6
	v_fmac_f32_e32 v87, v37, v8
	;; [unrolled: 1-line block ×3, first 2 shown]
	v_fma_f32 v32, v32, v4, -v5
	v_fma_f32 v33, v34, v6, -v7
	;; [unrolled: 1-line block ×4, first 2 shown]
	v_pk_fma_f32 v[4:5], v[60:61], v[24:25], v[80:81] neg_lo:[0,0,1] neg_hi:[0,0,1]
	v_pk_fma_f32 v[6:7], v[60:61], v[24:25], v[80:81] op_sel_hi:[1,0,1]
	v_pk_mul_f32 v[8:9], v[62:63], v[82:83] op_sel:[1,0] op_sel_hi:[0,0]
	v_pk_fma_f32 v[12:13], v[64:65], v[28:29], v[84:85] op_sel_hi:[1,0,1]
	v_fmac_f32_e32 v90, v43, v14
	v_fma_f32 v14, v42, v14, -v15
	v_fma_f32 v15, v44, v16, -v17
	v_add_f32_e32 v12, 0, v83
	v_add_f32_e32 v17, 0, v32
	v_mov_b32_e32 v5, v7
	v_pk_fma_f32 v[6:7], v[62:63], v[26:27], v[8:9] neg_lo:[0,0,1] neg_hi:[0,0,1]
	v_pk_fma_f32 v[8:9], v[62:63], v[26:27], v[8:9] op_sel_hi:[1,0,1]
	v_mul_f32_e32 v88, v38, v11
	v_mul_f32_e32 v11, v39, v11
	v_add_f32_e32 v8, v12, v86
	v_add_f32_e32 v12, v17, v33
	v_fmac_f32_e32 v88, v39, v10
	v_fma_f32 v35, v38, v10, -v11
	v_mov_b32_e32 v7, v9
	v_add_f32_e32 v8, v8, v87
	v_add_f32_e32 v9, v12, v34
	;; [unrolled: 1-line block ×6, first 2 shown]
	v_mul_f32_e32 v92, v46, v19
	v_mul_f32_e32 v19, v47, v19
	v_fmac_f32_e32 v91, v45, v16
	v_add_f32_e32 v8, v8, v90
	v_add_f32_e32 v9, v9, v14
	v_mul_f32_e32 v77, v56, v21
	v_mul_f32_e32 v21, v57, v21
	v_fmac_f32_e32 v92, v47, v18
	v_fma_f32 v16, v46, v18, -v19
	v_add_f32_e32 v8, v8, v91
	v_add_f32_e32 v12, v9, v15
	v_mul_f32_e32 v79, v58, v23
	v_mul_f32_e32 v23, v59, v23
	v_fmac_f32_e32 v77, v57, v20
	v_fma_f32 v76, v56, v20, -v21
	v_add_f32_e32 v9, v8, v92
	v_add_f32_e32 v8, v12, v16
	v_fmac_f32_e32 v79, v59, v22
	v_fma_f32 v78, v58, v22, -v23
	v_pk_add_f32 v[8:9], v[8:9], v[76:77]
	v_pk_fma_f32 v[10:11], v[64:65], v[28:29], v[84:85] neg_lo:[0,0,1] neg_hi:[0,0,1]
	v_pk_add_f32 v[8:9], v[8:9], v[78:79]
	v_mov_b32_e32 v11, v13
	v_pk_add_f32 v[4:5], v[8:9], v[4:5]
	s_nop 0
	v_pk_add_f32 v[4:5], v[4:5], v[6:7]
	v_mov_b32_e32 v6, v31
	v_pk_mul_f32 v[6:7], v[66:67], v[6:7] op_sel:[1,0] op_sel_hi:[0,0]
	v_pk_fma_f32 v[8:9], v[66:67], v[30:31], v[6:7] neg_lo:[0,0,1] neg_hi:[0,0,1]
	v_pk_fma_f32 v[6:7], v[66:67], v[30:31], v[6:7] op_sel_hi:[1,0,1]
	v_pk_add_f32 v[4:5], v[4:5], v[10:11]
	v_mov_b32_e32 v9, v7
	s_waitcnt vmcnt(2) lgkmcnt(1)
	v_pk_mul_f32 v[6:7], v[68:69], v[48:49] op_sel:[1,1] op_sel_hi:[0,1]
	v_pk_add_f32 v[4:5], v[4:5], v[8:9]
	v_pk_fma_f32 v[8:9], v[68:69], v[48:49], v[6:7] neg_lo:[0,0,1] neg_hi:[0,0,1]
	v_pk_fma_f32 v[6:7], v[68:69], v[48:49], v[6:7] op_sel_hi:[1,0,1]
	s_nop 0
	v_mov_b32_e32 v6, v51
	v_mov_b32_e32 v9, v7
	v_pk_mul_f32 v[6:7], v[70:71], v[6:7] op_sel:[1,0] op_sel_hi:[0,0]
	v_pk_add_f32 v[4:5], v[4:5], v[8:9]
	v_pk_fma_f32 v[8:9], v[70:71], v[50:51], v[6:7] neg_lo:[0,0,1] neg_hi:[0,0,1]
	v_pk_fma_f32 v[6:7], v[70:71], v[50:51], v[6:7] op_sel_hi:[1,0,1]
	s_nop 0
	v_mov_b32_e32 v9, v7
	s_waitcnt vmcnt(1) lgkmcnt(0)
	v_pk_mul_f32 v[6:7], v[72:73], v[52:53] op_sel:[1,1] op_sel_hi:[0,1]
	v_pk_add_f32 v[4:5], v[4:5], v[8:9]
	v_pk_fma_f32 v[8:9], v[72:73], v[52:53], v[6:7] neg_lo:[0,0,1] neg_hi:[0,0,1]
	v_pk_fma_f32 v[6:7], v[72:73], v[52:53], v[6:7] op_sel_hi:[1,0,1]
	s_nop 0
	v_mov_b32_e32 v6, v55
	v_mov_b32_e32 v9, v7
	v_pk_mul_f32 v[6:7], v[74:75], v[6:7] op_sel:[1,0] op_sel_hi:[0,0]
	v_pk_add_f32 v[4:5], v[4:5], v[8:9]
	v_pk_fma_f32 v[8:9], v[74:75], v[54:55], v[6:7] neg_lo:[0,0,1] neg_hi:[0,0,1]
	v_pk_fma_f32 v[6:7], v[74:75], v[54:55], v[6:7] op_sel_hi:[1,0,1]
	s_nop 0
	v_mov_b32_e32 v9, v7
	v_pk_add_f32 v[4:5], v[4:5], v[8:9]
	s_waitcnt vmcnt(0)
	v_pk_add_f32 v[2:3], v[2:3], v[4:5] neg_lo:[0,1] neg_hi:[0,1]
	scratch_store_dwordx2 off, v[2:3], off offset:144
	s_and_saveexec_b64 s[0:1], vcc
	s_cbranch_execz .LBB100_201
; %bb.200:
	scratch_load_dwordx2 v[2:3], off, off offset:136
	v_mov_b32_e32 v4, 0
	v_mov_b32_e32 v5, v4
	scratch_store_dwordx2 off, v[4:5], off offset:136
	s_waitcnt vmcnt(1)
	ds_write_b64 v1, v[2:3]
.LBB100_201:
	s_or_b64 exec, exec, s[0:1]
	s_waitcnt lgkmcnt(0)
	; wave barrier
	scratch_load_dwordx4 v[4:7], off, off offset:144
	scratch_load_dwordx4 v[8:11], off, off offset:160
	scratch_load_dwordx4 v[12:15], off, off offset:176
	scratch_load_dwordx4 v[16:19], off, off offset:192
	scratch_load_dwordx4 v[20:23], off, off offset:208
	scratch_load_dwordx4 v[24:27], off, off offset:224
	scratch_load_dwordx4 v[28:31], off, off offset:240
	scratch_load_dwordx4 v[32:35], off, off offset:256
	scratch_load_dwordx4 v[36:39], off, off offset:272
	scratch_load_dwordx2 v[76:77], off, off offset:288
	scratch_load_dwordx2 v[78:79], off, off offset:136
	v_mov_b32_e32 v2, 0
	ds_read_b128 v[40:43], v2 offset:448
	ds_read_b128 v[44:47], v2 offset:464
	;; [unrolled: 1-line block ×9, first 2 shown]
	ds_read_b64 v[80:81], v2 offset:592
	v_cmp_lt_u32_e32 vcc, 16, v0
	s_waitcnt vmcnt(10) lgkmcnt(9)
	v_mul_f32_e32 v87, v42, v7
	v_mul_f32_e32 v3, v40, v5
	;; [unrolled: 1-line block ×3, first 2 shown]
	v_fmac_f32_e32 v87, v43, v6
	s_waitcnt vmcnt(9) lgkmcnt(8)
	v_mul_f32_e32 v88, v44, v9
	s_waitcnt vmcnt(5)
	v_mov_b32_e32 v86, v27
	v_mul_f32_e32 v89, v46, v11
	s_waitcnt lgkmcnt(7)
	v_mul_f32_e32 v91, v50, v15
	v_mul_f32_e32 v7, v43, v7
	;; [unrolled: 1-line block ×5, first 2 shown]
	v_fmac_f32_e32 v3, v41, v4
	v_fma_f32 v40, v40, v4, -v5
	s_waitcnt lgkmcnt(4)
	v_pk_mul_f32 v[4:5], v[62:63], v[86:87] op_sel:[1,0] op_sel_hi:[0,0]
	v_fmac_f32_e32 v88, v45, v8
	v_fma_f32 v41, v42, v6, -v7
	v_fma_f32 v8, v44, v8, -v9
	v_fma_f32 v9, v46, v10, -v11
	v_fma_f32 v11, v50, v14, -v15
	v_add_f32_e32 v3, 0, v3
	v_add_f32_e32 v15, 0, v40
	v_pk_fma_f32 v[6:7], v[62:63], v[26:27], v[4:5] neg_lo:[0,0,1] neg_hi:[0,0,1]
	v_pk_fma_f32 v[4:5], v[62:63], v[26:27], v[4:5] op_sel_hi:[1,0,1]
	v_add_f32_e32 v3, v3, v87
	v_add_f32_e32 v4, v15, v41
	v_mul_f32_e32 v90, v48, v13
	v_mul_f32_e32 v13, v49, v13
	v_fmac_f32_e32 v89, v47, v10
	v_add_f32_e32 v3, v3, v88
	v_add_f32_e32 v4, v4, v8
	v_fmac_f32_e32 v90, v49, v12
	v_fma_f32 v10, v48, v12, -v13
	v_add_f32_e32 v3, v3, v89
	v_add_f32_e32 v4, v4, v9
	v_mul_f32_e32 v92, v52, v17
	v_mul_f32_e32 v17, v53, v17
	v_fmac_f32_e32 v91, v51, v14
	v_add_f32_e32 v3, v3, v90
	v_add_f32_e32 v4, v4, v10
	v_mul_f32_e32 v93, v54, v19
	v_mul_f32_e32 v19, v55, v19
	v_fmac_f32_e32 v92, v53, v16
	v_fma_f32 v12, v52, v16, -v17
	v_add_f32_e32 v3, v3, v91
	v_add_f32_e32 v4, v4, v11
	v_mul_f32_e32 v94, v56, v21
	v_mul_f32_e32 v21, v57, v21
	v_fmac_f32_e32 v93, v55, v18
	v_fma_f32 v13, v54, v18, -v19
	;; [unrolled: 6-line block ×4, first 2 shown]
	v_mov_b32_e32 v7, v5
	v_add_f32_e32 v5, v3, v94
	v_add_f32_e32 v4, v4, v14
	v_fmac_f32_e32 v85, v61, v24
	v_fma_f32 v84, v60, v24, -v25
	v_pk_add_f32 v[4:5], v[4:5], v[82:83]
	s_nop 0
	v_pk_add_f32 v[4:5], v[4:5], v[84:85]
	s_nop 0
	v_pk_add_f32 v[4:5], v[4:5], v[6:7]
	s_waitcnt vmcnt(4) lgkmcnt(3)
	v_pk_mul_f32 v[6:7], v[64:65], v[28:29] op_sel:[1,1] op_sel_hi:[0,1]
	v_pk_fma_f32 v[8:9], v[64:65], v[28:29], v[6:7] neg_lo:[0,0,1] neg_hi:[0,0,1]
	v_pk_fma_f32 v[6:7], v[64:65], v[28:29], v[6:7] op_sel_hi:[1,0,1]
	s_nop 0
	v_mov_b32_e32 v6, v31
	v_mov_b32_e32 v9, v7
	v_pk_mul_f32 v[6:7], v[66:67], v[6:7] op_sel:[1,0] op_sel_hi:[0,0]
	v_pk_add_f32 v[4:5], v[4:5], v[8:9]
	v_pk_fma_f32 v[8:9], v[66:67], v[30:31], v[6:7] neg_lo:[0,0,1] neg_hi:[0,0,1]
	v_pk_fma_f32 v[6:7], v[66:67], v[30:31], v[6:7] op_sel_hi:[1,0,1]
	s_nop 0
	v_mov_b32_e32 v9, v7
	s_waitcnt vmcnt(3) lgkmcnt(2)
	v_pk_mul_f32 v[6:7], v[68:69], v[32:33] op_sel:[1,1] op_sel_hi:[0,1]
	v_pk_add_f32 v[4:5], v[4:5], v[8:9]
	v_pk_fma_f32 v[8:9], v[68:69], v[32:33], v[6:7] neg_lo:[0,0,1] neg_hi:[0,0,1]
	v_pk_fma_f32 v[6:7], v[68:69], v[32:33], v[6:7] op_sel_hi:[1,0,1]
	s_nop 0
	v_mov_b32_e32 v6, v35
	v_mov_b32_e32 v9, v7
	v_pk_mul_f32 v[6:7], v[70:71], v[6:7] op_sel:[1,0] op_sel_hi:[0,0]
	v_pk_add_f32 v[4:5], v[4:5], v[8:9]
	v_pk_fma_f32 v[8:9], v[70:71], v[34:35], v[6:7] neg_lo:[0,0,1] neg_hi:[0,0,1]
	v_pk_fma_f32 v[6:7], v[70:71], v[34:35], v[6:7] op_sel_hi:[1,0,1]
	s_nop 0
	v_mov_b32_e32 v9, v7
	s_waitcnt vmcnt(2) lgkmcnt(1)
	v_pk_mul_f32 v[6:7], v[72:73], v[36:37] op_sel:[1,1] op_sel_hi:[0,1]
	v_pk_add_f32 v[4:5], v[4:5], v[8:9]
	;; [unrolled: 14-line block ×3, first 2 shown]
	v_pk_fma_f32 v[8:9], v[80:81], v[76:77], v[6:7] neg_lo:[0,0,1] neg_hi:[0,0,1]
	v_pk_fma_f32 v[6:7], v[80:81], v[76:77], v[6:7] op_sel_hi:[1,0,1]
	s_nop 0
	v_mov_b32_e32 v9, v7
	v_pk_add_f32 v[4:5], v[4:5], v[8:9]
	s_waitcnt vmcnt(0)
	v_pk_add_f32 v[4:5], v[78:79], v[4:5] neg_lo:[0,1] neg_hi:[0,1]
	scratch_store_dwordx2 off, v[4:5], off offset:136
	s_and_saveexec_b64 s[0:1], vcc
	s_cbranch_execz .LBB100_203
; %bb.202:
	scratch_load_dwordx2 v[4:5], off, off offset:128
	v_mov_b32_e32 v3, v2
	scratch_store_dwordx2 off, v[2:3], off offset:128
	s_waitcnt vmcnt(1)
	ds_write_b64 v1, v[4:5]
.LBB100_203:
	s_or_b64 exec, exec, s[0:1]
	s_waitcnt lgkmcnt(0)
	; wave barrier
	scratch_load_dwordx4 v[8:11], off, off offset:136
	scratch_load_dwordx4 v[16:19], off, off offset:152
	;; [unrolled: 1-line block ×6, first 2 shown]
	ds_read2_b64 v[4:7], v2 offset0:55 offset1:56
	v_cmp_lt_u32_e32 vcc, 15, v0
	s_waitcnt vmcnt(5) lgkmcnt(0)
	v_mul_f32_e32 v3, v4, v9
	v_fmac_f32_e32 v3, v5, v8
	v_mul_f32_e32 v12, v6, v11
	v_add_f32_e32 v3, 0, v3
	v_fmac_f32_e32 v12, v7, v10
	v_add_f32_e32 v3, v3, v12
	ds_read2_b64 v[12:15], v2 offset0:57 offset1:58
	s_waitcnt vmcnt(4) lgkmcnt(0)
	v_mul_f32_e32 v20, v12, v17
	v_fmac_f32_e32 v20, v13, v16
	v_add_f32_e32 v3, v3, v20
	v_mul_f32_e32 v20, v14, v19
	v_fmac_f32_e32 v20, v15, v18
	v_add_f32_e32 v3, v3, v20
	ds_read2_b64 v[20:23], v2 offset0:59 offset1:60
	s_waitcnt vmcnt(3) lgkmcnt(0)
	v_mul_f32_e32 v28, v20, v25
	v_fmac_f32_e32 v28, v21, v24
	v_add_f32_e32 v3, v3, v28
	v_mul_f32_e32 v28, v22, v27
	;; [unrolled: 8-line block ×4, first 2 shown]
	v_fmac_f32_e32 v44, v39, v42
	v_add_f32_e32 v69, v3, v44
	ds_read2_b64 v[44:47], v2 offset0:65 offset1:66
	scratch_load_dwordx4 v[52:55], off, off offset:232
	scratch_load_dwordx4 v[56:59], off, off offset:248
	;; [unrolled: 1-line block ×4, first 2 shown]
	v_mul_f32_e32 v3, v5, v9
	v_fma_f32 v3, v4, v8, -v3
	v_mul_f32_e32 v4, v7, v11
	v_add_f32_e32 v3, 0, v3
	v_fma_f32 v4, v6, v10, -v4
	v_add_f32_e32 v3, v3, v4
	v_mul_f32_e32 v4, v13, v17
	v_fma_f32 v4, v12, v16, -v4
	v_add_f32_e32 v3, v3, v4
	v_mul_f32_e32 v4, v15, v19
	;; [unrolled: 3-line block ×8, first 2 shown]
	v_fma_f32 v4, v38, v42, -v4
	v_add_f32_e32 v68, v3, v4
	ds_read2_b64 v[4:7], v2 offset0:67 offset1:68
	ds_read2_b64 v[8:11], v2 offset0:69 offset1:70
	;; [unrolled: 1-line block ×4, first 2 shown]
	s_waitcnt vmcnt(4) lgkmcnt(4)
	v_mul_f32_e32 v71, v44, v49
	v_mul_f32_e32 v3, v45, v49
	v_fmac_f32_e32 v71, v45, v48
	v_mul_f32_e32 v73, v46, v51
	v_fma_f32 v70, v44, v48, -v3
	v_mul_f32_e32 v3, v47, v51
	v_fmac_f32_e32 v73, v47, v50
	v_fma_f32 v72, v46, v50, -v3
	v_pk_add_f32 v[2:3], v[68:69], v[70:71]
	s_waitcnt vmcnt(3) lgkmcnt(3)
	v_pk_mul_f32 v[20:21], v[4:5], v[52:53] op_sel:[1,1] op_sel_hi:[0,1]
	v_pk_fma_f32 v[22:23], v[4:5], v[52:53], v[20:21] neg_lo:[0,0,1] neg_hi:[0,0,1]
	v_pk_fma_f32 v[4:5], v[4:5], v[52:53], v[20:21] op_sel_hi:[1,0,1]
	v_pk_add_f32 v[2:3], v[2:3], v[72:73]
	v_mov_b32_e32 v4, v55
	v_mov_b32_e32 v23, v5
	v_pk_mul_f32 v[4:5], v[6:7], v[4:5] op_sel:[1,0] op_sel_hi:[0,0]
	v_pk_fma_f32 v[20:21], v[6:7], v[54:55], v[4:5] neg_lo:[0,0,1] neg_hi:[0,0,1]
	v_pk_fma_f32 v[4:5], v[6:7], v[54:55], v[4:5] op_sel_hi:[1,0,1]
	v_pk_add_f32 v[2:3], v[2:3], v[22:23]
	v_mov_b32_e32 v21, v5
	s_waitcnt vmcnt(2) lgkmcnt(2)
	v_pk_mul_f32 v[4:5], v[8:9], v[56:57] op_sel:[1,1] op_sel_hi:[0,1]
	v_pk_fma_f32 v[6:7], v[8:9], v[56:57], v[4:5] neg_lo:[0,0,1] neg_hi:[0,0,1]
	v_pk_fma_f32 v[4:5], v[8:9], v[56:57], v[4:5] op_sel_hi:[1,0,1]
	v_pk_add_f32 v[2:3], v[2:3], v[20:21]
	v_mov_b32_e32 v4, v59
	v_mov_b32_e32 v7, v5
	v_pk_mul_f32 v[4:5], v[10:11], v[4:5] op_sel:[1,0] op_sel_hi:[0,0]
	v_pk_add_f32 v[2:3], v[2:3], v[6:7]
	v_pk_fma_f32 v[6:7], v[10:11], v[58:59], v[4:5] neg_lo:[0,0,1] neg_hi:[0,0,1]
	v_pk_fma_f32 v[4:5], v[10:11], v[58:59], v[4:5] op_sel_hi:[1,0,1]
	s_nop 0
	v_mov_b32_e32 v7, v5
	s_waitcnt vmcnt(1) lgkmcnt(1)
	v_pk_mul_f32 v[4:5], v[12:13], v[60:61] op_sel:[1,1] op_sel_hi:[0,1]
	v_pk_add_f32 v[2:3], v[2:3], v[6:7]
	v_pk_fma_f32 v[6:7], v[12:13], v[60:61], v[4:5] neg_lo:[0,0,1] neg_hi:[0,0,1]
	v_pk_fma_f32 v[4:5], v[12:13], v[60:61], v[4:5] op_sel_hi:[1,0,1]
	s_nop 0
	v_mov_b32_e32 v4, v63
	v_mov_b32_e32 v7, v5
	v_pk_mul_f32 v[4:5], v[14:15], v[4:5] op_sel:[1,0] op_sel_hi:[0,0]
	v_pk_add_f32 v[2:3], v[2:3], v[6:7]
	v_pk_fma_f32 v[6:7], v[14:15], v[62:63], v[4:5] neg_lo:[0,0,1] neg_hi:[0,0,1]
	v_pk_fma_f32 v[4:5], v[14:15], v[62:63], v[4:5] op_sel_hi:[1,0,1]
	s_nop 0
	v_mov_b32_e32 v7, v5
	s_waitcnt vmcnt(0) lgkmcnt(0)
	v_pk_mul_f32 v[4:5], v[16:17], v[64:65] op_sel:[1,1] op_sel_hi:[0,1]
	v_pk_add_f32 v[2:3], v[2:3], v[6:7]
	v_pk_fma_f32 v[6:7], v[16:17], v[64:65], v[4:5] neg_lo:[0,0,1] neg_hi:[0,0,1]
	v_pk_fma_f32 v[4:5], v[16:17], v[64:65], v[4:5] op_sel_hi:[1,0,1]
	s_nop 0
	v_mov_b32_e32 v4, v67
	v_mov_b32_e32 v7, v5
	v_pk_mul_f32 v[4:5], v[18:19], v[4:5] op_sel:[1,0] op_sel_hi:[0,0]
	v_pk_add_f32 v[2:3], v[2:3], v[6:7]
	v_pk_fma_f32 v[6:7], v[18:19], v[66:67], v[4:5] neg_lo:[0,0,1] neg_hi:[0,0,1]
	v_pk_fma_f32 v[4:5], v[18:19], v[66:67], v[4:5] op_sel_hi:[1,0,1]
	s_nop 0
	v_mov_b32_e32 v7, v5
	scratch_load_dwordx2 v[4:5], off, off offset:128
	v_pk_add_f32 v[2:3], v[2:3], v[6:7]
	s_waitcnt vmcnt(0)
	v_pk_add_f32 v[2:3], v[4:5], v[2:3] neg_lo:[0,1] neg_hi:[0,1]
	scratch_store_dwordx2 off, v[2:3], off offset:128
	s_and_saveexec_b64 s[0:1], vcc
	s_cbranch_execz .LBB100_205
; %bb.204:
	scratch_load_dwordx2 v[2:3], off, off offset:120
	v_mov_b32_e32 v4, 0
	v_mov_b32_e32 v5, v4
	scratch_store_dwordx2 off, v[4:5], off offset:120
	s_waitcnt vmcnt(1)
	ds_write_b64 v1, v[2:3]
.LBB100_205:
	s_or_b64 exec, exec, s[0:1]
	s_waitcnt lgkmcnt(0)
	; wave barrier
	scratch_load_dwordx4 v[4:7], off, off offset:128
	scratch_load_dwordx4 v[8:11], off, off offset:144
	;; [unrolled: 1-line block ×10, first 2 shown]
	scratch_load_dwordx2 v[76:77], off, off offset:288
	scratch_load_dwordx2 v[78:79], off, off offset:120
	v_mov_b32_e32 v2, 0
	ds_read_b128 v[44:47], v2 offset:432
	ds_read_b128 v[48:51], v2 offset:448
	;; [unrolled: 1-line block ×8, first 2 shown]
	v_cmp_lt_u32_e32 vcc, 14, v0
	s_waitcnt vmcnt(11) lgkmcnt(7)
	v_mul_f32_e32 v3, v44, v5
	v_mul_f32_e32 v80, v46, v7
	;; [unrolled: 1-line block ×3, first 2 shown]
	v_fmac_f32_e32 v3, v45, v4
	s_waitcnt vmcnt(10) lgkmcnt(6)
	v_mul_f32_e32 v82, v48, v9
	v_mul_f32_e32 v7, v47, v7
	v_fmac_f32_e32 v80, v47, v6
	v_fma_f32 v4, v44, v4, -v5
	v_add_f32_e32 v3, 0, v3
	v_mul_f32_e32 v84, v50, v11
	v_mul_f32_e32 v9, v49, v9
	v_fmac_f32_e32 v82, v49, v8
	v_fma_f32 v5, v46, v6, -v7
	v_add_f32_e32 v4, 0, v4
	v_add_f32_e32 v3, v3, v80
	s_waitcnt vmcnt(9) lgkmcnt(5)
	v_mul_f32_e32 v85, v52, v13
	v_mul_f32_e32 v11, v51, v11
	v_fmac_f32_e32 v84, v51, v10
	v_fma_f32 v6, v48, v8, -v9
	v_add_f32_e32 v4, v4, v5
	v_add_f32_e32 v3, v3, v82
	v_mul_f32_e32 v86, v54, v15
	v_mul_f32_e32 v13, v53, v13
	v_fmac_f32_e32 v85, v53, v12
	v_fma_f32 v7, v50, v10, -v11
	v_add_f32_e32 v4, v4, v6
	v_add_f32_e32 v3, v3, v84
	s_waitcnt vmcnt(8) lgkmcnt(4)
	v_mul_f32_e32 v87, v56, v17
	v_mul_f32_e32 v15, v55, v15
	v_fmac_f32_e32 v86, v55, v14
	v_fma_f32 v8, v52, v12, -v13
	v_add_f32_e32 v4, v4, v7
	;; [unrolled: 13-line block ×4, first 2 shown]
	v_add_f32_e32 v3, v3, v89
	v_mul_f32_e32 v25, v65, v25
	v_fmac_f32_e32 v91, v65, v24
	v_fma_f32 v13, v62, v22, -v23
	v_add_f32_e32 v4, v4, v12
	v_add_f32_e32 v3, v3, v90
	v_mul_f32_e32 v81, v66, v27
	v_fma_f32 v14, v64, v24, -v25
	v_add_f32_e32 v4, v4, v13
	v_add_f32_e32 v13, v3, v91
	v_mul_f32_e32 v3, v67, v27
	s_waitcnt vmcnt(5)
	v_mov_b32_e32 v16, v31
	s_waitcnt lgkmcnt(1)
	v_mul_f32_e32 v83, v68, v29
	v_fmac_f32_e32 v81, v67, v26
	v_add_f32_e32 v12, v4, v14
	v_fma_f32 v80, v66, v26, -v3
	v_mul_f32_e32 v3, v69, v29
	v_pk_mul_f32 v[16:17], v[70:71], v[16:17] op_sel:[1,0] op_sel_hi:[0,0]
	v_fmac_f32_e32 v83, v69, v28
	v_fma_f32 v82, v68, v28, -v3
	v_pk_add_f32 v[12:13], v[12:13], v[80:81]
	v_pk_fma_f32 v[18:19], v[70:71], v[30:31], v[16:17] neg_lo:[0,0,1] neg_hi:[0,0,1]
	v_pk_fma_f32 v[16:17], v[70:71], v[30:31], v[16:17] op_sel_hi:[1,0,1]
	v_pk_add_f32 v[12:13], v[12:13], v[82:83]
	v_mov_b32_e32 v19, v17
	s_waitcnt vmcnt(4) lgkmcnt(0)
	v_pk_mul_f32 v[16:17], v[72:73], v[32:33] op_sel:[1,1] op_sel_hi:[0,1]
	v_pk_add_f32 v[12:13], v[12:13], v[18:19]
	v_pk_fma_f32 v[18:19], v[72:73], v[32:33], v[16:17] neg_lo:[0,0,1] neg_hi:[0,0,1]
	v_pk_fma_f32 v[16:17], v[72:73], v[32:33], v[16:17] op_sel_hi:[1,0,1]
	ds_read_b128 v[4:7], v2 offset:560
	ds_read_b128 v[8:11], v2 offset:576
	ds_read_b64 v[14:15], v2 offset:592
	v_mov_b32_e32 v16, v35
	v_mov_b32_e32 v19, v17
	v_pk_mul_f32 v[16:17], v[74:75], v[16:17] op_sel:[1,0] op_sel_hi:[0,0]
	v_pk_add_f32 v[12:13], v[12:13], v[18:19]
	v_pk_fma_f32 v[18:19], v[74:75], v[34:35], v[16:17] neg_lo:[0,0,1] neg_hi:[0,0,1]
	v_pk_fma_f32 v[16:17], v[74:75], v[34:35], v[16:17] op_sel_hi:[1,0,1]
	s_nop 0
	v_mov_b32_e32 v19, v17
	s_waitcnt vmcnt(3) lgkmcnt(2)
	v_pk_mul_f32 v[16:17], v[4:5], v[36:37] op_sel:[1,1] op_sel_hi:[0,1]
	v_pk_add_f32 v[12:13], v[12:13], v[18:19]
	v_pk_fma_f32 v[18:19], v[4:5], v[36:37], v[16:17] neg_lo:[0,0,1] neg_hi:[0,0,1]
	v_pk_fma_f32 v[4:5], v[4:5], v[36:37], v[16:17] op_sel_hi:[1,0,1]
	s_nop 0
	v_mov_b32_e32 v19, v5
	v_pk_add_f32 v[4:5], v[12:13], v[18:19]
	v_mov_b32_e32 v12, v39
	v_pk_mul_f32 v[12:13], v[6:7], v[12:13] op_sel:[1,0] op_sel_hi:[0,0]
	v_pk_fma_f32 v[16:17], v[6:7], v[38:39], v[12:13] neg_lo:[0,0,1] neg_hi:[0,0,1]
	v_pk_fma_f32 v[6:7], v[6:7], v[38:39], v[12:13] op_sel_hi:[1,0,1]
	s_nop 0
	v_mov_b32_e32 v17, v7
	s_waitcnt vmcnt(2) lgkmcnt(1)
	v_pk_mul_f32 v[6:7], v[8:9], v[40:41] op_sel:[1,1] op_sel_hi:[0,1]
	v_pk_fma_f32 v[12:13], v[8:9], v[40:41], v[6:7] neg_lo:[0,0,1] neg_hi:[0,0,1]
	v_pk_fma_f32 v[6:7], v[8:9], v[40:41], v[6:7] op_sel_hi:[1,0,1]
	v_pk_add_f32 v[4:5], v[4:5], v[16:17]
	v_mov_b32_e32 v6, v43
	v_mov_b32_e32 v13, v7
	v_pk_mul_f32 v[6:7], v[10:11], v[6:7] op_sel:[1,0] op_sel_hi:[0,0]
	v_pk_fma_f32 v[8:9], v[10:11], v[42:43], v[6:7] neg_lo:[0,0,1] neg_hi:[0,0,1]
	v_pk_fma_f32 v[6:7], v[10:11], v[42:43], v[6:7] op_sel_hi:[1,0,1]
	v_pk_add_f32 v[4:5], v[4:5], v[12:13]
	v_mov_b32_e32 v9, v7
	s_waitcnt vmcnt(1) lgkmcnt(0)
	v_pk_mul_f32 v[6:7], v[14:15], v[76:77] op_sel:[1,1] op_sel_hi:[0,1]
	v_pk_add_f32 v[4:5], v[4:5], v[8:9]
	v_pk_fma_f32 v[8:9], v[14:15], v[76:77], v[6:7] neg_lo:[0,0,1] neg_hi:[0,0,1]
	v_pk_fma_f32 v[6:7], v[14:15], v[76:77], v[6:7] op_sel_hi:[1,0,1]
	s_nop 0
	v_mov_b32_e32 v9, v7
	v_pk_add_f32 v[4:5], v[4:5], v[8:9]
	s_waitcnt vmcnt(0)
	v_pk_add_f32 v[4:5], v[78:79], v[4:5] neg_lo:[0,1] neg_hi:[0,1]
	scratch_store_dwordx2 off, v[4:5], off offset:120
	s_and_saveexec_b64 s[0:1], vcc
	s_cbranch_execz .LBB100_207
; %bb.206:
	scratch_load_dwordx2 v[4:5], off, off offset:112
	v_mov_b32_e32 v3, v2
	scratch_store_dwordx2 off, v[2:3], off offset:112
	s_waitcnt vmcnt(1)
	ds_write_b64 v1, v[4:5]
.LBB100_207:
	s_or_b64 exec, exec, s[0:1]
	s_waitcnt lgkmcnt(0)
	; wave barrier
	scratch_load_dwordx4 v[8:11], off, off offset:120
	scratch_load_dwordx4 v[16:19], off, off offset:136
	;; [unrolled: 1-line block ×6, first 2 shown]
	ds_read2_b64 v[4:7], v2 offset0:53 offset1:54
	scratch_load_dwordx4 v[56:59], off, off offset:216
	v_cmp_lt_u32_e32 vcc, 13, v0
	s_waitcnt vmcnt(6) lgkmcnt(0)
	v_mul_f32_e32 v3, v4, v9
	v_fmac_f32_e32 v3, v5, v8
	v_mul_f32_e32 v12, v6, v11
	v_add_f32_e32 v3, 0, v3
	v_fmac_f32_e32 v12, v7, v10
	v_add_f32_e32 v3, v3, v12
	ds_read2_b64 v[12:15], v2 offset0:55 offset1:56
	s_waitcnt vmcnt(5) lgkmcnt(0)
	v_mul_f32_e32 v20, v12, v17
	v_fmac_f32_e32 v20, v13, v16
	v_add_f32_e32 v3, v3, v20
	v_mul_f32_e32 v20, v14, v19
	v_fmac_f32_e32 v20, v15, v18
	v_add_f32_e32 v3, v3, v20
	ds_read2_b64 v[20:23], v2 offset0:57 offset1:58
	s_waitcnt vmcnt(4) lgkmcnt(0)
	v_mul_f32_e32 v28, v20, v25
	v_fmac_f32_e32 v28, v21, v24
	v_add_f32_e32 v3, v3, v28
	v_mul_f32_e32 v28, v22, v27
	;; [unrolled: 8-line block ×5, first 2 shown]
	v_fmac_f32_e32 v52, v47, v50
	v_add_f32_e32 v77, v3, v52
	ds_read2_b64 v[52:55], v2 offset0:65 offset1:66
	scratch_load_dwordx4 v[60:63], off, off offset:232
	scratch_load_dwordx4 v[64:67], off, off offset:248
	;; [unrolled: 1-line block ×4, first 2 shown]
	v_mul_f32_e32 v3, v5, v9
	v_fma_f32 v3, v4, v8, -v3
	v_mul_f32_e32 v4, v7, v11
	v_add_f32_e32 v3, 0, v3
	v_fma_f32 v4, v6, v10, -v4
	v_add_f32_e32 v3, v3, v4
	v_mul_f32_e32 v4, v13, v17
	v_fma_f32 v4, v12, v16, -v4
	v_add_f32_e32 v3, v3, v4
	v_mul_f32_e32 v4, v15, v19
	;; [unrolled: 3-line block ×10, first 2 shown]
	v_fma_f32 v4, v46, v50, -v4
	v_add_f32_e32 v76, v3, v4
	ds_read2_b64 v[4:7], v2 offset0:67 offset1:68
	ds_read2_b64 v[8:11], v2 offset0:69 offset1:70
	;; [unrolled: 1-line block ×4, first 2 shown]
	s_waitcnt vmcnt(4) lgkmcnt(4)
	v_mul_f32_e32 v79, v52, v57
	v_mul_f32_e32 v3, v53, v57
	v_fmac_f32_e32 v79, v53, v56
	v_mul_f32_e32 v81, v54, v59
	v_fma_f32 v78, v52, v56, -v3
	v_mul_f32_e32 v3, v55, v59
	v_fmac_f32_e32 v81, v55, v58
	v_fma_f32 v80, v54, v58, -v3
	v_pk_add_f32 v[2:3], v[76:77], v[78:79]
	s_waitcnt vmcnt(3) lgkmcnt(3)
	v_pk_mul_f32 v[20:21], v[4:5], v[60:61] op_sel:[1,1] op_sel_hi:[0,1]
	v_pk_fma_f32 v[22:23], v[4:5], v[60:61], v[20:21] neg_lo:[0,0,1] neg_hi:[0,0,1]
	v_pk_fma_f32 v[4:5], v[4:5], v[60:61], v[20:21] op_sel_hi:[1,0,1]
	v_pk_add_f32 v[2:3], v[2:3], v[80:81]
	v_mov_b32_e32 v4, v63
	v_mov_b32_e32 v23, v5
	v_pk_mul_f32 v[4:5], v[6:7], v[4:5] op_sel:[1,0] op_sel_hi:[0,0]
	v_pk_fma_f32 v[20:21], v[6:7], v[62:63], v[4:5] neg_lo:[0,0,1] neg_hi:[0,0,1]
	v_pk_fma_f32 v[4:5], v[6:7], v[62:63], v[4:5] op_sel_hi:[1,0,1]
	v_pk_add_f32 v[2:3], v[2:3], v[22:23]
	v_mov_b32_e32 v21, v5
	s_waitcnt vmcnt(2) lgkmcnt(2)
	v_pk_mul_f32 v[4:5], v[8:9], v[64:65] op_sel:[1,1] op_sel_hi:[0,1]
	v_pk_fma_f32 v[6:7], v[8:9], v[64:65], v[4:5] neg_lo:[0,0,1] neg_hi:[0,0,1]
	v_pk_fma_f32 v[4:5], v[8:9], v[64:65], v[4:5] op_sel_hi:[1,0,1]
	v_pk_add_f32 v[2:3], v[2:3], v[20:21]
	v_mov_b32_e32 v4, v67
	v_mov_b32_e32 v7, v5
	v_pk_mul_f32 v[4:5], v[10:11], v[4:5] op_sel:[1,0] op_sel_hi:[0,0]
	v_pk_add_f32 v[2:3], v[2:3], v[6:7]
	v_pk_fma_f32 v[6:7], v[10:11], v[66:67], v[4:5] neg_lo:[0,0,1] neg_hi:[0,0,1]
	v_pk_fma_f32 v[4:5], v[10:11], v[66:67], v[4:5] op_sel_hi:[1,0,1]
	s_nop 0
	v_mov_b32_e32 v7, v5
	s_waitcnt vmcnt(1) lgkmcnt(1)
	v_pk_mul_f32 v[4:5], v[12:13], v[68:69] op_sel:[1,1] op_sel_hi:[0,1]
	v_pk_add_f32 v[2:3], v[2:3], v[6:7]
	v_pk_fma_f32 v[6:7], v[12:13], v[68:69], v[4:5] neg_lo:[0,0,1] neg_hi:[0,0,1]
	v_pk_fma_f32 v[4:5], v[12:13], v[68:69], v[4:5] op_sel_hi:[1,0,1]
	s_nop 0
	v_mov_b32_e32 v4, v71
	v_mov_b32_e32 v7, v5
	v_pk_mul_f32 v[4:5], v[14:15], v[4:5] op_sel:[1,0] op_sel_hi:[0,0]
	v_pk_add_f32 v[2:3], v[2:3], v[6:7]
	v_pk_fma_f32 v[6:7], v[14:15], v[70:71], v[4:5] neg_lo:[0,0,1] neg_hi:[0,0,1]
	v_pk_fma_f32 v[4:5], v[14:15], v[70:71], v[4:5] op_sel_hi:[1,0,1]
	s_nop 0
	v_mov_b32_e32 v7, v5
	s_waitcnt vmcnt(0) lgkmcnt(0)
	v_pk_mul_f32 v[4:5], v[16:17], v[72:73] op_sel:[1,1] op_sel_hi:[0,1]
	v_pk_add_f32 v[2:3], v[2:3], v[6:7]
	v_pk_fma_f32 v[6:7], v[16:17], v[72:73], v[4:5] neg_lo:[0,0,1] neg_hi:[0,0,1]
	v_pk_fma_f32 v[4:5], v[16:17], v[72:73], v[4:5] op_sel_hi:[1,0,1]
	s_nop 0
	v_mov_b32_e32 v4, v75
	v_mov_b32_e32 v7, v5
	v_pk_mul_f32 v[4:5], v[18:19], v[4:5] op_sel:[1,0] op_sel_hi:[0,0]
	v_pk_add_f32 v[2:3], v[2:3], v[6:7]
	v_pk_fma_f32 v[6:7], v[18:19], v[74:75], v[4:5] neg_lo:[0,0,1] neg_hi:[0,0,1]
	v_pk_fma_f32 v[4:5], v[18:19], v[74:75], v[4:5] op_sel_hi:[1,0,1]
	s_nop 0
	v_mov_b32_e32 v7, v5
	scratch_load_dwordx2 v[4:5], off, off offset:112
	v_pk_add_f32 v[2:3], v[2:3], v[6:7]
	s_waitcnt vmcnt(0)
	v_pk_add_f32 v[2:3], v[4:5], v[2:3] neg_lo:[0,1] neg_hi:[0,1]
	scratch_store_dwordx2 off, v[2:3], off offset:112
	s_and_saveexec_b64 s[0:1], vcc
	s_cbranch_execz .LBB100_209
; %bb.208:
	scratch_load_dwordx2 v[2:3], off, off offset:104
	v_mov_b32_e32 v4, 0
	v_mov_b32_e32 v5, v4
	scratch_store_dwordx2 off, v[4:5], off offset:104
	s_waitcnt vmcnt(1)
	ds_write_b64 v1, v[2:3]
.LBB100_209:
	s_or_b64 exec, exec, s[0:1]
	v_mov_b32_e32 v2, 0
	s_waitcnt lgkmcnt(0)
	; wave barrier
	ds_read_b128 v[4:7], v2 offset:416
	ds_read_b128 v[8:11], v2 offset:432
	ds_read_b128 v[12:15], v2 offset:448
	ds_read_b128 v[16:19], v2 offset:464
	scratch_load_dwordx4 v[20:23], off, off offset:112
	scratch_load_dwordx4 v[40:43], off, off offset:176
	v_cmp_lt_u32_e32 vcc, 12, v0
	scratch_load_dwordx4 v[48:51], off, off offset:192
	scratch_load_dwordx4 v[56:59], off, off offset:208
	;; [unrolled: 1-line block ×3, first 2 shown]
	s_waitcnt vmcnt(4) lgkmcnt(3)
	v_mul_f32_e32 v3, v4, v21
	v_fmac_f32_e32 v3, v5, v20
	v_mul_f32_e32 v24, v6, v23
	v_add_f32_e32 v3, 0, v3
	v_fmac_f32_e32 v24, v7, v22
	v_add_f32_e32 v3, v3, v24
	scratch_load_dwordx4 v[24:27], off, off offset:128
	s_waitcnt vmcnt(0) lgkmcnt(2)
	v_mul_f32_e32 v28, v8, v25
	v_fmac_f32_e32 v28, v9, v24
	v_add_f32_e32 v3, v3, v28
	v_mul_f32_e32 v28, v10, v27
	v_fmac_f32_e32 v28, v11, v26
	v_add_f32_e32 v3, v3, v28
	scratch_load_dwordx4 v[28:31], off, off offset:144
	s_waitcnt vmcnt(0) lgkmcnt(1)
	v_mul_f32_e32 v32, v12, v29
	v_fmac_f32_e32 v32, v13, v28
	v_add_f32_e32 v3, v3, v32
	v_mul_f32_e32 v32, v14, v31
	;; [unrolled: 8-line block ×3, first 2 shown]
	v_fmac_f32_e32 v36, v19, v34
	v_add_f32_e32 v3, v3, v36
	ds_read_b128 v[36:39], v2 offset:480
	s_waitcnt lgkmcnt(0)
	v_mul_f32_e32 v44, v36, v41
	v_fmac_f32_e32 v44, v37, v40
	v_add_f32_e32 v3, v3, v44
	v_mul_f32_e32 v44, v38, v43
	v_fmac_f32_e32 v44, v39, v42
	v_add_f32_e32 v3, v3, v44
	ds_read_b128 v[44:47], v2 offset:496
	s_waitcnt lgkmcnt(0)
	v_mul_f32_e32 v52, v44, v49
	v_fmac_f32_e32 v52, v45, v48
	v_add_f32_e32 v3, v3, v52
	v_mul_f32_e32 v52, v46, v51
	v_fmac_f32_e32 v52, v47, v50
	v_add_f32_e32 v3, v3, v52
	ds_read_b128 v[52:55], v2 offset:512
	s_waitcnt lgkmcnt(0)
	v_mul_f32_e32 v60, v52, v57
	v_fmac_f32_e32 v60, v53, v56
	v_add_f32_e32 v81, v3, v60
	ds_read_b128 v[60:63], v2 offset:528
	scratch_load_dwordx4 v[68:71], off, off offset:240
	scratch_load_dwordx4 v[72:75], off, off offset:256
	;; [unrolled: 1-line block ×3, first 2 shown]
	scratch_load_dwordx2 v[86:87], off, off offset:288
	v_mul_f32_e32 v3, v5, v21
	v_fma_f32 v3, v4, v20, -v3
	v_mul_f32_e32 v4, v7, v23
	v_add_f32_e32 v3, 0, v3
	v_fma_f32 v4, v6, v22, -v4
	v_add_f32_e32 v3, v3, v4
	v_mul_f32_e32 v4, v9, v25
	v_fma_f32 v4, v8, v24, -v4
	v_add_f32_e32 v3, v3, v4
	v_mul_f32_e32 v4, v11, v27
	;; [unrolled: 3-line block ×11, first 2 shown]
	v_fma_f32 v4, v52, v56, -v4
	v_mul_f32_e32 v83, v54, v59
	v_add_f32_e32 v80, v3, v4
	v_mul_f32_e32 v3, v55, v59
	v_mov_b32_e32 v20, v67
	v_fmac_f32_e32 v83, v55, v58
	s_waitcnt lgkmcnt(0)
	v_mul_f32_e32 v85, v60, v65
	v_fma_f32 v82, v54, v58, -v3
	v_mul_f32_e32 v3, v61, v65
	ds_read_b128 v[4:7], v2 offset:544
	ds_read_b128 v[8:11], v2 offset:560
	;; [unrolled: 1-line block ×3, first 2 shown]
	ds_read_b64 v[16:17], v2 offset:592
	v_pk_mul_f32 v[20:21], v[62:63], v[20:21] op_sel:[1,0] op_sel_hi:[0,0]
	v_fmac_f32_e32 v85, v61, v64
	v_fma_f32 v84, v60, v64, -v3
	v_pk_add_f32 v[18:19], v[80:81], v[82:83]
	v_pk_fma_f32 v[22:23], v[62:63], v[66:67], v[20:21] neg_lo:[0,0,1] neg_hi:[0,0,1]
	v_pk_fma_f32 v[20:21], v[62:63], v[66:67], v[20:21] op_sel_hi:[1,0,1]
	v_pk_add_f32 v[18:19], v[18:19], v[84:85]
	v_mov_b32_e32 v23, v21
	v_pk_add_f32 v[18:19], v[18:19], v[22:23]
	s_waitcnt vmcnt(3) lgkmcnt(3)
	v_pk_mul_f32 v[20:21], v[4:5], v[68:69] op_sel:[1,1] op_sel_hi:[0,1]
	v_pk_fma_f32 v[22:23], v[4:5], v[68:69], v[20:21] neg_lo:[0,0,1] neg_hi:[0,0,1]
	v_pk_fma_f32 v[4:5], v[4:5], v[68:69], v[20:21] op_sel_hi:[1,0,1]
	s_nop 0
	v_mov_b32_e32 v23, v5
	v_pk_add_f32 v[4:5], v[18:19], v[22:23]
	v_mov_b32_e32 v18, v71
	v_pk_mul_f32 v[18:19], v[6:7], v[18:19] op_sel:[1,0] op_sel_hi:[0,0]
	v_pk_fma_f32 v[20:21], v[6:7], v[70:71], v[18:19] neg_lo:[0,0,1] neg_hi:[0,0,1]
	v_pk_fma_f32 v[6:7], v[6:7], v[70:71], v[18:19] op_sel_hi:[1,0,1]
	s_nop 0
	v_mov_b32_e32 v21, v7
	s_waitcnt vmcnt(2) lgkmcnt(2)
	v_pk_mul_f32 v[6:7], v[8:9], v[72:73] op_sel:[1,1] op_sel_hi:[0,1]
	v_pk_fma_f32 v[18:19], v[8:9], v[72:73], v[6:7] neg_lo:[0,0,1] neg_hi:[0,0,1]
	v_pk_fma_f32 v[6:7], v[8:9], v[72:73], v[6:7] op_sel_hi:[1,0,1]
	v_pk_add_f32 v[4:5], v[4:5], v[20:21]
	v_mov_b32_e32 v6, v75
	v_mov_b32_e32 v19, v7
	v_pk_mul_f32 v[6:7], v[10:11], v[6:7] op_sel:[1,0] op_sel_hi:[0,0]
	v_pk_fma_f32 v[8:9], v[10:11], v[74:75], v[6:7] neg_lo:[0,0,1] neg_hi:[0,0,1]
	v_pk_fma_f32 v[6:7], v[10:11], v[74:75], v[6:7] op_sel_hi:[1,0,1]
	v_pk_add_f32 v[4:5], v[4:5], v[18:19]
	v_mov_b32_e32 v9, v7
	s_waitcnt vmcnt(1) lgkmcnt(1)
	v_pk_mul_f32 v[6:7], v[12:13], v[76:77] op_sel:[1,1] op_sel_hi:[0,1]
	v_pk_add_f32 v[4:5], v[4:5], v[8:9]
	v_pk_fma_f32 v[8:9], v[12:13], v[76:77], v[6:7] neg_lo:[0,0,1] neg_hi:[0,0,1]
	v_pk_fma_f32 v[6:7], v[12:13], v[76:77], v[6:7] op_sel_hi:[1,0,1]
	s_nop 0
	v_mov_b32_e32 v6, v79
	v_mov_b32_e32 v9, v7
	v_pk_mul_f32 v[6:7], v[14:15], v[6:7] op_sel:[1,0] op_sel_hi:[0,0]
	v_pk_add_f32 v[4:5], v[4:5], v[8:9]
	v_pk_fma_f32 v[8:9], v[14:15], v[78:79], v[6:7] neg_lo:[0,0,1] neg_hi:[0,0,1]
	v_pk_fma_f32 v[6:7], v[14:15], v[78:79], v[6:7] op_sel_hi:[1,0,1]
	s_nop 0
	v_mov_b32_e32 v9, v7
	s_waitcnt vmcnt(0) lgkmcnt(0)
	v_pk_mul_f32 v[6:7], v[16:17], v[86:87] op_sel:[1,1] op_sel_hi:[0,1]
	v_pk_add_f32 v[4:5], v[4:5], v[8:9]
	v_pk_fma_f32 v[8:9], v[16:17], v[86:87], v[6:7] neg_lo:[0,0,1] neg_hi:[0,0,1]
	v_pk_fma_f32 v[6:7], v[16:17], v[86:87], v[6:7] op_sel_hi:[1,0,1]
	s_nop 0
	v_mov_b32_e32 v9, v7
	scratch_load_dwordx2 v[6:7], off, off offset:104
	v_pk_add_f32 v[4:5], v[4:5], v[8:9]
	s_waitcnt vmcnt(0)
	v_pk_add_f32 v[4:5], v[6:7], v[4:5] neg_lo:[0,1] neg_hi:[0,1]
	scratch_store_dwordx2 off, v[4:5], off offset:104
	s_and_saveexec_b64 s[0:1], vcc
	s_cbranch_execz .LBB100_211
; %bb.210:
	scratch_load_dwordx2 v[4:5], off, off offset:96
	v_mov_b32_e32 v3, v2
	scratch_store_dwordx2 off, v[2:3], off offset:96
	s_waitcnt vmcnt(1)
	ds_write_b64 v1, v[4:5]
.LBB100_211:
	s_or_b64 exec, exec, s[0:1]
	s_waitcnt lgkmcnt(0)
	; wave barrier
	scratch_load_dwordx4 v[8:11], off, off offset:104
	scratch_load_dwordx4 v[16:19], off, off offset:120
	scratch_load_dwordx4 v[24:27], off, off offset:136
	scratch_load_dwordx4 v[32:35], off, off offset:152
	scratch_load_dwordx4 v[40:43], off, off offset:168
	scratch_load_dwordx4 v[48:51], off, off offset:184
	scratch_load_dwordx4 v[56:59], off, off offset:200
	scratch_load_dwordx4 v[64:67], off, off offset:216
	ds_read2_b64 v[4:7], v2 offset0:51 offset1:52
	v_cmp_lt_u32_e32 vcc, 11, v0
	s_waitcnt vmcnt(7) lgkmcnt(0)
	v_mul_f32_e32 v3, v4, v9
	v_fmac_f32_e32 v3, v5, v8
	v_mul_f32_e32 v12, v6, v11
	v_add_f32_e32 v3, 0, v3
	v_fmac_f32_e32 v12, v7, v10
	v_add_f32_e32 v3, v3, v12
	ds_read2_b64 v[12:15], v2 offset0:53 offset1:54
	s_waitcnt vmcnt(6) lgkmcnt(0)
	v_mul_f32_e32 v20, v12, v17
	v_fmac_f32_e32 v20, v13, v16
	v_add_f32_e32 v3, v3, v20
	v_mul_f32_e32 v20, v14, v19
	v_fmac_f32_e32 v20, v15, v18
	v_add_f32_e32 v3, v3, v20
	ds_read2_b64 v[20:23], v2 offset0:55 offset1:56
	s_waitcnt vmcnt(5) lgkmcnt(0)
	v_mul_f32_e32 v28, v20, v25
	v_fmac_f32_e32 v28, v21, v24
	v_add_f32_e32 v3, v3, v28
	v_mul_f32_e32 v28, v22, v27
	;; [unrolled: 8-line block ×6, first 2 shown]
	v_fmac_f32_e32 v60, v55, v58
	v_add_f32_e32 v85, v3, v60
	ds_read2_b64 v[60:63], v2 offset0:65 offset1:66
	scratch_load_dwordx4 v[68:71], off, off offset:232
	scratch_load_dwordx4 v[72:75], off, off offset:248
	;; [unrolled: 1-line block ×4, first 2 shown]
	v_mul_f32_e32 v3, v5, v9
	v_fma_f32 v3, v4, v8, -v3
	v_mul_f32_e32 v4, v7, v11
	v_add_f32_e32 v3, 0, v3
	v_fma_f32 v4, v6, v10, -v4
	v_add_f32_e32 v3, v3, v4
	v_mul_f32_e32 v4, v13, v17
	v_fma_f32 v4, v12, v16, -v4
	v_add_f32_e32 v3, v3, v4
	v_mul_f32_e32 v4, v15, v19
	;; [unrolled: 3-line block ×12, first 2 shown]
	v_fma_f32 v4, v54, v58, -v4
	v_add_f32_e32 v84, v3, v4
	ds_read2_b64 v[4:7], v2 offset0:67 offset1:68
	ds_read2_b64 v[8:11], v2 offset0:69 offset1:70
	;; [unrolled: 1-line block ×4, first 2 shown]
	s_waitcnt vmcnt(4) lgkmcnt(4)
	v_mul_f32_e32 v87, v60, v65
	v_mul_f32_e32 v3, v61, v65
	v_fmac_f32_e32 v87, v61, v64
	v_mul_f32_e32 v89, v62, v67
	v_fma_f32 v86, v60, v64, -v3
	v_mul_f32_e32 v3, v63, v67
	v_fmac_f32_e32 v89, v63, v66
	v_fma_f32 v88, v62, v66, -v3
	v_pk_add_f32 v[2:3], v[84:85], v[86:87]
	s_waitcnt vmcnt(3) lgkmcnt(3)
	v_pk_mul_f32 v[20:21], v[4:5], v[68:69] op_sel:[1,1] op_sel_hi:[0,1]
	v_pk_fma_f32 v[22:23], v[4:5], v[68:69], v[20:21] neg_lo:[0,0,1] neg_hi:[0,0,1]
	v_pk_fma_f32 v[4:5], v[4:5], v[68:69], v[20:21] op_sel_hi:[1,0,1]
	v_pk_add_f32 v[2:3], v[2:3], v[88:89]
	v_mov_b32_e32 v4, v71
	v_mov_b32_e32 v23, v5
	v_pk_mul_f32 v[4:5], v[6:7], v[4:5] op_sel:[1,0] op_sel_hi:[0,0]
	v_pk_fma_f32 v[20:21], v[6:7], v[70:71], v[4:5] neg_lo:[0,0,1] neg_hi:[0,0,1]
	v_pk_fma_f32 v[4:5], v[6:7], v[70:71], v[4:5] op_sel_hi:[1,0,1]
	v_pk_add_f32 v[2:3], v[2:3], v[22:23]
	v_mov_b32_e32 v21, v5
	s_waitcnt vmcnt(2) lgkmcnt(2)
	v_pk_mul_f32 v[4:5], v[8:9], v[72:73] op_sel:[1,1] op_sel_hi:[0,1]
	v_pk_fma_f32 v[6:7], v[8:9], v[72:73], v[4:5] neg_lo:[0,0,1] neg_hi:[0,0,1]
	v_pk_fma_f32 v[4:5], v[8:9], v[72:73], v[4:5] op_sel_hi:[1,0,1]
	v_pk_add_f32 v[2:3], v[2:3], v[20:21]
	v_mov_b32_e32 v4, v75
	v_mov_b32_e32 v7, v5
	v_pk_mul_f32 v[4:5], v[10:11], v[4:5] op_sel:[1,0] op_sel_hi:[0,0]
	v_pk_add_f32 v[2:3], v[2:3], v[6:7]
	v_pk_fma_f32 v[6:7], v[10:11], v[74:75], v[4:5] neg_lo:[0,0,1] neg_hi:[0,0,1]
	v_pk_fma_f32 v[4:5], v[10:11], v[74:75], v[4:5] op_sel_hi:[1,0,1]
	s_nop 0
	v_mov_b32_e32 v7, v5
	s_waitcnt vmcnt(1) lgkmcnt(1)
	v_pk_mul_f32 v[4:5], v[12:13], v[76:77] op_sel:[1,1] op_sel_hi:[0,1]
	v_pk_add_f32 v[2:3], v[2:3], v[6:7]
	v_pk_fma_f32 v[6:7], v[12:13], v[76:77], v[4:5] neg_lo:[0,0,1] neg_hi:[0,0,1]
	v_pk_fma_f32 v[4:5], v[12:13], v[76:77], v[4:5] op_sel_hi:[1,0,1]
	s_nop 0
	v_mov_b32_e32 v4, v79
	v_mov_b32_e32 v7, v5
	v_pk_mul_f32 v[4:5], v[14:15], v[4:5] op_sel:[1,0] op_sel_hi:[0,0]
	v_pk_add_f32 v[2:3], v[2:3], v[6:7]
	v_pk_fma_f32 v[6:7], v[14:15], v[78:79], v[4:5] neg_lo:[0,0,1] neg_hi:[0,0,1]
	v_pk_fma_f32 v[4:5], v[14:15], v[78:79], v[4:5] op_sel_hi:[1,0,1]
	s_nop 0
	v_mov_b32_e32 v7, v5
	s_waitcnt vmcnt(0) lgkmcnt(0)
	v_pk_mul_f32 v[4:5], v[16:17], v[80:81] op_sel:[1,1] op_sel_hi:[0,1]
	v_pk_add_f32 v[2:3], v[2:3], v[6:7]
	v_pk_fma_f32 v[6:7], v[16:17], v[80:81], v[4:5] neg_lo:[0,0,1] neg_hi:[0,0,1]
	v_pk_fma_f32 v[4:5], v[16:17], v[80:81], v[4:5] op_sel_hi:[1,0,1]
	s_nop 0
	v_mov_b32_e32 v4, v83
	v_mov_b32_e32 v7, v5
	v_pk_mul_f32 v[4:5], v[18:19], v[4:5] op_sel:[1,0] op_sel_hi:[0,0]
	v_pk_add_f32 v[2:3], v[2:3], v[6:7]
	v_pk_fma_f32 v[6:7], v[18:19], v[82:83], v[4:5] neg_lo:[0,0,1] neg_hi:[0,0,1]
	v_pk_fma_f32 v[4:5], v[18:19], v[82:83], v[4:5] op_sel_hi:[1,0,1]
	s_nop 0
	v_mov_b32_e32 v7, v5
	scratch_load_dwordx2 v[4:5], off, off offset:96
	v_pk_add_f32 v[2:3], v[2:3], v[6:7]
	s_waitcnt vmcnt(0)
	v_pk_add_f32 v[2:3], v[4:5], v[2:3] neg_lo:[0,1] neg_hi:[0,1]
	scratch_store_dwordx2 off, v[2:3], off offset:96
	s_and_saveexec_b64 s[0:1], vcc
	s_cbranch_execz .LBB100_213
; %bb.212:
	scratch_load_dwordx2 v[2:3], off, off offset:88
	v_mov_b32_e32 v4, 0
	v_mov_b32_e32 v5, v4
	scratch_store_dwordx2 off, v[4:5], off offset:88
	s_waitcnt vmcnt(1)
	ds_write_b64 v1, v[2:3]
.LBB100_213:
	s_or_b64 exec, exec, s[0:1]
	v_mov_b32_e32 v58, 0
	s_waitcnt lgkmcnt(0)
	; wave barrier
	ds_read_b128 v[2:5], v58 offset:400
	ds_read_b128 v[6:9], v58 offset:416
	;; [unrolled: 1-line block ×4, first 2 shown]
	scratch_load_dwordx4 v[18:21], off, off offset:96
	scratch_load_dwordx4 v[38:41], off, off offset:160
	;; [unrolled: 1-line block ×3, first 2 shown]
	v_cmp_lt_u32_e32 vcc, 10, v0
	scratch_load_dwordx4 v[46:49], off, off offset:176
	scratch_load_dwordx4 v[54:57], off, off offset:192
	;; [unrolled: 1-line block ×3, first 2 shown]
	s_waitcnt vmcnt(5) lgkmcnt(3)
	v_mul_f32_e32 v22, v2, v19
	v_fmac_f32_e32 v22, v3, v18
	v_mul_f32_e32 v23, v4, v21
	v_add_f32_e32 v22, 0, v22
	v_fmac_f32_e32 v23, v5, v20
	v_add_f32_e32 v26, v22, v23
	scratch_load_dwordx4 v[22:25], off, off offset:112
	v_mul_f32_e32 v3, v3, v19
	v_fma_f32 v2, v2, v18, -v3
	v_mul_f32_e32 v3, v5, v21
	v_add_f32_e32 v2, 0, v2
	v_fma_f32 v3, v4, v20, -v3
	v_add_f32_e32 v2, v2, v3
	s_waitcnt vmcnt(4)
	v_mov_b32_e32 v18, v75
	s_waitcnt vmcnt(0) lgkmcnt(2)
	v_mul_f32_e32 v27, v6, v23
	v_fmac_f32_e32 v27, v7, v22
	v_add_f32_e32 v26, v26, v27
	v_mul_f32_e32 v27, v8, v25
	v_fmac_f32_e32 v27, v9, v24
	v_add_f32_e32 v30, v26, v27
	scratch_load_dwordx4 v[26:29], off, off offset:128
	v_mul_f32_e32 v3, v7, v23
	v_fma_f32 v3, v6, v22, -v3
	v_add_f32_e32 v2, v2, v3
	v_mul_f32_e32 v3, v9, v25
	v_fma_f32 v3, v8, v24, -v3
	v_add_f32_e32 v2, v2, v3
	s_waitcnt vmcnt(0) lgkmcnt(1)
	v_mul_f32_e32 v31, v10, v27
	v_fmac_f32_e32 v31, v11, v26
	v_add_f32_e32 v30, v30, v31
	v_mul_f32_e32 v31, v12, v29
	v_fmac_f32_e32 v31, v13, v28
	v_add_f32_e32 v34, v30, v31
	scratch_load_dwordx4 v[30:33], off, off offset:144
	v_mul_f32_e32 v3, v11, v27
	v_fma_f32 v3, v10, v26, -v3
	v_add_f32_e32 v2, v2, v3
	v_mul_f32_e32 v3, v13, v29
	v_fma_f32 v3, v12, v28, -v3
	v_add_f32_e32 v2, v2, v3
	s_waitcnt vmcnt(0) lgkmcnt(0)
	v_mul_f32_e32 v35, v14, v31
	v_fmac_f32_e32 v35, v15, v30
	v_add_f32_e32 v34, v34, v35
	v_mul_f32_e32 v35, v16, v33
	v_fmac_f32_e32 v35, v17, v32
	v_add_f32_e32 v42, v34, v35
	ds_read_b128 v[34:37], v58 offset:464
	v_mul_f32_e32 v3, v15, v31
	v_fma_f32 v3, v14, v30, -v3
	v_add_f32_e32 v2, v2, v3
	v_mul_f32_e32 v3, v17, v33
	s_waitcnt lgkmcnt(0)
	v_mul_f32_e32 v43, v34, v39
	v_fmac_f32_e32 v43, v35, v38
	v_add_f32_e32 v42, v42, v43
	v_mul_f32_e32 v43, v36, v41
	v_fmac_f32_e32 v43, v37, v40
	v_add_f32_e32 v50, v42, v43
	ds_read_b128 v[42:45], v58 offset:480
	v_fma_f32 v3, v16, v32, -v3
	v_add_f32_e32 v2, v2, v3
	v_mul_f32_e32 v3, v35, v39
	v_fma_f32 v3, v34, v38, -v3
	s_waitcnt lgkmcnt(0)
	v_mul_f32_e32 v51, v42, v47
	v_fmac_f32_e32 v51, v43, v46
	v_add_f32_e32 v50, v50, v51
	v_mul_f32_e32 v51, v44, v49
	v_fmac_f32_e32 v51, v45, v48
	v_add_f32_e32 v59, v50, v51
	ds_read_b128 v[50:53], v58 offset:496
	v_add_f32_e32 v2, v2, v3
	v_mul_f32_e32 v3, v37, v41
	v_fma_f32 v3, v36, v40, -v3
	v_add_f32_e32 v2, v2, v3
	s_waitcnt lgkmcnt(0)
	v_mul_f32_e32 v60, v50, v55
	v_fmac_f32_e32 v60, v51, v54
	v_add_f32_e32 v59, v59, v60
	v_mul_f32_e32 v60, v52, v57
	v_fmac_f32_e32 v60, v53, v56
	v_add_f32_e32 v59, v59, v60
	ds_read_b128 v[60:63], v58 offset:512
	v_mul_f32_e32 v3, v43, v47
	v_fma_f32 v3, v42, v46, -v3
	v_add_f32_e32 v2, v2, v3
	v_mul_f32_e32 v3, v45, v49
	s_waitcnt lgkmcnt(0)
	v_mul_f32_e32 v68, v60, v65
	v_fmac_f32_e32 v68, v61, v64
	v_add_f32_e32 v89, v59, v68
	ds_read_b128 v[68:71], v58 offset:528
	scratch_load_dwordx4 v[76:79], off, off offset:240
	scratch_load_dwordx4 v[80:83], off, off offset:256
	;; [unrolled: 1-line block ×3, first 2 shown]
	scratch_load_dwordx2 v[94:95], off, off offset:288
	v_fma_f32 v3, v44, v48, -v3
	v_add_f32_e32 v2, v2, v3
	v_mul_f32_e32 v3, v51, v55
	v_fma_f32 v3, v50, v54, -v3
	v_add_f32_e32 v2, v2, v3
	v_mul_f32_e32 v3, v53, v57
	;; [unrolled: 3-line block ×4, first 2 shown]
	v_mul_f32_e32 v91, v62, v67
	v_fma_f32 v90, v62, v66, -v2
	s_waitcnt lgkmcnt(0)
	v_mul_f32_e32 v2, v69, v73
	v_fmac_f32_e32 v91, v63, v66
	v_mul_f32_e32 v93, v68, v73
	v_fma_f32 v92, v68, v72, -v2
	ds_read_b128 v[2:5], v58 offset:544
	ds_read_b128 v[6:9], v58 offset:560
	;; [unrolled: 1-line block ×3, first 2 shown]
	ds_read_b64 v[14:15], v58 offset:592
	v_pk_mul_f32 v[18:19], v[70:71], v[18:19] op_sel:[1,0] op_sel_hi:[0,0]
	v_fmac_f32_e32 v93, v69, v72
	v_pk_add_f32 v[16:17], v[88:89], v[90:91]
	v_pk_fma_f32 v[20:21], v[70:71], v[74:75], v[18:19] neg_lo:[0,0,1] neg_hi:[0,0,1]
	v_pk_fma_f32 v[18:19], v[70:71], v[74:75], v[18:19] op_sel_hi:[1,0,1]
	v_pk_add_f32 v[16:17], v[16:17], v[92:93]
	v_mov_b32_e32 v21, v19
	v_pk_add_f32 v[16:17], v[16:17], v[20:21]
	s_waitcnt vmcnt(3) lgkmcnt(3)
	v_pk_mul_f32 v[18:19], v[2:3], v[76:77] op_sel:[1,1] op_sel_hi:[0,1]
	v_pk_fma_f32 v[20:21], v[2:3], v[76:77], v[18:19] neg_lo:[0,0,1] neg_hi:[0,0,1]
	v_pk_fma_f32 v[2:3], v[2:3], v[76:77], v[18:19] op_sel_hi:[1,0,1]
	s_nop 0
	v_mov_b32_e32 v21, v3
	v_pk_add_f32 v[2:3], v[16:17], v[20:21]
	v_mov_b32_e32 v16, v79
	v_pk_mul_f32 v[16:17], v[4:5], v[16:17] op_sel:[1,0] op_sel_hi:[0,0]
	v_pk_fma_f32 v[18:19], v[4:5], v[78:79], v[16:17] neg_lo:[0,0,1] neg_hi:[0,0,1]
	v_pk_fma_f32 v[4:5], v[4:5], v[78:79], v[16:17] op_sel_hi:[1,0,1]
	s_nop 0
	v_mov_b32_e32 v19, v5
	s_waitcnt vmcnt(2) lgkmcnt(2)
	v_pk_mul_f32 v[4:5], v[6:7], v[80:81] op_sel:[1,1] op_sel_hi:[0,1]
	v_pk_fma_f32 v[16:17], v[6:7], v[80:81], v[4:5] neg_lo:[0,0,1] neg_hi:[0,0,1]
	v_pk_fma_f32 v[4:5], v[6:7], v[80:81], v[4:5] op_sel_hi:[1,0,1]
	v_pk_add_f32 v[2:3], v[2:3], v[18:19]
	v_mov_b32_e32 v4, v83
	v_mov_b32_e32 v17, v5
	v_pk_mul_f32 v[4:5], v[8:9], v[4:5] op_sel:[1,0] op_sel_hi:[0,0]
	v_pk_fma_f32 v[6:7], v[8:9], v[82:83], v[4:5] neg_lo:[0,0,1] neg_hi:[0,0,1]
	v_pk_fma_f32 v[4:5], v[8:9], v[82:83], v[4:5] op_sel_hi:[1,0,1]
	v_pk_add_f32 v[2:3], v[2:3], v[16:17]
	v_mov_b32_e32 v7, v5
	s_waitcnt vmcnt(1) lgkmcnt(1)
	v_pk_mul_f32 v[4:5], v[10:11], v[84:85] op_sel:[1,1] op_sel_hi:[0,1]
	v_pk_add_f32 v[2:3], v[2:3], v[6:7]
	v_pk_fma_f32 v[6:7], v[10:11], v[84:85], v[4:5] neg_lo:[0,0,1] neg_hi:[0,0,1]
	v_pk_fma_f32 v[4:5], v[10:11], v[84:85], v[4:5] op_sel_hi:[1,0,1]
	s_nop 0
	v_mov_b32_e32 v4, v87
	v_mov_b32_e32 v7, v5
	v_pk_mul_f32 v[4:5], v[12:13], v[4:5] op_sel:[1,0] op_sel_hi:[0,0]
	v_pk_add_f32 v[2:3], v[2:3], v[6:7]
	v_pk_fma_f32 v[6:7], v[12:13], v[86:87], v[4:5] neg_lo:[0,0,1] neg_hi:[0,0,1]
	v_pk_fma_f32 v[4:5], v[12:13], v[86:87], v[4:5] op_sel_hi:[1,0,1]
	s_nop 0
	v_mov_b32_e32 v7, v5
	s_waitcnt vmcnt(0) lgkmcnt(0)
	v_pk_mul_f32 v[4:5], v[14:15], v[94:95] op_sel:[1,1] op_sel_hi:[0,1]
	v_pk_add_f32 v[2:3], v[2:3], v[6:7]
	v_pk_fma_f32 v[6:7], v[14:15], v[94:95], v[4:5] neg_lo:[0,0,1] neg_hi:[0,0,1]
	v_pk_fma_f32 v[4:5], v[14:15], v[94:95], v[4:5] op_sel_hi:[1,0,1]
	s_nop 0
	v_mov_b32_e32 v7, v5
	scratch_load_dwordx2 v[4:5], off, off offset:88
	v_pk_add_f32 v[2:3], v[2:3], v[6:7]
	s_waitcnt vmcnt(0)
	v_pk_add_f32 v[2:3], v[4:5], v[2:3] neg_lo:[0,1] neg_hi:[0,1]
	scratch_store_dwordx2 off, v[2:3], off offset:88
	s_and_saveexec_b64 s[0:1], vcc
	s_cbranch_execz .LBB100_215
; %bb.214:
	scratch_load_dwordx2 v[2:3], off, off offset:80
	v_mov_b32_e32 v59, v58
	scratch_store_dwordx2 off, v[58:59], off offset:80
	s_waitcnt vmcnt(1)
	ds_write_b64 v1, v[2:3]
.LBB100_215:
	s_or_b64 exec, exec, s[0:1]
	s_waitcnt lgkmcnt(0)
	; wave barrier
	scratch_load_dwordx4 v[2:5], off, off offset:88
	scratch_load_dwordx4 v[18:21], off, off offset:104
	;; [unrolled: 1-line block ×9, first 2 shown]
	ds_read2_b64 v[60:63], v58 offset0:49 offset1:50
	ds_read2_b64 v[64:67], v58 offset0:51 offset1:52
	;; [unrolled: 1-line block ×8, first 2 shown]
	scratch_load_dwordx4 v[50:53], off, off offset:232
	scratch_load_dwordx4 v[34:37], off, off offset:248
	;; [unrolled: 1-line block ×4, first 2 shown]
	ds_read2_b64 v[88:91], v58 offset0:65 offset1:66
	ds_read2_b64 v[92:95], v58 offset0:67 offset1:68
	scratch_load_dwordx2 v[96:97], off, off offset:80
	v_cmp_lt_u32_e32 vcc, 9, v0
	s_waitcnt vmcnt(13) lgkmcnt(9)
	v_mul_f32_e32 v59, v60, v3
	v_mul_f32_e32 v98, v62, v5
	v_mul_f32_e32 v3, v61, v3
	s_waitcnt vmcnt(10) lgkmcnt(6)
	v_mul_f32_e32 v105, v72, v7
	v_mul_f32_e32 v7, v73, v7
	v_fmac_f32_e32 v59, v61, v2
	v_mul_f32_e32 v100, v64, v19
	v_mul_f32_e32 v5, v63, v5
	v_fmac_f32_e32 v98, v63, v4
	v_fmac_f32_e32 v105, v73, v6
	v_fma_f32 v2, v60, v2, -v3
	v_fma_f32 v6, v72, v6, -v7
	v_add_f32_e32 v7, 0, v59
	v_mul_f32_e32 v102, v66, v21
	v_fmac_f32_e32 v100, v65, v18
	v_fma_f32 v3, v62, v4, -v5
	v_add_f32_e32 v2, 0, v2
	v_add_f32_e32 v7, v7, v98
	v_mul_f32_e32 v103, v68, v39
	v_fmac_f32_e32 v102, v67, v20
	v_add_f32_e32 v2, v2, v3
	v_add_f32_e32 v3, v7, v100
	v_mul_f32_e32 v104, v70, v41
	v_fmac_f32_e32 v103, v69, v38
	v_add_f32_e32 v3, v3, v102
	v_fmac_f32_e32 v104, v71, v40
	v_add_f32_e32 v3, v3, v103
	v_mul_f32_e32 v106, v74, v9
	v_add_f32_e32 v3, v3, v104
	s_waitcnt vmcnt(9) lgkmcnt(5)
	v_mul_f32_e32 v107, v76, v15
	v_fmac_f32_e32 v106, v75, v8
	v_add_f32_e32 v3, v3, v105
	v_mul_f32_e32 v108, v78, v17
	v_fmac_f32_e32 v107, v77, v14
	v_add_f32_e32 v3, v3, v106
	s_waitcnt vmcnt(8) lgkmcnt(4)
	v_mul_f32_e32 v109, v80, v23
	v_fmac_f32_e32 v108, v79, v16
	v_add_f32_e32 v3, v3, v107
	v_mul_f32_e32 v110, v82, v25
	v_fmac_f32_e32 v109, v81, v22
	v_add_f32_e32 v3, v3, v108
	s_waitcnt vmcnt(7) lgkmcnt(3)
	v_mul_f32_e32 v111, v84, v31
	v_mul_f32_e32 v19, v65, v19
	v_fmac_f32_e32 v110, v83, v24
	v_add_f32_e32 v3, v3, v109
	v_mul_f32_e32 v112, v86, v33
	v_mul_f32_e32 v21, v67, v21
	v_fmac_f32_e32 v111, v85, v30
	v_fma_f32 v4, v64, v18, -v19
	v_add_f32_e32 v3, v3, v110
	s_waitcnt vmcnt(6) lgkmcnt(2)
	v_mul_f32_e32 v113, v54, v43
	v_mul_f32_e32 v39, v69, v39
	v_fmac_f32_e32 v112, v87, v32
	v_fma_f32 v5, v66, v20, -v21
	v_add_f32_e32 v2, v2, v4
	v_add_f32_e32 v3, v3, v111
	v_mul_f32_e32 v188, v56, v45
	v_mul_f32_e32 v41, v71, v41
	v_fmac_f32_e32 v113, v55, v42
	v_fma_f32 v18, v68, v38, -v39
	v_add_f32_e32 v2, v2, v5
	v_add_f32_e32 v3, v3, v112
	v_fmac_f32_e32 v188, v57, v44
	v_fma_f32 v19, v70, v40, -v41
	v_add_f32_e32 v2, v2, v18
	v_add_f32_e32 v3, v3, v113
	;; [unrolled: 1-line block ×4, first 2 shown]
	v_mul_f32_e32 v3, v75, v9
	v_add_f32_e32 v2, v2, v6
	v_fma_f32 v3, v74, v8, -v3
	v_add_f32_e32 v2, v2, v3
	v_mul_f32_e32 v3, v77, v15
	v_fma_f32 v3, v76, v14, -v3
	v_add_f32_e32 v2, v2, v3
	v_mul_f32_e32 v3, v79, v17
	;; [unrolled: 3-line block ×8, first 2 shown]
	v_fma_f32 v3, v56, v44, -v3
	s_waitcnt vmcnt(5) lgkmcnt(1)
	v_mul_f32_e32 v99, v88, v47
	v_add_f32_e32 v18, v2, v3
	v_mul_f32_e32 v2, v89, v47
	s_waitcnt vmcnt(4) lgkmcnt(0)
	v_pk_mul_f32 v[20:21], v[92:93], v[50:51] op_sel:[1,1] op_sel_hi:[0,1]
	v_mul_f32_e32 v101, v90, v49
	v_fmac_f32_e32 v99, v89, v46
	v_fma_f32 v98, v88, v46, -v2
	v_mul_f32_e32 v2, v91, v49
	v_pk_fma_f32 v[22:23], v[92:93], v[50:51], v[20:21] neg_lo:[0,0,1] neg_hi:[0,0,1]
	v_pk_fma_f32 v[20:21], v[92:93], v[50:51], v[20:21] op_sel_hi:[1,0,1]
	v_fmac_f32_e32 v101, v91, v48
	v_fma_f32 v100, v90, v48, -v2
	ds_read2_b64 v[2:5], v58 offset0:69 offset1:70
	ds_read2_b64 v[6:9], v58 offset0:71 offset1:72
	;; [unrolled: 1-line block ×3, first 2 shown]
	v_pk_add_f32 v[18:19], v[18:19], v[98:99]
	v_mov_b32_e32 v20, v53
	v_pk_add_f32 v[18:19], v[18:19], v[100:101]
	v_mov_b32_e32 v23, v21
	v_pk_mul_f32 v[20:21], v[94:95], v[20:21] op_sel:[1,0] op_sel_hi:[0,0]
	v_pk_add_f32 v[18:19], v[18:19], v[22:23]
	v_pk_fma_f32 v[22:23], v[94:95], v[52:53], v[20:21] neg_lo:[0,0,1] neg_hi:[0,0,1]
	v_pk_fma_f32 v[20:21], v[94:95], v[52:53], v[20:21] op_sel_hi:[1,0,1]
	s_nop 0
	v_mov_b32_e32 v23, v21
	s_waitcnt vmcnt(3) lgkmcnt(2)
	v_pk_mul_f32 v[20:21], v[2:3], v[34:35] op_sel:[1,1] op_sel_hi:[0,1]
	v_pk_add_f32 v[18:19], v[18:19], v[22:23]
	v_pk_fma_f32 v[22:23], v[2:3], v[34:35], v[20:21] neg_lo:[0,0,1] neg_hi:[0,0,1]
	v_pk_fma_f32 v[2:3], v[2:3], v[34:35], v[20:21] op_sel_hi:[1,0,1]
	s_nop 0
	v_mov_b32_e32 v23, v3
	v_pk_add_f32 v[2:3], v[18:19], v[22:23]
	v_mov_b32_e32 v18, v37
	v_pk_mul_f32 v[18:19], v[4:5], v[18:19] op_sel:[1,0] op_sel_hi:[0,0]
	v_pk_fma_f32 v[20:21], v[4:5], v[36:37], v[18:19] neg_lo:[0,0,1] neg_hi:[0,0,1]
	v_pk_fma_f32 v[4:5], v[4:5], v[36:37], v[18:19] op_sel_hi:[1,0,1]
	s_nop 0
	v_mov_b32_e32 v21, v5
	s_waitcnt vmcnt(2) lgkmcnt(1)
	v_pk_mul_f32 v[4:5], v[6:7], v[26:27] op_sel:[1,1] op_sel_hi:[0,1]
	v_pk_fma_f32 v[18:19], v[6:7], v[26:27], v[4:5] neg_lo:[0,0,1] neg_hi:[0,0,1]
	v_pk_fma_f32 v[4:5], v[6:7], v[26:27], v[4:5] op_sel_hi:[1,0,1]
	v_pk_add_f32 v[2:3], v[2:3], v[20:21]
	v_mov_b32_e32 v4, v29
	v_mov_b32_e32 v19, v5
	v_pk_mul_f32 v[4:5], v[8:9], v[4:5] op_sel:[1,0] op_sel_hi:[0,0]
	v_pk_fma_f32 v[6:7], v[8:9], v[28:29], v[4:5] neg_lo:[0,0,1] neg_hi:[0,0,1]
	v_pk_fma_f32 v[4:5], v[8:9], v[28:29], v[4:5] op_sel_hi:[1,0,1]
	v_pk_add_f32 v[2:3], v[2:3], v[18:19]
	v_mov_b32_e32 v7, v5
	s_waitcnt vmcnt(1) lgkmcnt(0)
	v_pk_mul_f32 v[4:5], v[14:15], v[10:11] op_sel:[1,1] op_sel_hi:[0,1]
	v_pk_add_f32 v[2:3], v[2:3], v[6:7]
	v_pk_fma_f32 v[6:7], v[14:15], v[10:11], v[4:5] neg_lo:[0,0,1] neg_hi:[0,0,1]
	v_pk_fma_f32 v[4:5], v[14:15], v[10:11], v[4:5] op_sel_hi:[1,0,1]
	s_nop 0
	v_mov_b32_e32 v4, v13
	v_mov_b32_e32 v7, v5
	v_pk_mul_f32 v[4:5], v[16:17], v[4:5] op_sel:[1,0] op_sel_hi:[0,0]
	v_pk_add_f32 v[2:3], v[2:3], v[6:7]
	v_pk_fma_f32 v[6:7], v[16:17], v[12:13], v[4:5] neg_lo:[0,0,1] neg_hi:[0,0,1]
	v_pk_fma_f32 v[4:5], v[16:17], v[12:13], v[4:5] op_sel_hi:[1,0,1]
	s_nop 0
	v_mov_b32_e32 v7, v5
	v_pk_add_f32 v[2:3], v[2:3], v[6:7]
	s_waitcnt vmcnt(0)
	v_pk_add_f32 v[2:3], v[96:97], v[2:3] neg_lo:[0,1] neg_hi:[0,1]
	scratch_store_dwordx2 off, v[2:3], off offset:80
	s_and_saveexec_b64 s[0:1], vcc
	s_cbranch_execz .LBB100_217
; %bb.216:
	scratch_load_dwordx2 v[2:3], off, off offset:72
	v_mov_b32_e32 v4, 0
	v_mov_b32_e32 v5, v4
	scratch_store_dwordx2 off, v[4:5], off offset:72
	s_waitcnt vmcnt(1)
	ds_write_b64 v1, v[2:3]
.LBB100_217:
	s_or_b64 exec, exec, s[0:1]
	s_waitcnt lgkmcnt(0)
	; wave barrier
	scratch_load_dwordx4 v[18:21], off, off offset:80
	scratch_load_dwordx4 v[30:33], off, off offset:96
	;; [unrolled: 1-line block ×13, first 2 shown]
	scratch_load_dwordx2 v[54:55], off, off offset:288
	scratch_load_dwordx2 v[80:81], off, off offset:72
	v_mov_b32_e32 v82, 0
	ds_read_b128 v[56:59], v82 offset:384
	ds_read_b128 v[60:63], v82 offset:400
	;; [unrolled: 1-line block ×10, first 2 shown]
	v_cmp_lt_u32_e32 vcc, 8, v0
	s_waitcnt vmcnt(14) lgkmcnt(9)
	v_mul_f32_e32 v83, v56, v19
	v_mul_f32_e32 v100, v58, v21
	s_waitcnt vmcnt(12) lgkmcnt(7)
	v_mul_f32_e32 v105, v64, v3
	v_mul_f32_e32 v3, v65, v3
	v_fmac_f32_e32 v83, v57, v18
	v_mul_f32_e32 v102, v60, v31
	v_fmac_f32_e32 v100, v59, v20
	v_fmac_f32_e32 v105, v65, v2
	v_fma_f32 v2, v64, v2, -v3
	v_add_f32_e32 v3, 0, v83
	v_mul_f32_e32 v104, v62, v33
	v_fmac_f32_e32 v102, v61, v30
	v_add_f32_e32 v3, v3, v100
	v_fmac_f32_e32 v104, v63, v32
	v_add_f32_e32 v3, v3, v102
	v_mul_f32_e32 v106, v66, v5
	v_add_f32_e32 v3, v3, v104
	s_waitcnt vmcnt(11) lgkmcnt(6)
	v_mul_f32_e32 v107, v68, v7
	v_fmac_f32_e32 v106, v67, v4
	v_add_f32_e32 v3, v3, v105
	v_mul_f32_e32 v108, v70, v9
	v_fmac_f32_e32 v107, v69, v6
	v_add_f32_e32 v3, v3, v106
	s_waitcnt vmcnt(10) lgkmcnt(5)
	v_mul_f32_e32 v109, v72, v15
	v_fmac_f32_e32 v108, v71, v8
	v_add_f32_e32 v3, v3, v107
	v_mul_f32_e32 v110, v74, v17
	v_fmac_f32_e32 v109, v73, v14
	;; [unrolled: 7-line block ×3, first 2 shown]
	v_add_f32_e32 v3, v3, v110
	s_waitcnt vmcnt(8) lgkmcnt(3)
	v_mul_f32_e32 v113, v84, v35
	v_mul_f32_e32 v19, v57, v19
	v_fmac_f32_e32 v112, v79, v24
	v_add_f32_e32 v3, v3, v111
	v_mul_f32_e32 v188, v86, v37
	v_mul_f32_e32 v21, v59, v21
	v_fmac_f32_e32 v113, v85, v34
	v_fma_f32 v18, v56, v18, -v19
	v_add_f32_e32 v3, v3, v112
	s_waitcnt vmcnt(7) lgkmcnt(2)
	v_mul_f32_e32 v189, v88, v39
	v_mul_f32_e32 v31, v61, v31
	v_fmac_f32_e32 v188, v87, v36
	v_fma_f32 v19, v58, v20, -v21
	v_add_f32_e32 v18, 0, v18
	v_add_f32_e32 v3, v3, v113
	v_mul_f32_e32 v190, v90, v41
	v_mul_f32_e32 v33, v63, v33
	v_fmac_f32_e32 v189, v89, v38
	v_fma_f32 v20, v60, v30, -v31
	v_add_f32_e32 v18, v18, v19
	v_add_f32_e32 v3, v3, v188
	s_waitcnt vmcnt(6) lgkmcnt(1)
	v_mul_f32_e32 v191, v92, v51
	v_fmac_f32_e32 v190, v91, v40
	v_fma_f32 v21, v62, v32, -v33
	v_add_f32_e32 v18, v18, v20
	v_add_f32_e32 v3, v3, v189
	v_mul_f32_e32 v5, v67, v5
	v_fmac_f32_e32 v191, v93, v50
	v_add_f32_e32 v18, v18, v21
	v_add_f32_e32 v3, v3, v190
	;; [unrolled: 1-line block ×4, first 2 shown]
	v_fma_f32 v3, v66, v4, -v5
	v_add_f32_e32 v2, v2, v3
	v_mul_f32_e32 v3, v69, v7
	v_fma_f32 v3, v68, v6, -v3
	v_add_f32_e32 v2, v2, v3
	v_mul_f32_e32 v3, v71, v9
	;; [unrolled: 3-line block ×12, first 2 shown]
	v_mul_f32_e32 v101, v94, v53
	v_fma_f32 v100, v94, v52, -v2
	s_waitcnt vmcnt(5) lgkmcnt(0)
	v_mul_f32_e32 v2, v97, v47
	v_mov_b32_e32 v22, v49
	v_mul_f32_e32 v103, v96, v47
	v_fmac_f32_e32 v101, v95, v52
	v_fma_f32 v102, v96, v46, -v2
	ds_read_b128 v[2:5], v82 offset:544
	ds_read_b128 v[6:9], v82 offset:560
	;; [unrolled: 1-line block ×3, first 2 shown]
	ds_read_b64 v[20:21], v82 offset:592
	v_pk_mul_f32 v[22:23], v[98:99], v[22:23] op_sel:[1,0] op_sel_hi:[0,0]
	v_fmac_f32_e32 v103, v97, v46
	v_pk_add_f32 v[18:19], v[18:19], v[100:101]
	v_pk_fma_f32 v[24:25], v[98:99], v[48:49], v[22:23] neg_lo:[0,0,1] neg_hi:[0,0,1]
	v_pk_fma_f32 v[22:23], v[98:99], v[48:49], v[22:23] op_sel_hi:[1,0,1]
	v_pk_add_f32 v[18:19], v[18:19], v[102:103]
	v_mov_b32_e32 v25, v23
	s_waitcnt vmcnt(4) lgkmcnt(3)
	v_pk_mul_f32 v[22:23], v[2:3], v[42:43] op_sel:[1,1] op_sel_hi:[0,1]
	v_pk_add_f32 v[18:19], v[18:19], v[24:25]
	v_pk_fma_f32 v[24:25], v[2:3], v[42:43], v[22:23] neg_lo:[0,0,1] neg_hi:[0,0,1]
	v_pk_fma_f32 v[2:3], v[2:3], v[42:43], v[22:23] op_sel_hi:[1,0,1]
	s_nop 0
	v_mov_b32_e32 v25, v3
	v_pk_add_f32 v[2:3], v[18:19], v[24:25]
	v_mov_b32_e32 v18, v45
	v_pk_mul_f32 v[18:19], v[4:5], v[18:19] op_sel:[1,0] op_sel_hi:[0,0]
	v_pk_fma_f32 v[22:23], v[4:5], v[44:45], v[18:19] neg_lo:[0,0,1] neg_hi:[0,0,1]
	v_pk_fma_f32 v[4:5], v[4:5], v[44:45], v[18:19] op_sel_hi:[1,0,1]
	s_nop 0
	v_mov_b32_e32 v23, v5
	s_waitcnt vmcnt(3) lgkmcnt(2)
	v_pk_mul_f32 v[4:5], v[6:7], v[26:27] op_sel:[1,1] op_sel_hi:[0,1]
	v_pk_fma_f32 v[18:19], v[6:7], v[26:27], v[4:5] neg_lo:[0,0,1] neg_hi:[0,0,1]
	v_pk_fma_f32 v[4:5], v[6:7], v[26:27], v[4:5] op_sel_hi:[1,0,1]
	v_pk_add_f32 v[2:3], v[2:3], v[22:23]
	v_mov_b32_e32 v4, v29
	v_mov_b32_e32 v19, v5
	v_pk_mul_f32 v[4:5], v[8:9], v[4:5] op_sel:[1,0] op_sel_hi:[0,0]
	v_pk_fma_f32 v[6:7], v[8:9], v[28:29], v[4:5] neg_lo:[0,0,1] neg_hi:[0,0,1]
	v_pk_fma_f32 v[4:5], v[8:9], v[28:29], v[4:5] op_sel_hi:[1,0,1]
	v_pk_add_f32 v[2:3], v[2:3], v[18:19]
	v_mov_b32_e32 v7, v5
	s_waitcnt vmcnt(2) lgkmcnt(1)
	v_pk_mul_f32 v[4:5], v[14:15], v[10:11] op_sel:[1,1] op_sel_hi:[0,1]
	v_pk_add_f32 v[2:3], v[2:3], v[6:7]
	v_pk_fma_f32 v[6:7], v[14:15], v[10:11], v[4:5] neg_lo:[0,0,1] neg_hi:[0,0,1]
	v_pk_fma_f32 v[4:5], v[14:15], v[10:11], v[4:5] op_sel_hi:[1,0,1]
	s_nop 0
	v_mov_b32_e32 v4, v13
	v_mov_b32_e32 v7, v5
	v_pk_mul_f32 v[4:5], v[16:17], v[4:5] op_sel:[1,0] op_sel_hi:[0,0]
	v_pk_add_f32 v[2:3], v[2:3], v[6:7]
	v_pk_fma_f32 v[6:7], v[16:17], v[12:13], v[4:5] neg_lo:[0,0,1] neg_hi:[0,0,1]
	v_pk_fma_f32 v[4:5], v[16:17], v[12:13], v[4:5] op_sel_hi:[1,0,1]
	s_nop 0
	v_mov_b32_e32 v7, v5
	s_waitcnt vmcnt(1) lgkmcnt(0)
	v_pk_mul_f32 v[4:5], v[20:21], v[54:55] op_sel:[1,1] op_sel_hi:[0,1]
	v_pk_add_f32 v[2:3], v[2:3], v[6:7]
	v_pk_fma_f32 v[6:7], v[20:21], v[54:55], v[4:5] neg_lo:[0,0,1] neg_hi:[0,0,1]
	v_pk_fma_f32 v[4:5], v[20:21], v[54:55], v[4:5] op_sel_hi:[1,0,1]
	s_nop 0
	v_mov_b32_e32 v7, v5
	v_pk_add_f32 v[2:3], v[2:3], v[6:7]
	s_waitcnt vmcnt(0)
	v_pk_add_f32 v[2:3], v[80:81], v[2:3] neg_lo:[0,1] neg_hi:[0,1]
	scratch_store_dwordx2 off, v[2:3], off offset:72
	s_and_saveexec_b64 s[0:1], vcc
	s_cbranch_execz .LBB100_219
; %bb.218:
	scratch_load_dwordx2 v[2:3], off, off offset:64
	v_mov_b32_e32 v83, v82
	scratch_store_dwordx2 off, v[82:83], off offset:64
	s_waitcnt vmcnt(1)
	ds_write_b64 v1, v[2:3]
.LBB100_219:
	s_or_b64 exec, exec, s[0:1]
	s_waitcnt lgkmcnt(0)
	; wave barrier
	scratch_load_dwordx4 v[10:13], off, off offset:72
	scratch_load_dwordx4 v[26:29], off, off offset:88
	;; [unrolled: 1-line block ×10, first 2 shown]
	ds_read2_b64 v[84:87], v82 offset0:47 offset1:48
	ds_read2_b64 v[88:91], v82 offset0:49 offset1:50
	;; [unrolled: 1-line block ×10, first 2 shown]
	scratch_load_dwordx4 v[54:57], off, off offset:232
	scratch_load_dwordx4 v[46:49], off, off offset:248
	;; [unrolled: 1-line block ×4, first 2 shown]
	scratch_load_dwordx2 v[100:101], off, off offset:64
	v_cmp_lt_u32_e32 vcc, 7, v0
	s_waitcnt vmcnt(14) lgkmcnt(9)
	v_mul_f32_e32 v83, v84, v11
	v_mul_f32_e32 v102, v86, v13
	s_waitcnt vmcnt(12) lgkmcnt(7)
	v_mul_f32_e32 v107, v92, v3
	v_mul_f32_e32 v3, v93, v3
	v_fmac_f32_e32 v83, v85, v10
	v_mul_f32_e32 v104, v88, v27
	v_fmac_f32_e32 v102, v87, v12
	v_fmac_f32_e32 v107, v93, v2
	v_fma_f32 v2, v92, v2, -v3
	v_add_f32_e32 v3, 0, v83
	v_mul_f32_e32 v106, v90, v29
	v_fmac_f32_e32 v104, v89, v26
	v_add_f32_e32 v3, v3, v102
	v_fmac_f32_e32 v106, v91, v28
	v_add_f32_e32 v3, v3, v104
	v_mul_f32_e32 v108, v94, v5
	v_add_f32_e32 v3, v3, v106
	s_waitcnt vmcnt(11) lgkmcnt(6)
	v_mul_f32_e32 v109, v96, v7
	v_fmac_f32_e32 v108, v95, v4
	v_add_f32_e32 v3, v3, v107
	v_mul_f32_e32 v110, v98, v9
	v_fmac_f32_e32 v109, v97, v6
	v_add_f32_e32 v3, v3, v108
	s_waitcnt vmcnt(10) lgkmcnt(5)
	v_mul_f32_e32 v111, v78, v15
	v_fmac_f32_e32 v110, v99, v8
	v_add_f32_e32 v3, v3, v109
	v_mul_f32_e32 v112, v80, v17
	v_fmac_f32_e32 v111, v79, v14
	v_add_f32_e32 v3, v3, v110
	s_waitcnt vmcnt(9) lgkmcnt(4)
	v_mul_f32_e32 v113, v74, v23
	v_fmac_f32_e32 v112, v81, v16
	v_add_f32_e32 v3, v3, v111
	v_mul_f32_e32 v188, v76, v25
	v_fmac_f32_e32 v113, v75, v22
	v_add_f32_e32 v3, v3, v112
	s_waitcnt vmcnt(8) lgkmcnt(3)
	v_mul_f32_e32 v189, v70, v31
	v_fmac_f32_e32 v188, v77, v24
	v_add_f32_e32 v3, v3, v113
	v_mul_f32_e32 v190, v72, v33
	v_fmac_f32_e32 v189, v71, v30
	v_add_f32_e32 v3, v3, v188
	s_waitcnt vmcnt(7) lgkmcnt(2)
	v_mul_f32_e32 v191, v66, v39
	v_mul_f32_e32 v11, v85, v11
	v_fmac_f32_e32 v190, v73, v32
	v_add_f32_e32 v3, v3, v189
	v_mul_f32_e32 v192, v68, v41
	v_mul_f32_e32 v13, v87, v13
	v_fmac_f32_e32 v191, v67, v38
	v_fma_f32 v10, v84, v10, -v11
	v_add_f32_e32 v3, v3, v190
	s_waitcnt vmcnt(6) lgkmcnt(1)
	v_mul_f32_e32 v193, v62, v43
	v_mul_f32_e32 v27, v89, v27
	v_fmac_f32_e32 v192, v69, v40
	v_fma_f32 v11, v86, v12, -v13
	v_add_f32_e32 v10, 0, v10
	v_add_f32_e32 v3, v3, v191
	v_mul_f32_e32 v194, v64, v45
	v_mul_f32_e32 v29, v91, v29
	v_fmac_f32_e32 v193, v63, v42
	v_fma_f32 v12, v88, v26, -v27
	v_add_f32_e32 v10, v10, v11
	v_add_f32_e32 v3, v3, v192
	v_fmac_f32_e32 v194, v65, v44
	v_fma_f32 v13, v90, v28, -v29
	v_add_f32_e32 v10, v10, v12
	v_add_f32_e32 v3, v3, v193
	;; [unrolled: 1-line block ×4, first 2 shown]
	v_mul_f32_e32 v3, v95, v5
	v_add_f32_e32 v2, v10, v2
	v_fma_f32 v3, v94, v4, -v3
	v_add_f32_e32 v2, v2, v3
	v_mul_f32_e32 v3, v97, v7
	v_fma_f32 v3, v96, v6, -v3
	v_add_f32_e32 v2, v2, v3
	v_mul_f32_e32 v3, v99, v9
	;; [unrolled: 3-line block ×12, first 2 shown]
	v_fma_f32 v3, v64, v44, -v3
	v_add_f32_e32 v26, v2, v3
	s_waitcnt vmcnt(5) lgkmcnt(0)
	v_mul_f32_e32 v2, v59, v51
	v_fma_f32 v102, v58, v50, -v2
	v_mul_f32_e32 v2, v61, v53
	v_fma_f32 v104, v60, v52, -v2
	ds_read2_b64 v[2:5], v82 offset0:67 offset1:68
	ds_read2_b64 v[6:9], v82 offset0:69 offset1:70
	;; [unrolled: 1-line block ×4, first 2 shown]
	v_mul_f32_e32 v103, v58, v51
	v_mul_f32_e32 v105, v60, v53
	v_fmac_f32_e32 v103, v59, v50
	s_waitcnt vmcnt(4) lgkmcnt(3)
	v_pk_mul_f32 v[24:25], v[2:3], v[54:55] op_sel:[1,1] op_sel_hi:[0,1]
	v_fmac_f32_e32 v105, v61, v52
	v_pk_add_f32 v[22:23], v[26:27], v[102:103]
	v_pk_fma_f32 v[26:27], v[2:3], v[54:55], v[24:25] neg_lo:[0,0,1] neg_hi:[0,0,1]
	v_pk_fma_f32 v[2:3], v[2:3], v[54:55], v[24:25] op_sel_hi:[1,0,1]
	v_pk_add_f32 v[22:23], v[22:23], v[104:105]
	v_mov_b32_e32 v27, v3
	v_pk_add_f32 v[2:3], v[22:23], v[26:27]
	v_mov_b32_e32 v22, v57
	v_pk_mul_f32 v[22:23], v[4:5], v[22:23] op_sel:[1,0] op_sel_hi:[0,0]
	v_pk_fma_f32 v[24:25], v[4:5], v[56:57], v[22:23] neg_lo:[0,0,1] neg_hi:[0,0,1]
	v_pk_fma_f32 v[4:5], v[4:5], v[56:57], v[22:23] op_sel_hi:[1,0,1]
	s_nop 0
	v_mov_b32_e32 v25, v5
	s_waitcnt vmcnt(3) lgkmcnt(2)
	v_pk_mul_f32 v[4:5], v[6:7], v[46:47] op_sel:[1,1] op_sel_hi:[0,1]
	v_pk_fma_f32 v[22:23], v[6:7], v[46:47], v[4:5] neg_lo:[0,0,1] neg_hi:[0,0,1]
	v_pk_fma_f32 v[4:5], v[6:7], v[46:47], v[4:5] op_sel_hi:[1,0,1]
	v_pk_add_f32 v[2:3], v[2:3], v[24:25]
	v_mov_b32_e32 v4, v49
	v_mov_b32_e32 v23, v5
	v_pk_mul_f32 v[4:5], v[8:9], v[4:5] op_sel:[1,0] op_sel_hi:[0,0]
	v_pk_fma_f32 v[6:7], v[8:9], v[48:49], v[4:5] neg_lo:[0,0,1] neg_hi:[0,0,1]
	v_pk_fma_f32 v[4:5], v[8:9], v[48:49], v[4:5] op_sel_hi:[1,0,1]
	v_pk_add_f32 v[2:3], v[2:3], v[22:23]
	v_mov_b32_e32 v7, v5
	s_waitcnt vmcnt(2) lgkmcnt(1)
	v_pk_mul_f32 v[4:5], v[10:11], v[34:35] op_sel:[1,1] op_sel_hi:[0,1]
	v_pk_add_f32 v[2:3], v[2:3], v[6:7]
	v_pk_fma_f32 v[6:7], v[10:11], v[34:35], v[4:5] neg_lo:[0,0,1] neg_hi:[0,0,1]
	v_pk_fma_f32 v[4:5], v[10:11], v[34:35], v[4:5] op_sel_hi:[1,0,1]
	s_nop 0
	v_mov_b32_e32 v4, v37
	v_mov_b32_e32 v7, v5
	v_pk_mul_f32 v[4:5], v[12:13], v[4:5] op_sel:[1,0] op_sel_hi:[0,0]
	v_pk_add_f32 v[2:3], v[2:3], v[6:7]
	v_pk_fma_f32 v[6:7], v[12:13], v[36:37], v[4:5] neg_lo:[0,0,1] neg_hi:[0,0,1]
	v_pk_fma_f32 v[4:5], v[12:13], v[36:37], v[4:5] op_sel_hi:[1,0,1]
	s_nop 0
	v_mov_b32_e32 v7, v5
	s_waitcnt vmcnt(1) lgkmcnt(0)
	v_pk_mul_f32 v[4:5], v[14:15], v[18:19] op_sel:[1,1] op_sel_hi:[0,1]
	v_pk_add_f32 v[2:3], v[2:3], v[6:7]
	v_pk_fma_f32 v[6:7], v[14:15], v[18:19], v[4:5] neg_lo:[0,0,1] neg_hi:[0,0,1]
	v_pk_fma_f32 v[4:5], v[14:15], v[18:19], v[4:5] op_sel_hi:[1,0,1]
	s_nop 0
	v_mov_b32_e32 v4, v21
	v_mov_b32_e32 v7, v5
	v_pk_mul_f32 v[4:5], v[16:17], v[4:5] op_sel:[1,0] op_sel_hi:[0,0]
	v_pk_add_f32 v[2:3], v[2:3], v[6:7]
	v_pk_fma_f32 v[6:7], v[16:17], v[20:21], v[4:5] neg_lo:[0,0,1] neg_hi:[0,0,1]
	v_pk_fma_f32 v[4:5], v[16:17], v[20:21], v[4:5] op_sel_hi:[1,0,1]
	s_nop 0
	v_mov_b32_e32 v7, v5
	v_pk_add_f32 v[2:3], v[2:3], v[6:7]
	s_waitcnt vmcnt(0)
	v_pk_add_f32 v[2:3], v[100:101], v[2:3] neg_lo:[0,1] neg_hi:[0,1]
	scratch_store_dwordx2 off, v[2:3], off offset:64
	s_and_saveexec_b64 s[0:1], vcc
	s_cbranch_execz .LBB100_221
; %bb.220:
	scratch_load_dwordx2 v[2:3], off, off offset:56
	v_mov_b32_e32 v4, 0
	v_mov_b32_e32 v5, v4
	scratch_store_dwordx2 off, v[4:5], off offset:56
	s_waitcnt vmcnt(1)
	ds_write_b64 v1, v[2:3]
.LBB100_221:
	s_or_b64 exec, exec, s[0:1]
	s_waitcnt lgkmcnt(0)
	; wave barrier
	scratch_load_dwordx4 v[26:29], off, off offset:64
	scratch_load_dwordx4 v[2:5], off, off offset:80
	;; [unrolled: 1-line block ×14, first 2 shown]
	scratch_load_dwordx2 v[58:59], off, off offset:288
	scratch_load_dwordx2 v[100:101], off, off offset:56
	v_mov_b32_e32 v102, 0
	ds_read_b128 v[60:63], v102 offset:368
	ds_read_b128 v[64:67], v102 offset:384
	;; [unrolled: 1-line block ×12, first 2 shown]
	v_cmp_lt_u32_e32 vcc, 6, v0
	s_waitcnt vmcnt(15) lgkmcnt(11)
	v_mul_f32_e32 v103, v60, v27
	v_mul_f32_e32 v112, v62, v29
	s_waitcnt vmcnt(14) lgkmcnt(10)
	v_mul_f32_e32 v188, v64, v3
	v_mul_f32_e32 v3, v65, v3
	v_fmac_f32_e32 v103, v61, v26
	v_fmac_f32_e32 v112, v63, v28
	;; [unrolled: 1-line block ×3, first 2 shown]
	v_fma_f32 v2, v64, v2, -v3
	v_add_f32_e32 v3, 0, v103
	v_mul_f32_e32 v190, v66, v5
	v_add_f32_e32 v3, v3, v112
	s_waitcnt vmcnt(13) lgkmcnt(9)
	v_mul_f32_e32 v191, v68, v7
	v_fmac_f32_e32 v190, v67, v4
	v_add_f32_e32 v3, v3, v188
	v_mul_f32_e32 v192, v70, v9
	v_fmac_f32_e32 v191, v69, v6
	v_add_f32_e32 v3, v3, v190
	s_waitcnt vmcnt(12) lgkmcnt(8)
	v_mul_f32_e32 v193, v72, v11
	v_fmac_f32_e32 v192, v71, v8
	v_add_f32_e32 v3, v3, v191
	v_mul_f32_e32 v194, v74, v13
	v_fmac_f32_e32 v193, v73, v10
	;; [unrolled: 7-line block ×6, first 2 shown]
	v_add_f32_e32 v3, v3, v200
	s_waitcnt vmcnt(7) lgkmcnt(3)
	v_mul_f32_e32 v203, v92, v43
	v_fmac_f32_e32 v202, v91, v40
	v_add_f32_e32 v3, v3, v201
	v_mul_f32_e32 v204, v94, v45
	v_mul_f32_e32 v27, v61, v27
	v_fmac_f32_e32 v203, v93, v42
	v_add_f32_e32 v3, v3, v202
	s_waitcnt vmcnt(6) lgkmcnt(2)
	v_mul_f32_e32 v205, v96, v51
	v_mul_f32_e32 v29, v63, v29
	v_fmac_f32_e32 v204, v95, v44
	v_fma_f32 v26, v60, v26, -v27
	v_add_f32_e32 v3, v3, v203
	v_fmac_f32_e32 v205, v97, v50
	v_fma_f32 v27, v62, v28, -v29
	v_add_f32_e32 v26, 0, v26
	v_add_f32_e32 v3, v3, v204
	;; [unrolled: 1-line block ×4, first 2 shown]
	v_mul_f32_e32 v3, v67, v5
	v_add_f32_e32 v2, v26, v2
	v_fma_f32 v3, v66, v4, -v3
	v_add_f32_e32 v2, v2, v3
	v_mul_f32_e32 v3, v69, v7
	v_fma_f32 v3, v68, v6, -v3
	v_add_f32_e32 v2, v2, v3
	v_mul_f32_e32 v3, v71, v9
	;; [unrolled: 3-line block ×15, first 2 shown]
	v_fma_f32 v3, v96, v50, -v3
	v_mul_f32_e32 v113, v98, v53
	v_add_f32_e32 v26, v2, v3
	v_mul_f32_e32 v2, v99, v53
	s_waitcnt vmcnt(5)
	v_mov_b32_e32 v14, v57
	s_waitcnt lgkmcnt(1)
	v_mul_f32_e32 v189, v104, v55
	v_fmac_f32_e32 v113, v99, v52
	v_fma_f32 v112, v98, v52, -v2
	v_mul_f32_e32 v2, v105, v55
	v_pk_mul_f32 v[14:15], v[106:107], v[14:15] op_sel:[1,0] op_sel_hi:[0,0]
	v_fmac_f32_e32 v189, v105, v54
	v_fma_f32 v188, v104, v54, -v2
	v_pk_add_f32 v[12:13], v[26:27], v[112:113]
	v_pk_fma_f32 v[16:17], v[106:107], v[56:57], v[14:15] neg_lo:[0,0,1] neg_hi:[0,0,1]
	v_pk_fma_f32 v[14:15], v[106:107], v[56:57], v[14:15] op_sel_hi:[1,0,1]
	v_pk_add_f32 v[12:13], v[12:13], v[188:189]
	v_mov_b32_e32 v17, v15
	s_waitcnt vmcnt(4) lgkmcnt(0)
	v_pk_mul_f32 v[14:15], v[108:109], v[46:47] op_sel:[1,1] op_sel_hi:[0,1]
	v_pk_add_f32 v[12:13], v[12:13], v[16:17]
	v_pk_fma_f32 v[16:17], v[108:109], v[46:47], v[14:15] neg_lo:[0,0,1] neg_hi:[0,0,1]
	v_pk_fma_f32 v[14:15], v[108:109], v[46:47], v[14:15] op_sel_hi:[1,0,1]
	ds_read_b128 v[2:5], v102 offset:560
	ds_read_b128 v[6:9], v102 offset:576
	ds_read_b64 v[10:11], v102 offset:592
	v_mov_b32_e32 v14, v49
	v_mov_b32_e32 v17, v15
	v_pk_mul_f32 v[14:15], v[110:111], v[14:15] op_sel:[1,0] op_sel_hi:[0,0]
	v_pk_add_f32 v[12:13], v[12:13], v[16:17]
	v_pk_fma_f32 v[16:17], v[110:111], v[48:49], v[14:15] neg_lo:[0,0,1] neg_hi:[0,0,1]
	v_pk_fma_f32 v[14:15], v[110:111], v[48:49], v[14:15] op_sel_hi:[1,0,1]
	s_nop 0
	v_mov_b32_e32 v17, v15
	s_waitcnt vmcnt(3) lgkmcnt(2)
	v_pk_mul_f32 v[14:15], v[2:3], v[34:35] op_sel:[1,1] op_sel_hi:[0,1]
	v_pk_add_f32 v[12:13], v[12:13], v[16:17]
	v_pk_fma_f32 v[16:17], v[2:3], v[34:35], v[14:15] neg_lo:[0,0,1] neg_hi:[0,0,1]
	v_pk_fma_f32 v[2:3], v[2:3], v[34:35], v[14:15] op_sel_hi:[1,0,1]
	s_nop 0
	v_mov_b32_e32 v17, v3
	v_pk_add_f32 v[2:3], v[12:13], v[16:17]
	v_mov_b32_e32 v12, v37
	v_pk_mul_f32 v[12:13], v[4:5], v[12:13] op_sel:[1,0] op_sel_hi:[0,0]
	v_pk_fma_f32 v[14:15], v[4:5], v[36:37], v[12:13] neg_lo:[0,0,1] neg_hi:[0,0,1]
	v_pk_fma_f32 v[4:5], v[4:5], v[36:37], v[12:13] op_sel_hi:[1,0,1]
	s_nop 0
	v_mov_b32_e32 v15, v5
	s_waitcnt vmcnt(2) lgkmcnt(1)
	v_pk_mul_f32 v[4:5], v[6:7], v[18:19] op_sel:[1,1] op_sel_hi:[0,1]
	v_pk_fma_f32 v[12:13], v[6:7], v[18:19], v[4:5] neg_lo:[0,0,1] neg_hi:[0,0,1]
	v_pk_fma_f32 v[4:5], v[6:7], v[18:19], v[4:5] op_sel_hi:[1,0,1]
	v_pk_add_f32 v[2:3], v[2:3], v[14:15]
	v_mov_b32_e32 v4, v21
	v_mov_b32_e32 v13, v5
	v_pk_mul_f32 v[4:5], v[8:9], v[4:5] op_sel:[1,0] op_sel_hi:[0,0]
	v_pk_fma_f32 v[6:7], v[8:9], v[20:21], v[4:5] neg_lo:[0,0,1] neg_hi:[0,0,1]
	v_pk_fma_f32 v[4:5], v[8:9], v[20:21], v[4:5] op_sel_hi:[1,0,1]
	v_pk_add_f32 v[2:3], v[2:3], v[12:13]
	v_mov_b32_e32 v7, v5
	s_waitcnt vmcnt(1) lgkmcnt(0)
	v_pk_mul_f32 v[4:5], v[10:11], v[58:59] op_sel:[1,1] op_sel_hi:[0,1]
	v_pk_add_f32 v[2:3], v[2:3], v[6:7]
	v_pk_fma_f32 v[6:7], v[10:11], v[58:59], v[4:5] neg_lo:[0,0,1] neg_hi:[0,0,1]
	v_pk_fma_f32 v[4:5], v[10:11], v[58:59], v[4:5] op_sel_hi:[1,0,1]
	s_nop 0
	v_mov_b32_e32 v7, v5
	v_pk_add_f32 v[2:3], v[2:3], v[6:7]
	s_waitcnt vmcnt(0)
	v_pk_add_f32 v[2:3], v[100:101], v[2:3] neg_lo:[0,1] neg_hi:[0,1]
	scratch_store_dwordx2 off, v[2:3], off offset:56
	s_and_saveexec_b64 s[0:1], vcc
	s_cbranch_execz .LBB100_223
; %bb.222:
	scratch_load_dwordx2 v[2:3], off, off offset:48
	v_mov_b32_e32 v103, v102
	scratch_store_dwordx2 off, v[102:103], off offset:48
	s_waitcnt vmcnt(1)
	ds_write_b64 v1, v[2:3]
.LBB100_223:
	s_or_b64 exec, exec, s[0:1]
	s_waitcnt lgkmcnt(0)
	; wave barrier
	scratch_load_dwordx4 v[18:21], off, off offset:56
	scratch_load_dwordx4 v[2:5], off, off offset:72
	;; [unrolled: 1-line block ×11, first 2 shown]
	ds_read2_b64 v[104:107], v102 offset0:45 offset1:46
	ds_read2_b64 v[98:101], v102 offset0:47 offset1:48
	;; [unrolled: 1-line block ×10, first 2 shown]
	scratch_load_dwordx4 v[58:61], off, off offset:232
	scratch_load_dwordx4 v[50:53], off, off offset:248
	;; [unrolled: 1-line block ×4, first 2 shown]
	ds_read2_b64 v[78:81], v102 offset0:65 offset1:66
	ds_read2_b64 v[108:111], v102 offset0:67 offset1:68
	scratch_load_dwordx2 v[112:113], off, off offset:48
	v_cmp_lt_u32_e32 vcc, 5, v0
	s_waitcnt vmcnt(15) lgkmcnt(11)
	v_mul_f32_e32 v103, v104, v19
	v_mul_f32_e32 v188, v106, v21
	s_waitcnt vmcnt(14) lgkmcnt(10)
	v_mul_f32_e32 v190, v98, v3
	v_mul_f32_e32 v3, v99, v3
	v_fmac_f32_e32 v103, v105, v18
	v_fmac_f32_e32 v188, v107, v20
	;; [unrolled: 1-line block ×3, first 2 shown]
	v_fma_f32 v2, v98, v2, -v3
	v_add_f32_e32 v3, 0, v103
	v_mul_f32_e32 v192, v100, v5
	v_add_f32_e32 v3, v3, v188
	s_waitcnt vmcnt(13) lgkmcnt(9)
	v_mul_f32_e32 v193, v94, v7
	v_fmac_f32_e32 v192, v101, v4
	v_add_f32_e32 v3, v3, v190
	v_mul_f32_e32 v194, v96, v9
	v_fmac_f32_e32 v193, v95, v6
	v_add_f32_e32 v3, v3, v192
	s_waitcnt vmcnt(12) lgkmcnt(8)
	v_mul_f32_e32 v195, v90, v11
	v_fmac_f32_e32 v194, v97, v8
	v_add_f32_e32 v3, v3, v193
	v_mul_f32_e32 v196, v92, v13
	v_fmac_f32_e32 v195, v91, v10
	;; [unrolled: 7-line block ×7, first 2 shown]
	v_add_f32_e32 v3, v3, v204
	s_waitcnt vmcnt(6) lgkmcnt(2)
	v_mul_f32_e32 v207, v62, v47
	v_mul_f32_e32 v19, v105, v19
	v_fmac_f32_e32 v206, v69, v44
	v_add_f32_e32 v3, v3, v205
	v_mul_f32_e32 v208, v64, v49
	v_mul_f32_e32 v21, v107, v21
	v_fmac_f32_e32 v207, v63, v46
	v_fma_f32 v18, v104, v18, -v19
	v_add_f32_e32 v3, v3, v206
	v_fmac_f32_e32 v208, v65, v48
	v_fma_f32 v19, v106, v20, -v21
	v_add_f32_e32 v18, 0, v18
	v_add_f32_e32 v3, v3, v207
	v_add_f32_e32 v18, v18, v19
	v_add_f32_e32 v19, v3, v208
	v_mul_f32_e32 v3, v101, v5
	v_add_f32_e32 v2, v18, v2
	v_fma_f32 v3, v100, v4, -v3
	v_add_f32_e32 v2, v2, v3
	v_mul_f32_e32 v3, v95, v7
	v_fma_f32 v3, v94, v6, -v3
	v_add_f32_e32 v2, v2, v3
	v_mul_f32_e32 v3, v97, v9
	v_fma_f32 v3, v96, v8, -v3
	v_add_f32_e32 v2, v2, v3
	v_mul_f32_e32 v3, v91, v11
	v_fma_f32 v3, v90, v10, -v3
	v_add_f32_e32 v2, v2, v3
	v_mul_f32_e32 v3, v93, v13
	v_fma_f32 v3, v92, v12, -v3
	v_add_f32_e32 v2, v2, v3
	v_mul_f32_e32 v3, v87, v15
	v_fma_f32 v3, v86, v14, -v3
	v_add_f32_e32 v2, v2, v3
	v_mul_f32_e32 v3, v89, v17
	v_fma_f32 v3, v88, v16, -v3
	v_add_f32_e32 v2, v2, v3
	v_mul_f32_e32 v3, v83, v23
	v_fma_f32 v3, v82, v22, -v3
	v_add_f32_e32 v2, v2, v3
	v_mul_f32_e32 v3, v85, v25
	v_fma_f32 v3, v84, v24, -v3
	v_add_f32_e32 v2, v2, v3
	v_mul_f32_e32 v3, v75, v31
	v_fma_f32 v3, v74, v30, -v3
	v_add_f32_e32 v2, v2, v3
	v_mul_f32_e32 v3, v77, v33
	v_fma_f32 v3, v76, v32, -v3
	v_add_f32_e32 v2, v2, v3
	v_mul_f32_e32 v3, v71, v35
	v_fma_f32 v3, v70, v34, -v3
	v_add_f32_e32 v2, v2, v3
	v_mul_f32_e32 v3, v73, v37
	v_fma_f32 v3, v72, v36, -v3
	v_add_f32_e32 v2, v2, v3
	v_mul_f32_e32 v3, v67, v43
	v_fma_f32 v3, v66, v42, -v3
	v_add_f32_e32 v2, v2, v3
	v_mul_f32_e32 v3, v69, v45
	v_fma_f32 v3, v68, v44, -v3
	v_add_f32_e32 v2, v2, v3
	v_mul_f32_e32 v3, v63, v47
	v_fma_f32 v3, v62, v46, -v3
	v_add_f32_e32 v2, v2, v3
	v_mul_f32_e32 v3, v65, v49
	v_fma_f32 v3, v64, v48, -v3
	s_waitcnt vmcnt(5) lgkmcnt(1)
	v_mul_f32_e32 v189, v78, v55
	v_add_f32_e32 v18, v2, v3
	v_mul_f32_e32 v2, v79, v55
	v_fmac_f32_e32 v189, v79, v54
	v_fma_f32 v188, v78, v54, -v2
	s_waitcnt vmcnt(4) lgkmcnt(0)
	v_pk_mul_f32 v[16:17], v[108:109], v[58:59] op_sel:[1,1] op_sel_hi:[0,1]
	v_mul_f32_e32 v191, v80, v57
	v_mul_f32_e32 v2, v81, v57
	v_pk_add_f32 v[14:15], v[18:19], v[188:189]
	v_pk_fma_f32 v[18:19], v[108:109], v[58:59], v[16:17] neg_lo:[0,0,1] neg_hi:[0,0,1]
	v_pk_fma_f32 v[16:17], v[108:109], v[58:59], v[16:17] op_sel_hi:[1,0,1]
	v_fmac_f32_e32 v191, v81, v56
	v_fma_f32 v190, v80, v56, -v2
	ds_read2_b64 v[2:5], v102 offset0:69 offset1:70
	ds_read2_b64 v[6:9], v102 offset0:71 offset1:72
	;; [unrolled: 1-line block ×3, first 2 shown]
	v_mov_b32_e32 v16, v61
	v_pk_add_f32 v[14:15], v[14:15], v[190:191]
	v_mov_b32_e32 v19, v17
	v_pk_mul_f32 v[16:17], v[110:111], v[16:17] op_sel:[1,0] op_sel_hi:[0,0]
	v_pk_add_f32 v[14:15], v[14:15], v[18:19]
	v_pk_fma_f32 v[18:19], v[110:111], v[60:61], v[16:17] neg_lo:[0,0,1] neg_hi:[0,0,1]
	v_pk_fma_f32 v[16:17], v[110:111], v[60:61], v[16:17] op_sel_hi:[1,0,1]
	s_nop 0
	v_mov_b32_e32 v19, v17
	s_waitcnt vmcnt(3) lgkmcnt(2)
	v_pk_mul_f32 v[16:17], v[2:3], v[50:51] op_sel:[1,1] op_sel_hi:[0,1]
	v_pk_add_f32 v[14:15], v[14:15], v[18:19]
	v_pk_fma_f32 v[18:19], v[2:3], v[50:51], v[16:17] neg_lo:[0,0,1] neg_hi:[0,0,1]
	v_pk_fma_f32 v[2:3], v[2:3], v[50:51], v[16:17] op_sel_hi:[1,0,1]
	s_nop 0
	v_mov_b32_e32 v19, v3
	v_pk_add_f32 v[2:3], v[14:15], v[18:19]
	v_mov_b32_e32 v14, v53
	v_pk_mul_f32 v[14:15], v[4:5], v[14:15] op_sel:[1,0] op_sel_hi:[0,0]
	v_pk_fma_f32 v[16:17], v[4:5], v[52:53], v[14:15] neg_lo:[0,0,1] neg_hi:[0,0,1]
	v_pk_fma_f32 v[4:5], v[4:5], v[52:53], v[14:15] op_sel_hi:[1,0,1]
	s_nop 0
	v_mov_b32_e32 v17, v5
	s_waitcnt vmcnt(2) lgkmcnt(1)
	v_pk_mul_f32 v[4:5], v[6:7], v[38:39] op_sel:[1,1] op_sel_hi:[0,1]
	v_pk_fma_f32 v[14:15], v[6:7], v[38:39], v[4:5] neg_lo:[0,0,1] neg_hi:[0,0,1]
	v_pk_fma_f32 v[4:5], v[6:7], v[38:39], v[4:5] op_sel_hi:[1,0,1]
	v_pk_add_f32 v[2:3], v[2:3], v[16:17]
	v_mov_b32_e32 v4, v41
	v_mov_b32_e32 v15, v5
	v_pk_mul_f32 v[4:5], v[8:9], v[4:5] op_sel:[1,0] op_sel_hi:[0,0]
	v_pk_fma_f32 v[6:7], v[8:9], v[40:41], v[4:5] neg_lo:[0,0,1] neg_hi:[0,0,1]
	v_pk_fma_f32 v[4:5], v[8:9], v[40:41], v[4:5] op_sel_hi:[1,0,1]
	v_pk_add_f32 v[2:3], v[2:3], v[14:15]
	v_mov_b32_e32 v7, v5
	s_waitcnt vmcnt(1) lgkmcnt(0)
	v_pk_mul_f32 v[4:5], v[10:11], v[26:27] op_sel:[1,1] op_sel_hi:[0,1]
	v_pk_add_f32 v[2:3], v[2:3], v[6:7]
	v_pk_fma_f32 v[6:7], v[10:11], v[26:27], v[4:5] neg_lo:[0,0,1] neg_hi:[0,0,1]
	v_pk_fma_f32 v[4:5], v[10:11], v[26:27], v[4:5] op_sel_hi:[1,0,1]
	s_nop 0
	v_mov_b32_e32 v4, v29
	v_mov_b32_e32 v7, v5
	v_pk_mul_f32 v[4:5], v[12:13], v[4:5] op_sel:[1,0] op_sel_hi:[0,0]
	v_pk_add_f32 v[2:3], v[2:3], v[6:7]
	v_pk_fma_f32 v[6:7], v[12:13], v[28:29], v[4:5] neg_lo:[0,0,1] neg_hi:[0,0,1]
	v_pk_fma_f32 v[4:5], v[12:13], v[28:29], v[4:5] op_sel_hi:[1,0,1]
	s_nop 0
	v_mov_b32_e32 v7, v5
	v_pk_add_f32 v[2:3], v[2:3], v[6:7]
	s_waitcnt vmcnt(0)
	v_pk_add_f32 v[2:3], v[112:113], v[2:3] neg_lo:[0,1] neg_hi:[0,1]
	scratch_store_dwordx2 off, v[2:3], off offset:48
	s_and_saveexec_b64 s[0:1], vcc
	s_cbranch_execz .LBB100_225
; %bb.224:
	scratch_load_dwordx2 v[2:3], off, off offset:40
	v_mov_b32_e32 v4, 0
	v_mov_b32_e32 v5, v4
	scratch_store_dwordx2 off, v[4:5], off offset:40
	s_waitcnt vmcnt(1)
	ds_write_b64 v1, v[2:3]
.LBB100_225:
	s_or_b64 exec, exec, s[0:1]
	s_waitcnt lgkmcnt(0)
	; wave barrier
	scratch_load_dwordx4 v[2:5], off, off offset:48
	scratch_load_dwordx4 v[6:9], off, off offset:64
	;; [unrolled: 1-line block ×15, first 2 shown]
	scratch_load_dwordx2 v[62:63], off, off offset:288
	scratch_load_dwordx2 v[112:113], off, off offset:40
	v_mov_b32_e32 v188, 0
	ds_read_b128 v[64:67], v188 offset:352
	ds_read_b128 v[68:71], v188 offset:368
	;; [unrolled: 1-line block ×12, first 2 shown]
	v_cmp_lt_u32_e32 vcc, 4, v0
	s_waitcnt vmcnt(16) lgkmcnt(11)
	v_mul_f32_e32 v189, v64, v3
	v_mul_f32_e32 v190, v66, v5
	;; [unrolled: 1-line block ×3, first 2 shown]
	v_fmac_f32_e32 v189, v65, v2
	s_waitcnt vmcnt(15) lgkmcnt(10)
	v_mul_f32_e32 v192, v68, v7
	v_fmac_f32_e32 v190, v67, v4
	v_fma_f32 v2, v64, v2, -v3
	v_add_f32_e32 v3, 0, v189
	v_mul_f32_e32 v194, v70, v9
	v_fmac_f32_e32 v192, v69, v6
	v_add_f32_e32 v3, v3, v190
	s_waitcnt vmcnt(14) lgkmcnt(9)
	v_mul_f32_e32 v195, v72, v11
	v_fmac_f32_e32 v194, v71, v8
	v_add_f32_e32 v3, v3, v192
	v_mul_f32_e32 v196, v74, v13
	v_fmac_f32_e32 v195, v73, v10
	v_add_f32_e32 v3, v3, v194
	s_waitcnt vmcnt(13) lgkmcnt(8)
	v_mul_f32_e32 v197, v76, v15
	v_fmac_f32_e32 v196, v75, v12
	;; [unrolled: 7-line block ×9, first 2 shown]
	v_add_f32_e32 v3, v3, v209
	v_mul_f32_e32 v5, v67, v5
	v_fmac_f32_e32 v211, v105, v58
	v_add_f32_e32 v3, v3, v210
	v_add_f32_e32 v2, 0, v2
	;; [unrolled: 1-line block ×3, first 2 shown]
	v_fma_f32 v3, v66, v4, -v5
	v_add_f32_e32 v2, v2, v3
	v_mul_f32_e32 v3, v69, v7
	v_fma_f32 v3, v68, v6, -v3
	v_add_f32_e32 v2, v2, v3
	v_mul_f32_e32 v3, v71, v9
	;; [unrolled: 3-line block ×20, first 2 shown]
	v_mul_f32_e32 v191, v106, v61
	v_fma_f32 v190, v106, v60, -v2
	s_waitcnt vmcnt(5) lgkmcnt(0)
	v_mul_f32_e32 v2, v109, v55
	v_mov_b32_e32 v18, v57
	v_mul_f32_e32 v193, v108, v55
	v_fmac_f32_e32 v191, v107, v60
	v_fma_f32 v192, v108, v54, -v2
	ds_read_b128 v[2:5], v188 offset:544
	ds_read_b128 v[6:9], v188 offset:560
	;; [unrolled: 1-line block ×3, first 2 shown]
	ds_read_b64 v[14:15], v188 offset:592
	v_pk_mul_f32 v[18:19], v[110:111], v[18:19] op_sel:[1,0] op_sel_hi:[0,0]
	v_fmac_f32_e32 v193, v109, v54
	v_pk_add_f32 v[16:17], v[64:65], v[190:191]
	v_pk_fma_f32 v[20:21], v[110:111], v[56:57], v[18:19] neg_lo:[0,0,1] neg_hi:[0,0,1]
	v_pk_fma_f32 v[18:19], v[110:111], v[56:57], v[18:19] op_sel_hi:[1,0,1]
	v_pk_add_f32 v[16:17], v[16:17], v[192:193]
	v_mov_b32_e32 v21, v19
	s_waitcnt vmcnt(4) lgkmcnt(3)
	v_pk_mul_f32 v[18:19], v[2:3], v[50:51] op_sel:[1,1] op_sel_hi:[0,1]
	v_pk_add_f32 v[16:17], v[16:17], v[20:21]
	v_pk_fma_f32 v[20:21], v[2:3], v[50:51], v[18:19] neg_lo:[0,0,1] neg_hi:[0,0,1]
	v_pk_fma_f32 v[2:3], v[2:3], v[50:51], v[18:19] op_sel_hi:[1,0,1]
	s_nop 0
	v_mov_b32_e32 v21, v3
	v_pk_add_f32 v[2:3], v[16:17], v[20:21]
	v_mov_b32_e32 v16, v53
	v_pk_mul_f32 v[16:17], v[4:5], v[16:17] op_sel:[1,0] op_sel_hi:[0,0]
	v_pk_fma_f32 v[18:19], v[4:5], v[52:53], v[16:17] neg_lo:[0,0,1] neg_hi:[0,0,1]
	v_pk_fma_f32 v[4:5], v[4:5], v[52:53], v[16:17] op_sel_hi:[1,0,1]
	s_nop 0
	v_mov_b32_e32 v19, v5
	s_waitcnt vmcnt(3) lgkmcnt(2)
	v_pk_mul_f32 v[4:5], v[6:7], v[38:39] op_sel:[1,1] op_sel_hi:[0,1]
	v_pk_fma_f32 v[16:17], v[6:7], v[38:39], v[4:5] neg_lo:[0,0,1] neg_hi:[0,0,1]
	v_pk_fma_f32 v[4:5], v[6:7], v[38:39], v[4:5] op_sel_hi:[1,0,1]
	v_pk_add_f32 v[2:3], v[2:3], v[18:19]
	v_mov_b32_e32 v4, v41
	v_mov_b32_e32 v17, v5
	v_pk_mul_f32 v[4:5], v[8:9], v[4:5] op_sel:[1,0] op_sel_hi:[0,0]
	v_pk_fma_f32 v[6:7], v[8:9], v[40:41], v[4:5] neg_lo:[0,0,1] neg_hi:[0,0,1]
	v_pk_fma_f32 v[4:5], v[8:9], v[40:41], v[4:5] op_sel_hi:[1,0,1]
	v_pk_add_f32 v[2:3], v[2:3], v[16:17]
	v_mov_b32_e32 v7, v5
	s_waitcnt vmcnt(2) lgkmcnt(1)
	v_pk_mul_f32 v[4:5], v[10:11], v[26:27] op_sel:[1,1] op_sel_hi:[0,1]
	v_pk_add_f32 v[2:3], v[2:3], v[6:7]
	v_pk_fma_f32 v[6:7], v[10:11], v[26:27], v[4:5] neg_lo:[0,0,1] neg_hi:[0,0,1]
	v_pk_fma_f32 v[4:5], v[10:11], v[26:27], v[4:5] op_sel_hi:[1,0,1]
	s_nop 0
	v_mov_b32_e32 v4, v29
	v_mov_b32_e32 v7, v5
	v_pk_mul_f32 v[4:5], v[12:13], v[4:5] op_sel:[1,0] op_sel_hi:[0,0]
	v_pk_add_f32 v[2:3], v[2:3], v[6:7]
	v_pk_fma_f32 v[6:7], v[12:13], v[28:29], v[4:5] neg_lo:[0,0,1] neg_hi:[0,0,1]
	v_pk_fma_f32 v[4:5], v[12:13], v[28:29], v[4:5] op_sel_hi:[1,0,1]
	s_nop 0
	v_mov_b32_e32 v7, v5
	s_waitcnt vmcnt(1) lgkmcnt(0)
	v_pk_mul_f32 v[4:5], v[14:15], v[62:63] op_sel:[1,1] op_sel_hi:[0,1]
	v_pk_add_f32 v[2:3], v[2:3], v[6:7]
	v_pk_fma_f32 v[6:7], v[14:15], v[62:63], v[4:5] neg_lo:[0,0,1] neg_hi:[0,0,1]
	v_pk_fma_f32 v[4:5], v[14:15], v[62:63], v[4:5] op_sel_hi:[1,0,1]
	s_nop 0
	v_mov_b32_e32 v7, v5
	v_pk_add_f32 v[2:3], v[2:3], v[6:7]
	s_waitcnt vmcnt(0)
	v_pk_add_f32 v[2:3], v[112:113], v[2:3] neg_lo:[0,1] neg_hi:[0,1]
	scratch_store_dwordx2 off, v[2:3], off offset:40
	s_and_saveexec_b64 s[0:1], vcc
	s_cbranch_execz .LBB100_227
; %bb.226:
	scratch_load_dwordx2 v[2:3], off, off offset:32
	v_mov_b32_e32 v189, v188
	scratch_store_dwordx2 off, v[188:189], off offset:32
	s_waitcnt vmcnt(1)
	ds_write_b64 v1, v[2:3]
.LBB100_227:
	s_or_b64 exec, exec, s[0:1]
	s_waitcnt lgkmcnt(0)
	; wave barrier
	scratch_load_dwordx4 v[2:5], off, off offset:40
	scratch_load_dwordx4 v[6:9], off, off offset:56
	;; [unrolled: 1-line block ×12, first 2 shown]
	ds_read2_b64 v[110:113], v188 offset0:43 offset1:44
	ds_read2_b64 v[106:109], v188 offset0:45 offset1:46
	;; [unrolled: 1-line block ×12, first 2 shown]
	scratch_load_dwordx4 v[62:65], off, off offset:232
	scratch_load_dwordx4 v[54:57], off, off offset:248
	;; [unrolled: 1-line block ×4, first 2 shown]
	scratch_load_dwordx2 v[190:191], off, off offset:32
	v_cmp_lt_u32_e32 vcc, 3, v0
	s_waitcnt vmcnt(16) lgkmcnt(11)
	v_mul_f32_e32 v189, v110, v3
	v_mul_f32_e32 v192, v112, v5
	;; [unrolled: 1-line block ×3, first 2 shown]
	v_fmac_f32_e32 v189, v111, v2
	s_waitcnt vmcnt(15) lgkmcnt(10)
	v_mul_f32_e32 v194, v106, v7
	v_fmac_f32_e32 v192, v113, v4
	v_fma_f32 v2, v110, v2, -v3
	v_add_f32_e32 v3, 0, v189
	v_mul_f32_e32 v196, v108, v9
	v_fmac_f32_e32 v194, v107, v6
	v_add_f32_e32 v3, v3, v192
	s_waitcnt vmcnt(14) lgkmcnt(9)
	v_mul_f32_e32 v197, v102, v11
	v_fmac_f32_e32 v196, v109, v8
	v_add_f32_e32 v3, v3, v194
	v_mul_f32_e32 v198, v104, v13
	v_fmac_f32_e32 v197, v103, v10
	v_add_f32_e32 v3, v3, v196
	s_waitcnt vmcnt(13) lgkmcnt(8)
	v_mul_f32_e32 v199, v98, v15
	v_fmac_f32_e32 v198, v105, v12
	;; [unrolled: 7-line block ×9, first 2 shown]
	v_add_f32_e32 v3, v3, v211
	v_mul_f32_e32 v214, v72, v53
	v_fmac_f32_e32 v213, v71, v50
	v_add_f32_e32 v3, v3, v212
	v_fmac_f32_e32 v214, v73, v52
	v_add_f32_e32 v3, v3, v213
	v_add_f32_e32 v111, v3, v214
	v_mul_f32_e32 v3, v113, v5
	v_add_f32_e32 v2, 0, v2
	v_fma_f32 v3, v112, v4, -v3
	v_add_f32_e32 v2, v2, v3
	v_mul_f32_e32 v3, v107, v7
	v_fma_f32 v3, v106, v6, -v3
	v_add_f32_e32 v2, v2, v3
	v_mul_f32_e32 v3, v109, v9
	;; [unrolled: 3-line block ×20, first 2 shown]
	v_fma_f32 v3, v72, v52, -v3
	v_add_f32_e32 v110, v2, v3
	s_waitcnt vmcnt(5) lgkmcnt(0)
	v_mul_f32_e32 v2, v67, v59
	v_fma_f32 v192, v66, v58, -v2
	v_mul_f32_e32 v2, v69, v61
	v_fma_f32 v194, v68, v60, -v2
	ds_read2_b64 v[2:5], v188 offset0:67 offset1:68
	ds_read2_b64 v[6:9], v188 offset0:69 offset1:70
	;; [unrolled: 1-line block ×4, first 2 shown]
	v_mul_f32_e32 v193, v66, v59
	v_mul_f32_e32 v195, v68, v61
	v_fmac_f32_e32 v193, v67, v58
	s_waitcnt vmcnt(4) lgkmcnt(3)
	v_pk_mul_f32 v[20:21], v[2:3], v[62:63] op_sel:[1,1] op_sel_hi:[0,1]
	v_fmac_f32_e32 v195, v69, v60
	v_pk_add_f32 v[18:19], v[110:111], v[192:193]
	v_pk_fma_f32 v[22:23], v[2:3], v[62:63], v[20:21] neg_lo:[0,0,1] neg_hi:[0,0,1]
	v_pk_fma_f32 v[2:3], v[2:3], v[62:63], v[20:21] op_sel_hi:[1,0,1]
	v_pk_add_f32 v[18:19], v[18:19], v[194:195]
	v_mov_b32_e32 v23, v3
	v_pk_add_f32 v[2:3], v[18:19], v[22:23]
	v_mov_b32_e32 v18, v65
	v_pk_mul_f32 v[18:19], v[4:5], v[18:19] op_sel:[1,0] op_sel_hi:[0,0]
	v_pk_fma_f32 v[20:21], v[4:5], v[64:65], v[18:19] neg_lo:[0,0,1] neg_hi:[0,0,1]
	v_pk_fma_f32 v[4:5], v[4:5], v[64:65], v[18:19] op_sel_hi:[1,0,1]
	s_nop 0
	v_mov_b32_e32 v21, v5
	s_waitcnt vmcnt(3) lgkmcnt(2)
	v_pk_mul_f32 v[4:5], v[6:7], v[54:55] op_sel:[1,1] op_sel_hi:[0,1]
	v_pk_fma_f32 v[18:19], v[6:7], v[54:55], v[4:5] neg_lo:[0,0,1] neg_hi:[0,0,1]
	v_pk_fma_f32 v[4:5], v[6:7], v[54:55], v[4:5] op_sel_hi:[1,0,1]
	v_pk_add_f32 v[2:3], v[2:3], v[20:21]
	v_mov_b32_e32 v4, v57
	v_mov_b32_e32 v19, v5
	v_pk_mul_f32 v[4:5], v[8:9], v[4:5] op_sel:[1,0] op_sel_hi:[0,0]
	v_pk_fma_f32 v[6:7], v[8:9], v[56:57], v[4:5] neg_lo:[0,0,1] neg_hi:[0,0,1]
	v_pk_fma_f32 v[4:5], v[8:9], v[56:57], v[4:5] op_sel_hi:[1,0,1]
	v_pk_add_f32 v[2:3], v[2:3], v[18:19]
	v_mov_b32_e32 v7, v5
	s_waitcnt vmcnt(2) lgkmcnt(1)
	v_pk_mul_f32 v[4:5], v[10:11], v[42:43] op_sel:[1,1] op_sel_hi:[0,1]
	v_pk_add_f32 v[2:3], v[2:3], v[6:7]
	v_pk_fma_f32 v[6:7], v[10:11], v[42:43], v[4:5] neg_lo:[0,0,1] neg_hi:[0,0,1]
	v_pk_fma_f32 v[4:5], v[10:11], v[42:43], v[4:5] op_sel_hi:[1,0,1]
	s_nop 0
	v_mov_b32_e32 v4, v45
	v_mov_b32_e32 v7, v5
	v_pk_mul_f32 v[4:5], v[12:13], v[4:5] op_sel:[1,0] op_sel_hi:[0,0]
	v_pk_add_f32 v[2:3], v[2:3], v[6:7]
	v_pk_fma_f32 v[6:7], v[12:13], v[44:45], v[4:5] neg_lo:[0,0,1] neg_hi:[0,0,1]
	v_pk_fma_f32 v[4:5], v[12:13], v[44:45], v[4:5] op_sel_hi:[1,0,1]
	s_nop 0
	v_mov_b32_e32 v7, v5
	s_waitcnt vmcnt(1) lgkmcnt(0)
	v_pk_mul_f32 v[4:5], v[14:15], v[34:35] op_sel:[1,1] op_sel_hi:[0,1]
	v_pk_add_f32 v[2:3], v[2:3], v[6:7]
	v_pk_fma_f32 v[6:7], v[14:15], v[34:35], v[4:5] neg_lo:[0,0,1] neg_hi:[0,0,1]
	v_pk_fma_f32 v[4:5], v[14:15], v[34:35], v[4:5] op_sel_hi:[1,0,1]
	s_nop 0
	v_mov_b32_e32 v4, v37
	v_mov_b32_e32 v7, v5
	v_pk_mul_f32 v[4:5], v[16:17], v[4:5] op_sel:[1,0] op_sel_hi:[0,0]
	v_pk_add_f32 v[2:3], v[2:3], v[6:7]
	v_pk_fma_f32 v[6:7], v[16:17], v[36:37], v[4:5] neg_lo:[0,0,1] neg_hi:[0,0,1]
	v_pk_fma_f32 v[4:5], v[16:17], v[36:37], v[4:5] op_sel_hi:[1,0,1]
	s_nop 0
	v_mov_b32_e32 v7, v5
	v_pk_add_f32 v[2:3], v[2:3], v[6:7]
	s_waitcnt vmcnt(0)
	v_pk_add_f32 v[2:3], v[190:191], v[2:3] neg_lo:[0,1] neg_hi:[0,1]
	scratch_store_dwordx2 off, v[2:3], off offset:32
	s_and_saveexec_b64 s[0:1], vcc
	s_cbranch_execz .LBB100_229
; %bb.228:
	scratch_load_dwordx2 v[2:3], off, off offset:24
	v_mov_b32_e32 v4, 0
	v_mov_b32_e32 v5, v4
	scratch_store_dwordx2 off, v[4:5], off offset:24
	s_waitcnt vmcnt(1)
	ds_write_b64 v1, v[2:3]
.LBB100_229:
	s_or_b64 exec, exec, s[0:1]
	s_waitcnt lgkmcnt(0)
	; wave barrier
	scratch_load_dwordx4 v[2:5], off, off offset:32
	scratch_load_dwordx4 v[6:9], off, off offset:48
	;; [unrolled: 1-line block ×13, first 2 shown]
	v_mov_b32_e32 v106, 0
	scratch_load_dwordx2 v[112:113], off, off offset:24
	ds_read_b128 v[54:57], v106 offset:336
	ds_read_b128 v[58:61], v106 offset:352
	;; [unrolled: 1-line block ×14, first 2 shown]
	v_cmp_lt_u32_e32 vcc, 2, v0
	s_waitcnt vmcnt(13) lgkmcnt(13)
	v_mul_f32_e32 v107, v54, v3
	v_mul_f32_e32 v188, v56, v5
	v_fmac_f32_e32 v107, v55, v2
	s_waitcnt vmcnt(12) lgkmcnt(12)
	v_mul_f32_e32 v189, v58, v7
	v_fmac_f32_e32 v188, v57, v4
	v_add_f32_e32 v107, 0, v107
	v_mul_f32_e32 v190, v60, v9
	v_fmac_f32_e32 v189, v59, v6
	v_add_f32_e32 v107, v107, v188
	s_waitcnt vmcnt(11) lgkmcnt(11)
	v_mul_f32_e32 v191, v62, v11
	v_fmac_f32_e32 v190, v61, v8
	v_add_f32_e32 v107, v107, v189
	v_mul_f32_e32 v192, v64, v13
	v_fmac_f32_e32 v191, v63, v10
	v_add_f32_e32 v107, v107, v190
	;; [unrolled: 7-line block ×8, first 2 shown]
	s_waitcnt vmcnt(4) lgkmcnt(4)
	v_mul_f32_e32 v207, v90, v39
	v_fmac_f32_e32 v206, v89, v36
	v_add_f32_e32 v107, v107, v205
	v_fmac_f32_e32 v207, v91, v38
	v_add_f32_e32 v107, v107, v206
	v_add_f32_e32 v107, v107, v207
	scratch_load_dwordx4 v[188:191], off, off offset:240
	scratch_load_dwordx4 v[192:195], off, off offset:256
	;; [unrolled: 1-line block ×3, first 2 shown]
	scratch_load_dwordx2 v[206:207], off, off offset:288
	v_mul_f32_e32 v3, v55, v3
	v_fma_f32 v2, v54, v2, -v3
	v_mul_f32_e32 v3, v57, v5
	v_add_f32_e32 v2, 0, v2
	v_fma_f32 v3, v56, v4, -v3
	v_add_f32_e32 v2, v2, v3
	v_mul_f32_e32 v3, v59, v7
	v_fma_f32 v3, v58, v6, -v3
	v_add_f32_e32 v2, v2, v3
	v_mul_f32_e32 v3, v61, v9
	v_fma_f32 v3, v60, v8, -v3
	v_add_f32_e32 v2, v2, v3
	v_mul_f32_e32 v3, v63, v11
	v_fma_f32 v3, v62, v10, -v3
	v_add_f32_e32 v2, v2, v3
	v_mul_f32_e32 v3, v65, v13
	v_fma_f32 v3, v64, v12, -v3
	v_add_f32_e32 v2, v2, v3
	v_mul_f32_e32 v3, v67, v15
	v_fma_f32 v3, v66, v14, -v3
	v_add_f32_e32 v2, v2, v3
	v_mul_f32_e32 v3, v69, v17
	v_fma_f32 v3, v68, v16, -v3
	v_add_f32_e32 v2, v2, v3
	v_mul_f32_e32 v3, v71, v19
	v_fma_f32 v3, v70, v18, -v3
	v_add_f32_e32 v2, v2, v3
	v_mul_f32_e32 v3, v73, v21
	v_fma_f32 v3, v72, v20, -v3
	v_add_f32_e32 v2, v2, v3
	v_mul_f32_e32 v3, v75, v23
	v_fma_f32 v3, v74, v22, -v3
	v_add_f32_e32 v2, v2, v3
	v_mul_f32_e32 v3, v77, v25
	v_fma_f32 v3, v76, v24, -v3
	v_add_f32_e32 v2, v2, v3
	v_mul_f32_e32 v3, v79, v27
	v_fma_f32 v3, v78, v26, -v3
	v_add_f32_e32 v2, v2, v3
	v_mul_f32_e32 v3, v81, v29
	v_fma_f32 v3, v80, v28, -v3
	v_add_f32_e32 v2, v2, v3
	v_mul_f32_e32 v3, v83, v31
	v_fma_f32 v3, v82, v30, -v3
	v_add_f32_e32 v2, v2, v3
	v_mul_f32_e32 v3, v85, v33
	v_fma_f32 v3, v84, v32, -v3
	v_add_f32_e32 v2, v2, v3
	v_mul_f32_e32 v3, v87, v35
	v_fma_f32 v3, v86, v34, -v3
	v_add_f32_e32 v2, v2, v3
	v_mul_f32_e32 v3, v89, v37
	v_fma_f32 v3, v88, v36, -v3
	v_add_f32_e32 v2, v2, v3
	v_mul_f32_e32 v3, v91, v39
	v_fma_f32 v3, v90, v38, -v3
	v_add_f32_e32 v2, v2, v3
	v_mul_f32_e32 v3, v93, v41
	v_fma_f32 v3, v92, v40, -v3
	v_add_f32_e32 v2, v2, v3
	s_waitcnt vmcnt(7) lgkmcnt(3)
	v_mul_f32_e32 v3, v95, v43
	v_fma_f32 v3, v94, v42, -v3
	v_mul_f32_e32 v208, v92, v41
	v_add_f32_e32 v2, v2, v3
	v_mul_f32_e32 v3, v97, v45
	v_mul_f32_e32 v209, v94, v43
	v_fmac_f32_e32 v208, v93, v40
	v_fma_f32 v3, v96, v44, -v3
	v_mul_f32_e32 v210, v96, v45
	v_fmac_f32_e32 v209, v95, v42
	v_add_f32_e32 v107, v107, v208
	v_add_f32_e32 v2, v2, v3
	s_waitcnt vmcnt(6) lgkmcnt(2)
	v_mul_f32_e32 v3, v99, v47
	v_mul_f32_e32 v211, v98, v47
	v_fmac_f32_e32 v210, v97, v44
	v_add_f32_e32 v107, v107, v209
	v_fma_f32 v3, v98, v46, -v3
	v_mul_f32_e32 v201, v100, v49
	v_fmac_f32_e32 v211, v99, v46
	v_add_f32_e32 v107, v107, v210
	v_add_f32_e32 v204, v2, v3
	v_mul_f32_e32 v2, v101, v49
	s_waitcnt vmcnt(5)
	v_mov_b32_e32 v14, v53
	s_waitcnt lgkmcnt(1)
	v_mul_f32_e32 v203, v102, v51
	v_fmac_f32_e32 v201, v101, v48
	v_add_f32_e32 v205, v107, v211
	v_fma_f32 v200, v100, v48, -v2
	v_mul_f32_e32 v2, v103, v51
	v_pk_mul_f32 v[14:15], v[104:105], v[14:15] op_sel:[1,0] op_sel_hi:[0,0]
	v_fmac_f32_e32 v203, v103, v50
	v_fma_f32 v202, v102, v50, -v2
	v_pk_add_f32 v[12:13], v[204:205], v[200:201]
	v_pk_fma_f32 v[16:17], v[104:105], v[52:53], v[14:15] neg_lo:[0,0,1] neg_hi:[0,0,1]
	v_pk_fma_f32 v[14:15], v[104:105], v[52:53], v[14:15] op_sel_hi:[1,0,1]
	v_pk_add_f32 v[12:13], v[12:13], v[202:203]
	v_mov_b32_e32 v17, v15
	s_waitcnt vmcnt(3) lgkmcnt(0)
	v_pk_mul_f32 v[14:15], v[108:109], v[188:189] op_sel:[1,1] op_sel_hi:[0,1]
	v_pk_add_f32 v[12:13], v[12:13], v[16:17]
	v_pk_fma_f32 v[16:17], v[108:109], v[188:189], v[14:15] neg_lo:[0,0,1] neg_hi:[0,0,1]
	v_pk_fma_f32 v[14:15], v[108:109], v[188:189], v[14:15] op_sel_hi:[1,0,1]
	ds_read_b128 v[2:5], v106 offset:560
	ds_read_b128 v[6:9], v106 offset:576
	ds_read_b64 v[10:11], v106 offset:592
	v_mov_b32_e32 v14, v191
	v_mov_b32_e32 v17, v15
	v_pk_mul_f32 v[14:15], v[110:111], v[14:15] op_sel:[1,0] op_sel_hi:[0,0]
	v_pk_add_f32 v[12:13], v[12:13], v[16:17]
	v_pk_fma_f32 v[16:17], v[110:111], v[190:191], v[14:15] neg_lo:[0,0,1] neg_hi:[0,0,1]
	v_pk_fma_f32 v[14:15], v[110:111], v[190:191], v[14:15] op_sel_hi:[1,0,1]
	s_nop 0
	v_mov_b32_e32 v17, v15
	s_waitcnt vmcnt(2) lgkmcnt(2)
	v_pk_mul_f32 v[14:15], v[2:3], v[192:193] op_sel:[1,1] op_sel_hi:[0,1]
	v_pk_add_f32 v[12:13], v[12:13], v[16:17]
	v_pk_fma_f32 v[16:17], v[2:3], v[192:193], v[14:15] neg_lo:[0,0,1] neg_hi:[0,0,1]
	v_pk_fma_f32 v[2:3], v[2:3], v[192:193], v[14:15] op_sel_hi:[1,0,1]
	s_nop 0
	v_mov_b32_e32 v17, v3
	v_pk_add_f32 v[2:3], v[12:13], v[16:17]
	v_mov_b32_e32 v12, v195
	v_pk_mul_f32 v[12:13], v[4:5], v[12:13] op_sel:[1,0] op_sel_hi:[0,0]
	v_pk_fma_f32 v[14:15], v[4:5], v[194:195], v[12:13] neg_lo:[0,0,1] neg_hi:[0,0,1]
	v_pk_fma_f32 v[4:5], v[4:5], v[194:195], v[12:13] op_sel_hi:[1,0,1]
	s_nop 0
	v_mov_b32_e32 v15, v5
	s_waitcnt vmcnt(1) lgkmcnt(1)
	v_pk_mul_f32 v[4:5], v[6:7], v[196:197] op_sel:[1,1] op_sel_hi:[0,1]
	v_pk_fma_f32 v[12:13], v[6:7], v[196:197], v[4:5] neg_lo:[0,0,1] neg_hi:[0,0,1]
	v_pk_fma_f32 v[4:5], v[6:7], v[196:197], v[4:5] op_sel_hi:[1,0,1]
	v_pk_add_f32 v[2:3], v[2:3], v[14:15]
	v_mov_b32_e32 v4, v199
	v_mov_b32_e32 v13, v5
	v_pk_mul_f32 v[4:5], v[8:9], v[4:5] op_sel:[1,0] op_sel_hi:[0,0]
	v_pk_fma_f32 v[6:7], v[8:9], v[198:199], v[4:5] neg_lo:[0,0,1] neg_hi:[0,0,1]
	v_pk_fma_f32 v[4:5], v[8:9], v[198:199], v[4:5] op_sel_hi:[1,0,1]
	v_pk_add_f32 v[2:3], v[2:3], v[12:13]
	v_mov_b32_e32 v7, v5
	s_waitcnt vmcnt(0) lgkmcnt(0)
	v_pk_mul_f32 v[4:5], v[10:11], v[206:207] op_sel:[1,1] op_sel_hi:[0,1]
	v_pk_add_f32 v[2:3], v[2:3], v[6:7]
	v_pk_fma_f32 v[6:7], v[10:11], v[206:207], v[4:5] neg_lo:[0,0,1] neg_hi:[0,0,1]
	v_pk_fma_f32 v[4:5], v[10:11], v[206:207], v[4:5] op_sel_hi:[1,0,1]
	s_nop 0
	v_mov_b32_e32 v7, v5
	v_pk_add_f32 v[2:3], v[2:3], v[6:7]
	s_nop 0
	v_pk_add_f32 v[2:3], v[112:113], v[2:3] neg_lo:[0,1] neg_hi:[0,1]
	scratch_store_dwordx2 off, v[2:3], off offset:24
	s_and_saveexec_b64 s[0:1], vcc
	s_cbranch_execz .LBB100_231
; %bb.230:
	scratch_load_dwordx2 v[2:3], off, off offset:16
	v_mov_b32_e32 v107, v106
	scratch_store_dwordx2 off, v[106:107], off offset:16
	s_waitcnt vmcnt(1)
	ds_write_b64 v1, v[2:3]
.LBB100_231:
	s_or_b64 exec, exec, s[0:1]
	s_waitcnt lgkmcnt(0)
	; wave barrier
	scratch_load_dwordx4 v[2:5], off, off offset:24
	scratch_load_dwordx4 v[6:9], off, off offset:40
	;; [unrolled: 1-line block ×13, first 2 shown]
	ds_read2_b64 v[102:105], v106 offset0:41 offset1:42
	ds_read2_b64 v[98:101], v106 offset0:43 offset1:44
	;; [unrolled: 1-line block ×14, first 2 shown]
	scratch_load_dwordx2 v[112:113], off, off offset:16
	v_cmp_lt_u32_e32 vcc, 1, v0
	s_waitcnt vmcnt(13) lgkmcnt(13)
	v_mul_f32_e32 v107, v102, v3
	v_mul_f32_e32 v188, v104, v5
	v_fmac_f32_e32 v107, v103, v2
	s_waitcnt vmcnt(12) lgkmcnt(12)
	v_mul_f32_e32 v189, v98, v7
	v_fmac_f32_e32 v188, v105, v4
	v_add_f32_e32 v107, 0, v107
	v_mul_f32_e32 v190, v100, v9
	v_fmac_f32_e32 v189, v99, v6
	v_add_f32_e32 v107, v107, v188
	s_waitcnt vmcnt(11) lgkmcnt(11)
	v_mul_f32_e32 v191, v94, v11
	v_fmac_f32_e32 v190, v101, v8
	v_add_f32_e32 v107, v107, v189
	v_mul_f32_e32 v192, v96, v13
	v_fmac_f32_e32 v191, v95, v10
	v_add_f32_e32 v107, v107, v190
	;; [unrolled: 7-line block ×7, first 2 shown]
	s_waitcnt vmcnt(5) lgkmcnt(5)
	v_mul_f32_e32 v203, v70, v35
	v_fmac_f32_e32 v202, v77, v32
	v_add_f32_e32 v107, v107, v201
	v_fmac_f32_e32 v203, v71, v34
	v_add_f32_e32 v107, v107, v202
	v_add_f32_e32 v107, v107, v203
	scratch_load_dwordx4 v[188:191], off, off offset:232
	scratch_load_dwordx4 v[192:195], off, off offset:248
	;; [unrolled: 1-line block ×4, first 2 shown]
	v_mul_f32_e32 v3, v103, v3
	v_fma_f32 v2, v102, v2, -v3
	v_mul_f32_e32 v3, v105, v5
	v_add_f32_e32 v2, 0, v2
	v_fma_f32 v3, v104, v4, -v3
	v_add_f32_e32 v2, v2, v3
	v_mul_f32_e32 v3, v99, v7
	v_fma_f32 v3, v98, v6, -v3
	v_add_f32_e32 v2, v2, v3
	v_mul_f32_e32 v3, v101, v9
	;; [unrolled: 3-line block ×16, first 2 shown]
	v_fma_f32 v3, v72, v36, -v3
	v_add_f32_e32 v2, v2, v3
	s_waitcnt vmcnt(8) lgkmcnt(4)
	v_mul_f32_e32 v3, v67, v39
	v_fma_f32 v3, v66, v38, -v3
	v_add_f32_e32 v2, v2, v3
	v_mul_f32_e32 v3, v69, v41
	v_fma_f32 v3, v68, v40, -v3
	v_add_f32_e32 v2, v2, v3
	s_waitcnt vmcnt(7) lgkmcnt(3)
	v_mul_f32_e32 v3, v63, v43
	v_mul_f32_e32 v204, v72, v37
	v_fma_f32 v3, v62, v42, -v3
	v_mul_f32_e32 v206, v66, v39
	v_fmac_f32_e32 v204, v73, v36
	v_add_f32_e32 v2, v2, v3
	v_mul_f32_e32 v3, v65, v45
	v_mul_f32_e32 v208, v68, v41
	v_fmac_f32_e32 v206, v67, v38
	v_add_f32_e32 v107, v107, v204
	v_fma_f32 v3, v64, v44, -v3
	v_mul_f32_e32 v209, v62, v43
	v_fmac_f32_e32 v208, v69, v40
	v_add_f32_e32 v107, v107, v206
	v_add_f32_e32 v2, v2, v3
	s_waitcnt vmcnt(6) lgkmcnt(2)
	v_mul_f32_e32 v3, v59, v47
	v_mul_f32_e32 v210, v64, v45
	v_fmac_f32_e32 v209, v63, v42
	v_add_f32_e32 v107, v107, v208
	v_fma_f32 v3, v58, v46, -v3
	v_mul_f32_e32 v211, v58, v47
	v_fmac_f32_e32 v210, v65, v44
	v_add_f32_e32 v107, v107, v209
	v_add_f32_e32 v2, v2, v3
	v_mul_f32_e32 v3, v61, v49
	v_mul_f32_e32 v212, v60, v49
	v_fmac_f32_e32 v211, v59, v46
	v_add_f32_e32 v107, v107, v210
	v_fma_f32 v3, v60, v48, -v3
	s_waitcnt vmcnt(5) lgkmcnt(1)
	v_mul_f32_e32 v205, v54, v51
	v_fmac_f32_e32 v212, v61, v48
	v_add_f32_e32 v107, v107, v211
	v_add_f32_e32 v208, v2, v3
	v_mul_f32_e32 v2, v55, v51
	s_waitcnt vmcnt(3) lgkmcnt(0)
	v_pk_mul_f32 v[16:17], v[108:109], v[188:189] op_sel:[1,1] op_sel_hi:[0,1]
	v_mul_f32_e32 v207, v56, v53
	v_fmac_f32_e32 v205, v55, v50
	v_add_f32_e32 v209, v107, v212
	v_fma_f32 v204, v54, v50, -v2
	v_mul_f32_e32 v2, v57, v53
	v_pk_fma_f32 v[18:19], v[108:109], v[188:189], v[16:17] neg_lo:[0,0,1] neg_hi:[0,0,1]
	v_pk_fma_f32 v[16:17], v[108:109], v[188:189], v[16:17] op_sel_hi:[1,0,1]
	v_fmac_f32_e32 v207, v57, v52
	v_fma_f32 v206, v56, v52, -v2
	ds_read2_b64 v[2:5], v106 offset0:69 offset1:70
	ds_read2_b64 v[6:9], v106 offset0:71 offset1:72
	;; [unrolled: 1-line block ×3, first 2 shown]
	v_pk_add_f32 v[14:15], v[208:209], v[204:205]
	v_mov_b32_e32 v16, v191
	v_pk_add_f32 v[14:15], v[14:15], v[206:207]
	v_mov_b32_e32 v19, v17
	v_pk_mul_f32 v[16:17], v[110:111], v[16:17] op_sel:[1,0] op_sel_hi:[0,0]
	v_pk_add_f32 v[14:15], v[14:15], v[18:19]
	v_pk_fma_f32 v[18:19], v[110:111], v[190:191], v[16:17] neg_lo:[0,0,1] neg_hi:[0,0,1]
	v_pk_fma_f32 v[16:17], v[110:111], v[190:191], v[16:17] op_sel_hi:[1,0,1]
	s_nop 0
	v_mov_b32_e32 v19, v17
	s_waitcnt vmcnt(2) lgkmcnt(2)
	v_pk_mul_f32 v[16:17], v[2:3], v[192:193] op_sel:[1,1] op_sel_hi:[0,1]
	v_pk_add_f32 v[14:15], v[14:15], v[18:19]
	v_pk_fma_f32 v[18:19], v[2:3], v[192:193], v[16:17] neg_lo:[0,0,1] neg_hi:[0,0,1]
	v_pk_fma_f32 v[2:3], v[2:3], v[192:193], v[16:17] op_sel_hi:[1,0,1]
	s_nop 0
	v_mov_b32_e32 v19, v3
	v_pk_add_f32 v[2:3], v[14:15], v[18:19]
	v_mov_b32_e32 v14, v195
	v_pk_mul_f32 v[14:15], v[4:5], v[14:15] op_sel:[1,0] op_sel_hi:[0,0]
	v_pk_fma_f32 v[16:17], v[4:5], v[194:195], v[14:15] neg_lo:[0,0,1] neg_hi:[0,0,1]
	v_pk_fma_f32 v[4:5], v[4:5], v[194:195], v[14:15] op_sel_hi:[1,0,1]
	s_nop 0
	v_mov_b32_e32 v17, v5
	s_waitcnt vmcnt(1) lgkmcnt(1)
	v_pk_mul_f32 v[4:5], v[6:7], v[196:197] op_sel:[1,1] op_sel_hi:[0,1]
	v_pk_fma_f32 v[14:15], v[6:7], v[196:197], v[4:5] neg_lo:[0,0,1] neg_hi:[0,0,1]
	v_pk_fma_f32 v[4:5], v[6:7], v[196:197], v[4:5] op_sel_hi:[1,0,1]
	v_pk_add_f32 v[2:3], v[2:3], v[16:17]
	v_mov_b32_e32 v4, v199
	v_mov_b32_e32 v15, v5
	v_pk_mul_f32 v[4:5], v[8:9], v[4:5] op_sel:[1,0] op_sel_hi:[0,0]
	v_pk_fma_f32 v[6:7], v[8:9], v[198:199], v[4:5] neg_lo:[0,0,1] neg_hi:[0,0,1]
	v_pk_fma_f32 v[4:5], v[8:9], v[198:199], v[4:5] op_sel_hi:[1,0,1]
	v_pk_add_f32 v[2:3], v[2:3], v[14:15]
	v_mov_b32_e32 v7, v5
	s_waitcnt vmcnt(0) lgkmcnt(0)
	v_pk_mul_f32 v[4:5], v[10:11], v[200:201] op_sel:[1,1] op_sel_hi:[0,1]
	v_pk_add_f32 v[2:3], v[2:3], v[6:7]
	v_pk_fma_f32 v[6:7], v[10:11], v[200:201], v[4:5] neg_lo:[0,0,1] neg_hi:[0,0,1]
	v_pk_fma_f32 v[4:5], v[10:11], v[200:201], v[4:5] op_sel_hi:[1,0,1]
	s_nop 0
	v_mov_b32_e32 v4, v203
	v_mov_b32_e32 v7, v5
	v_pk_mul_f32 v[4:5], v[12:13], v[4:5] op_sel:[1,0] op_sel_hi:[0,0]
	v_pk_add_f32 v[2:3], v[2:3], v[6:7]
	v_pk_fma_f32 v[6:7], v[12:13], v[202:203], v[4:5] neg_lo:[0,0,1] neg_hi:[0,0,1]
	v_pk_fma_f32 v[4:5], v[12:13], v[202:203], v[4:5] op_sel_hi:[1,0,1]
	s_nop 0
	v_mov_b32_e32 v7, v5
	v_pk_add_f32 v[2:3], v[2:3], v[6:7]
	s_nop 0
	v_pk_add_f32 v[2:3], v[112:113], v[2:3] neg_lo:[0,1] neg_hi:[0,1]
	scratch_store_dwordx2 off, v[2:3], off offset:16
	s_and_saveexec_b64 s[0:1], vcc
	s_cbranch_execz .LBB100_233
; %bb.232:
	scratch_load_dwordx2 v[2:3], off, off offset:8
	v_mov_b32_e32 v4, 0
	v_mov_b32_e32 v5, v4
	scratch_store_dwordx2 off, v[4:5], off offset:8
	s_waitcnt vmcnt(1)
	ds_write_b64 v1, v[2:3]
.LBB100_233:
	s_or_b64 exec, exec, s[0:1]
	s_waitcnt lgkmcnt(0)
	; wave barrier
	scratch_load_dwordx4 v[2:5], off, off offset:16
	scratch_load_dwordx4 v[6:9], off, off offset:32
	;; [unrolled: 1-line block ×13, first 2 shown]
	v_mov_b32_e32 v112, 0
	scratch_load_dwordx4 v[54:57], off, off offset:224
	scratch_load_dwordx2 v[110:111], off, off offset:8
	ds_read_b128 v[58:61], v112 offset:320
	ds_read_b128 v[62:65], v112 offset:336
	;; [unrolled: 1-line block ×14, first 2 shown]
	v_cmp_ne_u32_e32 vcc, 0, v0
	s_waitcnt vmcnt(14) lgkmcnt(13)
	v_mul_f32_e32 v113, v58, v3
	v_mul_f32_e32 v192, v60, v5
	v_fmac_f32_e32 v113, v59, v2
	s_waitcnt vmcnt(13) lgkmcnt(12)
	v_mul_f32_e32 v193, v62, v7
	v_fmac_f32_e32 v192, v61, v4
	v_add_f32_e32 v113, 0, v113
	v_mul_f32_e32 v194, v64, v9
	v_fmac_f32_e32 v193, v63, v6
	v_add_f32_e32 v113, v113, v192
	s_waitcnt vmcnt(12) lgkmcnt(11)
	v_mul_f32_e32 v195, v66, v11
	v_fmac_f32_e32 v194, v65, v8
	v_add_f32_e32 v113, v113, v193
	v_mul_f32_e32 v196, v68, v13
	v_fmac_f32_e32 v195, v67, v10
	v_add_f32_e32 v113, v113, v194
	;; [unrolled: 7-line block ×6, first 2 shown]
	s_waitcnt vmcnt(7) lgkmcnt(6)
	v_mul_f32_e32 v205, v86, v31
	v_fmac_f32_e32 v204, v85, v28
	v_add_f32_e32 v113, v113, v203
	scratch_load_dwordx4 v[192:195], off, off offset:240
	v_mul_f32_e32 v206, v88, v33
	v_fmac_f32_e32 v205, v87, v30
	v_add_f32_e32 v113, v113, v204
	s_waitcnt vmcnt(7) lgkmcnt(5)
	v_mul_f32_e32 v207, v90, v35
	v_fmac_f32_e32 v206, v89, v32
	v_add_f32_e32 v113, v113, v205
	v_mul_f32_e32 v208, v92, v37
	v_fmac_f32_e32 v207, v91, v34
	v_add_f32_e32 v113, v113, v206
	s_waitcnt vmcnt(6) lgkmcnt(4)
	v_mul_f32_e32 v209, v94, v39
	v_fmac_f32_e32 v208, v93, v36
	v_add_f32_e32 v113, v113, v207
	;; [unrolled: 7-line block ×3, first 2 shown]
	v_fmac_f32_e32 v211, v99, v42
	v_add_f32_e32 v113, v113, v210
	v_add_f32_e32 v113, v113, v211
	scratch_load_dwordx4 v[196:199], off, off offset:256
	scratch_load_dwordx4 v[200:203], off, off offset:272
	scratch_load_dwordx2 v[210:211], off, off offset:288
	v_mul_f32_e32 v3, v59, v3
	v_fma_f32 v2, v58, v2, -v3
	v_mul_f32_e32 v3, v61, v5
	v_add_f32_e32 v2, 0, v2
	v_fma_f32 v3, v60, v4, -v3
	v_add_f32_e32 v2, v2, v3
	v_mul_f32_e32 v3, v63, v7
	v_fma_f32 v3, v62, v6, -v3
	v_add_f32_e32 v2, v2, v3
	v_mul_f32_e32 v3, v65, v9
	;; [unrolled: 3-line block ×20, first 2 shown]
	v_fma_f32 v3, v100, v44, -v3
	v_add_f32_e32 v2, v2, v3
	s_waitcnt vmcnt(7) lgkmcnt(2)
	v_mul_f32_e32 v3, v103, v47
	v_fma_f32 v3, v102, v46, -v3
	v_add_f32_e32 v2, v2, v3
	v_mul_f32_e32 v3, v105, v49
	v_mul_f32_e32 v212, v100, v45
	v_fma_f32 v3, v104, v48, -v3
	v_mul_f32_e32 v213, v102, v47
	v_fmac_f32_e32 v212, v101, v44
	v_add_f32_e32 v2, v2, v3
	s_waitcnt vmcnt(6) lgkmcnt(1)
	v_mul_f32_e32 v3, v107, v51
	v_mul_f32_e32 v214, v104, v49
	v_fmac_f32_e32 v213, v103, v46
	v_add_f32_e32 v113, v113, v212
	v_fma_f32 v3, v106, v50, -v3
	v_mul_f32_e32 v215, v106, v51
	v_fmac_f32_e32 v214, v105, v48
	v_add_f32_e32 v113, v113, v213
	v_add_f32_e32 v204, v2, v3
	v_mul_f32_e32 v2, v109, v53
	v_fmac_f32_e32 v215, v107, v50
	v_add_f32_e32 v113, v113, v214
	v_mul_f32_e32 v207, v108, v53
	v_fma_f32 v206, v108, v52, -v2
	s_waitcnt vmcnt(5) lgkmcnt(0)
	v_mul_f32_e32 v2, v189, v55
	v_mov_b32_e32 v18, v57
	v_add_f32_e32 v205, v113, v215
	v_fmac_f32_e32 v207, v109, v52
	v_mul_f32_e32 v209, v188, v55
	v_fma_f32 v208, v188, v54, -v2
	ds_read_b128 v[2:5], v112 offset:544
	ds_read_b128 v[6:9], v112 offset:560
	;; [unrolled: 1-line block ×3, first 2 shown]
	ds_read_b64 v[14:15], v112 offset:592
	v_pk_mul_f32 v[18:19], v[190:191], v[18:19] op_sel:[1,0] op_sel_hi:[0,0]
	v_fmac_f32_e32 v209, v189, v54
	v_pk_add_f32 v[16:17], v[204:205], v[206:207]
	v_pk_fma_f32 v[20:21], v[190:191], v[56:57], v[18:19] neg_lo:[0,0,1] neg_hi:[0,0,1]
	v_pk_fma_f32 v[18:19], v[190:191], v[56:57], v[18:19] op_sel_hi:[1,0,1]
	v_pk_add_f32 v[16:17], v[16:17], v[208:209]
	v_mov_b32_e32 v21, v19
	s_waitcnt vmcnt(3) lgkmcnt(3)
	v_pk_mul_f32 v[18:19], v[2:3], v[192:193] op_sel:[1,1] op_sel_hi:[0,1]
	v_pk_add_f32 v[16:17], v[16:17], v[20:21]
	v_pk_fma_f32 v[20:21], v[2:3], v[192:193], v[18:19] neg_lo:[0,0,1] neg_hi:[0,0,1]
	v_pk_fma_f32 v[2:3], v[2:3], v[192:193], v[18:19] op_sel_hi:[1,0,1]
	s_nop 0
	v_mov_b32_e32 v21, v3
	v_pk_add_f32 v[2:3], v[16:17], v[20:21]
	v_mov_b32_e32 v16, v195
	v_pk_mul_f32 v[16:17], v[4:5], v[16:17] op_sel:[1,0] op_sel_hi:[0,0]
	v_pk_fma_f32 v[18:19], v[4:5], v[194:195], v[16:17] neg_lo:[0,0,1] neg_hi:[0,0,1]
	v_pk_fma_f32 v[4:5], v[4:5], v[194:195], v[16:17] op_sel_hi:[1,0,1]
	s_nop 0
	v_mov_b32_e32 v19, v5
	s_waitcnt vmcnt(2) lgkmcnt(2)
	v_pk_mul_f32 v[4:5], v[6:7], v[196:197] op_sel:[1,1] op_sel_hi:[0,1]
	v_pk_fma_f32 v[16:17], v[6:7], v[196:197], v[4:5] neg_lo:[0,0,1] neg_hi:[0,0,1]
	v_pk_fma_f32 v[4:5], v[6:7], v[196:197], v[4:5] op_sel_hi:[1,0,1]
	v_pk_add_f32 v[2:3], v[2:3], v[18:19]
	v_mov_b32_e32 v4, v199
	v_mov_b32_e32 v17, v5
	v_pk_mul_f32 v[4:5], v[8:9], v[4:5] op_sel:[1,0] op_sel_hi:[0,0]
	v_pk_fma_f32 v[6:7], v[8:9], v[198:199], v[4:5] neg_lo:[0,0,1] neg_hi:[0,0,1]
	v_pk_fma_f32 v[4:5], v[8:9], v[198:199], v[4:5] op_sel_hi:[1,0,1]
	v_pk_add_f32 v[2:3], v[2:3], v[16:17]
	v_mov_b32_e32 v7, v5
	s_waitcnt vmcnt(1) lgkmcnt(1)
	v_pk_mul_f32 v[4:5], v[10:11], v[200:201] op_sel:[1,1] op_sel_hi:[0,1]
	v_pk_add_f32 v[2:3], v[2:3], v[6:7]
	v_pk_fma_f32 v[6:7], v[10:11], v[200:201], v[4:5] neg_lo:[0,0,1] neg_hi:[0,0,1]
	v_pk_fma_f32 v[4:5], v[10:11], v[200:201], v[4:5] op_sel_hi:[1,0,1]
	s_nop 0
	v_mov_b32_e32 v4, v203
	v_mov_b32_e32 v7, v5
	v_pk_mul_f32 v[4:5], v[12:13], v[4:5] op_sel:[1,0] op_sel_hi:[0,0]
	v_pk_add_f32 v[2:3], v[2:3], v[6:7]
	v_pk_fma_f32 v[6:7], v[12:13], v[202:203], v[4:5] neg_lo:[0,0,1] neg_hi:[0,0,1]
	v_pk_fma_f32 v[4:5], v[12:13], v[202:203], v[4:5] op_sel_hi:[1,0,1]
	s_nop 0
	v_mov_b32_e32 v7, v5
	s_waitcnt vmcnt(0) lgkmcnt(0)
	v_pk_mul_f32 v[4:5], v[14:15], v[210:211] op_sel:[1,1] op_sel_hi:[0,1]
	v_pk_add_f32 v[2:3], v[2:3], v[6:7]
	v_pk_fma_f32 v[6:7], v[14:15], v[210:211], v[4:5] neg_lo:[0,0,1] neg_hi:[0,0,1]
	v_pk_fma_f32 v[4:5], v[14:15], v[210:211], v[4:5] op_sel_hi:[1,0,1]
	s_nop 0
	v_mov_b32_e32 v7, v5
	v_pk_add_f32 v[2:3], v[2:3], v[6:7]
	s_nop 0
	v_pk_add_f32 v[2:3], v[110:111], v[2:3] neg_lo:[0,1] neg_hi:[0,1]
	scratch_store_dwordx2 off, v[2:3], off offset:8
	s_and_saveexec_b64 s[0:1], vcc
	s_cbranch_execz .LBB100_235
; %bb.234:
	scratch_load_dwordx2 v[2:3], off, off
	v_mov_b32_e32 v113, v112
	scratch_store_dwordx2 off, v[112:113], off
	s_waitcnt vmcnt(1)
	ds_write_b64 v1, v[2:3]
.LBB100_235:
	s_or_b64 exec, exec, s[0:1]
	s_waitcnt lgkmcnt(0)
	; wave barrier
	scratch_load_dwordx4 v[0:3], off, off offset:8
	scratch_load_dwordx4 v[4:7], off, off offset:24
	;; [unrolled: 1-line block ×13, first 2 shown]
	ds_read2_b64 v[108:111], v112 offset0:39 offset1:40
	ds_read2_b64 v[104:107], v112 offset0:41 offset1:42
	ds_read2_b64 v[100:103], v112 offset0:43 offset1:44
	ds_read2_b64 v[96:99], v112 offset0:45 offset1:46
	ds_read2_b64 v[92:95], v112 offset0:47 offset1:48
	ds_read2_b64 v[88:91], v112 offset0:49 offset1:50
	ds_read2_b64 v[84:87], v112 offset0:51 offset1:52
	ds_read2_b64 v[80:83], v112 offset0:53 offset1:54
	ds_read2_b64 v[76:79], v112 offset0:55 offset1:56
	ds_read2_b64 v[72:75], v112 offset0:57 offset1:58
	ds_read2_b64 v[68:71], v112 offset0:59 offset1:60
	ds_read2_b64 v[60:63], v112 offset0:61 offset1:62
	ds_read2_b64 v[52:55], v112 offset0:63 offset1:64
	ds_read2_b64 v[56:59], v112 offset0:65 offset1:66
	scratch_load_dwordx4 v[64:67], off, off offset:216
	scratch_load_dwordx2 v[204:205], off, off
	s_and_b64 vcc, exec, s[10:11]
	s_waitcnt vmcnt(14) lgkmcnt(13)
	v_mul_f32_e32 v113, v108, v1
	v_mul_f32_e32 v188, v110, v3
	v_fmac_f32_e32 v113, v109, v0
	s_waitcnt vmcnt(13) lgkmcnt(12)
	v_mul_f32_e32 v189, v104, v5
	v_fmac_f32_e32 v188, v111, v2
	v_add_f32_e32 v113, 0, v113
	v_mul_f32_e32 v190, v106, v7
	v_fmac_f32_e32 v189, v105, v4
	v_add_f32_e32 v113, v113, v188
	s_waitcnt vmcnt(12) lgkmcnt(11)
	v_mul_f32_e32 v191, v100, v9
	v_fmac_f32_e32 v190, v107, v6
	v_add_f32_e32 v113, v113, v189
	v_mul_f32_e32 v192, v102, v11
	v_fmac_f32_e32 v191, v101, v8
	v_add_f32_e32 v113, v113, v190
	;; [unrolled: 7-line block ×4, first 2 shown]
	s_waitcnt vmcnt(9) lgkmcnt(8)
	v_mul_f32_e32 v197, v88, v21
	v_fmac_f32_e32 v196, v95, v18
	v_add_f32_e32 v113, v113, v195
	scratch_load_dwordx4 v[188:191], off, off offset:232
	v_mul_f32_e32 v198, v90, v23
	v_fmac_f32_e32 v197, v89, v20
	v_add_f32_e32 v113, v113, v196
	s_waitcnt vmcnt(9) lgkmcnt(7)
	v_mul_f32_e32 v199, v84, v25
	v_fmac_f32_e32 v198, v91, v22
	v_add_f32_e32 v113, v113, v197
	v_mul_f32_e32 v200, v86, v27
	v_fmac_f32_e32 v199, v85, v24
	v_add_f32_e32 v113, v113, v198
	s_waitcnt vmcnt(8) lgkmcnt(6)
	v_mul_f32_e32 v201, v80, v29
	v_fmac_f32_e32 v200, v87, v26
	v_add_f32_e32 v113, v113, v199
	;; [unrolled: 7-line block ×3, first 2 shown]
	v_fmac_f32_e32 v203, v77, v32
	v_add_f32_e32 v113, v113, v202
	v_add_f32_e32 v113, v113, v203
	scratch_load_dwordx4 v[192:195], off, off offset:248
	scratch_load_dwordx4 v[196:199], off, off offset:264
	;; [unrolled: 1-line block ×3, first 2 shown]
	v_mul_f32_e32 v1, v109, v1
	v_fma_f32 v0, v108, v0, -v1
	v_mul_f32_e32 v1, v111, v3
	v_add_f32_e32 v0, 0, v0
	v_fma_f32 v1, v110, v2, -v1
	v_add_f32_e32 v0, v0, v1
	v_mul_f32_e32 v1, v105, v5
	v_fma_f32 v1, v104, v4, -v1
	v_add_f32_e32 v0, v0, v1
	v_mul_f32_e32 v1, v107, v7
	;; [unrolled: 3-line block ×16, first 2 shown]
	v_fma_f32 v1, v78, v34, -v1
	v_add_f32_e32 v0, v0, v1
	s_waitcnt vmcnt(9) lgkmcnt(4)
	v_mul_f32_e32 v1, v73, v37
	v_fma_f32 v1, v72, v36, -v1
	v_add_f32_e32 v0, v0, v1
	v_mul_f32_e32 v1, v75, v39
	v_fma_f32 v1, v74, v38, -v1
	v_add_f32_e32 v0, v0, v1
	s_waitcnt vmcnt(8) lgkmcnt(3)
	v_mul_f32_e32 v1, v69, v41
	v_fma_f32 v1, v68, v40, -v1
	v_add_f32_e32 v0, v0, v1
	v_mul_f32_e32 v1, v71, v43
	v_fma_f32 v1, v70, v42, -v1
	v_add_f32_e32 v0, v0, v1
	s_waitcnt vmcnt(7) lgkmcnt(2)
	v_mul_f32_e32 v1, v61, v45
	v_fma_f32 v1, v60, v44, -v1
	v_mul_f32_e32 v206, v78, v35
	v_add_f32_e32 v0, v0, v1
	v_mul_f32_e32 v1, v63, v47
	v_mul_f32_e32 v207, v72, v37
	v_fmac_f32_e32 v206, v79, v34
	v_fma_f32 v1, v62, v46, -v1
	v_mul_f32_e32 v208, v74, v39
	v_fmac_f32_e32 v207, v73, v36
	v_add_f32_e32 v113, v113, v206
	v_add_f32_e32 v0, v0, v1
	s_waitcnt vmcnt(6) lgkmcnt(1)
	v_mul_f32_e32 v1, v53, v49
	v_mul_f32_e32 v209, v68, v41
	v_fmac_f32_e32 v208, v75, v38
	v_add_f32_e32 v113, v113, v207
	v_fma_f32 v1, v52, v48, -v1
	v_mul_f32_e32 v210, v70, v43
	v_fmac_f32_e32 v209, v69, v40
	v_add_f32_e32 v113, v113, v208
	v_add_f32_e32 v0, v0, v1
	v_mul_f32_e32 v1, v55, v51
	v_mul_f32_e32 v211, v60, v45
	v_fmac_f32_e32 v210, v71, v42
	v_add_f32_e32 v113, v113, v209
	v_fma_f32 v1, v54, v50, -v1
	v_mul_f32_e32 v212, v62, v47
	v_fmac_f32_e32 v211, v61, v44
	v_add_f32_e32 v113, v113, v210
	v_add_f32_e32 v206, v0, v1
	s_waitcnt vmcnt(5) lgkmcnt(0)
	v_mul_f32_e32 v0, v57, v65
	v_mul_f32_e32 v213, v52, v49
	v_fmac_f32_e32 v212, v63, v46
	v_add_f32_e32 v113, v113, v211
	v_fma_f32 v208, v56, v64, -v0
	v_mul_f32_e32 v0, v59, v67
	v_mul_f32_e32 v214, v54, v51
	v_fmac_f32_e32 v213, v53, v48
	v_add_f32_e32 v113, v113, v212
	v_fma_f32 v210, v58, v66, -v0
	ds_read2_b64 v[0:3], v112 offset0:67 offset1:68
	ds_read2_b64 v[4:7], v112 offset0:69 offset1:70
	;; [unrolled: 1-line block ×4, first 2 shown]
	v_add_f32_e32 v113, v113, v213
	v_fmac_f32_e32 v214, v55, v50
	v_mul_f32_e32 v209, v56, v65
	v_add_f32_e32 v207, v113, v214
	v_fmac_f32_e32 v209, v57, v64
	v_mul_f32_e32 v211, v58, v67
	s_waitcnt vmcnt(3) lgkmcnt(3)
	v_pk_mul_f32 v[18:19], v[0:1], v[188:189] op_sel:[1,1] op_sel_hi:[0,1]
	v_fmac_f32_e32 v211, v59, v66
	v_pk_add_f32 v[16:17], v[206:207], v[208:209]
	v_pk_fma_f32 v[20:21], v[0:1], v[188:189], v[18:19] neg_lo:[0,0,1] neg_hi:[0,0,1]
	v_pk_fma_f32 v[0:1], v[0:1], v[188:189], v[18:19] op_sel_hi:[1,0,1]
	v_pk_add_f32 v[16:17], v[16:17], v[210:211]
	v_mov_b32_e32 v21, v1
	v_pk_add_f32 v[0:1], v[16:17], v[20:21]
	v_mov_b32_e32 v16, v191
	v_pk_mul_f32 v[16:17], v[2:3], v[16:17] op_sel:[1,0] op_sel_hi:[0,0]
	v_pk_fma_f32 v[18:19], v[2:3], v[190:191], v[16:17] neg_lo:[0,0,1] neg_hi:[0,0,1]
	v_pk_fma_f32 v[2:3], v[2:3], v[190:191], v[16:17] op_sel_hi:[1,0,1]
	s_nop 0
	v_mov_b32_e32 v19, v3
	s_waitcnt vmcnt(2) lgkmcnt(2)
	v_pk_mul_f32 v[2:3], v[4:5], v[192:193] op_sel:[1,1] op_sel_hi:[0,1]
	v_pk_fma_f32 v[16:17], v[4:5], v[192:193], v[2:3] neg_lo:[0,0,1] neg_hi:[0,0,1]
	v_pk_fma_f32 v[2:3], v[4:5], v[192:193], v[2:3] op_sel_hi:[1,0,1]
	v_pk_add_f32 v[0:1], v[0:1], v[18:19]
	v_mov_b32_e32 v2, v195
	v_mov_b32_e32 v17, v3
	v_pk_mul_f32 v[2:3], v[6:7], v[2:3] op_sel:[1,0] op_sel_hi:[0,0]
	v_pk_fma_f32 v[4:5], v[6:7], v[194:195], v[2:3] neg_lo:[0,0,1] neg_hi:[0,0,1]
	v_pk_fma_f32 v[2:3], v[6:7], v[194:195], v[2:3] op_sel_hi:[1,0,1]
	v_pk_add_f32 v[0:1], v[0:1], v[16:17]
	v_mov_b32_e32 v5, v3
	s_waitcnt vmcnt(1) lgkmcnt(1)
	v_pk_mul_f32 v[2:3], v[8:9], v[196:197] op_sel:[1,1] op_sel_hi:[0,1]
	v_pk_add_f32 v[0:1], v[0:1], v[4:5]
	v_pk_fma_f32 v[4:5], v[8:9], v[196:197], v[2:3] neg_lo:[0,0,1] neg_hi:[0,0,1]
	v_pk_fma_f32 v[2:3], v[8:9], v[196:197], v[2:3] op_sel_hi:[1,0,1]
	s_nop 0
	v_mov_b32_e32 v2, v199
	v_mov_b32_e32 v5, v3
	v_pk_mul_f32 v[2:3], v[10:11], v[2:3] op_sel:[1,0] op_sel_hi:[0,0]
	v_pk_add_f32 v[0:1], v[0:1], v[4:5]
	v_pk_fma_f32 v[4:5], v[10:11], v[198:199], v[2:3] neg_lo:[0,0,1] neg_hi:[0,0,1]
	v_pk_fma_f32 v[2:3], v[10:11], v[198:199], v[2:3] op_sel_hi:[1,0,1]
	s_nop 0
	v_mov_b32_e32 v5, v3
	s_waitcnt vmcnt(0) lgkmcnt(0)
	v_pk_mul_f32 v[2:3], v[12:13], v[200:201] op_sel:[1,1] op_sel_hi:[0,1]
	v_pk_add_f32 v[0:1], v[0:1], v[4:5]
	v_pk_fma_f32 v[4:5], v[12:13], v[200:201], v[2:3] neg_lo:[0,0,1] neg_hi:[0,0,1]
	v_pk_fma_f32 v[2:3], v[12:13], v[200:201], v[2:3] op_sel_hi:[1,0,1]
	s_nop 0
	v_mov_b32_e32 v2, v203
	v_mov_b32_e32 v5, v3
	v_pk_mul_f32 v[2:3], v[14:15], v[2:3] op_sel:[1,0] op_sel_hi:[0,0]
	v_pk_add_f32 v[0:1], v[0:1], v[4:5]
	v_pk_fma_f32 v[4:5], v[14:15], v[202:203], v[2:3] neg_lo:[0,0,1] neg_hi:[0,0,1]
	v_pk_fma_f32 v[2:3], v[14:15], v[202:203], v[2:3] op_sel_hi:[1,0,1]
	s_nop 0
	v_mov_b32_e32 v5, v3
	v_pk_add_f32 v[0:1], v[0:1], v[4:5]
	s_nop 0
	v_pk_add_f32 v[0:1], v[204:205], v[0:1] neg_lo:[0,1] neg_hi:[0,1]
	scratch_store_dwordx2 off, v[0:1], off
	s_cbranch_vccz .LBB100_308
; %bb.236:
	v_mov_b32_e32 v0, 0
	global_load_dword v1, v0, s[8:9] offset:140
	s_waitcnt vmcnt(0)
	v_readfirstlane_b32 s0, v1
	s_add_i32 s0, s0, -1
	s_cmp_lg_u32 s0, 35
	s_cbranch_scc0 .LBB100_238
; %bb.237:
	s_lshl_b32 s0, s0, 3
	s_nop 0
	scratch_load_dwordx2 v[2:3], off, s0
	scratch_load_dwordx2 v[4:5], off, off offset:280
	s_waitcnt vmcnt(1)
	scratch_store_dwordx2 off, v[2:3], off offset:280
	s_waitcnt vmcnt(1)
	scratch_store_dwordx2 off, v[4:5], s0
.LBB100_238:
	global_load_dword v0, v0, s[8:9] offset:136
	s_waitcnt vmcnt(0)
	v_readfirstlane_b32 s0, v0
	s_add_i32 s0, s0, -1
	s_cmp_eq_u32 s0, 34
	s_cbranch_scc1 .LBB100_240
; %bb.239:
	s_lshl_b32 s0, s0, 3
	s_nop 0
	scratch_load_dwordx2 v[0:1], off, s0
	scratch_load_dwordx2 v[2:3], off, off offset:272
	s_waitcnt vmcnt(1)
	scratch_store_dwordx2 off, v[0:1], off offset:272
	s_waitcnt vmcnt(1)
	scratch_store_dwordx2 off, v[2:3], s0
.LBB100_240:
	v_mov_b32_e32 v0, 0
	global_load_dword v1, v0, s[8:9] offset:132
	s_waitcnt vmcnt(0)
	v_readfirstlane_b32 s0, v1
	s_add_i32 s0, s0, -1
	s_cmp_eq_u32 s0, 33
	s_cbranch_scc1 .LBB100_242
; %bb.241:
	s_lshl_b32 s0, s0, 3
	s_nop 0
	scratch_load_dwordx2 v[2:3], off, s0
	scratch_load_dwordx2 v[4:5], off, off offset:264
	s_waitcnt vmcnt(1)
	scratch_store_dwordx2 off, v[2:3], off offset:264
	s_waitcnt vmcnt(1)
	scratch_store_dwordx2 off, v[4:5], s0
.LBB100_242:
	global_load_dword v0, v0, s[8:9] offset:128
	s_waitcnt vmcnt(0)
	v_readfirstlane_b32 s0, v0
	s_add_i32 s0, s0, -1
	s_cmp_eq_u32 s0, 32
	s_cbranch_scc1 .LBB100_244
; %bb.243:
	s_lshl_b32 s0, s0, 3
	s_nop 0
	scratch_load_dwordx2 v[0:1], off, s0
	scratch_load_dwordx2 v[2:3], off, off offset:256
	s_waitcnt vmcnt(1)
	scratch_store_dwordx2 off, v[0:1], off offset:256
	s_waitcnt vmcnt(1)
	scratch_store_dwordx2 off, v[2:3], s0
.LBB100_244:
	v_mov_b32_e32 v0, 0
	global_load_dword v1, v0, s[8:9] offset:124
	s_waitcnt vmcnt(0)
	v_readfirstlane_b32 s0, v1
	s_add_i32 s0, s0, -1
	s_cmp_eq_u32 s0, 31
	s_cbranch_scc1 .LBB100_246
; %bb.245:
	s_lshl_b32 s0, s0, 3
	s_nop 0
	scratch_load_dwordx2 v[2:3], off, s0
	scratch_load_dwordx2 v[4:5], off, off offset:248
	s_waitcnt vmcnt(1)
	scratch_store_dwordx2 off, v[2:3], off offset:248
	s_waitcnt vmcnt(1)
	scratch_store_dwordx2 off, v[4:5], s0
.LBB100_246:
	;; [unrolled: 33-line block ×17, first 2 shown]
	global_load_dword v2, v0, s[8:9]
	s_nop 0
	scratch_load_dwordx2 v[0:1], off, off
	s_waitcnt vmcnt(1)
	v_readfirstlane_b32 s0, v2
	s_add_i32 s0, s0, -1
	s_cmp_eq_u32 s0, 0
	s_cbranch_scc1 .LBB100_308
; %bb.307:
	s_lshl_b32 s0, s0, 3
	s_nop 0
	scratch_load_dwordx2 v[2:3], off, s0
	s_waitcnt vmcnt(0)
	scratch_store_dwordx2 off, v[2:3], off
	scratch_store_dwordx2 off, v[0:1], s0
	scratch_load_dwordx2 v[0:1], off, off
.LBB100_308:
	s_waitcnt vmcnt(0)
	flat_store_dwordx2 v[114:115], v[0:1]
	scratch_load_dwordx2 v[0:1], off, off offset:8
	s_waitcnt vmcnt(0)
	flat_store_dwordx2 v[116:117], v[0:1]
	scratch_load_dwordx2 v[0:1], off, off offset:16
	;; [unrolled: 3-line block ×36, first 2 shown]
	s_waitcnt vmcnt(0)
	flat_store_dwordx2 v[186:187], v[0:1]
	s_endpgm
	.section	.rodata,"a",@progbits
	.p2align	6, 0x0
	.amdhsa_kernel _ZN9rocsolver6v33100L18getri_kernel_smallILi37E19rocblas_complex_numIfEPKPS3_EEvT1_iilPiilS8_bb
		.amdhsa_group_segment_fixed_size 600
		.amdhsa_private_segment_fixed_size 304
		.amdhsa_kernarg_size 60
		.amdhsa_user_sgpr_count 2
		.amdhsa_user_sgpr_dispatch_ptr 0
		.amdhsa_user_sgpr_queue_ptr 0
		.amdhsa_user_sgpr_kernarg_segment_ptr 1
		.amdhsa_user_sgpr_dispatch_id 0
		.amdhsa_user_sgpr_kernarg_preload_length 0
		.amdhsa_user_sgpr_kernarg_preload_offset 0
		.amdhsa_user_sgpr_private_segment_size 0
		.amdhsa_uses_dynamic_stack 0
		.amdhsa_enable_private_segment 1
		.amdhsa_system_sgpr_workgroup_id_x 1
		.amdhsa_system_sgpr_workgroup_id_y 0
		.amdhsa_system_sgpr_workgroup_id_z 0
		.amdhsa_system_sgpr_workgroup_info 0
		.amdhsa_system_vgpr_workitem_id 0
		.amdhsa_next_free_vgpr 216
		.amdhsa_next_free_sgpr 17
		.amdhsa_accum_offset 216
		.amdhsa_reserve_vcc 1
		.amdhsa_float_round_mode_32 0
		.amdhsa_float_round_mode_16_64 0
		.amdhsa_float_denorm_mode_32 3
		.amdhsa_float_denorm_mode_16_64 3
		.amdhsa_dx10_clamp 1
		.amdhsa_ieee_mode 1
		.amdhsa_fp16_overflow 0
		.amdhsa_tg_split 0
		.amdhsa_exception_fp_ieee_invalid_op 0
		.amdhsa_exception_fp_denorm_src 0
		.amdhsa_exception_fp_ieee_div_zero 0
		.amdhsa_exception_fp_ieee_overflow 0
		.amdhsa_exception_fp_ieee_underflow 0
		.amdhsa_exception_fp_ieee_inexact 0
		.amdhsa_exception_int_div_zero 0
	.end_amdhsa_kernel
	.section	.text._ZN9rocsolver6v33100L18getri_kernel_smallILi37E19rocblas_complex_numIfEPKPS3_EEvT1_iilPiilS8_bb,"axG",@progbits,_ZN9rocsolver6v33100L18getri_kernel_smallILi37E19rocblas_complex_numIfEPKPS3_EEvT1_iilPiilS8_bb,comdat
.Lfunc_end100:
	.size	_ZN9rocsolver6v33100L18getri_kernel_smallILi37E19rocblas_complex_numIfEPKPS3_EEvT1_iilPiilS8_bb, .Lfunc_end100-_ZN9rocsolver6v33100L18getri_kernel_smallILi37E19rocblas_complex_numIfEPKPS3_EEvT1_iilPiilS8_bb
                                        ; -- End function
	.set _ZN9rocsolver6v33100L18getri_kernel_smallILi37E19rocblas_complex_numIfEPKPS3_EEvT1_iilPiilS8_bb.num_vgpr, 216
	.set _ZN9rocsolver6v33100L18getri_kernel_smallILi37E19rocblas_complex_numIfEPKPS3_EEvT1_iilPiilS8_bb.num_agpr, 0
	.set _ZN9rocsolver6v33100L18getri_kernel_smallILi37E19rocblas_complex_numIfEPKPS3_EEvT1_iilPiilS8_bb.numbered_sgpr, 17
	.set _ZN9rocsolver6v33100L18getri_kernel_smallILi37E19rocblas_complex_numIfEPKPS3_EEvT1_iilPiilS8_bb.num_named_barrier, 0
	.set _ZN9rocsolver6v33100L18getri_kernel_smallILi37E19rocblas_complex_numIfEPKPS3_EEvT1_iilPiilS8_bb.private_seg_size, 304
	.set _ZN9rocsolver6v33100L18getri_kernel_smallILi37E19rocblas_complex_numIfEPKPS3_EEvT1_iilPiilS8_bb.uses_vcc, 1
	.set _ZN9rocsolver6v33100L18getri_kernel_smallILi37E19rocblas_complex_numIfEPKPS3_EEvT1_iilPiilS8_bb.uses_flat_scratch, 0
	.set _ZN9rocsolver6v33100L18getri_kernel_smallILi37E19rocblas_complex_numIfEPKPS3_EEvT1_iilPiilS8_bb.has_dyn_sized_stack, 0
	.set _ZN9rocsolver6v33100L18getri_kernel_smallILi37E19rocblas_complex_numIfEPKPS3_EEvT1_iilPiilS8_bb.has_recursion, 0
	.set _ZN9rocsolver6v33100L18getri_kernel_smallILi37E19rocblas_complex_numIfEPKPS3_EEvT1_iilPiilS8_bb.has_indirect_call, 0
	.section	.AMDGPU.csdata,"",@progbits
; Kernel info:
; codeLenInByte = 45200
; TotalNumSgprs: 23
; NumVgprs: 216
; NumAgprs: 0
; TotalNumVgprs: 216
; ScratchSize: 304
; MemoryBound: 0
; FloatMode: 240
; IeeeMode: 1
; LDSByteSize: 600 bytes/workgroup (compile time only)
; SGPRBlocks: 2
; VGPRBlocks: 26
; NumSGPRsForWavesPerEU: 23
; NumVGPRsForWavesPerEU: 216
; AccumOffset: 216
; Occupancy: 2
; WaveLimiterHint : 1
; COMPUTE_PGM_RSRC2:SCRATCH_EN: 1
; COMPUTE_PGM_RSRC2:USER_SGPR: 2
; COMPUTE_PGM_RSRC2:TRAP_HANDLER: 0
; COMPUTE_PGM_RSRC2:TGID_X_EN: 1
; COMPUTE_PGM_RSRC2:TGID_Y_EN: 0
; COMPUTE_PGM_RSRC2:TGID_Z_EN: 0
; COMPUTE_PGM_RSRC2:TIDIG_COMP_CNT: 0
; COMPUTE_PGM_RSRC3_GFX90A:ACCUM_OFFSET: 53
; COMPUTE_PGM_RSRC3_GFX90A:TG_SPLIT: 0
	.section	.text._ZN9rocsolver6v33100L18getri_kernel_smallILi38E19rocblas_complex_numIfEPKPS3_EEvT1_iilPiilS8_bb,"axG",@progbits,_ZN9rocsolver6v33100L18getri_kernel_smallILi38E19rocblas_complex_numIfEPKPS3_EEvT1_iilPiilS8_bb,comdat
	.globl	_ZN9rocsolver6v33100L18getri_kernel_smallILi38E19rocblas_complex_numIfEPKPS3_EEvT1_iilPiilS8_bb ; -- Begin function _ZN9rocsolver6v33100L18getri_kernel_smallILi38E19rocblas_complex_numIfEPKPS3_EEvT1_iilPiilS8_bb
	.p2align	8
	.type	_ZN9rocsolver6v33100L18getri_kernel_smallILi38E19rocblas_complex_numIfEPKPS3_EEvT1_iilPiilS8_bb,@function
_ZN9rocsolver6v33100L18getri_kernel_smallILi38E19rocblas_complex_numIfEPKPS3_EEvT1_iilPiilS8_bb: ; @_ZN9rocsolver6v33100L18getri_kernel_smallILi38E19rocblas_complex_numIfEPKPS3_EEvT1_iilPiilS8_bb
; %bb.0:
	v_cmp_gt_u32_e32 vcc, 38, v0
	s_and_saveexec_b64 s[4:5], vcc
	s_cbranch_execz .LBB101_166
; %bb.1:
	s_load_dword s14, s[0:1], 0x38
	s_load_dwordx2 s[8:9], s[0:1], 0x0
	s_load_dwordx4 s[4:7], s[0:1], 0x28
	s_waitcnt lgkmcnt(0)
	s_bitcmp1_b32 s14, 8
	s_cselect_b64 s[10:11], -1, 0
	s_ashr_i32 s3, s2, 31
	s_lshl_b64 s[12:13], s[2:3], 3
	s_add_u32 s8, s8, s12
	s_addc_u32 s9, s9, s13
	s_load_dwordx2 s[12:13], s[8:9], 0x0
	s_bfe_u32 s8, s14, 0x10008
	s_cmp_eq_u32 s8, 0
                                        ; implicit-def: $sgpr8_sgpr9
	s_cbranch_scc1 .LBB101_3
; %bb.2:
	s_load_dword s8, s[0:1], 0x20
	s_load_dwordx2 s[14:15], s[0:1], 0x18
	s_mul_i32 s9, s4, s3
	s_mul_hi_u32 s16, s4, s2
	s_add_i32 s16, s16, s9
	s_mul_i32 s5, s5, s2
	s_add_i32 s5, s16, s5
	s_mul_i32 s4, s4, s2
	s_waitcnt lgkmcnt(0)
	s_ashr_i32 s9, s8, 31
	s_lshl_b64 s[4:5], s[4:5], 2
	s_add_u32 s14, s14, s4
	s_addc_u32 s15, s15, s5
	s_lshl_b64 s[4:5], s[8:9], 2
	s_add_u32 s8, s14, s4
	s_addc_u32 s9, s15, s5
.LBB101_3:
	s_load_dwordx2 s[4:5], s[0:1], 0x8
	s_load_dword s14, s[0:1], 0x38
	v_lshlrev_b32_e32 v2, 3, v0
	v_mov_b32_e32 v3, 0
	s_waitcnt lgkmcnt(0)
	s_ashr_i32 s1, s4, 31
	s_mov_b32 s0, s4
	s_lshl_b64 s[0:1], s[0:1], 3
	s_add_u32 s0, s12, s0
	s_addc_u32 s1, s13, s1
	v_lshl_add_u64 v[114:115], s[0:1], 0, v[2:3]
	flat_load_dwordx2 v[4:5], v[114:115]
	s_mov_b32 s12, s5
	s_ashr_i32 s13, s5, 31
	v_lshl_add_u64 v[116:117], s[12:13], 3, v[114:115]
	s_add_i32 s4, s5, s5
	v_add_u32_e32 v6, s4, v0
	v_ashrrev_i32_e32 v7, 31, v6
	v_lshl_add_u64 v[118:119], v[6:7], 3, s[0:1]
	v_add_u32_e32 v6, s5, v6
	v_ashrrev_i32_e32 v7, 31, v6
	v_lshl_add_u64 v[120:121], v[6:7], 3, s[0:1]
	;; [unrolled: 3-line block ×25, first 2 shown]
	s_waitcnt vmcnt(0) lgkmcnt(0)
	scratch_store_dwordx2 off, v[4:5], off
	flat_load_dwordx2 v[4:5], v[116:117]
	v_add_u32_e32 v6, s5, v6
	v_ashrrev_i32_e32 v7, 31, v6
	v_lshl_add_u64 v[168:169], v[6:7], 3, s[0:1]
	v_add_u32_e32 v6, s5, v6
	v_ashrrev_i32_e32 v7, 31, v6
	v_lshl_add_u64 v[170:171], v[6:7], 3, s[0:1]
	;; [unrolled: 3-line block ×11, first 2 shown]
	s_bitcmp0_b32 s14, 0
	s_mov_b64 s[4:5], -1
	s_waitcnt vmcnt(0) lgkmcnt(0)
	scratch_store_dwordx2 off, v[4:5], off offset:8
	flat_load_dwordx2 v[4:5], v[118:119]
	s_waitcnt vmcnt(0) lgkmcnt(0)
	scratch_store_dwordx2 off, v[4:5], off offset:16
	flat_load_dwordx2 v[4:5], v[120:121]
	s_waitcnt vmcnt(0) lgkmcnt(0)
	scratch_store_dwordx2 off, v[4:5], off offset:24
	flat_load_dwordx2 v[4:5], v[122:123]
	s_waitcnt vmcnt(0) lgkmcnt(0)
	scratch_store_dwordx2 off, v[4:5], off offset:32
	flat_load_dwordx2 v[4:5], v[124:125]
	s_waitcnt vmcnt(0) lgkmcnt(0)
	scratch_store_dwordx2 off, v[4:5], off offset:40
	flat_load_dwordx2 v[4:5], v[126:127]
	s_waitcnt vmcnt(0) lgkmcnt(0)
	scratch_store_dwordx2 off, v[4:5], off offset:48
	flat_load_dwordx2 v[4:5], v[128:129]
	s_waitcnt vmcnt(0) lgkmcnt(0)
	scratch_store_dwordx2 off, v[4:5], off offset:56
	flat_load_dwordx2 v[4:5], v[130:131]
	s_waitcnt vmcnt(0) lgkmcnt(0)
	scratch_store_dwordx2 off, v[4:5], off offset:64
	flat_load_dwordx2 v[4:5], v[132:133]
	s_waitcnt vmcnt(0) lgkmcnt(0)
	scratch_store_dwordx2 off, v[4:5], off offset:72
	flat_load_dwordx2 v[4:5], v[134:135]
	s_waitcnt vmcnt(0) lgkmcnt(0)
	scratch_store_dwordx2 off, v[4:5], off offset:80
	flat_load_dwordx2 v[4:5], v[136:137]
	s_waitcnt vmcnt(0) lgkmcnt(0)
	scratch_store_dwordx2 off, v[4:5], off offset:88
	flat_load_dwordx2 v[4:5], v[138:139]
	s_waitcnt vmcnt(0) lgkmcnt(0)
	scratch_store_dwordx2 off, v[4:5], off offset:96
	flat_load_dwordx2 v[4:5], v[140:141]
	s_waitcnt vmcnt(0) lgkmcnt(0)
	scratch_store_dwordx2 off, v[4:5], off offset:104
	flat_load_dwordx2 v[4:5], v[142:143]
	s_waitcnt vmcnt(0) lgkmcnt(0)
	scratch_store_dwordx2 off, v[4:5], off offset:112
	flat_load_dwordx2 v[4:5], v[144:145]
	s_waitcnt vmcnt(0) lgkmcnt(0)
	scratch_store_dwordx2 off, v[4:5], off offset:120
	flat_load_dwordx2 v[4:5], v[146:147]
	s_waitcnt vmcnt(0) lgkmcnt(0)
	scratch_store_dwordx2 off, v[4:5], off offset:128
	flat_load_dwordx2 v[4:5], v[148:149]
	s_waitcnt vmcnt(0) lgkmcnt(0)
	scratch_store_dwordx2 off, v[4:5], off offset:136
	flat_load_dwordx2 v[4:5], v[150:151]
	s_waitcnt vmcnt(0) lgkmcnt(0)
	scratch_store_dwordx2 off, v[4:5], off offset:144
	flat_load_dwordx2 v[4:5], v[152:153]
	s_waitcnt vmcnt(0) lgkmcnt(0)
	scratch_store_dwordx2 off, v[4:5], off offset:152
	flat_load_dwordx2 v[4:5], v[154:155]
	s_waitcnt vmcnt(0) lgkmcnt(0)
	scratch_store_dwordx2 off, v[4:5], off offset:160
	flat_load_dwordx2 v[4:5], v[156:157]
	s_waitcnt vmcnt(0) lgkmcnt(0)
	scratch_store_dwordx2 off, v[4:5], off offset:168
	flat_load_dwordx2 v[4:5], v[158:159]
	s_waitcnt vmcnt(0) lgkmcnt(0)
	scratch_store_dwordx2 off, v[4:5], off offset:176
	flat_load_dwordx2 v[4:5], v[160:161]
	s_waitcnt vmcnt(0) lgkmcnt(0)
	scratch_store_dwordx2 off, v[4:5], off offset:184
	flat_load_dwordx2 v[4:5], v[162:163]
	s_waitcnt vmcnt(0) lgkmcnt(0)
	scratch_store_dwordx2 off, v[4:5], off offset:192
	flat_load_dwordx2 v[4:5], v[164:165]
	s_waitcnt vmcnt(0) lgkmcnt(0)
	scratch_store_dwordx2 off, v[4:5], off offset:200
	flat_load_dwordx2 v[4:5], v[166:167]
	s_waitcnt vmcnt(0) lgkmcnt(0)
	scratch_store_dwordx2 off, v[4:5], off offset:208
	flat_load_dwordx2 v[4:5], v[168:169]
	s_waitcnt vmcnt(0) lgkmcnt(0)
	scratch_store_dwordx2 off, v[4:5], off offset:216
	flat_load_dwordx2 v[4:5], v[170:171]
	s_waitcnt vmcnt(0) lgkmcnt(0)
	scratch_store_dwordx2 off, v[4:5], off offset:224
	flat_load_dwordx2 v[4:5], v[172:173]
	s_waitcnt vmcnt(0) lgkmcnt(0)
	scratch_store_dwordx2 off, v[4:5], off offset:232
	flat_load_dwordx2 v[4:5], v[174:175]
	s_waitcnt vmcnt(0) lgkmcnt(0)
	scratch_store_dwordx2 off, v[4:5], off offset:240
	flat_load_dwordx2 v[4:5], v[176:177]
	s_waitcnt vmcnt(0) lgkmcnt(0)
	scratch_store_dwordx2 off, v[4:5], off offset:248
	flat_load_dwordx2 v[4:5], v[178:179]
	s_waitcnt vmcnt(0) lgkmcnt(0)
	scratch_store_dwordx2 off, v[4:5], off offset:256
	flat_load_dwordx2 v[4:5], v[180:181]
	s_waitcnt vmcnt(0) lgkmcnt(0)
	scratch_store_dwordx2 off, v[4:5], off offset:264
	flat_load_dwordx2 v[4:5], v[182:183]
	s_waitcnt vmcnt(0) lgkmcnt(0)
	scratch_store_dwordx2 off, v[4:5], off offset:272
	flat_load_dwordx2 v[4:5], v[184:185]
	s_waitcnt vmcnt(0) lgkmcnt(0)
	scratch_store_dwordx2 off, v[4:5], off offset:280
	flat_load_dwordx2 v[4:5], v[186:187]
	s_waitcnt vmcnt(0) lgkmcnt(0)
	scratch_store_dwordx2 off, v[4:5], off offset:288
	flat_load_dwordx2 v[4:5], v[188:189]
	s_waitcnt vmcnt(0) lgkmcnt(0)
	scratch_store_dwordx2 off, v[4:5], off offset:296
	s_cbranch_scc1 .LBB101_164
; %bb.4:
	v_cmp_eq_u32_e64 s[0:1], 0, v0
	s_and_saveexec_b64 s[4:5], s[0:1]
; %bb.5:
	v_mov_b32_e32 v1, 0
	ds_write_b32 v1, v1 offset:608
; %bb.6:
	s_or_b64 exec, exec, s[4:5]
	s_waitcnt lgkmcnt(0)
	; wave barrier
	scratch_load_dwordx2 v[4:5], v2, off
	s_waitcnt vmcnt(0)
	v_cmp_eq_f32_e32 vcc, 0, v4
	v_cmp_eq_f32_e64 s[4:5], 0, v5
	s_and_b64 s[4:5], vcc, s[4:5]
	s_and_saveexec_b64 s[12:13], s[4:5]
	s_cbranch_execz .LBB101_10
; %bb.7:
	v_mov_b32_e32 v1, 0
	ds_read_b32 v4, v1 offset:608
	v_add_u32_e32 v3, 1, v0
	s_waitcnt lgkmcnt(0)
	v_readfirstlane_b32 s4, v4
	s_cmp_eq_u32 s4, 0
	s_cselect_b64 s[14:15], -1, 0
	v_cmp_gt_i32_e32 vcc, s4, v3
	s_or_b64 s[14:15], s[14:15], vcc
	s_and_b64 exec, exec, s[14:15]
	s_cbranch_execz .LBB101_10
; %bb.8:
	s_mov_b64 s[14:15], 0
	v_mov_b32_e32 v4, s4
.LBB101_9:                              ; =>This Inner Loop Header: Depth=1
	ds_cmpst_rtn_b32 v4, v1, v4, v3 offset:608
	s_waitcnt lgkmcnt(0)
	v_cmp_ne_u32_e32 vcc, 0, v4
	v_cmp_le_i32_e64 s[4:5], v4, v3
	s_and_b64 s[4:5], vcc, s[4:5]
	s_and_b64 s[4:5], exec, s[4:5]
	s_or_b64 s[14:15], s[4:5], s[14:15]
	s_andn2_b64 exec, exec, s[14:15]
	s_cbranch_execnz .LBB101_9
.LBB101_10:
	s_or_b64 exec, exec, s[12:13]
	v_mov_b32_e32 v3, 0
	; wave barrier
	ds_read_b32 v1, v3 offset:608
	s_and_saveexec_b64 s[4:5], s[0:1]
	s_cbranch_execz .LBB101_12
; %bb.11:
	s_lshl_b64 s[12:13], s[2:3], 2
	s_add_u32 s12, s6, s12
	s_addc_u32 s13, s7, s13
	s_waitcnt lgkmcnt(0)
	global_store_dword v3, v1, s[12:13]
.LBB101_12:
	s_or_b64 exec, exec, s[4:5]
	s_waitcnt lgkmcnt(0)
	v_cmp_ne_u32_e32 vcc, 0, v1
	s_mov_b64 s[4:5], 0
	s_cbranch_vccnz .LBB101_164
; %bb.13:
	v_mov_b32_e32 v3, v2
	scratch_load_dwordx2 v[4:5], v3, off
                                        ; implicit-def: $vgpr7
                                        ; implicit-def: $vgpr8
	s_waitcnt vmcnt(0)
	v_cmp_ngt_f32_e64 s[4:5], |v4|, |v5|
	s_and_saveexec_b64 s[12:13], s[4:5]
	s_xor_b64 s[4:5], exec, s[12:13]
	s_cbranch_execz .LBB101_15
; %bb.14:
	v_div_scale_f32 v1, s[12:13], v5, v5, v4
	v_rcp_f32_e32 v6, v1
	v_div_scale_f32 v7, vcc, v4, v5, v4
	v_fma_f32 v8, -v1, v6, 1.0
	v_fmac_f32_e32 v6, v8, v6
	v_mul_f32_e32 v8, v7, v6
	v_fma_f32 v9, -v1, v8, v7
	v_fmac_f32_e32 v8, v9, v6
	v_fma_f32 v1, -v1, v8, v7
	v_div_fmas_f32 v1, v1, v6, v8
	v_div_fixup_f32 v1, v1, v5, v4
	v_fmac_f32_e32 v5, v4, v1
	v_div_scale_f32 v4, s[12:13], v5, v5, -1.0
	v_rcp_f32_e32 v6, v4
	s_nop 0
	v_fma_f32 v7, -v4, v6, 1.0
	v_fmac_f32_e32 v6, v7, v6
	v_div_scale_f32 v7, vcc, -1.0, v5, -1.0
	v_mul_f32_e32 v8, v7, v6
	v_fma_f32 v9, -v4, v8, v7
	v_fmac_f32_e32 v8, v9, v6
	v_fma_f32 v4, -v4, v8, v7
	v_div_fmas_f32 v4, v4, v6, v8
	v_div_fixup_f32 v7, v4, v5, -1.0
	v_mul_f32_e32 v8, v1, v7
	v_xor_b32_e32 v6, 0x80000000, v8
                                        ; implicit-def: $vgpr4_vgpr5
.LBB101_15:
	s_andn2_saveexec_b64 s[4:5], s[4:5]
	s_cbranch_execz .LBB101_17
; %bb.16:
	v_div_scale_f32 v1, s[12:13], v4, v4, v5
	v_rcp_f32_e32 v6, v1
	v_div_scale_f32 v7, vcc, v5, v4, v5
	v_fma_f32 v8, -v1, v6, 1.0
	v_fmac_f32_e32 v6, v8, v6
	v_mul_f32_e32 v8, v7, v6
	v_fma_f32 v9, -v1, v8, v7
	v_fmac_f32_e32 v8, v9, v6
	v_fma_f32 v1, -v1, v8, v7
	v_div_fmas_f32 v1, v1, v6, v8
	v_div_fixup_f32 v1, v1, v4, v5
	v_fmac_f32_e32 v4, v5, v1
	v_div_scale_f32 v5, s[12:13], v4, v4, 1.0
	v_rcp_f32_e32 v6, v5
	s_nop 0
	v_fma_f32 v7, -v5, v6, 1.0
	v_fmac_f32_e32 v6, v7, v6
	v_div_scale_f32 v7, vcc, 1.0, v4, 1.0
	v_mul_f32_e32 v8, v7, v6
	v_fma_f32 v9, -v5, v8, v7
	v_fmac_f32_e32 v8, v9, v6
	v_fma_f32 v5, -v5, v8, v7
	v_div_fmas_f32 v5, v5, v6, v8
	v_div_fixup_f32 v6, v5, v4, 1.0
	v_xor_b32_e32 v8, 0x80000000, v6
	v_mul_f32_e64 v7, v1, -v6
.LBB101_17:
	s_or_b64 exec, exec, s[4:5]
	scratch_store_dwordx2 v3, v[6:7], off
	scratch_load_dwordx2 v[4:5], off, off offset:8
	v_xor_b32_e32 v9, 0x80000000, v7
	v_add_u32_e32 v1, 0x130, v2
	s_waitcnt vmcnt(0)
	ds_write2_b64 v2, v[8:9], v[4:5] offset1:38
	s_waitcnt lgkmcnt(0)
	; wave barrier
	s_and_saveexec_b64 s[4:5], s[0:1]
	s_cbranch_execz .LBB101_19
; %bb.18:
	scratch_load_dwordx2 v[4:5], v3, off
	ds_read_b64 v[6:7], v1
	v_mov_b32_e32 v8, 0
	ds_read_b64 v[8:9], v8 offset:8
	s_waitcnt vmcnt(0) lgkmcnt(1)
	v_pk_mul_f32 v[10:11], v[6:7], v[4:5] op_sel:[1,1] op_sel_hi:[0,1]
	v_pk_fma_f32 v[12:13], v[6:7], v[4:5], v[10:11] neg_lo:[0,0,1] neg_hi:[0,0,1]
	v_pk_fma_f32 v[4:5], v[6:7], v[4:5], v[10:11] op_sel_hi:[1,0,1]
	s_nop 0
	v_mov_b32_e32 v13, v5
	v_pk_add_f32 v[4:5], v[12:13], 0 op_sel_hi:[1,0]
	s_waitcnt lgkmcnt(0)
	v_pk_mul_f32 v[6:7], v[4:5], v[8:9] op_sel:[1,1] op_sel_hi:[0,1]
	v_pk_fma_f32 v[10:11], v[4:5], v[8:9], v[6:7] neg_lo:[0,0,1] neg_hi:[0,0,1]
	v_pk_fma_f32 v[4:5], v[4:5], v[8:9], v[6:7] op_sel_hi:[1,0,1]
	s_nop 0
	v_mov_b32_e32 v11, v5
	scratch_store_dwordx2 off, v[10:11], off offset:8
.LBB101_19:
	s_or_b64 exec, exec, s[4:5]
	; wave barrier
	scratch_load_dwordx2 v[4:5], off, off offset:16
	v_cmp_gt_u32_e32 vcc, 2, v0
	s_waitcnt vmcnt(0)
	ds_write_b64 v1, v[4:5]
	s_waitcnt lgkmcnt(0)
	; wave barrier
	s_and_saveexec_b64 s[4:5], vcc
	s_cbranch_execz .LBB101_23
; %bb.20:
	scratch_load_dwordx2 v[4:5], v3, off
	ds_read_b64 v[6:7], v1
	s_waitcnt vmcnt(0) lgkmcnt(0)
	v_pk_mul_f32 v[8:9], v[6:7], v[4:5] op_sel:[1,1] op_sel_hi:[0,1]
	v_pk_fma_f32 v[10:11], v[6:7], v[4:5], v[8:9] neg_lo:[0,0,1] neg_hi:[0,0,1]
	v_pk_fma_f32 v[4:5], v[6:7], v[4:5], v[8:9] op_sel_hi:[1,0,1]
	s_nop 0
	v_mov_b32_e32 v11, v5
	v_pk_add_f32 v[4:5], v[10:11], 0 op_sel_hi:[1,0]
	s_and_saveexec_b64 s[12:13], s[0:1]
	s_cbranch_execz .LBB101_22
; %bb.21:
	scratch_load_dwordx2 v[6:7], off, off offset:8
	v_mov_b32_e32 v3, 0
	ds_read_b64 v[8:9], v3 offset:312
	s_waitcnt vmcnt(0) lgkmcnt(0)
	v_pk_mul_f32 v[10:11], v[8:9], v[6:7] op_sel:[1,1] op_sel_hi:[0,1]
	v_pk_fma_f32 v[12:13], v[8:9], v[6:7], v[10:11] neg_lo:[0,0,1] neg_hi:[0,0,1]
	v_pk_fma_f32 v[6:7], v[8:9], v[6:7], v[10:11] op_sel_hi:[1,0,1]
	s_nop 0
	v_mov_b32_e32 v13, v7
	v_pk_add_f32 v[4:5], v[4:5], v[12:13]
.LBB101_22:
	s_or_b64 exec, exec, s[12:13]
	v_mov_b32_e32 v3, 0
	ds_read_b64 v[6:7], v3 offset:16
	s_waitcnt lgkmcnt(0)
	v_pk_mul_f32 v[8:9], v[4:5], v[6:7] op_sel:[1,1] op_sel_hi:[0,1]
	v_pk_fma_f32 v[10:11], v[4:5], v[6:7], v[8:9] neg_lo:[0,0,1] neg_hi:[0,0,1]
	v_pk_fma_f32 v[4:5], v[4:5], v[6:7], v[8:9] op_sel_hi:[1,0,1]
	s_nop 0
	v_mov_b32_e32 v11, v5
	scratch_store_dwordx2 off, v[10:11], off offset:16
.LBB101_23:
	s_or_b64 exec, exec, s[4:5]
	; wave barrier
	scratch_load_dwordx2 v[4:5], off, off offset:24
	v_cmp_gt_u32_e32 vcc, 3, v0
	v_add_u32_e32 v6, -1, v0
	s_waitcnt vmcnt(0)
	ds_write_b64 v1, v[4:5]
	s_waitcnt lgkmcnt(0)
	; wave barrier
	s_and_saveexec_b64 s[0:1], vcc
	s_cbranch_execz .LBB101_27
; %bb.24:
	v_mov_b32_e32 v4, 0
	v_add_u32_e32 v3, -1, v0
	v_add_u32_e32 v7, 0x130, v2
	v_mov_b32_e32 v8, v2
	s_mov_b64 s[4:5], 0
	v_mov_b32_e32 v5, v4
.LBB101_25:                             ; =>This Inner Loop Header: Depth=1
	scratch_load_dwordx2 v[10:11], v8, off
	ds_read_b64 v[12:13], v7
	v_add_u32_e32 v3, 1, v3
	v_cmp_lt_u32_e32 vcc, 1, v3
	v_add_u32_e32 v7, 8, v7
	v_add_u32_e32 v8, 8, v8
	s_or_b64 s[4:5], vcc, s[4:5]
	s_waitcnt vmcnt(0) lgkmcnt(0)
	v_pk_mul_f32 v[14:15], v[12:13], v[10:11] op_sel:[1,1] op_sel_hi:[0,1]
	v_pk_fma_f32 v[16:17], v[12:13], v[10:11], v[14:15] neg_lo:[0,0,1] neg_hi:[0,0,1]
	v_pk_fma_f32 v[10:11], v[12:13], v[10:11], v[14:15] op_sel_hi:[1,0,1]
	s_nop 0
	v_mov_b32_e32 v17, v11
	v_pk_add_f32 v[4:5], v[4:5], v[16:17]
	s_andn2_b64 exec, exec, s[4:5]
	s_cbranch_execnz .LBB101_25
; %bb.26:
	s_or_b64 exec, exec, s[4:5]
	v_mov_b32_e32 v3, 0
	ds_read_b64 v[8:9], v3 offset:24
	s_waitcnt lgkmcnt(0)
	v_pk_mul_f32 v[10:11], v[4:5], v[8:9] op_sel:[1,1] op_sel_hi:[0,1]
	v_pk_fma_f32 v[12:13], v[4:5], v[8:9], v[10:11] neg_lo:[0,0,1] neg_hi:[0,0,1]
	v_pk_fma_f32 v[4:5], v[4:5], v[8:9], v[10:11] op_sel_hi:[1,0,1]
	s_nop 0
	v_mov_b32_e32 v13, v5
	scratch_store_dwordx2 off, v[12:13], off offset:24
.LBB101_27:
	s_or_b64 exec, exec, s[0:1]
	; wave barrier
	scratch_load_dwordx2 v[4:5], off, off offset:32
	v_cmp_gt_u32_e32 vcc, 4, v0
	s_waitcnt vmcnt(0)
	ds_write_b64 v1, v[4:5]
	s_waitcnt lgkmcnt(0)
	; wave barrier
	s_and_saveexec_b64 s[0:1], vcc
	s_cbranch_execz .LBB101_31
; %bb.28:
	v_mov_b32_e32 v4, 0
	v_add_u32_e32 v3, -1, v0
	v_add_u32_e32 v7, 0x130, v2
	v_mov_b32_e32 v8, v2
	s_mov_b64 s[4:5], 0
	v_mov_b32_e32 v5, v4
.LBB101_29:                             ; =>This Inner Loop Header: Depth=1
	scratch_load_dwordx2 v[10:11], v8, off
	ds_read_b64 v[12:13], v7
	v_add_u32_e32 v3, 1, v3
	v_cmp_lt_u32_e32 vcc, 2, v3
	v_add_u32_e32 v7, 8, v7
	v_add_u32_e32 v8, 8, v8
	s_or_b64 s[4:5], vcc, s[4:5]
	s_waitcnt vmcnt(0) lgkmcnt(0)
	v_pk_mul_f32 v[14:15], v[12:13], v[10:11] op_sel:[1,1] op_sel_hi:[0,1]
	v_pk_fma_f32 v[16:17], v[12:13], v[10:11], v[14:15] neg_lo:[0,0,1] neg_hi:[0,0,1]
	v_pk_fma_f32 v[10:11], v[12:13], v[10:11], v[14:15] op_sel_hi:[1,0,1]
	s_nop 0
	v_mov_b32_e32 v17, v11
	v_pk_add_f32 v[4:5], v[4:5], v[16:17]
	s_andn2_b64 exec, exec, s[4:5]
	s_cbranch_execnz .LBB101_29
; %bb.30:
	s_or_b64 exec, exec, s[4:5]
	v_mov_b32_e32 v3, 0
	ds_read_b64 v[8:9], v3 offset:32
	s_waitcnt lgkmcnt(0)
	v_pk_mul_f32 v[10:11], v[4:5], v[8:9] op_sel:[1,1] op_sel_hi:[0,1]
	v_pk_fma_f32 v[12:13], v[4:5], v[8:9], v[10:11] neg_lo:[0,0,1] neg_hi:[0,0,1]
	v_pk_fma_f32 v[4:5], v[4:5], v[8:9], v[10:11] op_sel_hi:[1,0,1]
	s_nop 0
	v_mov_b32_e32 v13, v5
	scratch_store_dwordx2 off, v[12:13], off offset:32
.LBB101_31:
	s_or_b64 exec, exec, s[0:1]
	; wave barrier
	scratch_load_dwordx2 v[4:5], off, off offset:40
	v_cmp_gt_u32_e32 vcc, 5, v0
	;; [unrolled: 46-line block ×19, first 2 shown]
	s_waitcnt vmcnt(0)
	ds_write_b64 v1, v[4:5]
	s_waitcnt lgkmcnt(0)
	; wave barrier
	s_and_saveexec_b64 s[0:1], vcc
	s_cbranch_execz .LBB101_103
; %bb.100:
	v_mov_b32_e32 v4, 0
	v_add_u32_e32 v3, -1, v0
	v_add_u32_e32 v7, 0x130, v2
	v_mov_b32_e32 v8, v2
	s_mov_b64 s[4:5], 0
	v_mov_b32_e32 v5, v4
.LBB101_101:                            ; =>This Inner Loop Header: Depth=1
	scratch_load_dwordx2 v[10:11], v8, off
	ds_read_b64 v[12:13], v7
	v_add_u32_e32 v3, 1, v3
	v_cmp_lt_u32_e32 vcc, 20, v3
	v_add_u32_e32 v7, 8, v7
	v_add_u32_e32 v8, 8, v8
	s_or_b64 s[4:5], vcc, s[4:5]
	s_waitcnt vmcnt(0) lgkmcnt(0)
	v_pk_mul_f32 v[14:15], v[12:13], v[10:11] op_sel:[1,1] op_sel_hi:[0,1]
	v_pk_fma_f32 v[16:17], v[12:13], v[10:11], v[14:15] neg_lo:[0,0,1] neg_hi:[0,0,1]
	v_pk_fma_f32 v[10:11], v[12:13], v[10:11], v[14:15] op_sel_hi:[1,0,1]
	s_nop 0
	v_mov_b32_e32 v17, v11
	v_pk_add_f32 v[4:5], v[4:5], v[16:17]
	s_andn2_b64 exec, exec, s[4:5]
	s_cbranch_execnz .LBB101_101
; %bb.102:
	s_or_b64 exec, exec, s[4:5]
	v_mov_b32_e32 v3, 0
	ds_read_b64 v[8:9], v3 offset:176
	s_waitcnt lgkmcnt(0)
	v_pk_mul_f32 v[10:11], v[4:5], v[8:9] op_sel:[1,1] op_sel_hi:[0,1]
	v_pk_fma_f32 v[12:13], v[4:5], v[8:9], v[10:11] neg_lo:[0,0,1] neg_hi:[0,0,1]
	v_pk_fma_f32 v[4:5], v[4:5], v[8:9], v[10:11] op_sel_hi:[1,0,1]
	s_nop 0
	v_mov_b32_e32 v13, v5
	scratch_store_dwordx2 off, v[12:13], off offset:176
.LBB101_103:
	s_or_b64 exec, exec, s[0:1]
	; wave barrier
	scratch_load_dwordx2 v[4:5], off, off offset:184
	v_cmp_gt_u32_e32 vcc, 23, v0
	s_waitcnt vmcnt(0)
	ds_write_b64 v1, v[4:5]
	s_waitcnt lgkmcnt(0)
	; wave barrier
	s_and_saveexec_b64 s[0:1], vcc
	s_cbranch_execz .LBB101_107
; %bb.104:
	v_mov_b32_e32 v4, 0
	v_add_u32_e32 v3, -1, v0
	v_add_u32_e32 v7, 0x130, v2
	v_mov_b32_e32 v8, v2
	s_mov_b64 s[4:5], 0
	v_mov_b32_e32 v5, v4
.LBB101_105:                            ; =>This Inner Loop Header: Depth=1
	scratch_load_dwordx2 v[10:11], v8, off
	ds_read_b64 v[12:13], v7
	v_add_u32_e32 v3, 1, v3
	v_cmp_lt_u32_e32 vcc, 21, v3
	v_add_u32_e32 v7, 8, v7
	v_add_u32_e32 v8, 8, v8
	s_or_b64 s[4:5], vcc, s[4:5]
	s_waitcnt vmcnt(0) lgkmcnt(0)
	v_pk_mul_f32 v[14:15], v[12:13], v[10:11] op_sel:[1,1] op_sel_hi:[0,1]
	v_pk_fma_f32 v[16:17], v[12:13], v[10:11], v[14:15] neg_lo:[0,0,1] neg_hi:[0,0,1]
	v_pk_fma_f32 v[10:11], v[12:13], v[10:11], v[14:15] op_sel_hi:[1,0,1]
	s_nop 0
	v_mov_b32_e32 v17, v11
	v_pk_add_f32 v[4:5], v[4:5], v[16:17]
	s_andn2_b64 exec, exec, s[4:5]
	s_cbranch_execnz .LBB101_105
; %bb.106:
	s_or_b64 exec, exec, s[4:5]
	v_mov_b32_e32 v3, 0
	ds_read_b64 v[8:9], v3 offset:184
	s_waitcnt lgkmcnt(0)
	v_pk_mul_f32 v[10:11], v[4:5], v[8:9] op_sel:[1,1] op_sel_hi:[0,1]
	v_pk_fma_f32 v[12:13], v[4:5], v[8:9], v[10:11] neg_lo:[0,0,1] neg_hi:[0,0,1]
	v_pk_fma_f32 v[4:5], v[4:5], v[8:9], v[10:11] op_sel_hi:[1,0,1]
	s_nop 0
	v_mov_b32_e32 v13, v5
	scratch_store_dwordx2 off, v[12:13], off offset:184
.LBB101_107:
	s_or_b64 exec, exec, s[0:1]
	; wave barrier
	scratch_load_dwordx2 v[4:5], off, off offset:192
	v_cmp_gt_u32_e32 vcc, 24, v0
	;; [unrolled: 46-line block ×14, first 2 shown]
	s_waitcnt vmcnt(0)
	ds_write_b64 v1, v[4:5]
	s_waitcnt lgkmcnt(0)
	; wave barrier
	s_and_saveexec_b64 s[0:1], vcc
	s_cbranch_execz .LBB101_159
; %bb.156:
	v_mov_b32_e32 v4, 0
	v_add_u32_e32 v3, -1, v0
	v_add_u32_e32 v7, 0x130, v2
	v_mov_b32_e32 v8, v2
	s_mov_b64 s[4:5], 0
	v_mov_b32_e32 v5, v4
.LBB101_157:                            ; =>This Inner Loop Header: Depth=1
	scratch_load_dwordx2 v[10:11], v8, off
	ds_read_b64 v[12:13], v7
	v_add_u32_e32 v3, 1, v3
	v_cmp_lt_u32_e32 vcc, 34, v3
	v_add_u32_e32 v7, 8, v7
	v_add_u32_e32 v8, 8, v8
	s_or_b64 s[4:5], vcc, s[4:5]
	s_waitcnt vmcnt(0) lgkmcnt(0)
	v_pk_mul_f32 v[14:15], v[12:13], v[10:11] op_sel:[1,1] op_sel_hi:[0,1]
	v_pk_fma_f32 v[16:17], v[12:13], v[10:11], v[14:15] neg_lo:[0,0,1] neg_hi:[0,0,1]
	v_pk_fma_f32 v[10:11], v[12:13], v[10:11], v[14:15] op_sel_hi:[1,0,1]
	s_nop 0
	v_mov_b32_e32 v17, v11
	v_pk_add_f32 v[4:5], v[4:5], v[16:17]
	s_andn2_b64 exec, exec, s[4:5]
	s_cbranch_execnz .LBB101_157
; %bb.158:
	s_or_b64 exec, exec, s[4:5]
	v_mov_b32_e32 v3, 0
	ds_read_b64 v[8:9], v3 offset:288
	s_waitcnt lgkmcnt(0)
	v_pk_mul_f32 v[10:11], v[4:5], v[8:9] op_sel:[1,1] op_sel_hi:[0,1]
	v_pk_fma_f32 v[12:13], v[4:5], v[8:9], v[10:11] neg_lo:[0,0,1] neg_hi:[0,0,1]
	v_pk_fma_f32 v[4:5], v[4:5], v[8:9], v[10:11] op_sel_hi:[1,0,1]
	s_nop 0
	v_mov_b32_e32 v13, v5
	scratch_store_dwordx2 off, v[12:13], off offset:288
.LBB101_159:
	s_or_b64 exec, exec, s[0:1]
	; wave barrier
	scratch_load_dwordx2 v[4:5], off, off offset:296
	v_cmp_ne_u32_e32 vcc, 37, v0
	s_waitcnt vmcnt(0)
	ds_write_b64 v1, v[4:5]
	s_waitcnt lgkmcnt(0)
	; wave barrier
	s_and_saveexec_b64 s[0:1], vcc
	s_cbranch_execz .LBB101_163
; %bb.160:
	v_add_u32_e32 v1, 0x130, v2
	v_mov_b32_e32 v4, v2
	v_mov_b32_e32 v2, 0
	s_mov_b64 s[4:5], 0
	v_mov_b32_e32 v3, v2
.LBB101_161:                            ; =>This Inner Loop Header: Depth=1
	scratch_load_dwordx2 v[8:9], v4, off
	ds_read_b64 v[10:11], v1
	v_add_u32_e32 v6, 1, v6
	v_cmp_lt_u32_e32 vcc, 35, v6
	v_add_u32_e32 v1, 8, v1
	v_add_u32_e32 v4, 8, v4
	s_or_b64 s[4:5], vcc, s[4:5]
	s_waitcnt vmcnt(0) lgkmcnt(0)
	v_pk_mul_f32 v[12:13], v[10:11], v[8:9] op_sel:[1,1] op_sel_hi:[0,1]
	v_pk_fma_f32 v[14:15], v[10:11], v[8:9], v[12:13] neg_lo:[0,0,1] neg_hi:[0,0,1]
	v_pk_fma_f32 v[8:9], v[10:11], v[8:9], v[12:13] op_sel_hi:[1,0,1]
	s_nop 0
	v_mov_b32_e32 v15, v9
	v_pk_add_f32 v[2:3], v[2:3], v[14:15]
	s_andn2_b64 exec, exec, s[4:5]
	s_cbranch_execnz .LBB101_161
; %bb.162:
	s_or_b64 exec, exec, s[4:5]
	v_mov_b32_e32 v1, 0
	ds_read_b64 v[4:5], v1 offset:296
	s_waitcnt lgkmcnt(0)
	v_pk_mul_f32 v[6:7], v[2:3], v[4:5] op_sel:[1,1] op_sel_hi:[0,1]
	v_pk_fma_f32 v[8:9], v[2:3], v[4:5], v[6:7] neg_lo:[0,0,1] neg_hi:[0,0,1]
	v_pk_fma_f32 v[2:3], v[2:3], v[4:5], v[6:7] op_sel_hi:[1,0,1]
	s_nop 0
	v_mov_b32_e32 v9, v3
	scratch_store_dwordx2 off, v[8:9], off offset:296
.LBB101_163:
	s_or_b64 exec, exec, s[0:1]
	s_mov_b64 s[4:5], -1
	; wave barrier
.LBB101_164:
	s_and_b64 vcc, exec, s[4:5]
	s_cbranch_vccz .LBB101_166
; %bb.165:
	s_lshl_b64 s[0:1], s[2:3], 2
	s_add_u32 s0, s6, s0
	s_addc_u32 s1, s7, s1
	v_mov_b32_e32 v1, 0
	global_load_dword v1, v1, s[0:1]
	s_waitcnt vmcnt(0)
	v_cmp_ne_u32_e32 vcc, 0, v1
	s_cbranch_vccz .LBB101_167
.LBB101_166:
	s_endpgm
.LBB101_167:
	v_mov_b32_e32 v1, 0x130
	v_lshl_add_u32 v1, v0, 3, v1
	v_cmp_eq_u32_e32 vcc, 37, v0
	s_and_saveexec_b64 s[0:1], vcc
	s_cbranch_execz .LBB101_169
; %bb.168:
	scratch_load_dwordx2 v[2:3], off, off offset:288
	v_mov_b32_e32 v4, 0
	v_mov_b32_e32 v5, v4
	scratch_store_dwordx2 off, v[4:5], off offset:288
	s_waitcnt vmcnt(1)
	ds_write_b64 v1, v[2:3]
.LBB101_169:
	s_or_b64 exec, exec, s[0:1]
	s_waitcnt lgkmcnt(0)
	; wave barrier
	scratch_load_dwordx2 v[4:5], off, off offset:296
	scratch_load_dwordx2 v[6:7], off, off offset:288
	v_mov_b32_e32 v2, 0
	ds_read_b64 v[8:9], v2 offset:600
	v_cmp_lt_u32_e32 vcc, 35, v0
	s_waitcnt vmcnt(1) lgkmcnt(0)
	v_pk_mul_f32 v[10:11], v[8:9], v[4:5] op_sel:[1,1] op_sel_hi:[0,1]
	v_pk_fma_f32 v[12:13], v[8:9], v[4:5], v[10:11] neg_lo:[0,0,1] neg_hi:[0,0,1]
	v_pk_fma_f32 v[4:5], v[8:9], v[4:5], v[10:11] op_sel_hi:[1,0,1]
	s_nop 0
	v_mov_b32_e32 v13, v5
	v_pk_add_f32 v[4:5], v[12:13], 0 op_sel_hi:[1,0]
	s_waitcnt vmcnt(0)
	v_pk_add_f32 v[4:5], v[6:7], v[4:5] neg_lo:[0,1] neg_hi:[0,1]
	scratch_store_dwordx2 off, v[4:5], off offset:288
	s_and_saveexec_b64 s[0:1], vcc
	s_cbranch_execz .LBB101_171
; %bb.170:
	scratch_load_dwordx2 v[4:5], off, off offset:280
	v_mov_b32_e32 v3, v2
	scratch_store_dwordx2 off, v[2:3], off offset:280
	s_waitcnt vmcnt(1)
	ds_write_b64 v1, v[4:5]
.LBB101_171:
	s_or_b64 exec, exec, s[0:1]
	s_waitcnt lgkmcnt(0)
	; wave barrier
	scratch_load_dwordx4 v[4:7], off, off offset:288
	scratch_load_dwordx2 v[12:13], off, off offset:280
	ds_read_b128 v[8:11], v2 offset:592
	v_cmp_lt_u32_e32 vcc, 34, v0
	s_waitcnt vmcnt(1) lgkmcnt(0)
	v_pk_mul_f32 v[2:3], v[8:9], v[4:5] op_sel:[1,1] op_sel_hi:[0,1]
	v_mov_b32_e32 v14, v7
	v_pk_fma_f32 v[16:17], v[8:9], v[4:5], v[2:3] neg_lo:[0,0,1] neg_hi:[0,0,1]
	v_pk_fma_f32 v[2:3], v[8:9], v[4:5], v[2:3] op_sel_hi:[1,0,1]
	v_pk_mul_f32 v[4:5], v[10:11], v[14:15] op_sel:[1,0] op_sel_hi:[0,0]
	v_mov_b32_e32 v17, v3
	v_pk_fma_f32 v[2:3], v[10:11], v[6:7], v[4:5] neg_lo:[0,0,1] neg_hi:[0,0,1]
	v_pk_fma_f32 v[4:5], v[10:11], v[6:7], v[4:5] op_sel_hi:[1,0,1]
	v_pk_add_f32 v[6:7], v[16:17], 0 op_sel_hi:[1,0]
	v_mov_b32_e32 v3, v5
	v_pk_add_f32 v[2:3], v[6:7], v[2:3]
	s_waitcnt vmcnt(0)
	v_pk_add_f32 v[2:3], v[12:13], v[2:3] neg_lo:[0,1] neg_hi:[0,1]
	scratch_store_dwordx2 off, v[2:3], off offset:280
	s_and_saveexec_b64 s[0:1], vcc
	s_cbranch_execz .LBB101_173
; %bb.172:
	scratch_load_dwordx2 v[2:3], off, off offset:272
	v_mov_b32_e32 v4, 0
	v_mov_b32_e32 v5, v4
	scratch_store_dwordx2 off, v[4:5], off offset:272
	s_waitcnt vmcnt(1)
	ds_write_b64 v1, v[2:3]
.LBB101_173:
	s_or_b64 exec, exec, s[0:1]
	s_waitcnt lgkmcnt(0)
	; wave barrier
	scratch_load_dwordx4 v[4:7], off, off offset:280
	scratch_load_dwordx2 v[12:13], off, off offset:296
	scratch_load_dwordx2 v[14:15], off, off offset:272
	v_mov_b32_e32 v2, 0
	ds_read2_b64 v[8:11], v2 offset0:73 offset1:74
	ds_read_b64 v[16:17], v2 offset:600
	v_cmp_lt_u32_e32 vcc, 33, v0
	s_waitcnt vmcnt(2) lgkmcnt(1)
	v_pk_mul_f32 v[18:19], v[8:9], v[4:5] op_sel:[1,1] op_sel_hi:[0,1]
	v_mov_b32_e32 v20, v7
	v_pk_fma_f32 v[24:25], v[8:9], v[4:5], v[18:19] neg_lo:[0,0,1] neg_hi:[0,0,1]
	v_pk_fma_f32 v[4:5], v[8:9], v[4:5], v[18:19] op_sel_hi:[1,0,1]
	v_pk_mul_f32 v[8:9], v[10:11], v[20:21] op_sel:[1,0] op_sel_hi:[0,0]
	s_waitcnt vmcnt(1) lgkmcnt(0)
	v_pk_mul_f32 v[22:23], v[16:17], v[12:13] op_sel:[1,1] op_sel_hi:[0,1]
	v_mov_b32_e32 v25, v5
	v_pk_fma_f32 v[4:5], v[10:11], v[6:7], v[8:9] neg_lo:[0,0,1] neg_hi:[0,0,1]
	v_pk_fma_f32 v[6:7], v[10:11], v[6:7], v[8:9] op_sel_hi:[1,0,1]
	v_pk_fma_f32 v[18:19], v[16:17], v[12:13], v[22:23] neg_lo:[0,0,1] neg_hi:[0,0,1]
	v_pk_fma_f32 v[12:13], v[16:17], v[12:13], v[22:23] op_sel_hi:[1,0,1]
	v_pk_add_f32 v[8:9], v[24:25], 0 op_sel_hi:[1,0]
	v_mov_b32_e32 v5, v7
	v_mov_b32_e32 v19, v13
	v_pk_add_f32 v[4:5], v[8:9], v[4:5]
	s_nop 0
	v_pk_add_f32 v[4:5], v[4:5], v[18:19]
	s_waitcnt vmcnt(0)
	v_pk_add_f32 v[4:5], v[14:15], v[4:5] neg_lo:[0,1] neg_hi:[0,1]
	scratch_store_dwordx2 off, v[4:5], off offset:272
	s_and_saveexec_b64 s[0:1], vcc
	s_cbranch_execz .LBB101_175
; %bb.174:
	scratch_load_dwordx2 v[4:5], off, off offset:264
	v_mov_b32_e32 v3, v2
	scratch_store_dwordx2 off, v[2:3], off offset:264
	s_waitcnt vmcnt(1)
	ds_write_b64 v1, v[4:5]
.LBB101_175:
	s_or_b64 exec, exec, s[0:1]
	s_waitcnt lgkmcnt(0)
	; wave barrier
	scratch_load_dwordx4 v[4:7], off, off offset:272
	scratch_load_dwordx4 v[8:11], off, off offset:288
	scratch_load_dwordx2 v[20:21], off, off offset:264
	ds_read_b128 v[12:15], v2 offset:576
	ds_read_b128 v[16:19], v2 offset:592
	v_cmp_lt_u32_e32 vcc, 32, v0
	s_waitcnt vmcnt(2) lgkmcnt(1)
	v_pk_mul_f32 v[2:3], v[12:13], v[4:5] op_sel:[1,1] op_sel_hi:[0,1]
	v_mov_b32_e32 v22, v7
	s_waitcnt vmcnt(1) lgkmcnt(0)
	v_pk_mul_f32 v[24:25], v[16:17], v[8:9] op_sel:[1,1] op_sel_hi:[0,1]
	v_mov_b32_e32 v26, v11
	v_pk_fma_f32 v[28:29], v[12:13], v[4:5], v[2:3] neg_lo:[0,0,1] neg_hi:[0,0,1]
	v_pk_fma_f32 v[2:3], v[12:13], v[4:5], v[2:3] op_sel_hi:[1,0,1]
	v_pk_mul_f32 v[4:5], v[14:15], v[22:23] op_sel:[1,0] op_sel_hi:[0,0]
	v_pk_fma_f32 v[12:13], v[16:17], v[8:9], v[24:25] neg_lo:[0,0,1] neg_hi:[0,0,1]
	v_pk_fma_f32 v[8:9], v[16:17], v[8:9], v[24:25] op_sel_hi:[1,0,1]
	v_pk_mul_f32 v[16:17], v[18:19], v[26:27] op_sel:[1,0] op_sel_hi:[0,0]
	v_mov_b32_e32 v29, v3
	v_pk_fma_f32 v[2:3], v[14:15], v[6:7], v[4:5] neg_lo:[0,0,1] neg_hi:[0,0,1]
	v_pk_fma_f32 v[4:5], v[14:15], v[6:7], v[4:5] op_sel_hi:[1,0,1]
	v_mov_b32_e32 v13, v9
	v_pk_fma_f32 v[6:7], v[18:19], v[10:11], v[16:17] neg_lo:[0,0,1] neg_hi:[0,0,1]
	v_pk_fma_f32 v[8:9], v[18:19], v[10:11], v[16:17] op_sel_hi:[1,0,1]
	v_pk_add_f32 v[10:11], v[28:29], 0 op_sel_hi:[1,0]
	v_mov_b32_e32 v3, v5
	v_pk_add_f32 v[2:3], v[10:11], v[2:3]
	v_mov_b32_e32 v7, v9
	v_pk_add_f32 v[2:3], v[2:3], v[12:13]
	s_nop 0
	v_pk_add_f32 v[2:3], v[2:3], v[6:7]
	s_waitcnt vmcnt(0)
	v_pk_add_f32 v[2:3], v[20:21], v[2:3] neg_lo:[0,1] neg_hi:[0,1]
	scratch_store_dwordx2 off, v[2:3], off offset:264
	s_and_saveexec_b64 s[0:1], vcc
	s_cbranch_execz .LBB101_177
; %bb.176:
	scratch_load_dwordx2 v[2:3], off, off offset:256
	v_mov_b32_e32 v4, 0
	v_mov_b32_e32 v5, v4
	scratch_store_dwordx2 off, v[4:5], off offset:256
	s_waitcnt vmcnt(1)
	ds_write_b64 v1, v[2:3]
.LBB101_177:
	s_or_b64 exec, exec, s[0:1]
	s_waitcnt lgkmcnt(0)
	; wave barrier
	scratch_load_dwordx4 v[4:7], off, off offset:264
	scratch_load_dwordx4 v[8:11], off, off offset:280
	scratch_load_dwordx2 v[20:21], off, off offset:296
	scratch_load_dwordx2 v[22:23], off, off offset:256
	v_mov_b32_e32 v2, 0
	ds_read2_b64 v[12:15], v2 offset0:71 offset1:72
	ds_read2_b64 v[16:19], v2 offset0:73 offset1:74
	ds_read_b64 v[24:25], v2 offset:600
	v_cmp_lt_u32_e32 vcc, 31, v0
	s_waitcnt vmcnt(3) lgkmcnt(2)
	v_pk_mul_f32 v[26:27], v[12:13], v[4:5] op_sel:[1,1] op_sel_hi:[0,1]
	v_mov_b32_e32 v28, v7
	v_pk_fma_f32 v[36:37], v[12:13], v[4:5], v[26:27] neg_lo:[0,0,1] neg_hi:[0,0,1]
	v_pk_fma_f32 v[4:5], v[12:13], v[4:5], v[26:27] op_sel_hi:[1,0,1]
	v_pk_mul_f32 v[12:13], v[14:15], v[28:29] op_sel:[1,0] op_sel_hi:[0,0]
	s_waitcnt vmcnt(2) lgkmcnt(1)
	v_pk_mul_f32 v[30:31], v[16:17], v[8:9] op_sel:[1,1] op_sel_hi:[0,1]
	v_mov_b32_e32 v32, v11
	v_mov_b32_e32 v37, v5
	v_pk_fma_f32 v[4:5], v[14:15], v[6:7], v[12:13] neg_lo:[0,0,1] neg_hi:[0,0,1]
	v_pk_fma_f32 v[6:7], v[14:15], v[6:7], v[12:13] op_sel_hi:[1,0,1]
	v_pk_fma_f32 v[26:27], v[16:17], v[8:9], v[30:31] neg_lo:[0,0,1] neg_hi:[0,0,1]
	v_pk_fma_f32 v[8:9], v[16:17], v[8:9], v[30:31] op_sel_hi:[1,0,1]
	v_pk_mul_f32 v[16:17], v[18:19], v[32:33] op_sel:[1,0] op_sel_hi:[0,0]
	v_pk_add_f32 v[12:13], v[36:37], 0 op_sel_hi:[1,0]
	v_mov_b32_e32 v5, v7
	s_waitcnt vmcnt(1) lgkmcnt(0)
	v_pk_mul_f32 v[34:35], v[24:25], v[20:21] op_sel:[1,1] op_sel_hi:[0,1]
	v_mov_b32_e32 v27, v9
	v_pk_fma_f32 v[8:9], v[18:19], v[10:11], v[16:17] neg_lo:[0,0,1] neg_hi:[0,0,1]
	v_pk_fma_f32 v[10:11], v[18:19], v[10:11], v[16:17] op_sel_hi:[1,0,1]
	v_pk_add_f32 v[4:5], v[12:13], v[4:5]
	v_pk_fma_f32 v[28:29], v[24:25], v[20:21], v[34:35] neg_lo:[0,0,1] neg_hi:[0,0,1]
	v_pk_fma_f32 v[20:21], v[24:25], v[20:21], v[34:35] op_sel_hi:[1,0,1]
	v_mov_b32_e32 v9, v11
	v_pk_add_f32 v[4:5], v[4:5], v[26:27]
	v_mov_b32_e32 v29, v21
	v_pk_add_f32 v[4:5], v[4:5], v[8:9]
	s_nop 0
	v_pk_add_f32 v[4:5], v[4:5], v[28:29]
	s_waitcnt vmcnt(0)
	v_pk_add_f32 v[4:5], v[22:23], v[4:5] neg_lo:[0,1] neg_hi:[0,1]
	scratch_store_dwordx2 off, v[4:5], off offset:256
	s_and_saveexec_b64 s[0:1], vcc
	s_cbranch_execz .LBB101_179
; %bb.178:
	scratch_load_dwordx2 v[4:5], off, off offset:248
	v_mov_b32_e32 v3, v2
	scratch_store_dwordx2 off, v[2:3], off offset:248
	s_waitcnt vmcnt(1)
	ds_write_b64 v1, v[4:5]
.LBB101_179:
	s_or_b64 exec, exec, s[0:1]
	s_waitcnt lgkmcnt(0)
	; wave barrier
	scratch_load_dwordx4 v[4:7], off, off offset:256
	scratch_load_dwordx4 v[8:11], off, off offset:272
	;; [unrolled: 1-line block ×3, first 2 shown]
	scratch_load_dwordx2 v[28:29], off, off offset:248
	ds_read_b128 v[16:19], v2 offset:560
	ds_read_b128 v[20:23], v2 offset:576
	;; [unrolled: 1-line block ×3, first 2 shown]
	v_cmp_lt_u32_e32 vcc, 30, v0
	s_waitcnt vmcnt(3) lgkmcnt(2)
	v_pk_mul_f32 v[2:3], v[16:17], v[4:5] op_sel:[1,1] op_sel_hi:[0,1]
	v_mov_b32_e32 v30, v7
	s_waitcnt vmcnt(2) lgkmcnt(1)
	v_pk_mul_f32 v[32:33], v[20:21], v[8:9] op_sel:[1,1] op_sel_hi:[0,1]
	v_mov_b32_e32 v34, v11
	;; [unrolled: 3-line block ×3, first 2 shown]
	v_pk_fma_f32 v[40:41], v[16:17], v[4:5], v[2:3] neg_lo:[0,0,1] neg_hi:[0,0,1]
	v_pk_fma_f32 v[2:3], v[16:17], v[4:5], v[2:3] op_sel_hi:[1,0,1]
	v_pk_mul_f32 v[4:5], v[18:19], v[30:31] op_sel:[1,0] op_sel_hi:[0,0]
	v_pk_fma_f32 v[16:17], v[20:21], v[8:9], v[32:33] neg_lo:[0,0,1] neg_hi:[0,0,1]
	v_pk_fma_f32 v[8:9], v[20:21], v[8:9], v[32:33] op_sel_hi:[1,0,1]
	v_pk_mul_f32 v[20:21], v[22:23], v[34:35] op_sel:[1,0] op_sel_hi:[0,0]
	;; [unrolled: 3-line block ×3, first 2 shown]
	v_mov_b32_e32 v41, v3
	v_pk_fma_f32 v[2:3], v[18:19], v[6:7], v[4:5] neg_lo:[0,0,1] neg_hi:[0,0,1]
	v_pk_fma_f32 v[4:5], v[18:19], v[6:7], v[4:5] op_sel_hi:[1,0,1]
	v_mov_b32_e32 v17, v9
	v_pk_fma_f32 v[6:7], v[22:23], v[10:11], v[20:21] neg_lo:[0,0,1] neg_hi:[0,0,1]
	v_pk_fma_f32 v[8:9], v[22:23], v[10:11], v[20:21] op_sel_hi:[1,0,1]
	;; [unrolled: 3-line block ×3, first 2 shown]
	v_pk_add_f32 v[14:15], v[40:41], 0 op_sel_hi:[1,0]
	v_mov_b32_e32 v3, v5
	v_pk_add_f32 v[2:3], v[14:15], v[2:3]
	v_mov_b32_e32 v7, v9
	v_pk_add_f32 v[2:3], v[2:3], v[16:17]
	;; [unrolled: 2-line block ×3, first 2 shown]
	s_nop 0
	v_pk_add_f32 v[2:3], v[2:3], v[30:31]
	s_nop 0
	v_pk_add_f32 v[2:3], v[2:3], v[10:11]
	s_waitcnt vmcnt(0)
	v_pk_add_f32 v[2:3], v[28:29], v[2:3] neg_lo:[0,1] neg_hi:[0,1]
	scratch_store_dwordx2 off, v[2:3], off offset:248
	s_and_saveexec_b64 s[0:1], vcc
	s_cbranch_execz .LBB101_181
; %bb.180:
	scratch_load_dwordx2 v[2:3], off, off offset:240
	v_mov_b32_e32 v4, 0
	v_mov_b32_e32 v5, v4
	scratch_store_dwordx2 off, v[4:5], off offset:240
	s_waitcnt vmcnt(1)
	ds_write_b64 v1, v[2:3]
.LBB101_181:
	s_or_b64 exec, exec, s[0:1]
	s_waitcnt lgkmcnt(0)
	; wave barrier
	scratch_load_dwordx4 v[4:7], off, off offset:248
	scratch_load_dwordx4 v[8:11], off, off offset:264
	;; [unrolled: 1-line block ×3, first 2 shown]
	scratch_load_dwordx2 v[28:29], off, off offset:296
	scratch_load_dwordx2 v[30:31], off, off offset:240
	v_mov_b32_e32 v2, 0
	ds_read2_b64 v[16:19], v2 offset0:69 offset1:70
	ds_read2_b64 v[20:23], v2 offset0:71 offset1:72
	;; [unrolled: 1-line block ×3, first 2 shown]
	ds_read_b64 v[32:33], v2 offset:600
	v_cmp_lt_u32_e32 vcc, 29, v0
	s_waitcnt vmcnt(4) lgkmcnt(3)
	v_pk_mul_f32 v[34:35], v[16:17], v[4:5] op_sel:[1,1] op_sel_hi:[0,1]
	v_mov_b32_e32 v36, v7
	v_pk_fma_f32 v[48:49], v[16:17], v[4:5], v[34:35] neg_lo:[0,0,1] neg_hi:[0,0,1]
	v_pk_fma_f32 v[4:5], v[16:17], v[4:5], v[34:35] op_sel_hi:[1,0,1]
	v_pk_mul_f32 v[16:17], v[18:19], v[36:37] op_sel:[1,0] op_sel_hi:[0,0]
	s_waitcnt vmcnt(3) lgkmcnt(2)
	v_pk_mul_f32 v[38:39], v[20:21], v[8:9] op_sel:[1,1] op_sel_hi:[0,1]
	v_mov_b32_e32 v40, v11
	v_mov_b32_e32 v49, v5
	v_pk_fma_f32 v[4:5], v[18:19], v[6:7], v[16:17] neg_lo:[0,0,1] neg_hi:[0,0,1]
	v_pk_fma_f32 v[6:7], v[18:19], v[6:7], v[16:17] op_sel_hi:[1,0,1]
	v_pk_fma_f32 v[34:35], v[20:21], v[8:9], v[38:39] neg_lo:[0,0,1] neg_hi:[0,0,1]
	v_pk_fma_f32 v[8:9], v[20:21], v[8:9], v[38:39] op_sel_hi:[1,0,1]
	v_pk_mul_f32 v[20:21], v[22:23], v[40:41] op_sel:[1,0] op_sel_hi:[0,0]
	v_pk_add_f32 v[16:17], v[48:49], 0 op_sel_hi:[1,0]
	v_mov_b32_e32 v5, v7
	s_waitcnt vmcnt(2) lgkmcnt(1)
	v_pk_mul_f32 v[42:43], v[24:25], v[12:13] op_sel:[1,1] op_sel_hi:[0,1]
	v_mov_b32_e32 v44, v15
	v_mov_b32_e32 v35, v9
	v_pk_fma_f32 v[8:9], v[22:23], v[10:11], v[20:21] neg_lo:[0,0,1] neg_hi:[0,0,1]
	v_pk_fma_f32 v[10:11], v[22:23], v[10:11], v[20:21] op_sel_hi:[1,0,1]
	v_pk_add_f32 v[4:5], v[16:17], v[4:5]
	v_pk_fma_f32 v[36:37], v[24:25], v[12:13], v[42:43] neg_lo:[0,0,1] neg_hi:[0,0,1]
	v_pk_fma_f32 v[12:13], v[24:25], v[12:13], v[42:43] op_sel_hi:[1,0,1]
	v_pk_mul_f32 v[24:25], v[26:27], v[44:45] op_sel:[1,0] op_sel_hi:[0,0]
	v_mov_b32_e32 v9, v11
	v_pk_add_f32 v[4:5], v[4:5], v[34:35]
	s_waitcnt vmcnt(1) lgkmcnt(0)
	v_pk_mul_f32 v[46:47], v[32:33], v[28:29] op_sel:[1,1] op_sel_hi:[0,1]
	v_mov_b32_e32 v37, v13
	v_pk_fma_f32 v[12:13], v[26:27], v[14:15], v[24:25] neg_lo:[0,0,1] neg_hi:[0,0,1]
	v_pk_fma_f32 v[14:15], v[26:27], v[14:15], v[24:25] op_sel_hi:[1,0,1]
	v_pk_add_f32 v[4:5], v[4:5], v[8:9]
	v_pk_fma_f32 v[38:39], v[32:33], v[28:29], v[46:47] neg_lo:[0,0,1] neg_hi:[0,0,1]
	v_pk_fma_f32 v[28:29], v[32:33], v[28:29], v[46:47] op_sel_hi:[1,0,1]
	v_mov_b32_e32 v13, v15
	v_pk_add_f32 v[4:5], v[4:5], v[36:37]
	v_mov_b32_e32 v39, v29
	v_pk_add_f32 v[4:5], v[4:5], v[12:13]
	s_nop 0
	v_pk_add_f32 v[4:5], v[4:5], v[38:39]
	s_waitcnt vmcnt(0)
	v_pk_add_f32 v[4:5], v[30:31], v[4:5] neg_lo:[0,1] neg_hi:[0,1]
	scratch_store_dwordx2 off, v[4:5], off offset:240
	s_and_saveexec_b64 s[0:1], vcc
	s_cbranch_execz .LBB101_183
; %bb.182:
	scratch_load_dwordx2 v[4:5], off, off offset:232
	v_mov_b32_e32 v3, v2
	scratch_store_dwordx2 off, v[2:3], off offset:232
	s_waitcnt vmcnt(1)
	ds_write_b64 v1, v[4:5]
.LBB101_183:
	s_or_b64 exec, exec, s[0:1]
	s_waitcnt lgkmcnt(0)
	; wave barrier
	scratch_load_dwordx4 v[4:7], off, off offset:240
	scratch_load_dwordx4 v[8:11], off, off offset:256
	;; [unrolled: 1-line block ×4, first 2 shown]
	scratch_load_dwordx2 v[36:37], off, off offset:232
	ds_read_b128 v[20:23], v2 offset:544
	ds_read_b128 v[24:27], v2 offset:560
	;; [unrolled: 1-line block ×4, first 2 shown]
	v_cmp_lt_u32_e32 vcc, 28, v0
	s_waitcnt vmcnt(4) lgkmcnt(3)
	v_pk_mul_f32 v[2:3], v[20:21], v[4:5] op_sel:[1,1] op_sel_hi:[0,1]
	v_mov_b32_e32 v38, v7
	s_waitcnt vmcnt(3) lgkmcnt(2)
	v_pk_mul_f32 v[40:41], v[24:25], v[8:9] op_sel:[1,1] op_sel_hi:[0,1]
	v_mov_b32_e32 v42, v11
	;; [unrolled: 3-line block ×4, first 2 shown]
	v_pk_fma_f32 v[52:53], v[20:21], v[4:5], v[2:3] neg_lo:[0,0,1] neg_hi:[0,0,1]
	v_pk_fma_f32 v[2:3], v[20:21], v[4:5], v[2:3] op_sel_hi:[1,0,1]
	v_pk_mul_f32 v[4:5], v[22:23], v[38:39] op_sel:[1,0] op_sel_hi:[0,0]
	v_pk_fma_f32 v[20:21], v[24:25], v[8:9], v[40:41] neg_lo:[0,0,1] neg_hi:[0,0,1]
	v_pk_fma_f32 v[8:9], v[24:25], v[8:9], v[40:41] op_sel_hi:[1,0,1]
	v_pk_mul_f32 v[24:25], v[26:27], v[42:43] op_sel:[1,0] op_sel_hi:[0,0]
	;; [unrolled: 3-line block ×4, first 2 shown]
	v_mov_b32_e32 v53, v3
	v_pk_fma_f32 v[2:3], v[22:23], v[6:7], v[4:5] neg_lo:[0,0,1] neg_hi:[0,0,1]
	v_pk_fma_f32 v[4:5], v[22:23], v[6:7], v[4:5] op_sel_hi:[1,0,1]
	v_mov_b32_e32 v21, v9
	v_pk_fma_f32 v[6:7], v[26:27], v[10:11], v[24:25] neg_lo:[0,0,1] neg_hi:[0,0,1]
	v_pk_fma_f32 v[8:9], v[26:27], v[10:11], v[24:25] op_sel_hi:[1,0,1]
	;; [unrolled: 3-line block ×4, first 2 shown]
	v_pk_add_f32 v[18:19], v[52:53], 0 op_sel_hi:[1,0]
	v_mov_b32_e32 v3, v5
	v_pk_add_f32 v[2:3], v[18:19], v[2:3]
	v_mov_b32_e32 v7, v9
	v_pk_add_f32 v[2:3], v[2:3], v[20:21]
	;; [unrolled: 2-line block ×4, first 2 shown]
	s_nop 0
	v_pk_add_f32 v[2:3], v[2:3], v[10:11]
	s_nop 0
	v_pk_add_f32 v[2:3], v[2:3], v[40:41]
	;; [unrolled: 2-line block ×3, first 2 shown]
	s_waitcnt vmcnt(0)
	v_pk_add_f32 v[2:3], v[36:37], v[2:3] neg_lo:[0,1] neg_hi:[0,1]
	scratch_store_dwordx2 off, v[2:3], off offset:232
	s_and_saveexec_b64 s[0:1], vcc
	s_cbranch_execz .LBB101_185
; %bb.184:
	scratch_load_dwordx2 v[2:3], off, off offset:224
	v_mov_b32_e32 v4, 0
	v_mov_b32_e32 v5, v4
	scratch_store_dwordx2 off, v[4:5], off offset:224
	s_waitcnt vmcnt(1)
	ds_write_b64 v1, v[2:3]
.LBB101_185:
	s_or_b64 exec, exec, s[0:1]
	s_waitcnt lgkmcnt(0)
	; wave barrier
	scratch_load_dwordx4 v[8:11], off, off offset:232
	v_mov_b32_e32 v2, 0
	ds_read2_b64 v[4:7], v2 offset0:67 offset1:68
	scratch_load_dwordx4 v[12:15], off, off offset:248
	scratch_load_dwordx4 v[16:19], off, off offset:264
	;; [unrolled: 1-line block ×3, first 2 shown]
	scratch_load_dwordx2 v[38:39], off, off offset:296
	v_cmp_lt_u32_e32 vcc, 27, v0
	s_waitcnt vmcnt(4) lgkmcnt(0)
	v_mul_f32_e32 v37, v4, v9
	v_mul_f32_e32 v3, v5, v9
	v_fmac_f32_e32 v37, v5, v8
	v_fma_f32 v36, v4, v8, -v3
	v_pk_add_f32 v[8:9], v[36:37], 0 op_sel_hi:[1,0]
	v_mov_b32_e32 v36, v11
	v_pk_mul_f32 v[36:37], v[6:7], v[36:37] op_sel:[1,0] op_sel_hi:[0,0]
	ds_read2_b64 v[24:27], v2 offset0:69 offset1:70
	ds_read2_b64 v[28:31], v2 offset0:71 offset1:72
	;; [unrolled: 1-line block ×3, first 2 shown]
	ds_read_b64 v[4:5], v2 offset:600
	v_pk_fma_f32 v[40:41], v[6:7], v[10:11], v[36:37] neg_lo:[0,0,1] neg_hi:[0,0,1]
	v_pk_fma_f32 v[6:7], v[6:7], v[10:11], v[36:37] op_sel_hi:[1,0,1]
	s_nop 0
	v_mov_b32_e32 v41, v7
	v_pk_add_f32 v[6:7], v[8:9], v[40:41]
	s_waitcnt vmcnt(3) lgkmcnt(3)
	v_pk_mul_f32 v[8:9], v[24:25], v[12:13] op_sel:[1,1] op_sel_hi:[0,1]
	v_pk_fma_f32 v[10:11], v[24:25], v[12:13], v[8:9] neg_lo:[0,0,1] neg_hi:[0,0,1]
	v_pk_fma_f32 v[8:9], v[24:25], v[12:13], v[8:9] op_sel_hi:[1,0,1]
	s_nop 0
	v_mov_b32_e32 v8, v15
	v_mov_b32_e32 v11, v9
	v_pk_mul_f32 v[8:9], v[26:27], v[8:9] op_sel:[1,0] op_sel_hi:[0,0]
	v_pk_add_f32 v[6:7], v[6:7], v[10:11]
	v_pk_fma_f32 v[10:11], v[26:27], v[14:15], v[8:9] neg_lo:[0,0,1] neg_hi:[0,0,1]
	v_pk_fma_f32 v[8:9], v[26:27], v[14:15], v[8:9] op_sel_hi:[1,0,1]
	s_nop 0
	v_mov_b32_e32 v11, v9
	s_waitcnt vmcnt(2) lgkmcnt(2)
	v_pk_mul_f32 v[8:9], v[28:29], v[16:17] op_sel:[1,1] op_sel_hi:[0,1]
	v_pk_add_f32 v[6:7], v[6:7], v[10:11]
	v_pk_fma_f32 v[10:11], v[28:29], v[16:17], v[8:9] neg_lo:[0,0,1] neg_hi:[0,0,1]
	v_pk_fma_f32 v[8:9], v[28:29], v[16:17], v[8:9] op_sel_hi:[1,0,1]
	s_nop 0
	v_mov_b32_e32 v8, v19
	v_mov_b32_e32 v11, v9
	v_pk_mul_f32 v[8:9], v[30:31], v[8:9] op_sel:[1,0] op_sel_hi:[0,0]
	v_pk_add_f32 v[6:7], v[6:7], v[10:11]
	v_pk_fma_f32 v[10:11], v[30:31], v[18:19], v[8:9] neg_lo:[0,0,1] neg_hi:[0,0,1]
	v_pk_fma_f32 v[8:9], v[30:31], v[18:19], v[8:9] op_sel_hi:[1,0,1]
	s_nop 0
	v_mov_b32_e32 v11, v9
	s_waitcnt vmcnt(1) lgkmcnt(1)
	v_pk_mul_f32 v[8:9], v[32:33], v[20:21] op_sel:[1,1] op_sel_hi:[0,1]
	v_pk_add_f32 v[6:7], v[6:7], v[10:11]
	;; [unrolled: 14-line block ×3, first 2 shown]
	v_pk_fma_f32 v[10:11], v[4:5], v[38:39], v[8:9] neg_lo:[0,0,1] neg_hi:[0,0,1]
	v_pk_fma_f32 v[4:5], v[4:5], v[38:39], v[8:9] op_sel_hi:[1,0,1]
	s_nop 0
	v_mov_b32_e32 v11, v5
	v_pk_add_f32 v[4:5], v[6:7], v[10:11]
	scratch_load_dwordx2 v[6:7], off, off offset:224
	s_waitcnt vmcnt(0)
	v_pk_add_f32 v[4:5], v[6:7], v[4:5] neg_lo:[0,1] neg_hi:[0,1]
	scratch_store_dwordx2 off, v[4:5], off offset:224
	s_and_saveexec_b64 s[0:1], vcc
	s_cbranch_execz .LBB101_187
; %bb.186:
	scratch_load_dwordx2 v[4:5], off, off offset:216
	v_mov_b32_e32 v3, v2
	scratch_store_dwordx2 off, v[2:3], off offset:216
	s_waitcnt vmcnt(1)
	ds_write_b64 v1, v[4:5]
.LBB101_187:
	s_or_b64 exec, exec, s[0:1]
	s_waitcnt lgkmcnt(0)
	; wave barrier
	ds_read_b128 v[4:7], v2 offset:528
	ds_read_b128 v[8:11], v2 offset:544
	;; [unrolled: 1-line block ×4, first 2 shown]
	scratch_load_dwordx4 v[20:23], off, off offset:224
	scratch_load_dwordx4 v[24:27], off, off offset:240
	;; [unrolled: 1-line block ×5, first 2 shown]
	v_cmp_lt_u32_e32 vcc, 26, v0
	s_waitcnt vmcnt(4) lgkmcnt(3)
	v_mul_f32_e32 v41, v4, v21
	v_mul_f32_e32 v3, v5, v21
	v_fmac_f32_e32 v41, v5, v20
	v_mul_f32_e32 v43, v6, v23
	v_fma_f32 v40, v4, v20, -v3
	v_mul_f32_e32 v3, v7, v23
	s_waitcnt vmcnt(3) lgkmcnt(2)
	v_pk_mul_f32 v[20:21], v[8:9], v[24:25] op_sel:[1,1] op_sel_hi:[0,1]
	v_fmac_f32_e32 v43, v7, v22
	v_fma_f32 v42, v6, v22, -v3
	v_pk_fma_f32 v[22:23], v[8:9], v[24:25], v[20:21] neg_lo:[0,0,1] neg_hi:[0,0,1]
	v_pk_fma_f32 v[8:9], v[8:9], v[24:25], v[20:21] op_sel_hi:[1,0,1]
	v_pk_add_f32 v[6:7], v[40:41], 0 op_sel_hi:[1,0]
	v_mov_b32_e32 v8, v27
	v_mov_b32_e32 v23, v9
	v_pk_mul_f32 v[8:9], v[10:11], v[8:9] op_sel:[1,0] op_sel_hi:[0,0]
	v_pk_fma_f32 v[20:21], v[10:11], v[26:27], v[8:9] neg_lo:[0,0,1] neg_hi:[0,0,1]
	v_pk_fma_f32 v[8:9], v[10:11], v[26:27], v[8:9] op_sel_hi:[1,0,1]
	v_pk_add_f32 v[6:7], v[6:7], v[42:43]
	v_mov_b32_e32 v21, v9
	s_waitcnt vmcnt(2) lgkmcnt(1)
	v_pk_mul_f32 v[8:9], v[12:13], v[28:29] op_sel:[1,1] op_sel_hi:[0,1]
	v_pk_fma_f32 v[10:11], v[12:13], v[28:29], v[8:9] neg_lo:[0,0,1] neg_hi:[0,0,1]
	v_pk_fma_f32 v[8:9], v[12:13], v[28:29], v[8:9] op_sel_hi:[1,0,1]
	v_pk_add_f32 v[6:7], v[6:7], v[22:23]
	v_mov_b32_e32 v8, v31
	v_pk_add_f32 v[6:7], v[6:7], v[20:21]
	v_mov_b32_e32 v11, v9
	v_pk_mul_f32 v[8:9], v[14:15], v[8:9] op_sel:[1,0] op_sel_hi:[0,0]
	v_pk_add_f32 v[6:7], v[6:7], v[10:11]
	v_pk_fma_f32 v[10:11], v[14:15], v[30:31], v[8:9] neg_lo:[0,0,1] neg_hi:[0,0,1]
	v_pk_fma_f32 v[8:9], v[14:15], v[30:31], v[8:9] op_sel_hi:[1,0,1]
	ds_read_b128 v[2:5], v2 offset:592
	v_mov_b32_e32 v11, v9
	s_waitcnt vmcnt(1) lgkmcnt(1)
	v_pk_mul_f32 v[8:9], v[16:17], v[32:33] op_sel:[1,1] op_sel_hi:[0,1]
	v_pk_add_f32 v[6:7], v[6:7], v[10:11]
	v_pk_fma_f32 v[10:11], v[16:17], v[32:33], v[8:9] neg_lo:[0,0,1] neg_hi:[0,0,1]
	v_pk_fma_f32 v[8:9], v[16:17], v[32:33], v[8:9] op_sel_hi:[1,0,1]
	s_nop 0
	v_mov_b32_e32 v8, v35
	v_mov_b32_e32 v11, v9
	v_pk_mul_f32 v[8:9], v[18:19], v[8:9] op_sel:[1,0] op_sel_hi:[0,0]
	v_pk_add_f32 v[6:7], v[6:7], v[10:11]
	v_pk_fma_f32 v[10:11], v[18:19], v[34:35], v[8:9] neg_lo:[0,0,1] neg_hi:[0,0,1]
	v_pk_fma_f32 v[8:9], v[18:19], v[34:35], v[8:9] op_sel_hi:[1,0,1]
	s_nop 0
	v_mov_b32_e32 v11, v9
	s_waitcnt vmcnt(0) lgkmcnt(0)
	v_pk_mul_f32 v[8:9], v[2:3], v[36:37] op_sel:[1,1] op_sel_hi:[0,1]
	v_pk_add_f32 v[6:7], v[6:7], v[10:11]
	v_pk_fma_f32 v[10:11], v[2:3], v[36:37], v[8:9] neg_lo:[0,0,1] neg_hi:[0,0,1]
	v_pk_fma_f32 v[2:3], v[2:3], v[36:37], v[8:9] op_sel_hi:[1,0,1]
	s_nop 0
	v_mov_b32_e32 v11, v3
	v_pk_add_f32 v[2:3], v[6:7], v[10:11]
	v_mov_b32_e32 v6, v39
	v_pk_mul_f32 v[6:7], v[4:5], v[6:7] op_sel:[1,0] op_sel_hi:[0,0]
	v_pk_fma_f32 v[8:9], v[4:5], v[38:39], v[6:7] neg_lo:[0,0,1] neg_hi:[0,0,1]
	v_pk_fma_f32 v[4:5], v[4:5], v[38:39], v[6:7] op_sel_hi:[1,0,1]
	s_nop 0
	v_mov_b32_e32 v9, v5
	scratch_load_dwordx2 v[4:5], off, off offset:216
	v_pk_add_f32 v[2:3], v[2:3], v[8:9]
	s_waitcnt vmcnt(0)
	v_pk_add_f32 v[2:3], v[4:5], v[2:3] neg_lo:[0,1] neg_hi:[0,1]
	scratch_store_dwordx2 off, v[2:3], off offset:216
	s_and_saveexec_b64 s[0:1], vcc
	s_cbranch_execz .LBB101_189
; %bb.188:
	scratch_load_dwordx2 v[2:3], off, off offset:208
	v_mov_b32_e32 v4, 0
	v_mov_b32_e32 v5, v4
	scratch_store_dwordx2 off, v[4:5], off offset:208
	s_waitcnt vmcnt(1)
	ds_write_b64 v1, v[2:3]
.LBB101_189:
	s_or_b64 exec, exec, s[0:1]
	s_waitcnt lgkmcnt(0)
	; wave barrier
	scratch_load_dwordx4 v[8:11], off, off offset:216
	scratch_load_dwordx4 v[16:19], off, off offset:232
	v_mov_b32_e32 v2, 0
	ds_read2_b64 v[4:7], v2 offset0:65 offset1:66
	ds_read2_b64 v[12:15], v2 offset0:67 offset1:68
	scratch_load_dwordx4 v[20:23], off, off offset:248
	scratch_load_dwordx4 v[24:27], off, off offset:264
	;; [unrolled: 1-line block ×3, first 2 shown]
	scratch_load_dwordx2 v[42:43], off, off offset:296
	v_cmp_lt_u32_e32 vcc, 25, v0
	s_waitcnt vmcnt(5) lgkmcnt(1)
	v_mul_f32_e32 v3, v4, v9
	v_fmac_f32_e32 v3, v5, v8
	v_add_f32_e32 v37, 0, v3
	v_mul_f32_e32 v3, v5, v9
	v_fma_f32 v3, v4, v8, -v3
	v_mul_f32_e32 v39, v6, v11
	v_add_f32_e32 v36, 0, v3
	v_mul_f32_e32 v3, v7, v11
	v_fmac_f32_e32 v39, v7, v10
	s_waitcnt vmcnt(4) lgkmcnt(0)
	v_mul_f32_e32 v41, v12, v17
	v_fma_f32 v38, v6, v10, -v3
	v_mul_f32_e32 v3, v13, v17
	v_fmac_f32_e32 v41, v13, v16
	v_fma_f32 v40, v12, v16, -v3
	v_pk_add_f32 v[16:17], v[36:37], v[38:39]
	v_mov_b32_e32 v36, v19
	v_pk_mul_f32 v[36:37], v[14:15], v[36:37] op_sel:[1,0] op_sel_hi:[0,0]
	ds_read2_b64 v[4:7], v2 offset0:69 offset1:70
	ds_read2_b64 v[8:11], v2 offset0:71 offset1:72
	;; [unrolled: 1-line block ×3, first 2 shown]
	ds_read_b64 v[12:13], v2 offset:600
	v_pk_fma_f32 v[38:39], v[14:15], v[18:19], v[36:37] neg_lo:[0,0,1] neg_hi:[0,0,1]
	v_pk_fma_f32 v[14:15], v[14:15], v[18:19], v[36:37] op_sel_hi:[1,0,1]
	v_pk_add_f32 v[16:17], v[16:17], v[40:41]
	v_mov_b32_e32 v39, v15
	v_pk_add_f32 v[14:15], v[16:17], v[38:39]
	s_waitcnt vmcnt(3) lgkmcnt(3)
	v_pk_mul_f32 v[16:17], v[4:5], v[20:21] op_sel:[1,1] op_sel_hi:[0,1]
	v_pk_fma_f32 v[18:19], v[4:5], v[20:21], v[16:17] neg_lo:[0,0,1] neg_hi:[0,0,1]
	v_pk_fma_f32 v[4:5], v[4:5], v[20:21], v[16:17] op_sel_hi:[1,0,1]
	s_nop 0
	v_mov_b32_e32 v19, v5
	v_pk_add_f32 v[4:5], v[14:15], v[18:19]
	v_mov_b32_e32 v14, v23
	v_pk_mul_f32 v[14:15], v[6:7], v[14:15] op_sel:[1,0] op_sel_hi:[0,0]
	v_pk_fma_f32 v[16:17], v[6:7], v[22:23], v[14:15] neg_lo:[0,0,1] neg_hi:[0,0,1]
	v_pk_fma_f32 v[6:7], v[6:7], v[22:23], v[14:15] op_sel_hi:[1,0,1]
	s_nop 0
	v_mov_b32_e32 v17, v7
	s_waitcnt vmcnt(2) lgkmcnt(2)
	v_pk_mul_f32 v[6:7], v[8:9], v[24:25] op_sel:[1,1] op_sel_hi:[0,1]
	v_pk_fma_f32 v[14:15], v[8:9], v[24:25], v[6:7] neg_lo:[0,0,1] neg_hi:[0,0,1]
	v_pk_fma_f32 v[6:7], v[8:9], v[24:25], v[6:7] op_sel_hi:[1,0,1]
	v_pk_add_f32 v[4:5], v[4:5], v[16:17]
	v_mov_b32_e32 v6, v27
	v_mov_b32_e32 v15, v7
	v_pk_mul_f32 v[6:7], v[10:11], v[6:7] op_sel:[1,0] op_sel_hi:[0,0]
	v_pk_fma_f32 v[8:9], v[10:11], v[26:27], v[6:7] neg_lo:[0,0,1] neg_hi:[0,0,1]
	v_pk_fma_f32 v[6:7], v[10:11], v[26:27], v[6:7] op_sel_hi:[1,0,1]
	v_pk_add_f32 v[4:5], v[4:5], v[14:15]
	v_mov_b32_e32 v9, v7
	s_waitcnt vmcnt(1) lgkmcnt(1)
	v_pk_mul_f32 v[6:7], v[32:33], v[28:29] op_sel:[1,1] op_sel_hi:[0,1]
	v_pk_add_f32 v[4:5], v[4:5], v[8:9]
	v_pk_fma_f32 v[8:9], v[32:33], v[28:29], v[6:7] neg_lo:[0,0,1] neg_hi:[0,0,1]
	v_pk_fma_f32 v[6:7], v[32:33], v[28:29], v[6:7] op_sel_hi:[1,0,1]
	s_nop 0
	v_mov_b32_e32 v6, v31
	v_mov_b32_e32 v9, v7
	v_pk_mul_f32 v[6:7], v[34:35], v[6:7] op_sel:[1,0] op_sel_hi:[0,0]
	v_pk_add_f32 v[4:5], v[4:5], v[8:9]
	v_pk_fma_f32 v[8:9], v[34:35], v[30:31], v[6:7] neg_lo:[0,0,1] neg_hi:[0,0,1]
	v_pk_fma_f32 v[6:7], v[34:35], v[30:31], v[6:7] op_sel_hi:[1,0,1]
	s_nop 0
	v_mov_b32_e32 v9, v7
	s_waitcnt vmcnt(0) lgkmcnt(0)
	v_pk_mul_f32 v[6:7], v[12:13], v[42:43] op_sel:[1,1] op_sel_hi:[0,1]
	v_pk_add_f32 v[4:5], v[4:5], v[8:9]
	v_pk_fma_f32 v[8:9], v[12:13], v[42:43], v[6:7] neg_lo:[0,0,1] neg_hi:[0,0,1]
	v_pk_fma_f32 v[6:7], v[12:13], v[42:43], v[6:7] op_sel_hi:[1,0,1]
	s_nop 0
	v_mov_b32_e32 v9, v7
	scratch_load_dwordx2 v[6:7], off, off offset:208
	v_pk_add_f32 v[4:5], v[4:5], v[8:9]
	s_waitcnt vmcnt(0)
	v_pk_add_f32 v[4:5], v[6:7], v[4:5] neg_lo:[0,1] neg_hi:[0,1]
	scratch_store_dwordx2 off, v[4:5], off offset:208
	s_and_saveexec_b64 s[0:1], vcc
	s_cbranch_execz .LBB101_191
; %bb.190:
	scratch_load_dwordx2 v[4:5], off, off offset:200
	v_mov_b32_e32 v3, v2
	scratch_store_dwordx2 off, v[2:3], off offset:200
	s_waitcnt vmcnt(1)
	ds_write_b64 v1, v[4:5]
.LBB101_191:
	s_or_b64 exec, exec, s[0:1]
	s_waitcnt lgkmcnt(0)
	; wave barrier
	ds_read_b128 v[4:7], v2 offset:512
	ds_read_b128 v[8:11], v2 offset:528
	;; [unrolled: 1-line block ×4, first 2 shown]
	scratch_load_dwordx4 v[20:23], off, off offset:208
	v_cmp_lt_u32_e32 vcc, 24, v0
	s_waitcnt vmcnt(0) lgkmcnt(3)
	v_mul_f32_e32 v3, v4, v21
	v_fmac_f32_e32 v3, v5, v20
	v_mul_f32_e32 v24, v6, v23
	v_add_f32_e32 v3, 0, v3
	v_fmac_f32_e32 v24, v7, v22
	v_add_f32_e32 v45, v3, v24
	scratch_load_dwordx4 v[24:27], off, off offset:224
	scratch_load_dwordx4 v[28:31], off, off offset:240
	;; [unrolled: 1-line block ×5, first 2 shown]
	v_mul_f32_e32 v3, v5, v21
	v_fma_f32 v3, v4, v20, -v3
	v_mul_f32_e32 v4, v7, v23
	v_fma_f32 v4, v6, v22, -v4
	v_add_f32_e32 v3, 0, v3
	v_add_f32_e32 v44, v3, v4
	s_waitcnt vmcnt(3) lgkmcnt(1)
	v_pk_mul_f32 v[20:21], v[12:13], v[28:29] op_sel:[1,1] op_sel_hi:[0,1]
	v_pk_fma_f32 v[22:23], v[12:13], v[28:29], v[20:21] neg_lo:[0,0,1] neg_hi:[0,0,1]
	v_pk_fma_f32 v[12:13], v[12:13], v[28:29], v[20:21] op_sel_hi:[1,0,1]
	v_mul_f32_e32 v47, v8, v25
	v_mov_b32_e32 v12, v31
	v_mul_f32_e32 v3, v9, v25
	v_mov_b32_e32 v23, v13
	v_pk_mul_f32 v[12:13], v[14:15], v[12:13] op_sel:[1,0] op_sel_hi:[0,0]
	v_fmac_f32_e32 v47, v9, v24
	v_mul_f32_e32 v49, v10, v27
	v_fma_f32 v46, v8, v24, -v3
	v_mul_f32_e32 v3, v11, v27
	v_pk_fma_f32 v[20:21], v[14:15], v[30:31], v[12:13] neg_lo:[0,0,1] neg_hi:[0,0,1]
	v_pk_fma_f32 v[12:13], v[14:15], v[30:31], v[12:13] op_sel_hi:[1,0,1]
	v_fmac_f32_e32 v49, v11, v26
	v_fma_f32 v48, v10, v26, -v3
	ds_read_b128 v[4:7], v2 offset:576
	ds_read_b128 v[8:11], v2 offset:592
	v_pk_add_f32 v[2:3], v[44:45], v[46:47]
	v_mov_b32_e32 v21, v13
	s_waitcnt vmcnt(2) lgkmcnt(2)
	v_pk_mul_f32 v[12:13], v[16:17], v[32:33] op_sel:[1,1] op_sel_hi:[0,1]
	v_pk_add_f32 v[2:3], v[2:3], v[48:49]
	v_pk_fma_f32 v[14:15], v[16:17], v[32:33], v[12:13] neg_lo:[0,0,1] neg_hi:[0,0,1]
	v_pk_fma_f32 v[12:13], v[16:17], v[32:33], v[12:13] op_sel_hi:[1,0,1]
	v_pk_add_f32 v[2:3], v[2:3], v[22:23]
	v_mov_b32_e32 v12, v35
	v_pk_add_f32 v[2:3], v[2:3], v[20:21]
	v_mov_b32_e32 v15, v13
	v_pk_mul_f32 v[12:13], v[18:19], v[12:13] op_sel:[1,0] op_sel_hi:[0,0]
	v_pk_add_f32 v[2:3], v[2:3], v[14:15]
	v_pk_fma_f32 v[14:15], v[18:19], v[34:35], v[12:13] neg_lo:[0,0,1] neg_hi:[0,0,1]
	v_pk_fma_f32 v[12:13], v[18:19], v[34:35], v[12:13] op_sel_hi:[1,0,1]
	s_nop 0
	v_mov_b32_e32 v15, v13
	s_waitcnt vmcnt(1) lgkmcnt(1)
	v_pk_mul_f32 v[12:13], v[4:5], v[36:37] op_sel:[1,1] op_sel_hi:[0,1]
	v_pk_add_f32 v[2:3], v[2:3], v[14:15]
	v_pk_fma_f32 v[14:15], v[4:5], v[36:37], v[12:13] neg_lo:[0,0,1] neg_hi:[0,0,1]
	v_pk_fma_f32 v[4:5], v[4:5], v[36:37], v[12:13] op_sel_hi:[1,0,1]
	s_nop 0
	v_mov_b32_e32 v4, v39
	v_mov_b32_e32 v15, v5
	v_pk_mul_f32 v[4:5], v[6:7], v[4:5] op_sel:[1,0] op_sel_hi:[0,0]
	v_pk_fma_f32 v[12:13], v[6:7], v[38:39], v[4:5] neg_lo:[0,0,1] neg_hi:[0,0,1]
	v_pk_fma_f32 v[4:5], v[6:7], v[38:39], v[4:5] op_sel_hi:[1,0,1]
	v_pk_add_f32 v[2:3], v[2:3], v[14:15]
	v_mov_b32_e32 v13, v5
	s_waitcnt vmcnt(0) lgkmcnt(0)
	v_pk_mul_f32 v[4:5], v[8:9], v[40:41] op_sel:[1,1] op_sel_hi:[0,1]
	v_pk_fma_f32 v[6:7], v[8:9], v[40:41], v[4:5] neg_lo:[0,0,1] neg_hi:[0,0,1]
	v_pk_fma_f32 v[4:5], v[8:9], v[40:41], v[4:5] op_sel_hi:[1,0,1]
	v_pk_add_f32 v[2:3], v[2:3], v[12:13]
	v_mov_b32_e32 v4, v43
	v_mov_b32_e32 v7, v5
	v_pk_mul_f32 v[4:5], v[10:11], v[4:5] op_sel:[1,0] op_sel_hi:[0,0]
	v_pk_add_f32 v[2:3], v[2:3], v[6:7]
	v_pk_fma_f32 v[6:7], v[10:11], v[42:43], v[4:5] neg_lo:[0,0,1] neg_hi:[0,0,1]
	v_pk_fma_f32 v[4:5], v[10:11], v[42:43], v[4:5] op_sel_hi:[1,0,1]
	s_nop 0
	v_mov_b32_e32 v7, v5
	scratch_load_dwordx2 v[4:5], off, off offset:200
	v_pk_add_f32 v[2:3], v[2:3], v[6:7]
	s_waitcnt vmcnt(0)
	v_pk_add_f32 v[2:3], v[4:5], v[2:3] neg_lo:[0,1] neg_hi:[0,1]
	scratch_store_dwordx2 off, v[2:3], off offset:200
	s_and_saveexec_b64 s[0:1], vcc
	s_cbranch_execz .LBB101_193
; %bb.192:
	scratch_load_dwordx2 v[2:3], off, off offset:192
	v_mov_b32_e32 v4, 0
	v_mov_b32_e32 v5, v4
	scratch_store_dwordx2 off, v[4:5], off offset:192
	s_waitcnt vmcnt(1)
	ds_write_b64 v1, v[2:3]
.LBB101_193:
	s_or_b64 exec, exec, s[0:1]
	s_waitcnt lgkmcnt(0)
	; wave barrier
	scratch_load_dwordx4 v[8:11], off, off offset:200
	scratch_load_dwordx4 v[16:19], off, off offset:216
	v_mov_b32_e32 v2, 0
	ds_read2_b64 v[4:7], v2 offset0:63 offset1:64
	scratch_load_dwordx4 v[24:27], off, off offset:232
	v_cmp_lt_u32_e32 vcc, 23, v0
	s_waitcnt vmcnt(2) lgkmcnt(0)
	v_mul_f32_e32 v3, v4, v9
	v_fmac_f32_e32 v3, v5, v8
	v_mul_f32_e32 v12, v6, v11
	v_add_f32_e32 v3, 0, v3
	v_fmac_f32_e32 v12, v7, v10
	v_add_f32_e32 v3, v3, v12
	ds_read2_b64 v[12:15], v2 offset0:65 offset1:66
	s_waitcnt vmcnt(1) lgkmcnt(0)
	v_mul_f32_e32 v20, v12, v17
	v_fmac_f32_e32 v20, v13, v16
	v_add_f32_e32 v41, v3, v20
	ds_read2_b64 v[20:23], v2 offset0:67 offset1:68
	scratch_load_dwordx4 v[28:31], off, off offset:248
	scratch_load_dwordx4 v[32:35], off, off offset:264
	scratch_load_dwordx4 v[36:39], off, off offset:280
	scratch_load_dwordx2 v[46:47], off, off offset:296
	v_mul_f32_e32 v3, v5, v9
	v_fma_f32 v3, v4, v8, -v3
	v_mul_f32_e32 v4, v7, v11
	v_add_f32_e32 v3, 0, v3
	v_fma_f32 v4, v6, v10, -v4
	v_add_f32_e32 v3, v3, v4
	v_mul_f32_e32 v4, v13, v17
	v_fma_f32 v4, v12, v16, -v4
	v_add_f32_e32 v40, v3, v4
	v_mul_f32_e32 v3, v15, v19
	v_fma_f32 v42, v14, v18, -v3
	s_waitcnt vmcnt(4) lgkmcnt(0)
	v_mul_f32_e32 v3, v21, v25
	v_mul_f32_e32 v43, v14, v19
	;; [unrolled: 1-line block ×3, first 2 shown]
	v_fma_f32 v44, v20, v24, -v3
	v_mov_b32_e32 v20, v27
	v_fmac_f32_e32 v43, v15, v18
	v_fmac_f32_e32 v45, v21, v24
	ds_read2_b64 v[4:7], v2 offset0:69 offset1:70
	ds_read2_b64 v[8:11], v2 offset0:71 offset1:72
	;; [unrolled: 1-line block ×3, first 2 shown]
	ds_read_b64 v[16:17], v2 offset:600
	v_pk_mul_f32 v[20:21], v[22:23], v[20:21] op_sel:[1,0] op_sel_hi:[0,0]
	v_pk_fma_f32 v[24:25], v[22:23], v[26:27], v[20:21] neg_lo:[0,0,1] neg_hi:[0,0,1]
	v_pk_fma_f32 v[20:21], v[22:23], v[26:27], v[20:21] op_sel_hi:[1,0,1]
	v_pk_add_f32 v[18:19], v[40:41], v[42:43]
	v_mov_b32_e32 v25, v21
	v_pk_add_f32 v[18:19], v[18:19], v[44:45]
	s_waitcnt vmcnt(3) lgkmcnt(3)
	v_pk_mul_f32 v[20:21], v[4:5], v[28:29] op_sel:[1,1] op_sel_hi:[0,1]
	v_pk_fma_f32 v[22:23], v[4:5], v[28:29], v[20:21] neg_lo:[0,0,1] neg_hi:[0,0,1]
	v_pk_fma_f32 v[4:5], v[4:5], v[28:29], v[20:21] op_sel_hi:[1,0,1]
	v_pk_add_f32 v[18:19], v[18:19], v[24:25]
	v_mov_b32_e32 v23, v5
	v_pk_add_f32 v[4:5], v[18:19], v[22:23]
	v_mov_b32_e32 v18, v31
	v_pk_mul_f32 v[18:19], v[6:7], v[18:19] op_sel:[1,0] op_sel_hi:[0,0]
	v_pk_fma_f32 v[20:21], v[6:7], v[30:31], v[18:19] neg_lo:[0,0,1] neg_hi:[0,0,1]
	v_pk_fma_f32 v[6:7], v[6:7], v[30:31], v[18:19] op_sel_hi:[1,0,1]
	s_nop 0
	v_mov_b32_e32 v21, v7
	s_waitcnt vmcnt(2) lgkmcnt(2)
	v_pk_mul_f32 v[6:7], v[8:9], v[32:33] op_sel:[1,1] op_sel_hi:[0,1]
	v_pk_fma_f32 v[18:19], v[8:9], v[32:33], v[6:7] neg_lo:[0,0,1] neg_hi:[0,0,1]
	v_pk_fma_f32 v[6:7], v[8:9], v[32:33], v[6:7] op_sel_hi:[1,0,1]
	v_pk_add_f32 v[4:5], v[4:5], v[20:21]
	v_mov_b32_e32 v6, v35
	v_mov_b32_e32 v19, v7
	v_pk_mul_f32 v[6:7], v[10:11], v[6:7] op_sel:[1,0] op_sel_hi:[0,0]
	v_pk_fma_f32 v[8:9], v[10:11], v[34:35], v[6:7] neg_lo:[0,0,1] neg_hi:[0,0,1]
	v_pk_fma_f32 v[6:7], v[10:11], v[34:35], v[6:7] op_sel_hi:[1,0,1]
	v_pk_add_f32 v[4:5], v[4:5], v[18:19]
	v_mov_b32_e32 v9, v7
	s_waitcnt vmcnt(1) lgkmcnt(1)
	v_pk_mul_f32 v[6:7], v[12:13], v[36:37] op_sel:[1,1] op_sel_hi:[0,1]
	v_pk_add_f32 v[4:5], v[4:5], v[8:9]
	v_pk_fma_f32 v[8:9], v[12:13], v[36:37], v[6:7] neg_lo:[0,0,1] neg_hi:[0,0,1]
	v_pk_fma_f32 v[6:7], v[12:13], v[36:37], v[6:7] op_sel_hi:[1,0,1]
	s_nop 0
	v_mov_b32_e32 v6, v39
	v_mov_b32_e32 v9, v7
	v_pk_mul_f32 v[6:7], v[14:15], v[6:7] op_sel:[1,0] op_sel_hi:[0,0]
	v_pk_add_f32 v[4:5], v[4:5], v[8:9]
	v_pk_fma_f32 v[8:9], v[14:15], v[38:39], v[6:7] neg_lo:[0,0,1] neg_hi:[0,0,1]
	v_pk_fma_f32 v[6:7], v[14:15], v[38:39], v[6:7] op_sel_hi:[1,0,1]
	s_nop 0
	v_mov_b32_e32 v9, v7
	s_waitcnt vmcnt(0) lgkmcnt(0)
	v_pk_mul_f32 v[6:7], v[16:17], v[46:47] op_sel:[1,1] op_sel_hi:[0,1]
	v_pk_add_f32 v[4:5], v[4:5], v[8:9]
	v_pk_fma_f32 v[8:9], v[16:17], v[46:47], v[6:7] neg_lo:[0,0,1] neg_hi:[0,0,1]
	v_pk_fma_f32 v[6:7], v[16:17], v[46:47], v[6:7] op_sel_hi:[1,0,1]
	s_nop 0
	v_mov_b32_e32 v9, v7
	scratch_load_dwordx2 v[6:7], off, off offset:192
	v_pk_add_f32 v[4:5], v[4:5], v[8:9]
	s_waitcnt vmcnt(0)
	v_pk_add_f32 v[4:5], v[6:7], v[4:5] neg_lo:[0,1] neg_hi:[0,1]
	scratch_store_dwordx2 off, v[4:5], off offset:192
	s_and_saveexec_b64 s[0:1], vcc
	s_cbranch_execz .LBB101_195
; %bb.194:
	scratch_load_dwordx2 v[4:5], off, off offset:184
	v_mov_b32_e32 v3, v2
	scratch_store_dwordx2 off, v[2:3], off offset:184
	s_waitcnt vmcnt(1)
	ds_write_b64 v1, v[4:5]
.LBB101_195:
	s_or_b64 exec, exec, s[0:1]
	s_waitcnt lgkmcnt(0)
	; wave barrier
	ds_read_b128 v[4:7], v2 offset:496
	ds_read_b128 v[8:11], v2 offset:512
	;; [unrolled: 1-line block ×4, first 2 shown]
	scratch_load_dwordx4 v[20:23], off, off offset:192
	v_cmp_lt_u32_e32 vcc, 22, v0
	s_waitcnt vmcnt(0) lgkmcnt(3)
	v_mul_f32_e32 v3, v4, v21
	v_fmac_f32_e32 v3, v5, v20
	v_mul_f32_e32 v24, v6, v23
	v_add_f32_e32 v3, 0, v3
	v_fmac_f32_e32 v24, v7, v22
	v_add_f32_e32 v3, v3, v24
	scratch_load_dwordx4 v[24:27], off, off offset:208
	s_waitcnt vmcnt(0) lgkmcnt(2)
	v_mul_f32_e32 v28, v8, v25
	v_fmac_f32_e32 v28, v9, v24
	v_add_f32_e32 v3, v3, v28
	v_mul_f32_e32 v28, v10, v27
	v_fmac_f32_e32 v28, v11, v26
	v_add_f32_e32 v49, v3, v28
	scratch_load_dwordx4 v[28:31], off, off offset:224
	scratch_load_dwordx4 v[32:35], off, off offset:240
	scratch_load_dwordx4 v[36:39], off, off offset:256
	scratch_load_dwordx4 v[40:43], off, off offset:272
	scratch_load_dwordx4 v[44:47], off, off offset:288
	v_mul_f32_e32 v3, v5, v21
	v_fma_f32 v3, v4, v20, -v3
	v_mul_f32_e32 v4, v7, v23
	v_add_f32_e32 v3, 0, v3
	v_fma_f32 v4, v6, v22, -v4
	v_add_f32_e32 v3, v3, v4
	v_mul_f32_e32 v4, v9, v25
	v_fma_f32 v4, v8, v24, -v4
	v_add_f32_e32 v3, v3, v4
	v_mul_f32_e32 v4, v11, v27
	v_fma_f32 v4, v10, v26, -v4
	v_add_f32_e32 v48, v3, v4
	s_waitcnt vmcnt(3) lgkmcnt(0)
	v_pk_mul_f32 v[20:21], v[16:17], v[32:33] op_sel:[1,1] op_sel_hi:[0,1]
	v_pk_fma_f32 v[22:23], v[16:17], v[32:33], v[20:21] neg_lo:[0,0,1] neg_hi:[0,0,1]
	v_mul_f32_e32 v3, v13, v29
	v_mul_f32_e32 v51, v12, v29
	;; [unrolled: 1-line block ×3, first 2 shown]
	v_fma_f32 v50, v12, v28, -v3
	v_mul_f32_e32 v3, v15, v31
	v_pk_fma_f32 v[16:17], v[16:17], v[32:33], v[20:21] op_sel_hi:[1,0,1]
	v_fmac_f32_e32 v51, v13, v28
	v_fmac_f32_e32 v53, v15, v30
	v_fma_f32 v52, v14, v30, -v3
	ds_read_b128 v[4:7], v2 offset:560
	ds_read_b128 v[8:11], v2 offset:576
	;; [unrolled: 1-line block ×3, first 2 shown]
	v_mov_b32_e32 v16, v35
	v_mov_b32_e32 v23, v17
	v_pk_mul_f32 v[16:17], v[18:19], v[16:17] op_sel:[1,0] op_sel_hi:[0,0]
	v_pk_fma_f32 v[20:21], v[18:19], v[34:35], v[16:17] neg_lo:[0,0,1] neg_hi:[0,0,1]
	v_pk_fma_f32 v[16:17], v[18:19], v[34:35], v[16:17] op_sel_hi:[1,0,1]
	v_pk_add_f32 v[2:3], v[48:49], v[50:51]
	v_mov_b32_e32 v21, v17
	s_waitcnt vmcnt(2) lgkmcnt(2)
	v_pk_mul_f32 v[16:17], v[4:5], v[36:37] op_sel:[1,1] op_sel_hi:[0,1]
	v_pk_fma_f32 v[18:19], v[4:5], v[36:37], v[16:17] neg_lo:[0,0,1] neg_hi:[0,0,1]
	v_pk_fma_f32 v[4:5], v[4:5], v[36:37], v[16:17] op_sel_hi:[1,0,1]
	v_pk_add_f32 v[2:3], v[2:3], v[52:53]
	v_mov_b32_e32 v4, v39
	v_mov_b32_e32 v19, v5
	v_pk_mul_f32 v[4:5], v[6:7], v[4:5] op_sel:[1,0] op_sel_hi:[0,0]
	v_pk_fma_f32 v[16:17], v[6:7], v[38:39], v[4:5] neg_lo:[0,0,1] neg_hi:[0,0,1]
	v_pk_fma_f32 v[4:5], v[6:7], v[38:39], v[4:5] op_sel_hi:[1,0,1]
	v_pk_add_f32 v[2:3], v[2:3], v[22:23]
	v_mov_b32_e32 v17, v5
	s_waitcnt vmcnt(1) lgkmcnt(1)
	v_pk_mul_f32 v[4:5], v[8:9], v[40:41] op_sel:[1,1] op_sel_hi:[0,1]
	v_pk_add_f32 v[2:3], v[2:3], v[20:21]
	v_pk_fma_f32 v[6:7], v[8:9], v[40:41], v[4:5] neg_lo:[0,0,1] neg_hi:[0,0,1]
	v_pk_fma_f32 v[4:5], v[8:9], v[40:41], v[4:5] op_sel_hi:[1,0,1]
	v_pk_add_f32 v[2:3], v[2:3], v[18:19]
	v_mov_b32_e32 v4, v43
	v_pk_add_f32 v[2:3], v[2:3], v[16:17]
	v_mov_b32_e32 v7, v5
	v_pk_mul_f32 v[4:5], v[10:11], v[4:5] op_sel:[1,0] op_sel_hi:[0,0]
	v_pk_add_f32 v[2:3], v[2:3], v[6:7]
	v_pk_fma_f32 v[6:7], v[10:11], v[42:43], v[4:5] neg_lo:[0,0,1] neg_hi:[0,0,1]
	v_pk_fma_f32 v[4:5], v[10:11], v[42:43], v[4:5] op_sel_hi:[1,0,1]
	s_nop 0
	v_mov_b32_e32 v7, v5
	s_waitcnt vmcnt(0) lgkmcnt(0)
	v_pk_mul_f32 v[4:5], v[12:13], v[44:45] op_sel:[1,1] op_sel_hi:[0,1]
	v_pk_add_f32 v[2:3], v[2:3], v[6:7]
	v_pk_fma_f32 v[6:7], v[12:13], v[44:45], v[4:5] neg_lo:[0,0,1] neg_hi:[0,0,1]
	v_pk_fma_f32 v[4:5], v[12:13], v[44:45], v[4:5] op_sel_hi:[1,0,1]
	s_nop 0
	v_mov_b32_e32 v4, v47
	v_mov_b32_e32 v7, v5
	v_pk_mul_f32 v[4:5], v[14:15], v[4:5] op_sel:[1,0] op_sel_hi:[0,0]
	v_pk_add_f32 v[2:3], v[2:3], v[6:7]
	v_pk_fma_f32 v[6:7], v[14:15], v[46:47], v[4:5] neg_lo:[0,0,1] neg_hi:[0,0,1]
	v_pk_fma_f32 v[4:5], v[14:15], v[46:47], v[4:5] op_sel_hi:[1,0,1]
	s_nop 0
	v_mov_b32_e32 v7, v5
	scratch_load_dwordx2 v[4:5], off, off offset:184
	v_pk_add_f32 v[2:3], v[2:3], v[6:7]
	s_waitcnt vmcnt(0)
	v_pk_add_f32 v[2:3], v[4:5], v[2:3] neg_lo:[0,1] neg_hi:[0,1]
	scratch_store_dwordx2 off, v[2:3], off offset:184
	s_and_saveexec_b64 s[0:1], vcc
	s_cbranch_execz .LBB101_197
; %bb.196:
	scratch_load_dwordx2 v[2:3], off, off offset:176
	v_mov_b32_e32 v4, 0
	v_mov_b32_e32 v5, v4
	scratch_store_dwordx2 off, v[4:5], off offset:176
	s_waitcnt vmcnt(1)
	ds_write_b64 v1, v[2:3]
.LBB101_197:
	s_or_b64 exec, exec, s[0:1]
	s_waitcnt lgkmcnt(0)
	; wave barrier
	scratch_load_dwordx4 v[4:7], off, off offset:184
	scratch_load_dwordx4 v[8:11], off, off offset:200
	;; [unrolled: 1-line block ×7, first 2 shown]
	scratch_load_dwordx2 v[60:61], off, off offset:296
	scratch_load_dwordx2 v[62:63], off, off offset:176
	v_mov_b32_e32 v2, 0
	ds_read2_b64 v[32:35], v2 offset0:61 offset1:62
	ds_read2_b64 v[36:39], v2 offset0:63 offset1:64
	;; [unrolled: 1-line block ×7, first 2 shown]
	ds_read_b64 v[64:65], v2 offset:600
	v_cmp_lt_u32_e32 vcc, 21, v0
	s_waitcnt vmcnt(8) lgkmcnt(7)
	v_mul_f32_e32 v71, v34, v7
	v_mul_f32_e32 v3, v32, v5
	s_waitcnt vmcnt(7) lgkmcnt(6)
	v_mul_f32_e32 v75, v36, v9
	s_waitcnt vmcnt(6) lgkmcnt(5)
	v_mul_f32_e32 v83, v40, v13
	v_mul_f32_e32 v67, v42, v15
	;; [unrolled: 1-line block ×5, first 2 shown]
	s_waitcnt vmcnt(5)
	v_mov_b32_e32 v70, v19
	s_waitcnt vmcnt(3) lgkmcnt(2)
	v_pk_mul_f32 v[76:77], v[52:53], v[24:25] op_sel:[1,1] op_sel_hi:[0,1]
	s_waitcnt vmcnt(2) lgkmcnt(1)
	v_pk_mul_f32 v[80:81], v[56:57], v[28:29] op_sel:[1,1] op_sel_hi:[0,1]
	v_fmac_f32_e32 v71, v35, v6
	v_mul_f32_e32 v7, v35, v7
	v_mul_f32_e32 v9, v37, v9
	v_fmac_f32_e32 v3, v33, v4
	v_fmac_f32_e32 v75, v37, v8
	;; [unrolled: 1-line block ×4, first 2 shown]
	v_fma_f32 v32, v32, v4, -v5
	v_fma_f32 v37, v40, v12, -v13
	;; [unrolled: 1-line block ×3, first 2 shown]
	v_pk_mul_f32 v[4:5], v[46:47], v[70:71] op_sel:[1,0] op_sel_hi:[0,0]
	v_pk_fma_f32 v[12:13], v[52:53], v[24:25], v[76:77] neg_lo:[0,0,1] neg_hi:[0,0,1]
	v_pk_fma_f32 v[14:15], v[52:53], v[24:25], v[76:77] op_sel_hi:[1,0,1]
	v_pk_fma_f32 v[24:25], v[56:57], v[28:29], v[80:81] op_sel_hi:[1,0,1]
	v_fma_f32 v34, v34, v6, -v7
	v_add_f32_e32 v3, 0, v3
	v_add_f32_e32 v24, 0, v32
	v_pk_fma_f32 v[32:33], v[46:47], v[18:19], v[4:5] neg_lo:[0,0,1] neg_hi:[0,0,1]
	v_pk_fma_f32 v[4:5], v[46:47], v[18:19], v[4:5] op_sel_hi:[1,0,1]
	v_mul_f32_e32 v79, v38, v11
	v_mul_f32_e32 v11, v39, v11
	v_fma_f32 v35, v36, v8, -v9
	v_add_f32_e32 v3, v3, v71
	v_add_f32_e32 v4, v24, v34
	v_fmac_f32_e32 v79, v39, v10
	v_fma_f32 v36, v38, v10, -v11
	v_add_f32_e32 v3, v3, v75
	v_add_f32_e32 v4, v4, v35
	;; [unrolled: 1-line block ×4, first 2 shown]
	v_mul_f32_e32 v69, v44, v17
	v_mul_f32_e32 v17, v45, v17
	v_mov_b32_e32 v33, v5
	v_add_f32_e32 v5, v3, v83
	v_add_f32_e32 v4, v4, v37
	v_pk_mul_f32 v[72:73], v[48:49], v[20:21] op_sel:[1,1] op_sel_hi:[0,1]
	v_mov_b32_e32 v74, v23
	v_fmac_f32_e32 v69, v45, v16
	v_fma_f32 v68, v44, v16, -v17
	v_pk_add_f32 v[4:5], v[4:5], v[66:67]
	v_pk_fma_f32 v[6:7], v[48:49], v[20:21], v[72:73] neg_lo:[0,0,1] neg_hi:[0,0,1]
	v_pk_fma_f32 v[8:9], v[48:49], v[20:21], v[72:73] op_sel_hi:[1,0,1]
	v_pk_mul_f32 v[10:11], v[50:51], v[74:75] op_sel:[1,0] op_sel_hi:[0,0]
	v_pk_add_f32 v[4:5], v[4:5], v[68:69]
	v_mov_b32_e32 v78, v27
	v_mov_b32_e32 v7, v9
	v_pk_fma_f32 v[8:9], v[50:51], v[22:23], v[10:11] neg_lo:[0,0,1] neg_hi:[0,0,1]
	v_pk_fma_f32 v[10:11], v[50:51], v[22:23], v[10:11] op_sel_hi:[1,0,1]
	v_pk_add_f32 v[4:5], v[4:5], v[32:33]
	v_pk_mul_f32 v[16:17], v[54:55], v[78:79] op_sel:[1,0] op_sel_hi:[0,0]
	v_mov_b32_e32 v9, v11
	v_pk_add_f32 v[4:5], v[4:5], v[6:7]
	v_mov_b32_e32 v82, v31
	v_mov_b32_e32 v13, v15
	v_pk_fma_f32 v[14:15], v[54:55], v[26:27], v[16:17] neg_lo:[0,0,1] neg_hi:[0,0,1]
	v_pk_fma_f32 v[16:17], v[54:55], v[26:27], v[16:17] op_sel_hi:[1,0,1]
	v_pk_add_f32 v[4:5], v[4:5], v[8:9]
	v_pk_fma_f32 v[20:21], v[56:57], v[28:29], v[80:81] neg_lo:[0,0,1] neg_hi:[0,0,1]
	v_pk_mul_f32 v[28:29], v[58:59], v[82:83] op_sel:[1,0] op_sel_hi:[0,0]
	v_mov_b32_e32 v15, v17
	v_pk_add_f32 v[4:5], v[4:5], v[12:13]
	v_mov_b32_e32 v21, v25
	v_pk_add_f32 v[4:5], v[4:5], v[14:15]
	v_pk_fma_f32 v[6:7], v[58:59], v[30:31], v[28:29] neg_lo:[0,0,1] neg_hi:[0,0,1]
	v_pk_fma_f32 v[8:9], v[58:59], v[30:31], v[28:29] op_sel_hi:[1,0,1]
	v_pk_add_f32 v[4:5], v[4:5], v[20:21]
	v_mov_b32_e32 v7, v9
	v_pk_add_f32 v[4:5], v[4:5], v[6:7]
	s_waitcnt vmcnt(1) lgkmcnt(0)
	v_pk_mul_f32 v[6:7], v[64:65], v[60:61] op_sel:[1,1] op_sel_hi:[0,1]
	v_pk_fma_f32 v[8:9], v[64:65], v[60:61], v[6:7] neg_lo:[0,0,1] neg_hi:[0,0,1]
	v_pk_fma_f32 v[6:7], v[64:65], v[60:61], v[6:7] op_sel_hi:[1,0,1]
	s_nop 0
	v_mov_b32_e32 v9, v7
	v_pk_add_f32 v[4:5], v[4:5], v[8:9]
	s_waitcnt vmcnt(0)
	v_pk_add_f32 v[4:5], v[62:63], v[4:5] neg_lo:[0,1] neg_hi:[0,1]
	scratch_store_dwordx2 off, v[4:5], off offset:176
	s_and_saveexec_b64 s[0:1], vcc
	s_cbranch_execz .LBB101_199
; %bb.198:
	scratch_load_dwordx2 v[4:5], off, off offset:168
	v_mov_b32_e32 v3, v2
	scratch_store_dwordx2 off, v[2:3], off offset:168
	s_waitcnt vmcnt(1)
	ds_write_b64 v1, v[4:5]
.LBB101_199:
	s_or_b64 exec, exec, s[0:1]
	s_waitcnt lgkmcnt(0)
	; wave barrier
	scratch_load_dwordx4 v[4:7], off, off offset:176
	scratch_load_dwordx4 v[8:11], off, off offset:192
	;; [unrolled: 1-line block ×7, first 2 shown]
	ds_read_b128 v[32:35], v2 offset:480
	ds_read_b128 v[36:39], v2 offset:496
	;; [unrolled: 1-line block ×4, first 2 shown]
	scratch_load_dwordx4 v[48:51], off, off offset:288
	ds_read_b128 v[52:55], v2 offset:544
	ds_read_b128 v[56:59], v2 offset:560
	;; [unrolled: 1-line block ×4, first 2 shown]
	scratch_load_dwordx2 v[2:3], off, off offset:168
	v_cmp_lt_u32_e32 vcc, 20, v0
	s_waitcnt vmcnt(8) lgkmcnt(7)
	v_mul_f32_e32 v75, v32, v5
	v_mul_f32_e32 v79, v34, v7
	s_waitcnt vmcnt(7) lgkmcnt(6)
	v_mul_f32_e32 v83, v36, v9
	v_mul_f32_e32 v84, v38, v11
	;; [unrolled: 3-line block ×3, first 2 shown]
	v_mul_f32_e32 v5, v33, v5
	v_mul_f32_e32 v7, v35, v7
	v_mul_f32_e32 v9, v37, v9
	v_mul_f32_e32 v11, v39, v11
	v_mul_f32_e32 v13, v41, v13
	v_mul_f32_e32 v15, v43, v15
	s_waitcnt vmcnt(4) lgkmcnt(3)
	v_pk_mul_f32 v[72:73], v[52:53], v[20:21] op_sel:[1,1] op_sel_hi:[0,1]
	v_mov_b32_e32 v74, v23
	s_waitcnt vmcnt(3) lgkmcnt(2)
	v_pk_mul_f32 v[76:77], v[56:57], v[24:25] op_sel:[1,1] op_sel_hi:[0,1]
	v_mov_b32_e32 v78, v27
	v_fmac_f32_e32 v75, v33, v4
	v_fmac_f32_e32 v79, v35, v6
	;; [unrolled: 1-line block ×6, first 2 shown]
	v_fma_f32 v32, v32, v4, -v5
	v_fma_f32 v33, v34, v6, -v7
	;; [unrolled: 1-line block ×6, first 2 shown]
	v_pk_fma_f32 v[4:5], v[52:53], v[20:21], v[72:73] neg_lo:[0,0,1] neg_hi:[0,0,1]
	v_pk_fma_f32 v[6:7], v[52:53], v[20:21], v[72:73] op_sel_hi:[1,0,1]
	v_pk_mul_f32 v[8:9], v[54:55], v[74:75] op_sel:[1,0] op_sel_hi:[0,0]
	v_pk_fma_f32 v[10:11], v[56:57], v[24:25], v[76:77] neg_lo:[0,0,1] neg_hi:[0,0,1]
	v_pk_fma_f32 v[12:13], v[56:57], v[24:25], v[76:77] op_sel_hi:[1,0,1]
	v_pk_mul_f32 v[14:15], v[58:59], v[78:79] op_sel:[1,0] op_sel_hi:[0,0]
	v_add_f32_e32 v24, 0, v75
	v_add_f32_e32 v25, 0, v32
	v_mov_b32_e32 v5, v7
	v_pk_fma_f32 v[6:7], v[54:55], v[22:23], v[8:9] neg_lo:[0,0,1] neg_hi:[0,0,1]
	v_pk_fma_f32 v[8:9], v[54:55], v[22:23], v[8:9] op_sel_hi:[1,0,1]
	v_mov_b32_e32 v11, v13
	v_pk_fma_f32 v[12:13], v[58:59], v[26:27], v[14:15] neg_lo:[0,0,1] neg_hi:[0,0,1]
	v_pk_fma_f32 v[14:15], v[58:59], v[26:27], v[14:15] op_sel_hi:[1,0,1]
	v_add_f32_e32 v8, v24, v79
	v_add_f32_e32 v14, v25, v33
	v_mov_b32_e32 v7, v9
	v_add_f32_e32 v8, v8, v83
	v_add_f32_e32 v9, v14, v34
	v_add_f32_e32 v8, v8, v84
	v_add_f32_e32 v9, v9, v35
	v_mul_f32_e32 v69, v44, v17
	v_mul_f32_e32 v17, v45, v17
	v_add_f32_e32 v8, v8, v85
	v_add_f32_e32 v14, v9, v36
	v_mul_f32_e32 v71, v46, v19
	v_mul_f32_e32 v19, v47, v19
	v_fmac_f32_e32 v69, v45, v16
	v_fma_f32 v68, v44, v16, -v17
	v_add_f32_e32 v9, v8, v86
	v_add_f32_e32 v8, v14, v37
	v_fmac_f32_e32 v71, v47, v18
	v_fma_f32 v70, v46, v18, -v19
	v_pk_add_f32 v[8:9], v[8:9], v[68:69]
	s_waitcnt vmcnt(2) lgkmcnt(1)
	v_pk_mul_f32 v[80:81], v[60:61], v[28:29] op_sel:[1,1] op_sel_hi:[0,1]
	v_mov_b32_e32 v82, v31
	v_pk_add_f32 v[8:9], v[8:9], v[70:71]
	v_pk_fma_f32 v[16:17], v[60:61], v[28:29], v[80:81] neg_lo:[0,0,1] neg_hi:[0,0,1]
	v_pk_fma_f32 v[18:19], v[60:61], v[28:29], v[80:81] op_sel_hi:[1,0,1]
	v_pk_mul_f32 v[20:21], v[62:63], v[82:83] op_sel:[1,0] op_sel_hi:[0,0]
	v_pk_add_f32 v[4:5], v[8:9], v[4:5]
	v_mov_b32_e32 v17, v19
	v_pk_fma_f32 v[18:19], v[62:63], v[30:31], v[20:21] neg_lo:[0,0,1] neg_hi:[0,0,1]
	v_pk_add_f32 v[4:5], v[4:5], v[6:7]
	v_pk_fma_f32 v[6:7], v[62:63], v[30:31], v[20:21] op_sel_hi:[1,0,1]
	v_mov_b32_e32 v13, v15
	v_pk_add_f32 v[4:5], v[4:5], v[10:11]
	v_mov_b32_e32 v19, v7
	s_waitcnt vmcnt(1) lgkmcnt(0)
	v_pk_mul_f32 v[6:7], v[64:65], v[48:49] op_sel:[1,1] op_sel_hi:[0,1]
	v_pk_add_f32 v[4:5], v[4:5], v[12:13]
	v_pk_fma_f32 v[8:9], v[64:65], v[48:49], v[6:7] neg_lo:[0,0,1] neg_hi:[0,0,1]
	v_pk_fma_f32 v[6:7], v[64:65], v[48:49], v[6:7] op_sel_hi:[1,0,1]
	v_pk_add_f32 v[4:5], v[4:5], v[16:17]
	v_mov_b32_e32 v6, v51
	v_pk_add_f32 v[4:5], v[4:5], v[18:19]
	v_mov_b32_e32 v9, v7
	v_pk_mul_f32 v[6:7], v[66:67], v[6:7] op_sel:[1,0] op_sel_hi:[0,0]
	v_pk_add_f32 v[4:5], v[4:5], v[8:9]
	v_pk_fma_f32 v[8:9], v[66:67], v[50:51], v[6:7] neg_lo:[0,0,1] neg_hi:[0,0,1]
	v_pk_fma_f32 v[6:7], v[66:67], v[50:51], v[6:7] op_sel_hi:[1,0,1]
	s_nop 0
	v_mov_b32_e32 v9, v7
	v_pk_add_f32 v[4:5], v[4:5], v[8:9]
	s_waitcnt vmcnt(0)
	v_pk_add_f32 v[2:3], v[2:3], v[4:5] neg_lo:[0,1] neg_hi:[0,1]
	scratch_store_dwordx2 off, v[2:3], off offset:168
	s_and_saveexec_b64 s[0:1], vcc
	s_cbranch_execz .LBB101_201
; %bb.200:
	scratch_load_dwordx2 v[2:3], off, off offset:160
	v_mov_b32_e32 v4, 0
	v_mov_b32_e32 v5, v4
	scratch_store_dwordx2 off, v[4:5], off offset:160
	s_waitcnt vmcnt(1)
	ds_write_b64 v1, v[2:3]
.LBB101_201:
	s_or_b64 exec, exec, s[0:1]
	s_waitcnt lgkmcnt(0)
	; wave barrier
	scratch_load_dwordx4 v[4:7], off, off offset:168
	scratch_load_dwordx4 v[8:11], off, off offset:184
	;; [unrolled: 1-line block ×8, first 2 shown]
	scratch_load_dwordx2 v[68:69], off, off offset:296
	scratch_load_dwordx2 v[70:71], off, off offset:160
	v_mov_b32_e32 v2, 0
	ds_read2_b64 v[36:39], v2 offset0:59 offset1:60
	ds_read2_b64 v[40:43], v2 offset0:61 offset1:62
	;; [unrolled: 1-line block ×8, first 2 shown]
	ds_read_b64 v[72:73], v2 offset:600
	v_cmp_lt_u32_e32 vcc, 19, v0
	s_waitcnt vmcnt(9) lgkmcnt(8)
	v_mul_f32_e32 v79, v38, v7
	v_mul_f32_e32 v3, v36, v5
	s_waitcnt vmcnt(8) lgkmcnt(7)
	v_mul_f32_e32 v83, v40, v9
	s_waitcnt vmcnt(7) lgkmcnt(6)
	v_mul_f32_e32 v87, v44, v13
	v_mul_f32_e32 v5, v37, v5
	;; [unrolled: 1-line block ×5, first 2 shown]
	s_waitcnt vmcnt(5)
	v_mov_b32_e32 v78, v23
	s_waitcnt vmcnt(3) lgkmcnt(2)
	v_pk_mul_f32 v[84:85], v[60:61], v[28:29] op_sel:[1,1] op_sel_hi:[0,1]
	v_fmac_f32_e32 v79, v39, v6
	v_mul_f32_e32 v86, v42, v11
	v_mul_f32_e32 v89, v48, v17
	;; [unrolled: 1-line block ×4, first 2 shown]
	v_fmac_f32_e32 v3, v37, v4
	v_fmac_f32_e32 v87, v45, v12
	v_fma_f32 v36, v36, v4, -v5
	v_fma_f32 v37, v38, v6, -v7
	v_fma_f32 v38, v40, v8, -v9
	v_fma_f32 v40, v44, v12, -v13
	v_pk_mul_f32 v[4:5], v[54:55], v[78:79] op_sel:[1,0] op_sel_hi:[0,0]
	v_pk_fma_f32 v[12:13], v[60:61], v[28:29], v[84:85] neg_lo:[0,0,1] neg_hi:[0,0,1]
	v_fmac_f32_e32 v89, v49, v16
	v_fma_f32 v39, v42, v10, -v11
	v_fma_f32 v42, v48, v16, -v17
	v_add_f32_e32 v3, 0, v3
	v_add_f32_e32 v13, 0, v36
	v_pk_fma_f32 v[16:17], v[54:55], v[22:23], v[4:5] neg_lo:[0,0,1] neg_hi:[0,0,1]
	v_pk_fma_f32 v[4:5], v[54:55], v[22:23], v[4:5] op_sel_hi:[1,0,1]
	v_fmac_f32_e32 v83, v41, v8
	v_add_f32_e32 v3, v3, v79
	v_add_f32_e32 v4, v13, v37
	v_fmac_f32_e32 v86, v43, v10
	v_add_f32_e32 v3, v3, v83
	v_add_f32_e32 v4, v4, v38
	v_mul_f32_e32 v88, v46, v15
	v_mul_f32_e32 v15, v47, v15
	v_add_f32_e32 v3, v3, v86
	v_add_f32_e32 v4, v4, v39
	v_fmac_f32_e32 v88, v47, v14
	v_fma_f32 v41, v46, v14, -v15
	v_add_f32_e32 v3, v3, v87
	v_add_f32_e32 v4, v4, v40
	v_mul_f32_e32 v75, v50, v19
	v_mul_f32_e32 v19, v51, v19
	v_add_f32_e32 v3, v3, v88
	v_add_f32_e32 v4, v4, v41
	v_mul_f32_e32 v77, v52, v21
	v_mul_f32_e32 v21, v53, v21
	v_fmac_f32_e32 v75, v51, v18
	v_fma_f32 v74, v50, v18, -v19
	v_mov_b32_e32 v17, v5
	v_add_f32_e32 v5, v3, v89
	v_add_f32_e32 v4, v4, v42
	v_pk_mul_f32 v[80:81], v[56:57], v[24:25] op_sel:[1,1] op_sel_hi:[0,1]
	v_fmac_f32_e32 v77, v53, v20
	v_fma_f32 v76, v52, v20, -v21
	v_pk_add_f32 v[4:5], v[4:5], v[74:75]
	v_mov_b32_e32 v82, v27
	v_pk_fma_f32 v[6:7], v[56:57], v[24:25], v[80:81] neg_lo:[0,0,1] neg_hi:[0,0,1]
	v_pk_fma_f32 v[8:9], v[56:57], v[24:25], v[80:81] op_sel_hi:[1,0,1]
	v_pk_add_f32 v[4:5], v[4:5], v[76:77]
	v_pk_mul_f32 v[10:11], v[58:59], v[82:83] op_sel:[1,0] op_sel_hi:[0,0]
	v_mov_b32_e32 v7, v9
	v_pk_add_f32 v[4:5], v[4:5], v[16:17]
	v_pk_fma_f32 v[8:9], v[58:59], v[26:27], v[10:11] neg_lo:[0,0,1] neg_hi:[0,0,1]
	v_pk_fma_f32 v[10:11], v[58:59], v[26:27], v[10:11] op_sel_hi:[1,0,1]
	v_pk_add_f32 v[4:5], v[4:5], v[6:7]
	v_mov_b32_e32 v6, v31
	v_pk_fma_f32 v[14:15], v[60:61], v[28:29], v[84:85] op_sel_hi:[1,0,1]
	v_mov_b32_e32 v9, v11
	v_pk_mul_f32 v[6:7], v[62:63], v[6:7] op_sel:[1,0] op_sel_hi:[0,0]
	v_pk_add_f32 v[4:5], v[4:5], v[8:9]
	v_mov_b32_e32 v13, v15
	v_pk_fma_f32 v[8:9], v[62:63], v[30:31], v[6:7] neg_lo:[0,0,1] neg_hi:[0,0,1]
	v_pk_fma_f32 v[6:7], v[62:63], v[30:31], v[6:7] op_sel_hi:[1,0,1]
	v_pk_add_f32 v[4:5], v[4:5], v[12:13]
	v_mov_b32_e32 v9, v7
	s_waitcnt vmcnt(2) lgkmcnt(1)
	v_pk_mul_f32 v[6:7], v[64:65], v[32:33] op_sel:[1,1] op_sel_hi:[0,1]
	v_pk_add_f32 v[4:5], v[4:5], v[8:9]
	v_pk_fma_f32 v[8:9], v[64:65], v[32:33], v[6:7] neg_lo:[0,0,1] neg_hi:[0,0,1]
	v_pk_fma_f32 v[6:7], v[64:65], v[32:33], v[6:7] op_sel_hi:[1,0,1]
	s_nop 0
	v_mov_b32_e32 v6, v35
	v_mov_b32_e32 v9, v7
	v_pk_mul_f32 v[6:7], v[66:67], v[6:7] op_sel:[1,0] op_sel_hi:[0,0]
	v_pk_add_f32 v[4:5], v[4:5], v[8:9]
	v_pk_fma_f32 v[8:9], v[66:67], v[34:35], v[6:7] neg_lo:[0,0,1] neg_hi:[0,0,1]
	v_pk_fma_f32 v[6:7], v[66:67], v[34:35], v[6:7] op_sel_hi:[1,0,1]
	s_nop 0
	v_mov_b32_e32 v9, v7
	s_waitcnt vmcnt(1) lgkmcnt(0)
	v_pk_mul_f32 v[6:7], v[72:73], v[68:69] op_sel:[1,1] op_sel_hi:[0,1]
	v_pk_add_f32 v[4:5], v[4:5], v[8:9]
	v_pk_fma_f32 v[8:9], v[72:73], v[68:69], v[6:7] neg_lo:[0,0,1] neg_hi:[0,0,1]
	v_pk_fma_f32 v[6:7], v[72:73], v[68:69], v[6:7] op_sel_hi:[1,0,1]
	s_nop 0
	v_mov_b32_e32 v9, v7
	v_pk_add_f32 v[4:5], v[4:5], v[8:9]
	s_waitcnt vmcnt(0)
	v_pk_add_f32 v[4:5], v[70:71], v[4:5] neg_lo:[0,1] neg_hi:[0,1]
	scratch_store_dwordx2 off, v[4:5], off offset:160
	s_and_saveexec_b64 s[0:1], vcc
	s_cbranch_execz .LBB101_203
; %bb.202:
	scratch_load_dwordx2 v[4:5], off, off offset:152
	v_mov_b32_e32 v3, v2
	scratch_store_dwordx2 off, v[2:3], off offset:152
	s_waitcnt vmcnt(1)
	ds_write_b64 v1, v[4:5]
.LBB101_203:
	s_or_b64 exec, exec, s[0:1]
	s_waitcnt lgkmcnt(0)
	; wave barrier
	scratch_load_dwordx4 v[4:7], off, off offset:160
	scratch_load_dwordx4 v[8:11], off, off offset:176
	;; [unrolled: 1-line block ×7, first 2 shown]
	ds_read_b128 v[32:35], v2 offset:464
	ds_read_b128 v[36:39], v2 offset:480
	;; [unrolled: 1-line block ×4, first 2 shown]
	scratch_load_dwordx4 v[48:51], off, off offset:272
	scratch_load_dwordx4 v[52:55], off, off offset:288
	ds_read_b128 v[56:59], v2 offset:528
	ds_read_b128 v[60:63], v2 offset:544
	;; [unrolled: 1-line block ×5, first 2 shown]
	scratch_load_dwordx2 v[2:3], off, off offset:152
	v_cmp_lt_u32_e32 vcc, 18, v0
	s_waitcnt vmcnt(9) lgkmcnt(8)
	v_mul_f32_e32 v83, v32, v5
	v_mul_f32_e32 v86, v34, v7
	s_waitcnt vmcnt(8) lgkmcnt(7)
	v_mul_f32_e32 v87, v36, v9
	s_waitcnt vmcnt(7) lgkmcnt(6)
	v_mul_f32_e32 v89, v40, v13
	v_mul_f32_e32 v5, v33, v5
	;; [unrolled: 1-line block ×5, first 2 shown]
	s_waitcnt vmcnt(4) lgkmcnt(3)
	v_pk_mul_f32 v[80:81], v[60:61], v[24:25] op_sel:[1,1] op_sel_hi:[0,1]
	v_mov_b32_e32 v82, v27
	s_waitcnt vmcnt(3) lgkmcnt(2)
	v_pk_mul_f32 v[84:85], v[64:65], v[28:29] op_sel:[1,1] op_sel_hi:[0,1]
	v_fmac_f32_e32 v83, v33, v4
	v_mul_f32_e32 v90, v42, v15
	v_mul_f32_e32 v91, v44, v17
	;; [unrolled: 1-line block ×4, first 2 shown]
	v_fmac_f32_e32 v86, v35, v6
	v_fmac_f32_e32 v87, v37, v8
	;; [unrolled: 1-line block ×3, first 2 shown]
	v_fma_f32 v32, v32, v4, -v5
	v_fma_f32 v33, v34, v6, -v7
	;; [unrolled: 1-line block ×4, first 2 shown]
	v_pk_fma_f32 v[4:5], v[60:61], v[24:25], v[80:81] neg_lo:[0,0,1] neg_hi:[0,0,1]
	v_pk_fma_f32 v[6:7], v[60:61], v[24:25], v[80:81] op_sel_hi:[1,0,1]
	v_pk_mul_f32 v[8:9], v[62:63], v[82:83] op_sel:[1,0] op_sel_hi:[0,0]
	v_pk_fma_f32 v[12:13], v[64:65], v[28:29], v[84:85] op_sel_hi:[1,0,1]
	v_fmac_f32_e32 v90, v43, v14
	v_fma_f32 v14, v42, v14, -v15
	v_fma_f32 v15, v44, v16, -v17
	v_add_f32_e32 v12, 0, v83
	v_add_f32_e32 v17, 0, v32
	v_mov_b32_e32 v5, v7
	v_pk_fma_f32 v[6:7], v[62:63], v[26:27], v[8:9] neg_lo:[0,0,1] neg_hi:[0,0,1]
	v_pk_fma_f32 v[8:9], v[62:63], v[26:27], v[8:9] op_sel_hi:[1,0,1]
	v_mul_f32_e32 v88, v38, v11
	v_mul_f32_e32 v11, v39, v11
	v_add_f32_e32 v8, v12, v86
	v_add_f32_e32 v12, v17, v33
	v_fmac_f32_e32 v88, v39, v10
	v_fma_f32 v35, v38, v10, -v11
	v_mov_b32_e32 v7, v9
	v_add_f32_e32 v8, v8, v87
	v_add_f32_e32 v9, v12, v34
	;; [unrolled: 1-line block ×6, first 2 shown]
	v_mul_f32_e32 v92, v46, v19
	v_mul_f32_e32 v19, v47, v19
	v_fmac_f32_e32 v91, v45, v16
	v_add_f32_e32 v8, v8, v90
	v_add_f32_e32 v9, v9, v14
	v_mul_f32_e32 v77, v56, v21
	v_mul_f32_e32 v21, v57, v21
	v_fmac_f32_e32 v92, v47, v18
	v_fma_f32 v16, v46, v18, -v19
	v_add_f32_e32 v8, v8, v91
	v_add_f32_e32 v12, v9, v15
	v_mul_f32_e32 v79, v58, v23
	v_mul_f32_e32 v23, v59, v23
	v_fmac_f32_e32 v77, v57, v20
	v_fma_f32 v76, v56, v20, -v21
	v_add_f32_e32 v9, v8, v92
	v_add_f32_e32 v8, v12, v16
	v_fmac_f32_e32 v79, v59, v22
	v_fma_f32 v78, v58, v22, -v23
	v_pk_add_f32 v[8:9], v[8:9], v[76:77]
	v_pk_fma_f32 v[10:11], v[64:65], v[28:29], v[84:85] neg_lo:[0,0,1] neg_hi:[0,0,1]
	v_pk_add_f32 v[8:9], v[8:9], v[78:79]
	v_mov_b32_e32 v11, v13
	v_pk_add_f32 v[4:5], v[8:9], v[4:5]
	s_nop 0
	v_pk_add_f32 v[4:5], v[4:5], v[6:7]
	v_mov_b32_e32 v6, v31
	v_pk_mul_f32 v[6:7], v[66:67], v[6:7] op_sel:[1,0] op_sel_hi:[0,0]
	v_pk_fma_f32 v[8:9], v[66:67], v[30:31], v[6:7] neg_lo:[0,0,1] neg_hi:[0,0,1]
	v_pk_fma_f32 v[6:7], v[66:67], v[30:31], v[6:7] op_sel_hi:[1,0,1]
	v_pk_add_f32 v[4:5], v[4:5], v[10:11]
	v_mov_b32_e32 v9, v7
	s_waitcnt vmcnt(2) lgkmcnt(1)
	v_pk_mul_f32 v[6:7], v[68:69], v[48:49] op_sel:[1,1] op_sel_hi:[0,1]
	v_pk_add_f32 v[4:5], v[4:5], v[8:9]
	v_pk_fma_f32 v[8:9], v[68:69], v[48:49], v[6:7] neg_lo:[0,0,1] neg_hi:[0,0,1]
	v_pk_fma_f32 v[6:7], v[68:69], v[48:49], v[6:7] op_sel_hi:[1,0,1]
	s_nop 0
	v_mov_b32_e32 v6, v51
	v_mov_b32_e32 v9, v7
	v_pk_mul_f32 v[6:7], v[70:71], v[6:7] op_sel:[1,0] op_sel_hi:[0,0]
	v_pk_add_f32 v[4:5], v[4:5], v[8:9]
	v_pk_fma_f32 v[8:9], v[70:71], v[50:51], v[6:7] neg_lo:[0,0,1] neg_hi:[0,0,1]
	v_pk_fma_f32 v[6:7], v[70:71], v[50:51], v[6:7] op_sel_hi:[1,0,1]
	s_nop 0
	v_mov_b32_e32 v9, v7
	s_waitcnt vmcnt(1) lgkmcnt(0)
	v_pk_mul_f32 v[6:7], v[72:73], v[52:53] op_sel:[1,1] op_sel_hi:[0,1]
	v_pk_add_f32 v[4:5], v[4:5], v[8:9]
	v_pk_fma_f32 v[8:9], v[72:73], v[52:53], v[6:7] neg_lo:[0,0,1] neg_hi:[0,0,1]
	v_pk_fma_f32 v[6:7], v[72:73], v[52:53], v[6:7] op_sel_hi:[1,0,1]
	s_nop 0
	v_mov_b32_e32 v6, v55
	v_mov_b32_e32 v9, v7
	v_pk_mul_f32 v[6:7], v[74:75], v[6:7] op_sel:[1,0] op_sel_hi:[0,0]
	v_pk_add_f32 v[4:5], v[4:5], v[8:9]
	v_pk_fma_f32 v[8:9], v[74:75], v[54:55], v[6:7] neg_lo:[0,0,1] neg_hi:[0,0,1]
	v_pk_fma_f32 v[6:7], v[74:75], v[54:55], v[6:7] op_sel_hi:[1,0,1]
	s_nop 0
	v_mov_b32_e32 v9, v7
	v_pk_add_f32 v[4:5], v[4:5], v[8:9]
	s_waitcnt vmcnt(0)
	v_pk_add_f32 v[2:3], v[2:3], v[4:5] neg_lo:[0,1] neg_hi:[0,1]
	scratch_store_dwordx2 off, v[2:3], off offset:152
	s_and_saveexec_b64 s[0:1], vcc
	s_cbranch_execz .LBB101_205
; %bb.204:
	scratch_load_dwordx2 v[2:3], off, off offset:144
	v_mov_b32_e32 v4, 0
	v_mov_b32_e32 v5, v4
	scratch_store_dwordx2 off, v[4:5], off offset:144
	s_waitcnt vmcnt(1)
	ds_write_b64 v1, v[2:3]
.LBB101_205:
	s_or_b64 exec, exec, s[0:1]
	s_waitcnt lgkmcnt(0)
	; wave barrier
	scratch_load_dwordx4 v[8:11], off, off offset:152
	scratch_load_dwordx4 v[16:19], off, off offset:168
	;; [unrolled: 1-line block ×6, first 2 shown]
	v_mov_b32_e32 v2, 0
	ds_read2_b64 v[4:7], v2 offset0:57 offset1:58
	v_cmp_lt_u32_e32 vcc, 17, v0
	s_waitcnt vmcnt(5) lgkmcnt(0)
	v_mul_f32_e32 v3, v4, v9
	v_fmac_f32_e32 v3, v5, v8
	v_mul_f32_e32 v12, v6, v11
	v_add_f32_e32 v3, 0, v3
	v_fmac_f32_e32 v12, v7, v10
	v_add_f32_e32 v3, v3, v12
	ds_read2_b64 v[12:15], v2 offset0:59 offset1:60
	s_waitcnt vmcnt(4) lgkmcnt(0)
	v_mul_f32_e32 v20, v12, v17
	v_fmac_f32_e32 v20, v13, v16
	v_add_f32_e32 v3, v3, v20
	v_mul_f32_e32 v20, v14, v19
	v_fmac_f32_e32 v20, v15, v18
	v_add_f32_e32 v3, v3, v20
	ds_read2_b64 v[20:23], v2 offset0:61 offset1:62
	s_waitcnt vmcnt(3) lgkmcnt(0)
	v_mul_f32_e32 v28, v20, v25
	v_fmac_f32_e32 v28, v21, v24
	v_add_f32_e32 v3, v3, v28
	v_mul_f32_e32 v28, v22, v27
	;; [unrolled: 8-line block ×3, first 2 shown]
	v_fmac_f32_e32 v36, v31, v34
	v_add_f32_e32 v3, v3, v36
	ds_read2_b64 v[36:39], v2 offset0:65 offset1:66
	s_waitcnt vmcnt(1) lgkmcnt(0)
	v_mul_f32_e32 v44, v36, v41
	v_fmac_f32_e32 v44, v37, v40
	v_add_f32_e32 v65, v3, v44
	ds_read2_b64 v[44:47], v2 offset0:67 offset1:68
	scratch_load_dwordx4 v[52:55], off, off offset:248
	scratch_load_dwordx4 v[56:59], off, off offset:264
	;; [unrolled: 1-line block ×3, first 2 shown]
	scratch_load_dwordx2 v[70:71], off, off offset:296
	v_mul_f32_e32 v3, v5, v9
	v_fma_f32 v3, v4, v8, -v3
	v_mul_f32_e32 v4, v7, v11
	v_add_f32_e32 v3, 0, v3
	v_fma_f32 v4, v6, v10, -v4
	v_add_f32_e32 v3, v3, v4
	v_mul_f32_e32 v4, v13, v17
	v_fma_f32 v4, v12, v16, -v4
	v_add_f32_e32 v3, v3, v4
	v_mul_f32_e32 v4, v15, v19
	;; [unrolled: 3-line block ×7, first 2 shown]
	v_fma_f32 v4, v36, v40, -v4
	v_mul_f32_e32 v67, v38, v43
	v_add_f32_e32 v64, v3, v4
	v_mul_f32_e32 v3, v39, v43
	s_waitcnt vmcnt(4)
	v_mov_b32_e32 v20, v51
	v_fmac_f32_e32 v67, v39, v42
	s_waitcnt lgkmcnt(0)
	v_mul_f32_e32 v69, v44, v49
	v_fma_f32 v66, v38, v42, -v3
	v_mul_f32_e32 v3, v45, v49
	ds_read2_b64 v[4:7], v2 offset0:69 offset1:70
	ds_read2_b64 v[8:11], v2 offset0:71 offset1:72
	;; [unrolled: 1-line block ×3, first 2 shown]
	ds_read_b64 v[16:17], v2 offset:600
	v_pk_mul_f32 v[20:21], v[46:47], v[20:21] op_sel:[1,0] op_sel_hi:[0,0]
	v_fmac_f32_e32 v69, v45, v48
	v_fma_f32 v68, v44, v48, -v3
	v_pk_add_f32 v[18:19], v[64:65], v[66:67]
	v_pk_fma_f32 v[22:23], v[46:47], v[50:51], v[20:21] neg_lo:[0,0,1] neg_hi:[0,0,1]
	v_pk_fma_f32 v[20:21], v[46:47], v[50:51], v[20:21] op_sel_hi:[1,0,1]
	v_pk_add_f32 v[18:19], v[18:19], v[68:69]
	v_mov_b32_e32 v23, v21
	v_pk_add_f32 v[18:19], v[18:19], v[22:23]
	s_waitcnt vmcnt(3) lgkmcnt(3)
	v_pk_mul_f32 v[20:21], v[4:5], v[52:53] op_sel:[1,1] op_sel_hi:[0,1]
	v_pk_fma_f32 v[22:23], v[4:5], v[52:53], v[20:21] neg_lo:[0,0,1] neg_hi:[0,0,1]
	v_pk_fma_f32 v[4:5], v[4:5], v[52:53], v[20:21] op_sel_hi:[1,0,1]
	s_nop 0
	v_mov_b32_e32 v23, v5
	v_pk_add_f32 v[4:5], v[18:19], v[22:23]
	v_mov_b32_e32 v18, v55
	v_pk_mul_f32 v[18:19], v[6:7], v[18:19] op_sel:[1,0] op_sel_hi:[0,0]
	v_pk_fma_f32 v[20:21], v[6:7], v[54:55], v[18:19] neg_lo:[0,0,1] neg_hi:[0,0,1]
	v_pk_fma_f32 v[6:7], v[6:7], v[54:55], v[18:19] op_sel_hi:[1,0,1]
	s_nop 0
	v_mov_b32_e32 v21, v7
	s_waitcnt vmcnt(2) lgkmcnt(2)
	v_pk_mul_f32 v[6:7], v[8:9], v[56:57] op_sel:[1,1] op_sel_hi:[0,1]
	v_pk_fma_f32 v[18:19], v[8:9], v[56:57], v[6:7] neg_lo:[0,0,1] neg_hi:[0,0,1]
	v_pk_fma_f32 v[6:7], v[8:9], v[56:57], v[6:7] op_sel_hi:[1,0,1]
	v_pk_add_f32 v[4:5], v[4:5], v[20:21]
	v_mov_b32_e32 v6, v59
	v_mov_b32_e32 v19, v7
	v_pk_mul_f32 v[6:7], v[10:11], v[6:7] op_sel:[1,0] op_sel_hi:[0,0]
	v_pk_fma_f32 v[8:9], v[10:11], v[58:59], v[6:7] neg_lo:[0,0,1] neg_hi:[0,0,1]
	v_pk_fma_f32 v[6:7], v[10:11], v[58:59], v[6:7] op_sel_hi:[1,0,1]
	v_pk_add_f32 v[4:5], v[4:5], v[18:19]
	v_mov_b32_e32 v9, v7
	s_waitcnt vmcnt(1) lgkmcnt(1)
	v_pk_mul_f32 v[6:7], v[12:13], v[60:61] op_sel:[1,1] op_sel_hi:[0,1]
	v_pk_add_f32 v[4:5], v[4:5], v[8:9]
	v_pk_fma_f32 v[8:9], v[12:13], v[60:61], v[6:7] neg_lo:[0,0,1] neg_hi:[0,0,1]
	v_pk_fma_f32 v[6:7], v[12:13], v[60:61], v[6:7] op_sel_hi:[1,0,1]
	s_nop 0
	v_mov_b32_e32 v6, v63
	v_mov_b32_e32 v9, v7
	v_pk_mul_f32 v[6:7], v[14:15], v[6:7] op_sel:[1,0] op_sel_hi:[0,0]
	v_pk_add_f32 v[4:5], v[4:5], v[8:9]
	v_pk_fma_f32 v[8:9], v[14:15], v[62:63], v[6:7] neg_lo:[0,0,1] neg_hi:[0,0,1]
	v_pk_fma_f32 v[6:7], v[14:15], v[62:63], v[6:7] op_sel_hi:[1,0,1]
	s_nop 0
	v_mov_b32_e32 v9, v7
	s_waitcnt vmcnt(0) lgkmcnt(0)
	v_pk_mul_f32 v[6:7], v[16:17], v[70:71] op_sel:[1,1] op_sel_hi:[0,1]
	v_pk_add_f32 v[4:5], v[4:5], v[8:9]
	v_pk_fma_f32 v[8:9], v[16:17], v[70:71], v[6:7] neg_lo:[0,0,1] neg_hi:[0,0,1]
	v_pk_fma_f32 v[6:7], v[16:17], v[70:71], v[6:7] op_sel_hi:[1,0,1]
	s_nop 0
	v_mov_b32_e32 v9, v7
	scratch_load_dwordx2 v[6:7], off, off offset:144
	v_pk_add_f32 v[4:5], v[4:5], v[8:9]
	s_waitcnt vmcnt(0)
	v_pk_add_f32 v[4:5], v[6:7], v[4:5] neg_lo:[0,1] neg_hi:[0,1]
	scratch_store_dwordx2 off, v[4:5], off offset:144
	s_and_saveexec_b64 s[0:1], vcc
	s_cbranch_execz .LBB101_207
; %bb.206:
	scratch_load_dwordx2 v[4:5], off, off offset:136
	v_mov_b32_e32 v3, v2
	scratch_store_dwordx2 off, v[2:3], off offset:136
	s_waitcnt vmcnt(1)
	ds_write_b64 v1, v[4:5]
.LBB101_207:
	s_or_b64 exec, exec, s[0:1]
	s_waitcnt lgkmcnt(0)
	; wave barrier
	ds_read_b128 v[4:7], v2 offset:448
	ds_read_b128 v[8:11], v2 offset:464
	;; [unrolled: 1-line block ×4, first 2 shown]
	scratch_load_dwordx4 v[20:23], off, off offset:144
	scratch_load_dwordx4 v[40:43], off, off offset:208
	v_cmp_lt_u32_e32 vcc, 16, v0
	scratch_load_dwordx4 v[48:51], off, off offset:224
	s_waitcnt vmcnt(2) lgkmcnt(3)
	v_mul_f32_e32 v3, v4, v21
	v_fmac_f32_e32 v3, v5, v20
	v_mul_f32_e32 v24, v6, v23
	v_add_f32_e32 v3, 0, v3
	v_fmac_f32_e32 v24, v7, v22
	v_add_f32_e32 v3, v3, v24
	scratch_load_dwordx4 v[24:27], off, off offset:160
	s_waitcnt vmcnt(0) lgkmcnt(2)
	v_mul_f32_e32 v28, v8, v25
	v_fmac_f32_e32 v28, v9, v24
	v_add_f32_e32 v3, v3, v28
	v_mul_f32_e32 v28, v10, v27
	v_fmac_f32_e32 v28, v11, v26
	v_add_f32_e32 v3, v3, v28
	scratch_load_dwordx4 v[28:31], off, off offset:176
	s_waitcnt vmcnt(0) lgkmcnt(1)
	v_mul_f32_e32 v32, v12, v29
	v_fmac_f32_e32 v32, v13, v28
	v_add_f32_e32 v3, v3, v32
	v_mul_f32_e32 v32, v14, v31
	;; [unrolled: 8-line block ×3, first 2 shown]
	v_fmac_f32_e32 v36, v19, v34
	v_add_f32_e32 v3, v3, v36
	ds_read_b128 v[36:39], v2 offset:512
	s_waitcnt lgkmcnt(0)
	v_mul_f32_e32 v44, v36, v41
	v_fmac_f32_e32 v44, v37, v40
	v_add_f32_e32 v3, v3, v44
	v_mul_f32_e32 v44, v38, v43
	v_fmac_f32_e32 v44, v39, v42
	v_add_f32_e32 v69, v3, v44
	ds_read_b128 v[44:47], v2 offset:528
	scratch_load_dwordx4 v[52:55], off, off offset:240
	scratch_load_dwordx4 v[56:59], off, off offset:256
	;; [unrolled: 1-line block ×4, first 2 shown]
	v_mul_f32_e32 v3, v5, v21
	v_fma_f32 v3, v4, v20, -v3
	v_mul_f32_e32 v4, v7, v23
	v_add_f32_e32 v3, 0, v3
	v_fma_f32 v4, v6, v22, -v4
	v_add_f32_e32 v3, v3, v4
	v_mul_f32_e32 v4, v9, v25
	v_fma_f32 v4, v8, v24, -v4
	v_add_f32_e32 v3, v3, v4
	v_mul_f32_e32 v4, v11, v27
	;; [unrolled: 3-line block ×8, first 2 shown]
	v_fma_f32 v4, v38, v42, -v4
	v_add_f32_e32 v68, v3, v4
	ds_read_b128 v[4:7], v2 offset:544
	ds_read_b128 v[8:11], v2 offset:560
	;; [unrolled: 1-line block ×4, first 2 shown]
	s_waitcnt lgkmcnt(4)
	v_mul_f32_e32 v71, v44, v49
	v_mul_f32_e32 v3, v45, v49
	v_fmac_f32_e32 v71, v45, v48
	v_mul_f32_e32 v73, v46, v51
	v_fma_f32 v70, v44, v48, -v3
	v_mul_f32_e32 v3, v47, v51
	v_fmac_f32_e32 v73, v47, v50
	v_fma_f32 v72, v46, v50, -v3
	v_pk_add_f32 v[2:3], v[68:69], v[70:71]
	s_waitcnt vmcnt(3) lgkmcnt(3)
	v_pk_mul_f32 v[20:21], v[4:5], v[52:53] op_sel:[1,1] op_sel_hi:[0,1]
	v_pk_fma_f32 v[22:23], v[4:5], v[52:53], v[20:21] neg_lo:[0,0,1] neg_hi:[0,0,1]
	v_pk_fma_f32 v[4:5], v[4:5], v[52:53], v[20:21] op_sel_hi:[1,0,1]
	v_pk_add_f32 v[2:3], v[2:3], v[72:73]
	v_mov_b32_e32 v4, v55
	v_mov_b32_e32 v23, v5
	v_pk_mul_f32 v[4:5], v[6:7], v[4:5] op_sel:[1,0] op_sel_hi:[0,0]
	v_pk_fma_f32 v[20:21], v[6:7], v[54:55], v[4:5] neg_lo:[0,0,1] neg_hi:[0,0,1]
	v_pk_fma_f32 v[4:5], v[6:7], v[54:55], v[4:5] op_sel_hi:[1,0,1]
	v_pk_add_f32 v[2:3], v[2:3], v[22:23]
	v_mov_b32_e32 v21, v5
	s_waitcnt vmcnt(2) lgkmcnt(2)
	v_pk_mul_f32 v[4:5], v[8:9], v[56:57] op_sel:[1,1] op_sel_hi:[0,1]
	v_pk_fma_f32 v[6:7], v[8:9], v[56:57], v[4:5] neg_lo:[0,0,1] neg_hi:[0,0,1]
	v_pk_fma_f32 v[4:5], v[8:9], v[56:57], v[4:5] op_sel_hi:[1,0,1]
	v_pk_add_f32 v[2:3], v[2:3], v[20:21]
	v_mov_b32_e32 v4, v59
	v_mov_b32_e32 v7, v5
	v_pk_mul_f32 v[4:5], v[10:11], v[4:5] op_sel:[1,0] op_sel_hi:[0,0]
	v_pk_add_f32 v[2:3], v[2:3], v[6:7]
	v_pk_fma_f32 v[6:7], v[10:11], v[58:59], v[4:5] neg_lo:[0,0,1] neg_hi:[0,0,1]
	v_pk_fma_f32 v[4:5], v[10:11], v[58:59], v[4:5] op_sel_hi:[1,0,1]
	s_nop 0
	v_mov_b32_e32 v7, v5
	s_waitcnt vmcnt(1) lgkmcnt(1)
	v_pk_mul_f32 v[4:5], v[12:13], v[60:61] op_sel:[1,1] op_sel_hi:[0,1]
	v_pk_add_f32 v[2:3], v[2:3], v[6:7]
	v_pk_fma_f32 v[6:7], v[12:13], v[60:61], v[4:5] neg_lo:[0,0,1] neg_hi:[0,0,1]
	v_pk_fma_f32 v[4:5], v[12:13], v[60:61], v[4:5] op_sel_hi:[1,0,1]
	s_nop 0
	v_mov_b32_e32 v4, v63
	v_mov_b32_e32 v7, v5
	v_pk_mul_f32 v[4:5], v[14:15], v[4:5] op_sel:[1,0] op_sel_hi:[0,0]
	v_pk_add_f32 v[2:3], v[2:3], v[6:7]
	v_pk_fma_f32 v[6:7], v[14:15], v[62:63], v[4:5] neg_lo:[0,0,1] neg_hi:[0,0,1]
	v_pk_fma_f32 v[4:5], v[14:15], v[62:63], v[4:5] op_sel_hi:[1,0,1]
	s_nop 0
	v_mov_b32_e32 v7, v5
	s_waitcnt vmcnt(0) lgkmcnt(0)
	v_pk_mul_f32 v[4:5], v[16:17], v[64:65] op_sel:[1,1] op_sel_hi:[0,1]
	v_pk_add_f32 v[2:3], v[2:3], v[6:7]
	v_pk_fma_f32 v[6:7], v[16:17], v[64:65], v[4:5] neg_lo:[0,0,1] neg_hi:[0,0,1]
	v_pk_fma_f32 v[4:5], v[16:17], v[64:65], v[4:5] op_sel_hi:[1,0,1]
	s_nop 0
	v_mov_b32_e32 v4, v67
	v_mov_b32_e32 v7, v5
	v_pk_mul_f32 v[4:5], v[18:19], v[4:5] op_sel:[1,0] op_sel_hi:[0,0]
	v_pk_add_f32 v[2:3], v[2:3], v[6:7]
	v_pk_fma_f32 v[6:7], v[18:19], v[66:67], v[4:5] neg_lo:[0,0,1] neg_hi:[0,0,1]
	v_pk_fma_f32 v[4:5], v[18:19], v[66:67], v[4:5] op_sel_hi:[1,0,1]
	s_nop 0
	v_mov_b32_e32 v7, v5
	scratch_load_dwordx2 v[4:5], off, off offset:136
	v_pk_add_f32 v[2:3], v[2:3], v[6:7]
	s_waitcnt vmcnt(0)
	v_pk_add_f32 v[2:3], v[4:5], v[2:3] neg_lo:[0,1] neg_hi:[0,1]
	scratch_store_dwordx2 off, v[2:3], off offset:136
	s_and_saveexec_b64 s[0:1], vcc
	s_cbranch_execz .LBB101_209
; %bb.208:
	scratch_load_dwordx2 v[2:3], off, off offset:128
	v_mov_b32_e32 v4, 0
	v_mov_b32_e32 v5, v4
	scratch_store_dwordx2 off, v[4:5], off offset:128
	s_waitcnt vmcnt(1)
	ds_write_b64 v1, v[2:3]
.LBB101_209:
	s_or_b64 exec, exec, s[0:1]
	s_waitcnt lgkmcnt(0)
	; wave barrier
	scratch_load_dwordx4 v[8:11], off, off offset:136
	scratch_load_dwordx4 v[16:19], off, off offset:152
	;; [unrolled: 1-line block ×6, first 2 shown]
	v_mov_b32_e32 v2, 0
	ds_read2_b64 v[4:7], v2 offset0:55 offset1:56
	scratch_load_dwordx4 v[56:59], off, off offset:232
	v_cmp_lt_u32_e32 vcc, 15, v0
	s_waitcnt vmcnt(6) lgkmcnt(0)
	v_mul_f32_e32 v3, v4, v9
	v_fmac_f32_e32 v3, v5, v8
	v_mul_f32_e32 v12, v6, v11
	v_add_f32_e32 v3, 0, v3
	v_fmac_f32_e32 v12, v7, v10
	v_add_f32_e32 v3, v3, v12
	ds_read2_b64 v[12:15], v2 offset0:57 offset1:58
	s_waitcnt vmcnt(5) lgkmcnt(0)
	v_mul_f32_e32 v20, v12, v17
	v_fmac_f32_e32 v20, v13, v16
	v_add_f32_e32 v3, v3, v20
	v_mul_f32_e32 v20, v14, v19
	v_fmac_f32_e32 v20, v15, v18
	v_add_f32_e32 v3, v3, v20
	ds_read2_b64 v[20:23], v2 offset0:59 offset1:60
	s_waitcnt vmcnt(4) lgkmcnt(0)
	v_mul_f32_e32 v28, v20, v25
	v_fmac_f32_e32 v28, v21, v24
	v_add_f32_e32 v3, v3, v28
	v_mul_f32_e32 v28, v22, v27
	;; [unrolled: 8-line block ×4, first 2 shown]
	v_fmac_f32_e32 v44, v39, v42
	v_add_f32_e32 v3, v3, v44
	ds_read2_b64 v[44:47], v2 offset0:65 offset1:66
	s_waitcnt vmcnt(1) lgkmcnt(0)
	v_mul_f32_e32 v52, v44, v49
	v_fmac_f32_e32 v52, v45, v48
	v_add_f32_e32 v73, v3, v52
	ds_read2_b64 v[52:55], v2 offset0:67 offset1:68
	scratch_load_dwordx4 v[60:63], off, off offset:248
	scratch_load_dwordx4 v[64:67], off, off offset:264
	;; [unrolled: 1-line block ×3, first 2 shown]
	scratch_load_dwordx2 v[78:79], off, off offset:296
	v_mul_f32_e32 v3, v5, v9
	v_fma_f32 v3, v4, v8, -v3
	v_mul_f32_e32 v4, v7, v11
	v_add_f32_e32 v3, 0, v3
	v_fma_f32 v4, v6, v10, -v4
	v_add_f32_e32 v3, v3, v4
	v_mul_f32_e32 v4, v13, v17
	v_fma_f32 v4, v12, v16, -v4
	v_add_f32_e32 v3, v3, v4
	v_mul_f32_e32 v4, v15, v19
	v_fma_f32 v4, v14, v18, -v4
	v_add_f32_e32 v3, v3, v4
	v_mul_f32_e32 v4, v21, v25
	v_fma_f32 v4, v20, v24, -v4
	v_add_f32_e32 v3, v3, v4
	v_mul_f32_e32 v4, v23, v27
	v_fma_f32 v4, v22, v26, -v4
	v_add_f32_e32 v3, v3, v4
	v_mul_f32_e32 v4, v29, v33
	v_fma_f32 v4, v28, v32, -v4
	v_add_f32_e32 v3, v3, v4
	v_mul_f32_e32 v4, v31, v35
	v_fma_f32 v4, v30, v34, -v4
	v_add_f32_e32 v3, v3, v4
	v_mul_f32_e32 v4, v37, v41
	v_fma_f32 v4, v36, v40, -v4
	v_add_f32_e32 v3, v3, v4
	v_mul_f32_e32 v4, v39, v43
	v_fma_f32 v4, v38, v42, -v4
	v_add_f32_e32 v3, v3, v4
	v_mul_f32_e32 v4, v45, v49
	v_fma_f32 v4, v44, v48, -v4
	v_mul_f32_e32 v75, v46, v51
	v_add_f32_e32 v72, v3, v4
	v_mul_f32_e32 v3, v47, v51
	s_waitcnt vmcnt(4)
	v_mov_b32_e32 v20, v59
	v_fmac_f32_e32 v75, v47, v50
	s_waitcnt lgkmcnt(0)
	v_mul_f32_e32 v77, v52, v57
	v_fma_f32 v74, v46, v50, -v3
	v_mul_f32_e32 v3, v53, v57
	ds_read2_b64 v[4:7], v2 offset0:69 offset1:70
	ds_read2_b64 v[8:11], v2 offset0:71 offset1:72
	;; [unrolled: 1-line block ×3, first 2 shown]
	ds_read_b64 v[16:17], v2 offset:600
	v_pk_mul_f32 v[20:21], v[54:55], v[20:21] op_sel:[1,0] op_sel_hi:[0,0]
	v_fmac_f32_e32 v77, v53, v56
	v_fma_f32 v76, v52, v56, -v3
	v_pk_add_f32 v[18:19], v[72:73], v[74:75]
	v_pk_fma_f32 v[22:23], v[54:55], v[58:59], v[20:21] neg_lo:[0,0,1] neg_hi:[0,0,1]
	v_pk_fma_f32 v[20:21], v[54:55], v[58:59], v[20:21] op_sel_hi:[1,0,1]
	v_pk_add_f32 v[18:19], v[18:19], v[76:77]
	v_mov_b32_e32 v23, v21
	v_pk_add_f32 v[18:19], v[18:19], v[22:23]
	s_waitcnt vmcnt(3) lgkmcnt(3)
	v_pk_mul_f32 v[20:21], v[4:5], v[60:61] op_sel:[1,1] op_sel_hi:[0,1]
	v_pk_fma_f32 v[22:23], v[4:5], v[60:61], v[20:21] neg_lo:[0,0,1] neg_hi:[0,0,1]
	v_pk_fma_f32 v[4:5], v[4:5], v[60:61], v[20:21] op_sel_hi:[1,0,1]
	s_nop 0
	v_mov_b32_e32 v23, v5
	v_pk_add_f32 v[4:5], v[18:19], v[22:23]
	v_mov_b32_e32 v18, v63
	v_pk_mul_f32 v[18:19], v[6:7], v[18:19] op_sel:[1,0] op_sel_hi:[0,0]
	v_pk_fma_f32 v[20:21], v[6:7], v[62:63], v[18:19] neg_lo:[0,0,1] neg_hi:[0,0,1]
	v_pk_fma_f32 v[6:7], v[6:7], v[62:63], v[18:19] op_sel_hi:[1,0,1]
	s_nop 0
	v_mov_b32_e32 v21, v7
	s_waitcnt vmcnt(2) lgkmcnt(2)
	v_pk_mul_f32 v[6:7], v[8:9], v[64:65] op_sel:[1,1] op_sel_hi:[0,1]
	v_pk_fma_f32 v[18:19], v[8:9], v[64:65], v[6:7] neg_lo:[0,0,1] neg_hi:[0,0,1]
	v_pk_fma_f32 v[6:7], v[8:9], v[64:65], v[6:7] op_sel_hi:[1,0,1]
	v_pk_add_f32 v[4:5], v[4:5], v[20:21]
	v_mov_b32_e32 v6, v67
	v_mov_b32_e32 v19, v7
	v_pk_mul_f32 v[6:7], v[10:11], v[6:7] op_sel:[1,0] op_sel_hi:[0,0]
	v_pk_fma_f32 v[8:9], v[10:11], v[66:67], v[6:7] neg_lo:[0,0,1] neg_hi:[0,0,1]
	v_pk_fma_f32 v[6:7], v[10:11], v[66:67], v[6:7] op_sel_hi:[1,0,1]
	v_pk_add_f32 v[4:5], v[4:5], v[18:19]
	v_mov_b32_e32 v9, v7
	s_waitcnt vmcnt(1) lgkmcnt(1)
	v_pk_mul_f32 v[6:7], v[12:13], v[68:69] op_sel:[1,1] op_sel_hi:[0,1]
	v_pk_add_f32 v[4:5], v[4:5], v[8:9]
	v_pk_fma_f32 v[8:9], v[12:13], v[68:69], v[6:7] neg_lo:[0,0,1] neg_hi:[0,0,1]
	v_pk_fma_f32 v[6:7], v[12:13], v[68:69], v[6:7] op_sel_hi:[1,0,1]
	s_nop 0
	v_mov_b32_e32 v6, v71
	v_mov_b32_e32 v9, v7
	v_pk_mul_f32 v[6:7], v[14:15], v[6:7] op_sel:[1,0] op_sel_hi:[0,0]
	v_pk_add_f32 v[4:5], v[4:5], v[8:9]
	v_pk_fma_f32 v[8:9], v[14:15], v[70:71], v[6:7] neg_lo:[0,0,1] neg_hi:[0,0,1]
	v_pk_fma_f32 v[6:7], v[14:15], v[70:71], v[6:7] op_sel_hi:[1,0,1]
	s_nop 0
	v_mov_b32_e32 v9, v7
	s_waitcnt vmcnt(0) lgkmcnt(0)
	v_pk_mul_f32 v[6:7], v[16:17], v[78:79] op_sel:[1,1] op_sel_hi:[0,1]
	v_pk_add_f32 v[4:5], v[4:5], v[8:9]
	v_pk_fma_f32 v[8:9], v[16:17], v[78:79], v[6:7] neg_lo:[0,0,1] neg_hi:[0,0,1]
	v_pk_fma_f32 v[6:7], v[16:17], v[78:79], v[6:7] op_sel_hi:[1,0,1]
	s_nop 0
	v_mov_b32_e32 v9, v7
	scratch_load_dwordx2 v[6:7], off, off offset:128
	v_pk_add_f32 v[4:5], v[4:5], v[8:9]
	s_waitcnt vmcnt(0)
	v_pk_add_f32 v[4:5], v[6:7], v[4:5] neg_lo:[0,1] neg_hi:[0,1]
	scratch_store_dwordx2 off, v[4:5], off offset:128
	s_and_saveexec_b64 s[0:1], vcc
	s_cbranch_execz .LBB101_211
; %bb.210:
	scratch_load_dwordx2 v[4:5], off, off offset:120
	v_mov_b32_e32 v3, v2
	scratch_store_dwordx2 off, v[2:3], off offset:120
	s_waitcnt vmcnt(1)
	ds_write_b64 v1, v[4:5]
.LBB101_211:
	s_or_b64 exec, exec, s[0:1]
	s_waitcnt lgkmcnt(0)
	; wave barrier
	ds_read_b128 v[4:7], v2 offset:432
	ds_read_b128 v[8:11], v2 offset:448
	;; [unrolled: 1-line block ×4, first 2 shown]
	scratch_load_dwordx4 v[20:23], off, off offset:128
	scratch_load_dwordx4 v[40:43], off, off offset:192
	v_cmp_lt_u32_e32 vcc, 14, v0
	scratch_load_dwordx4 v[48:51], off, off offset:208
	scratch_load_dwordx4 v[56:59], off, off offset:224
	s_waitcnt vmcnt(3) lgkmcnt(3)
	v_mul_f32_e32 v3, v4, v21
	v_fmac_f32_e32 v3, v5, v20
	v_mul_f32_e32 v24, v6, v23
	v_add_f32_e32 v3, 0, v3
	v_fmac_f32_e32 v24, v7, v22
	v_add_f32_e32 v3, v3, v24
	scratch_load_dwordx4 v[24:27], off, off offset:144
	s_waitcnt vmcnt(0) lgkmcnt(2)
	v_mul_f32_e32 v28, v8, v25
	v_fmac_f32_e32 v28, v9, v24
	v_add_f32_e32 v3, v3, v28
	v_mul_f32_e32 v28, v10, v27
	v_fmac_f32_e32 v28, v11, v26
	v_add_f32_e32 v3, v3, v28
	scratch_load_dwordx4 v[28:31], off, off offset:160
	s_waitcnt vmcnt(0) lgkmcnt(1)
	v_mul_f32_e32 v32, v12, v29
	v_fmac_f32_e32 v32, v13, v28
	v_add_f32_e32 v3, v3, v32
	v_mul_f32_e32 v32, v14, v31
	;; [unrolled: 8-line block ×3, first 2 shown]
	v_fmac_f32_e32 v36, v19, v34
	v_add_f32_e32 v3, v3, v36
	ds_read_b128 v[36:39], v2 offset:496
	s_waitcnt lgkmcnt(0)
	v_mul_f32_e32 v44, v36, v41
	v_fmac_f32_e32 v44, v37, v40
	v_add_f32_e32 v3, v3, v44
	v_mul_f32_e32 v44, v38, v43
	v_fmac_f32_e32 v44, v39, v42
	v_add_f32_e32 v3, v3, v44
	ds_read_b128 v[44:47], v2 offset:512
	s_waitcnt lgkmcnt(0)
	v_mul_f32_e32 v52, v44, v49
	v_fmac_f32_e32 v52, v45, v48
	v_add_f32_e32 v3, v3, v52
	v_mul_f32_e32 v52, v46, v51
	v_fmac_f32_e32 v52, v47, v50
	v_add_f32_e32 v77, v3, v52
	ds_read_b128 v[52:55], v2 offset:528
	scratch_load_dwordx4 v[60:63], off, off offset:240
	scratch_load_dwordx4 v[64:67], off, off offset:256
	;; [unrolled: 1-line block ×4, first 2 shown]
	v_mul_f32_e32 v3, v5, v21
	v_fma_f32 v3, v4, v20, -v3
	v_mul_f32_e32 v4, v7, v23
	v_add_f32_e32 v3, 0, v3
	v_fma_f32 v4, v6, v22, -v4
	v_add_f32_e32 v3, v3, v4
	v_mul_f32_e32 v4, v9, v25
	v_fma_f32 v4, v8, v24, -v4
	v_add_f32_e32 v3, v3, v4
	v_mul_f32_e32 v4, v11, v27
	;; [unrolled: 3-line block ×10, first 2 shown]
	v_fma_f32 v4, v46, v50, -v4
	v_add_f32_e32 v76, v3, v4
	ds_read_b128 v[4:7], v2 offset:544
	ds_read_b128 v[8:11], v2 offset:560
	;; [unrolled: 1-line block ×4, first 2 shown]
	s_waitcnt lgkmcnt(4)
	v_mul_f32_e32 v79, v52, v57
	v_mul_f32_e32 v3, v53, v57
	v_fmac_f32_e32 v79, v53, v56
	v_mul_f32_e32 v81, v54, v59
	v_fma_f32 v78, v52, v56, -v3
	v_mul_f32_e32 v3, v55, v59
	v_fmac_f32_e32 v81, v55, v58
	v_fma_f32 v80, v54, v58, -v3
	v_pk_add_f32 v[2:3], v[76:77], v[78:79]
	s_waitcnt vmcnt(3) lgkmcnt(3)
	v_pk_mul_f32 v[20:21], v[4:5], v[60:61] op_sel:[1,1] op_sel_hi:[0,1]
	v_pk_fma_f32 v[22:23], v[4:5], v[60:61], v[20:21] neg_lo:[0,0,1] neg_hi:[0,0,1]
	v_pk_fma_f32 v[4:5], v[4:5], v[60:61], v[20:21] op_sel_hi:[1,0,1]
	v_pk_add_f32 v[2:3], v[2:3], v[80:81]
	v_mov_b32_e32 v4, v63
	v_mov_b32_e32 v23, v5
	v_pk_mul_f32 v[4:5], v[6:7], v[4:5] op_sel:[1,0] op_sel_hi:[0,0]
	v_pk_fma_f32 v[20:21], v[6:7], v[62:63], v[4:5] neg_lo:[0,0,1] neg_hi:[0,0,1]
	v_pk_fma_f32 v[4:5], v[6:7], v[62:63], v[4:5] op_sel_hi:[1,0,1]
	v_pk_add_f32 v[2:3], v[2:3], v[22:23]
	v_mov_b32_e32 v21, v5
	s_waitcnt vmcnt(2) lgkmcnt(2)
	v_pk_mul_f32 v[4:5], v[8:9], v[64:65] op_sel:[1,1] op_sel_hi:[0,1]
	v_pk_fma_f32 v[6:7], v[8:9], v[64:65], v[4:5] neg_lo:[0,0,1] neg_hi:[0,0,1]
	v_pk_fma_f32 v[4:5], v[8:9], v[64:65], v[4:5] op_sel_hi:[1,0,1]
	v_pk_add_f32 v[2:3], v[2:3], v[20:21]
	v_mov_b32_e32 v4, v67
	v_mov_b32_e32 v7, v5
	v_pk_mul_f32 v[4:5], v[10:11], v[4:5] op_sel:[1,0] op_sel_hi:[0,0]
	v_pk_add_f32 v[2:3], v[2:3], v[6:7]
	v_pk_fma_f32 v[6:7], v[10:11], v[66:67], v[4:5] neg_lo:[0,0,1] neg_hi:[0,0,1]
	v_pk_fma_f32 v[4:5], v[10:11], v[66:67], v[4:5] op_sel_hi:[1,0,1]
	s_nop 0
	v_mov_b32_e32 v7, v5
	s_waitcnt vmcnt(1) lgkmcnt(1)
	v_pk_mul_f32 v[4:5], v[12:13], v[68:69] op_sel:[1,1] op_sel_hi:[0,1]
	v_pk_add_f32 v[2:3], v[2:3], v[6:7]
	v_pk_fma_f32 v[6:7], v[12:13], v[68:69], v[4:5] neg_lo:[0,0,1] neg_hi:[0,0,1]
	v_pk_fma_f32 v[4:5], v[12:13], v[68:69], v[4:5] op_sel_hi:[1,0,1]
	s_nop 0
	v_mov_b32_e32 v4, v71
	v_mov_b32_e32 v7, v5
	v_pk_mul_f32 v[4:5], v[14:15], v[4:5] op_sel:[1,0] op_sel_hi:[0,0]
	v_pk_add_f32 v[2:3], v[2:3], v[6:7]
	v_pk_fma_f32 v[6:7], v[14:15], v[70:71], v[4:5] neg_lo:[0,0,1] neg_hi:[0,0,1]
	v_pk_fma_f32 v[4:5], v[14:15], v[70:71], v[4:5] op_sel_hi:[1,0,1]
	s_nop 0
	v_mov_b32_e32 v7, v5
	s_waitcnt vmcnt(0) lgkmcnt(0)
	v_pk_mul_f32 v[4:5], v[16:17], v[72:73] op_sel:[1,1] op_sel_hi:[0,1]
	v_pk_add_f32 v[2:3], v[2:3], v[6:7]
	v_pk_fma_f32 v[6:7], v[16:17], v[72:73], v[4:5] neg_lo:[0,0,1] neg_hi:[0,0,1]
	v_pk_fma_f32 v[4:5], v[16:17], v[72:73], v[4:5] op_sel_hi:[1,0,1]
	s_nop 0
	v_mov_b32_e32 v4, v75
	v_mov_b32_e32 v7, v5
	v_pk_mul_f32 v[4:5], v[18:19], v[4:5] op_sel:[1,0] op_sel_hi:[0,0]
	v_pk_add_f32 v[2:3], v[2:3], v[6:7]
	v_pk_fma_f32 v[6:7], v[18:19], v[74:75], v[4:5] neg_lo:[0,0,1] neg_hi:[0,0,1]
	v_pk_fma_f32 v[4:5], v[18:19], v[74:75], v[4:5] op_sel_hi:[1,0,1]
	s_nop 0
	v_mov_b32_e32 v7, v5
	scratch_load_dwordx2 v[4:5], off, off offset:120
	v_pk_add_f32 v[2:3], v[2:3], v[6:7]
	s_waitcnt vmcnt(0)
	v_pk_add_f32 v[2:3], v[4:5], v[2:3] neg_lo:[0,1] neg_hi:[0,1]
	scratch_store_dwordx2 off, v[2:3], off offset:120
	s_and_saveexec_b64 s[0:1], vcc
	s_cbranch_execz .LBB101_213
; %bb.212:
	scratch_load_dwordx2 v[2:3], off, off offset:112
	v_mov_b32_e32 v4, 0
	v_mov_b32_e32 v5, v4
	scratch_store_dwordx2 off, v[4:5], off offset:112
	s_waitcnt vmcnt(1)
	ds_write_b64 v1, v[2:3]
.LBB101_213:
	s_or_b64 exec, exec, s[0:1]
	s_waitcnt lgkmcnt(0)
	; wave barrier
	scratch_load_dwordx4 v[8:11], off, off offset:120
	scratch_load_dwordx4 v[16:19], off, off offset:136
	;; [unrolled: 1-line block ×8, first 2 shown]
	v_mov_b32_e32 v2, 0
	ds_read2_b64 v[4:7], v2 offset0:53 offset1:54
	v_cmp_lt_u32_e32 vcc, 13, v0
	s_waitcnt vmcnt(7) lgkmcnt(0)
	v_mul_f32_e32 v3, v4, v9
	v_fmac_f32_e32 v3, v5, v8
	v_mul_f32_e32 v12, v6, v11
	v_add_f32_e32 v3, 0, v3
	v_fmac_f32_e32 v12, v7, v10
	v_add_f32_e32 v3, v3, v12
	ds_read2_b64 v[12:15], v2 offset0:55 offset1:56
	s_waitcnt vmcnt(6) lgkmcnt(0)
	v_mul_f32_e32 v20, v12, v17
	v_fmac_f32_e32 v20, v13, v16
	v_add_f32_e32 v3, v3, v20
	v_mul_f32_e32 v20, v14, v19
	v_fmac_f32_e32 v20, v15, v18
	v_add_f32_e32 v3, v3, v20
	ds_read2_b64 v[20:23], v2 offset0:57 offset1:58
	s_waitcnt vmcnt(5) lgkmcnt(0)
	v_mul_f32_e32 v28, v20, v25
	v_fmac_f32_e32 v28, v21, v24
	v_add_f32_e32 v3, v3, v28
	v_mul_f32_e32 v28, v22, v27
	;; [unrolled: 8-line block ×5, first 2 shown]
	v_fmac_f32_e32 v52, v47, v50
	v_add_f32_e32 v3, v3, v52
	ds_read2_b64 v[52:55], v2 offset0:65 offset1:66
	s_waitcnt vmcnt(1) lgkmcnt(0)
	v_mul_f32_e32 v60, v52, v57
	v_fmac_f32_e32 v60, v53, v56
	v_add_f32_e32 v81, v3, v60
	ds_read2_b64 v[60:63], v2 offset0:67 offset1:68
	scratch_load_dwordx4 v[68:71], off, off offset:248
	scratch_load_dwordx4 v[72:75], off, off offset:264
	;; [unrolled: 1-line block ×3, first 2 shown]
	scratch_load_dwordx2 v[86:87], off, off offset:296
	v_mul_f32_e32 v3, v5, v9
	v_fma_f32 v3, v4, v8, -v3
	v_mul_f32_e32 v4, v7, v11
	v_add_f32_e32 v3, 0, v3
	v_fma_f32 v4, v6, v10, -v4
	v_add_f32_e32 v3, v3, v4
	v_mul_f32_e32 v4, v13, v17
	v_fma_f32 v4, v12, v16, -v4
	v_add_f32_e32 v3, v3, v4
	v_mul_f32_e32 v4, v15, v19
	;; [unrolled: 3-line block ×11, first 2 shown]
	v_fma_f32 v4, v52, v56, -v4
	v_mul_f32_e32 v83, v54, v59
	v_add_f32_e32 v80, v3, v4
	v_mul_f32_e32 v3, v55, v59
	s_waitcnt vmcnt(4)
	v_mov_b32_e32 v20, v67
	v_fmac_f32_e32 v83, v55, v58
	s_waitcnt lgkmcnt(0)
	v_mul_f32_e32 v85, v60, v65
	v_fma_f32 v82, v54, v58, -v3
	v_mul_f32_e32 v3, v61, v65
	ds_read2_b64 v[4:7], v2 offset0:69 offset1:70
	ds_read2_b64 v[8:11], v2 offset0:71 offset1:72
	;; [unrolled: 1-line block ×3, first 2 shown]
	ds_read_b64 v[16:17], v2 offset:600
	v_pk_mul_f32 v[20:21], v[62:63], v[20:21] op_sel:[1,0] op_sel_hi:[0,0]
	v_fmac_f32_e32 v85, v61, v64
	v_fma_f32 v84, v60, v64, -v3
	v_pk_add_f32 v[18:19], v[80:81], v[82:83]
	v_pk_fma_f32 v[22:23], v[62:63], v[66:67], v[20:21] neg_lo:[0,0,1] neg_hi:[0,0,1]
	v_pk_fma_f32 v[20:21], v[62:63], v[66:67], v[20:21] op_sel_hi:[1,0,1]
	v_pk_add_f32 v[18:19], v[18:19], v[84:85]
	v_mov_b32_e32 v23, v21
	v_pk_add_f32 v[18:19], v[18:19], v[22:23]
	s_waitcnt vmcnt(3) lgkmcnt(3)
	v_pk_mul_f32 v[20:21], v[4:5], v[68:69] op_sel:[1,1] op_sel_hi:[0,1]
	v_pk_fma_f32 v[22:23], v[4:5], v[68:69], v[20:21] neg_lo:[0,0,1] neg_hi:[0,0,1]
	v_pk_fma_f32 v[4:5], v[4:5], v[68:69], v[20:21] op_sel_hi:[1,0,1]
	s_nop 0
	v_mov_b32_e32 v23, v5
	v_pk_add_f32 v[4:5], v[18:19], v[22:23]
	v_mov_b32_e32 v18, v71
	v_pk_mul_f32 v[18:19], v[6:7], v[18:19] op_sel:[1,0] op_sel_hi:[0,0]
	v_pk_fma_f32 v[20:21], v[6:7], v[70:71], v[18:19] neg_lo:[0,0,1] neg_hi:[0,0,1]
	v_pk_fma_f32 v[6:7], v[6:7], v[70:71], v[18:19] op_sel_hi:[1,0,1]
	s_nop 0
	v_mov_b32_e32 v21, v7
	s_waitcnt vmcnt(2) lgkmcnt(2)
	v_pk_mul_f32 v[6:7], v[8:9], v[72:73] op_sel:[1,1] op_sel_hi:[0,1]
	v_pk_fma_f32 v[18:19], v[8:9], v[72:73], v[6:7] neg_lo:[0,0,1] neg_hi:[0,0,1]
	v_pk_fma_f32 v[6:7], v[8:9], v[72:73], v[6:7] op_sel_hi:[1,0,1]
	v_pk_add_f32 v[4:5], v[4:5], v[20:21]
	v_mov_b32_e32 v6, v75
	v_mov_b32_e32 v19, v7
	v_pk_mul_f32 v[6:7], v[10:11], v[6:7] op_sel:[1,0] op_sel_hi:[0,0]
	v_pk_fma_f32 v[8:9], v[10:11], v[74:75], v[6:7] neg_lo:[0,0,1] neg_hi:[0,0,1]
	v_pk_fma_f32 v[6:7], v[10:11], v[74:75], v[6:7] op_sel_hi:[1,0,1]
	v_pk_add_f32 v[4:5], v[4:5], v[18:19]
	v_mov_b32_e32 v9, v7
	s_waitcnt vmcnt(1) lgkmcnt(1)
	v_pk_mul_f32 v[6:7], v[12:13], v[76:77] op_sel:[1,1] op_sel_hi:[0,1]
	v_pk_add_f32 v[4:5], v[4:5], v[8:9]
	v_pk_fma_f32 v[8:9], v[12:13], v[76:77], v[6:7] neg_lo:[0,0,1] neg_hi:[0,0,1]
	v_pk_fma_f32 v[6:7], v[12:13], v[76:77], v[6:7] op_sel_hi:[1,0,1]
	s_nop 0
	v_mov_b32_e32 v6, v79
	v_mov_b32_e32 v9, v7
	v_pk_mul_f32 v[6:7], v[14:15], v[6:7] op_sel:[1,0] op_sel_hi:[0,0]
	v_pk_add_f32 v[4:5], v[4:5], v[8:9]
	v_pk_fma_f32 v[8:9], v[14:15], v[78:79], v[6:7] neg_lo:[0,0,1] neg_hi:[0,0,1]
	v_pk_fma_f32 v[6:7], v[14:15], v[78:79], v[6:7] op_sel_hi:[1,0,1]
	s_nop 0
	v_mov_b32_e32 v9, v7
	s_waitcnt vmcnt(0) lgkmcnt(0)
	v_pk_mul_f32 v[6:7], v[16:17], v[86:87] op_sel:[1,1] op_sel_hi:[0,1]
	v_pk_add_f32 v[4:5], v[4:5], v[8:9]
	v_pk_fma_f32 v[8:9], v[16:17], v[86:87], v[6:7] neg_lo:[0,0,1] neg_hi:[0,0,1]
	v_pk_fma_f32 v[6:7], v[16:17], v[86:87], v[6:7] op_sel_hi:[1,0,1]
	s_nop 0
	v_mov_b32_e32 v9, v7
	scratch_load_dwordx2 v[6:7], off, off offset:112
	v_pk_add_f32 v[4:5], v[4:5], v[8:9]
	s_waitcnt vmcnt(0)
	v_pk_add_f32 v[4:5], v[6:7], v[4:5] neg_lo:[0,1] neg_hi:[0,1]
	scratch_store_dwordx2 off, v[4:5], off offset:112
	s_and_saveexec_b64 s[0:1], vcc
	s_cbranch_execz .LBB101_215
; %bb.214:
	scratch_load_dwordx2 v[4:5], off, off offset:104
	v_mov_b32_e32 v3, v2
	scratch_store_dwordx2 off, v[2:3], off offset:104
	s_waitcnt vmcnt(1)
	ds_write_b64 v1, v[4:5]
.LBB101_215:
	s_or_b64 exec, exec, s[0:1]
	s_waitcnt lgkmcnt(0)
	; wave barrier
	ds_read_b128 v[4:7], v2 offset:416
	ds_read_b128 v[8:11], v2 offset:432
	;; [unrolled: 1-line block ×4, first 2 shown]
	scratch_load_dwordx4 v[20:23], off, off offset:112
	scratch_load_dwordx4 v[40:43], off, off offset:176
	v_cmp_lt_u32_e32 vcc, 12, v0
	scratch_load_dwordx4 v[48:51], off, off offset:192
	scratch_load_dwordx4 v[56:59], off, off offset:208
	;; [unrolled: 1-line block ×3, first 2 shown]
	s_waitcnt vmcnt(4) lgkmcnt(3)
	v_mul_f32_e32 v3, v4, v21
	v_fmac_f32_e32 v3, v5, v20
	v_mul_f32_e32 v24, v6, v23
	v_add_f32_e32 v3, 0, v3
	v_fmac_f32_e32 v24, v7, v22
	v_add_f32_e32 v3, v3, v24
	scratch_load_dwordx4 v[24:27], off, off offset:128
	s_waitcnt vmcnt(0) lgkmcnt(2)
	v_mul_f32_e32 v28, v8, v25
	v_fmac_f32_e32 v28, v9, v24
	v_add_f32_e32 v3, v3, v28
	v_mul_f32_e32 v28, v10, v27
	v_fmac_f32_e32 v28, v11, v26
	v_add_f32_e32 v3, v3, v28
	scratch_load_dwordx4 v[28:31], off, off offset:144
	s_waitcnt vmcnt(0) lgkmcnt(1)
	v_mul_f32_e32 v32, v12, v29
	v_fmac_f32_e32 v32, v13, v28
	v_add_f32_e32 v3, v3, v32
	v_mul_f32_e32 v32, v14, v31
	;; [unrolled: 8-line block ×3, first 2 shown]
	v_fmac_f32_e32 v36, v19, v34
	v_add_f32_e32 v3, v3, v36
	ds_read_b128 v[36:39], v2 offset:480
	s_waitcnt lgkmcnt(0)
	v_mul_f32_e32 v44, v36, v41
	v_fmac_f32_e32 v44, v37, v40
	v_add_f32_e32 v3, v3, v44
	v_mul_f32_e32 v44, v38, v43
	v_fmac_f32_e32 v44, v39, v42
	v_add_f32_e32 v3, v3, v44
	ds_read_b128 v[44:47], v2 offset:496
	s_waitcnt lgkmcnt(0)
	v_mul_f32_e32 v52, v44, v49
	v_fmac_f32_e32 v52, v45, v48
	v_add_f32_e32 v3, v3, v52
	v_mul_f32_e32 v52, v46, v51
	;; [unrolled: 8-line block ×3, first 2 shown]
	v_fmac_f32_e32 v60, v55, v58
	v_add_f32_e32 v85, v3, v60
	ds_read_b128 v[60:63], v2 offset:528
	scratch_load_dwordx4 v[68:71], off, off offset:240
	scratch_load_dwordx4 v[72:75], off, off offset:256
	;; [unrolled: 1-line block ×4, first 2 shown]
	v_mul_f32_e32 v3, v5, v21
	v_fma_f32 v3, v4, v20, -v3
	v_mul_f32_e32 v4, v7, v23
	v_add_f32_e32 v3, 0, v3
	v_fma_f32 v4, v6, v22, -v4
	v_add_f32_e32 v3, v3, v4
	v_mul_f32_e32 v4, v9, v25
	v_fma_f32 v4, v8, v24, -v4
	v_add_f32_e32 v3, v3, v4
	v_mul_f32_e32 v4, v11, v27
	;; [unrolled: 3-line block ×12, first 2 shown]
	v_fma_f32 v4, v54, v58, -v4
	v_add_f32_e32 v84, v3, v4
	ds_read_b128 v[4:7], v2 offset:544
	ds_read_b128 v[8:11], v2 offset:560
	;; [unrolled: 1-line block ×4, first 2 shown]
	s_waitcnt lgkmcnt(4)
	v_mul_f32_e32 v87, v60, v65
	v_mul_f32_e32 v3, v61, v65
	v_fmac_f32_e32 v87, v61, v64
	v_mul_f32_e32 v89, v62, v67
	v_fma_f32 v86, v60, v64, -v3
	v_mul_f32_e32 v3, v63, v67
	v_fmac_f32_e32 v89, v63, v66
	v_fma_f32 v88, v62, v66, -v3
	v_pk_add_f32 v[2:3], v[84:85], v[86:87]
	s_waitcnt vmcnt(3) lgkmcnt(3)
	v_pk_mul_f32 v[20:21], v[4:5], v[68:69] op_sel:[1,1] op_sel_hi:[0,1]
	v_pk_fma_f32 v[22:23], v[4:5], v[68:69], v[20:21] neg_lo:[0,0,1] neg_hi:[0,0,1]
	v_pk_fma_f32 v[4:5], v[4:5], v[68:69], v[20:21] op_sel_hi:[1,0,1]
	v_pk_add_f32 v[2:3], v[2:3], v[88:89]
	v_mov_b32_e32 v4, v71
	v_mov_b32_e32 v23, v5
	v_pk_mul_f32 v[4:5], v[6:7], v[4:5] op_sel:[1,0] op_sel_hi:[0,0]
	v_pk_fma_f32 v[20:21], v[6:7], v[70:71], v[4:5] neg_lo:[0,0,1] neg_hi:[0,0,1]
	v_pk_fma_f32 v[4:5], v[6:7], v[70:71], v[4:5] op_sel_hi:[1,0,1]
	v_pk_add_f32 v[2:3], v[2:3], v[22:23]
	v_mov_b32_e32 v21, v5
	s_waitcnt vmcnt(2) lgkmcnt(2)
	v_pk_mul_f32 v[4:5], v[8:9], v[72:73] op_sel:[1,1] op_sel_hi:[0,1]
	v_pk_fma_f32 v[6:7], v[8:9], v[72:73], v[4:5] neg_lo:[0,0,1] neg_hi:[0,0,1]
	v_pk_fma_f32 v[4:5], v[8:9], v[72:73], v[4:5] op_sel_hi:[1,0,1]
	v_pk_add_f32 v[2:3], v[2:3], v[20:21]
	v_mov_b32_e32 v4, v75
	v_mov_b32_e32 v7, v5
	v_pk_mul_f32 v[4:5], v[10:11], v[4:5] op_sel:[1,0] op_sel_hi:[0,0]
	v_pk_add_f32 v[2:3], v[2:3], v[6:7]
	v_pk_fma_f32 v[6:7], v[10:11], v[74:75], v[4:5] neg_lo:[0,0,1] neg_hi:[0,0,1]
	v_pk_fma_f32 v[4:5], v[10:11], v[74:75], v[4:5] op_sel_hi:[1,0,1]
	s_nop 0
	v_mov_b32_e32 v7, v5
	s_waitcnt vmcnt(1) lgkmcnt(1)
	v_pk_mul_f32 v[4:5], v[12:13], v[76:77] op_sel:[1,1] op_sel_hi:[0,1]
	v_pk_add_f32 v[2:3], v[2:3], v[6:7]
	v_pk_fma_f32 v[6:7], v[12:13], v[76:77], v[4:5] neg_lo:[0,0,1] neg_hi:[0,0,1]
	v_pk_fma_f32 v[4:5], v[12:13], v[76:77], v[4:5] op_sel_hi:[1,0,1]
	s_nop 0
	v_mov_b32_e32 v4, v79
	v_mov_b32_e32 v7, v5
	v_pk_mul_f32 v[4:5], v[14:15], v[4:5] op_sel:[1,0] op_sel_hi:[0,0]
	v_pk_add_f32 v[2:3], v[2:3], v[6:7]
	v_pk_fma_f32 v[6:7], v[14:15], v[78:79], v[4:5] neg_lo:[0,0,1] neg_hi:[0,0,1]
	v_pk_fma_f32 v[4:5], v[14:15], v[78:79], v[4:5] op_sel_hi:[1,0,1]
	s_nop 0
	v_mov_b32_e32 v7, v5
	s_waitcnt vmcnt(0) lgkmcnt(0)
	v_pk_mul_f32 v[4:5], v[16:17], v[80:81] op_sel:[1,1] op_sel_hi:[0,1]
	v_pk_add_f32 v[2:3], v[2:3], v[6:7]
	v_pk_fma_f32 v[6:7], v[16:17], v[80:81], v[4:5] neg_lo:[0,0,1] neg_hi:[0,0,1]
	v_pk_fma_f32 v[4:5], v[16:17], v[80:81], v[4:5] op_sel_hi:[1,0,1]
	s_nop 0
	v_mov_b32_e32 v4, v83
	v_mov_b32_e32 v7, v5
	v_pk_mul_f32 v[4:5], v[18:19], v[4:5] op_sel:[1,0] op_sel_hi:[0,0]
	v_pk_add_f32 v[2:3], v[2:3], v[6:7]
	v_pk_fma_f32 v[6:7], v[18:19], v[82:83], v[4:5] neg_lo:[0,0,1] neg_hi:[0,0,1]
	v_pk_fma_f32 v[4:5], v[18:19], v[82:83], v[4:5] op_sel_hi:[1,0,1]
	s_nop 0
	v_mov_b32_e32 v7, v5
	scratch_load_dwordx2 v[4:5], off, off offset:104
	v_pk_add_f32 v[2:3], v[2:3], v[6:7]
	s_waitcnt vmcnt(0)
	v_pk_add_f32 v[2:3], v[4:5], v[2:3] neg_lo:[0,1] neg_hi:[0,1]
	scratch_store_dwordx2 off, v[2:3], off offset:104
	s_and_saveexec_b64 s[0:1], vcc
	s_cbranch_execz .LBB101_217
; %bb.216:
	scratch_load_dwordx2 v[2:3], off, off offset:96
	v_mov_b32_e32 v4, 0
	v_mov_b32_e32 v5, v4
	scratch_store_dwordx2 off, v[4:5], off offset:96
	s_waitcnt vmcnt(1)
	ds_write_b64 v1, v[2:3]
.LBB101_217:
	s_or_b64 exec, exec, s[0:1]
	s_waitcnt lgkmcnt(0)
	; wave barrier
	scratch_load_dwordx4 v[2:5], off, off offset:104
	scratch_load_dwordx4 v[22:25], off, off offset:120
	;; [unrolled: 1-line block ×12, first 2 shown]
	scratch_load_dwordx2 v[50:51], off, off offset:296
	scratch_load_dwordx2 v[56:57], off, off offset:96
	v_mov_b32_e32 v58, 0
	ds_read2_b64 v[52:55], v58 offset0:51 offset1:52
	ds_read2_b64 v[60:63], v58 offset0:53 offset1:54
	;; [unrolled: 1-line block ×10, first 2 shown]
	v_cmp_lt_u32_e32 vcc, 11, v0
	s_waitcnt vmcnt(13) lgkmcnt(9)
	v_mul_f32_e32 v59, v52, v3
	v_mul_f32_e32 v96, v54, v5
	;; [unrolled: 1-line block ×3, first 2 shown]
	s_waitcnt vmcnt(10) lgkmcnt(6)
	v_mul_f32_e32 v103, v68, v11
	v_mul_f32_e32 v11, v69, v11
	v_fmac_f32_e32 v59, v53, v2
	v_mul_f32_e32 v98, v60, v23
	v_mul_f32_e32 v5, v55, v5
	v_fmac_f32_e32 v96, v55, v4
	v_fmac_f32_e32 v103, v69, v10
	v_fma_f32 v2, v52, v2, -v3
	v_fma_f32 v10, v68, v10, -v11
	v_add_f32_e32 v11, 0, v59
	v_mul_f32_e32 v100, v62, v25
	v_fmac_f32_e32 v98, v61, v22
	v_fma_f32 v3, v54, v4, -v5
	v_add_f32_e32 v2, 0, v2
	v_add_f32_e32 v11, v11, v96
	v_mul_f32_e32 v101, v64, v39
	v_fmac_f32_e32 v100, v63, v24
	v_add_f32_e32 v2, v2, v3
	v_add_f32_e32 v3, v11, v98
	v_mul_f32_e32 v102, v66, v41
	v_fmac_f32_e32 v101, v65, v38
	v_add_f32_e32 v3, v3, v100
	v_fmac_f32_e32 v102, v67, v40
	v_add_f32_e32 v3, v3, v101
	v_mul_f32_e32 v104, v70, v13
	v_add_f32_e32 v3, v3, v102
	s_waitcnt vmcnt(9) lgkmcnt(5)
	v_mul_f32_e32 v105, v72, v15
	v_fmac_f32_e32 v104, v71, v12
	v_add_f32_e32 v3, v3, v103
	v_mul_f32_e32 v106, v74, v17
	v_fmac_f32_e32 v105, v73, v14
	v_add_f32_e32 v3, v3, v104
	s_waitcnt vmcnt(8) lgkmcnt(4)
	v_mul_f32_e32 v107, v76, v27
	v_fmac_f32_e32 v106, v75, v16
	v_add_f32_e32 v3, v3, v105
	v_mul_f32_e32 v108, v78, v29
	v_mul_f32_e32 v23, v61, v23
	v_fmac_f32_e32 v107, v77, v26
	v_add_f32_e32 v3, v3, v106
	s_waitcnt vmcnt(7) lgkmcnt(3)
	v_mul_f32_e32 v109, v80, v31
	v_mul_f32_e32 v25, v63, v25
	v_fmac_f32_e32 v108, v79, v28
	v_fma_f32 v4, v60, v22, -v23
	v_add_f32_e32 v3, v3, v107
	v_mul_f32_e32 v110, v82, v33
	v_mul_f32_e32 v39, v65, v39
	v_fmac_f32_e32 v109, v81, v30
	v_fma_f32 v5, v62, v24, -v25
	v_add_f32_e32 v2, v2, v4
	v_add_f32_e32 v3, v3, v108
	s_waitcnt vmcnt(6) lgkmcnt(2)
	v_mul_f32_e32 v111, v84, v43
	v_mul_f32_e32 v41, v67, v41
	v_fmac_f32_e32 v110, v83, v32
	v_fma_f32 v22, v64, v38, -v39
	v_add_f32_e32 v2, v2, v5
	v_add_f32_e32 v3, v3, v109
	v_fmac_f32_e32 v111, v85, v42
	v_fma_f32 v23, v66, v40, -v41
	v_add_f32_e32 v2, v2, v22
	v_add_f32_e32 v3, v3, v110
	v_add_f32_e32 v2, v2, v23
	v_add_f32_e32 v23, v3, v111
	v_mul_f32_e32 v3, v71, v13
	v_add_f32_e32 v2, v2, v10
	v_fma_f32 v3, v70, v12, -v3
	v_add_f32_e32 v2, v2, v3
	v_mul_f32_e32 v3, v73, v15
	v_fma_f32 v3, v72, v14, -v3
	v_add_f32_e32 v2, v2, v3
	v_mul_f32_e32 v3, v75, v17
	;; [unrolled: 3-line block ×7, first 2 shown]
	v_fma_f32 v3, v84, v42, -v3
	v_mul_f32_e32 v97, v86, v45
	v_add_f32_e32 v22, v2, v3
	v_mul_f32_e32 v2, v87, v45
	v_fmac_f32_e32 v97, v87, v44
	v_fma_f32 v96, v86, v44, -v2
	v_pk_add_f32 v[16:17], v[22:23], v[96:97]
	s_waitcnt vmcnt(5)
	v_mov_b32_e32 v22, v49
	s_waitcnt lgkmcnt(1)
	v_mul_f32_e32 v99, v88, v47
	v_mul_f32_e32 v2, v89, v47
	v_pk_mul_f32 v[22:23], v[90:91], v[22:23] op_sel:[1,0] op_sel_hi:[0,0]
	v_fmac_f32_e32 v99, v89, v46
	v_fma_f32 v98, v88, v46, -v2
	v_pk_fma_f32 v[24:25], v[90:91], v[48:49], v[22:23] neg_lo:[0,0,1] neg_hi:[0,0,1]
	v_pk_fma_f32 v[22:23], v[90:91], v[48:49], v[22:23] op_sel_hi:[1,0,1]
	v_pk_add_f32 v[16:17], v[16:17], v[98:99]
	v_mov_b32_e32 v25, v23
	s_waitcnt vmcnt(4) lgkmcnt(0)
	v_pk_mul_f32 v[22:23], v[92:93], v[34:35] op_sel:[1,1] op_sel_hi:[0,1]
	v_pk_add_f32 v[16:17], v[16:17], v[24:25]
	v_pk_fma_f32 v[24:25], v[92:93], v[34:35], v[22:23] neg_lo:[0,0,1] neg_hi:[0,0,1]
	v_pk_fma_f32 v[22:23], v[92:93], v[34:35], v[22:23] op_sel_hi:[1,0,1]
	ds_read2_b64 v[2:5], v58 offset0:71 offset1:72
	ds_read2_b64 v[10:13], v58 offset0:73 offset1:74
	ds_read_b64 v[14:15], v58 offset:600
	v_mov_b32_e32 v22, v37
	v_mov_b32_e32 v25, v23
	v_pk_mul_f32 v[22:23], v[94:95], v[22:23] op_sel:[1,0] op_sel_hi:[0,0]
	v_pk_add_f32 v[16:17], v[16:17], v[24:25]
	v_pk_fma_f32 v[24:25], v[94:95], v[36:37], v[22:23] neg_lo:[0,0,1] neg_hi:[0,0,1]
	v_pk_fma_f32 v[22:23], v[94:95], v[36:37], v[22:23] op_sel_hi:[1,0,1]
	s_nop 0
	v_mov_b32_e32 v25, v23
	s_waitcnt vmcnt(3) lgkmcnt(2)
	v_pk_mul_f32 v[22:23], v[2:3], v[18:19] op_sel:[1,1] op_sel_hi:[0,1]
	v_pk_add_f32 v[16:17], v[16:17], v[24:25]
	v_pk_fma_f32 v[24:25], v[2:3], v[18:19], v[22:23] neg_lo:[0,0,1] neg_hi:[0,0,1]
	v_pk_fma_f32 v[2:3], v[2:3], v[18:19], v[22:23] op_sel_hi:[1,0,1]
	s_nop 0
	v_mov_b32_e32 v25, v3
	v_pk_add_f32 v[2:3], v[16:17], v[24:25]
	v_mov_b32_e32 v16, v21
	v_pk_mul_f32 v[16:17], v[4:5], v[16:17] op_sel:[1,0] op_sel_hi:[0,0]
	v_pk_fma_f32 v[18:19], v[4:5], v[20:21], v[16:17] neg_lo:[0,0,1] neg_hi:[0,0,1]
	v_pk_fma_f32 v[4:5], v[4:5], v[20:21], v[16:17] op_sel_hi:[1,0,1]
	s_nop 0
	v_mov_b32_e32 v19, v5
	s_waitcnt vmcnt(2) lgkmcnt(1)
	v_pk_mul_f32 v[4:5], v[10:11], v[6:7] op_sel:[1,1] op_sel_hi:[0,1]
	v_pk_fma_f32 v[16:17], v[10:11], v[6:7], v[4:5] neg_lo:[0,0,1] neg_hi:[0,0,1]
	v_pk_fma_f32 v[4:5], v[10:11], v[6:7], v[4:5] op_sel_hi:[1,0,1]
	v_pk_add_f32 v[2:3], v[2:3], v[18:19]
	v_mov_b32_e32 v4, v9
	v_mov_b32_e32 v17, v5
	v_pk_mul_f32 v[4:5], v[12:13], v[4:5] op_sel:[1,0] op_sel_hi:[0,0]
	v_pk_fma_f32 v[6:7], v[12:13], v[8:9], v[4:5] neg_lo:[0,0,1] neg_hi:[0,0,1]
	v_pk_fma_f32 v[4:5], v[12:13], v[8:9], v[4:5] op_sel_hi:[1,0,1]
	v_pk_add_f32 v[2:3], v[2:3], v[16:17]
	v_mov_b32_e32 v7, v5
	s_waitcnt vmcnt(1) lgkmcnt(0)
	v_pk_mul_f32 v[4:5], v[14:15], v[50:51] op_sel:[1,1] op_sel_hi:[0,1]
	v_pk_add_f32 v[2:3], v[2:3], v[6:7]
	v_pk_fma_f32 v[6:7], v[14:15], v[50:51], v[4:5] neg_lo:[0,0,1] neg_hi:[0,0,1]
	v_pk_fma_f32 v[4:5], v[14:15], v[50:51], v[4:5] op_sel_hi:[1,0,1]
	s_nop 0
	v_mov_b32_e32 v7, v5
	v_pk_add_f32 v[2:3], v[2:3], v[6:7]
	s_waitcnt vmcnt(0)
	v_pk_add_f32 v[2:3], v[56:57], v[2:3] neg_lo:[0,1] neg_hi:[0,1]
	scratch_store_dwordx2 off, v[2:3], off offset:96
	s_and_saveexec_b64 s[0:1], vcc
	s_cbranch_execz .LBB101_219
; %bb.218:
	scratch_load_dwordx2 v[2:3], off, off offset:88
	v_mov_b32_e32 v59, v58
	scratch_store_dwordx2 off, v[58:59], off offset:88
	s_waitcnt vmcnt(1)
	ds_write_b64 v1, v[2:3]
.LBB101_219:
	s_or_b64 exec, exec, s[0:1]
	s_waitcnt lgkmcnt(0)
	; wave barrier
	scratch_load_dwordx4 v[10:13], off, off offset:96
	scratch_load_dwordx4 v[26:29], off, off offset:112
	;; [unrolled: 1-line block ×9, first 2 shown]
	ds_read_b128 v[60:63], v58 offset:400
	ds_read_b128 v[64:67], v58 offset:416
	;; [unrolled: 1-line block ×8, first 2 shown]
	scratch_load_dwordx4 v[50:53], off, off offset:240
	scratch_load_dwordx4 v[34:37], off, off offset:256
	;; [unrolled: 1-line block ×4, first 2 shown]
	ds_read_b128 v[88:91], v58 offset:528
	ds_read_b128 v[92:95], v58 offset:544
	scratch_load_dwordx2 v[96:97], off, off offset:88
	v_cmp_lt_u32_e32 vcc, 10, v0
	s_waitcnt vmcnt(13) lgkmcnt(9)
	v_mul_f32_e32 v59, v60, v11
	v_mul_f32_e32 v98, v62, v13
	v_fmac_f32_e32 v59, v61, v10
	s_waitcnt vmcnt(10) lgkmcnt(6)
	v_mul_f32_e32 v105, v72, v3
	v_mul_f32_e32 v3, v73, v3
	;; [unrolled: 1-line block ×3, first 2 shown]
	v_fmac_f32_e32 v98, v63, v12
	v_fmac_f32_e32 v105, v73, v2
	v_fma_f32 v2, v72, v2, -v3
	v_add_f32_e32 v3, 0, v59
	v_mul_f32_e32 v102, v66, v29
	v_fmac_f32_e32 v100, v65, v26
	v_add_f32_e32 v3, v3, v98
	v_mul_f32_e32 v103, v68, v43
	v_fmac_f32_e32 v102, v67, v28
	;; [unrolled: 3-line block ×3, first 2 shown]
	v_add_f32_e32 v3, v3, v102
	v_fmac_f32_e32 v104, v71, v44
	v_add_f32_e32 v3, v3, v103
	v_mul_f32_e32 v106, v74, v5
	v_add_f32_e32 v3, v3, v104
	s_waitcnt vmcnt(9) lgkmcnt(5)
	v_mul_f32_e32 v107, v76, v15
	v_fmac_f32_e32 v106, v75, v4
	v_add_f32_e32 v3, v3, v105
	v_mul_f32_e32 v108, v78, v17
	v_fmac_f32_e32 v107, v77, v14
	v_add_f32_e32 v3, v3, v106
	s_waitcnt vmcnt(8) lgkmcnt(4)
	v_mul_f32_e32 v109, v80, v19
	v_mul_f32_e32 v11, v61, v11
	v_fmac_f32_e32 v108, v79, v16
	v_add_f32_e32 v3, v3, v107
	v_mul_f32_e32 v110, v82, v21
	v_mul_f32_e32 v13, v63, v13
	v_fmac_f32_e32 v109, v81, v18
	v_fma_f32 v10, v60, v10, -v11
	v_add_f32_e32 v3, v3, v108
	s_waitcnt vmcnt(7) lgkmcnt(3)
	v_mul_f32_e32 v111, v84, v31
	v_mul_f32_e32 v27, v65, v27
	v_fmac_f32_e32 v110, v83, v20
	v_fma_f32 v11, v62, v12, -v13
	v_add_f32_e32 v10, 0, v10
	v_add_f32_e32 v3, v3, v109
	v_mul_f32_e32 v112, v86, v33
	v_mul_f32_e32 v29, v67, v29
	v_fmac_f32_e32 v111, v85, v30
	v_fma_f32 v12, v64, v26, -v27
	v_add_f32_e32 v10, v10, v11
	v_add_f32_e32 v3, v3, v110
	s_waitcnt vmcnt(6) lgkmcnt(2)
	v_mul_f32_e32 v113, v54, v39
	v_mul_f32_e32 v43, v69, v43
	v_fmac_f32_e32 v112, v87, v32
	v_fma_f32 v13, v66, v28, -v29
	v_add_f32_e32 v10, v10, v12
	v_add_f32_e32 v3, v3, v111
	v_mul_f32_e32 v190, v56, v41
	v_mul_f32_e32 v45, v71, v45
	v_fmac_f32_e32 v113, v55, v38
	v_fma_f32 v26, v68, v42, -v43
	v_add_f32_e32 v10, v10, v13
	v_add_f32_e32 v3, v3, v112
	v_fmac_f32_e32 v190, v57, v40
	v_fma_f32 v27, v70, v44, -v45
	v_add_f32_e32 v10, v10, v26
	v_add_f32_e32 v3, v3, v113
	v_add_f32_e32 v10, v10, v27
	v_add_f32_e32 v27, v3, v190
	v_mul_f32_e32 v3, v75, v5
	v_add_f32_e32 v2, v10, v2
	v_fma_f32 v3, v74, v4, -v3
	v_add_f32_e32 v2, v2, v3
	v_mul_f32_e32 v3, v77, v15
	v_fma_f32 v3, v76, v14, -v3
	v_add_f32_e32 v2, v2, v3
	v_mul_f32_e32 v3, v79, v17
	;; [unrolled: 3-line block ×8, first 2 shown]
	v_fma_f32 v3, v56, v40, -v3
	s_waitcnt vmcnt(5) lgkmcnt(1)
	v_mul_f32_e32 v99, v88, v47
	v_add_f32_e32 v26, v2, v3
	v_mul_f32_e32 v2, v89, v47
	v_fmac_f32_e32 v99, v89, v46
	v_fma_f32 v98, v88, v46, -v2
	s_waitcnt vmcnt(4) lgkmcnt(0)
	v_pk_mul_f32 v[20:21], v[92:93], v[50:51] op_sel:[1,1] op_sel_hi:[0,1]
	v_mul_f32_e32 v101, v90, v49
	v_mul_f32_e32 v2, v91, v49
	v_pk_add_f32 v[18:19], v[26:27], v[98:99]
	v_pk_fma_f32 v[26:27], v[92:93], v[50:51], v[20:21] neg_lo:[0,0,1] neg_hi:[0,0,1]
	v_pk_fma_f32 v[20:21], v[92:93], v[50:51], v[20:21] op_sel_hi:[1,0,1]
	v_fmac_f32_e32 v101, v91, v48
	v_fma_f32 v100, v90, v48, -v2
	ds_read_b128 v[2:5], v58 offset:560
	ds_read_b128 v[10:13], v58 offset:576
	;; [unrolled: 1-line block ×3, first 2 shown]
	v_mov_b32_e32 v20, v53
	v_pk_add_f32 v[18:19], v[18:19], v[100:101]
	v_mov_b32_e32 v27, v21
	v_pk_mul_f32 v[20:21], v[94:95], v[20:21] op_sel:[1,0] op_sel_hi:[0,0]
	v_pk_add_f32 v[18:19], v[18:19], v[26:27]
	v_pk_fma_f32 v[26:27], v[94:95], v[52:53], v[20:21] neg_lo:[0,0,1] neg_hi:[0,0,1]
	v_pk_fma_f32 v[20:21], v[94:95], v[52:53], v[20:21] op_sel_hi:[1,0,1]
	s_nop 0
	v_mov_b32_e32 v27, v21
	s_waitcnt vmcnt(3) lgkmcnt(2)
	v_pk_mul_f32 v[20:21], v[2:3], v[34:35] op_sel:[1,1] op_sel_hi:[0,1]
	v_pk_add_f32 v[18:19], v[18:19], v[26:27]
	v_pk_fma_f32 v[26:27], v[2:3], v[34:35], v[20:21] neg_lo:[0,0,1] neg_hi:[0,0,1]
	v_pk_fma_f32 v[2:3], v[2:3], v[34:35], v[20:21] op_sel_hi:[1,0,1]
	s_nop 0
	v_mov_b32_e32 v27, v3
	v_pk_add_f32 v[2:3], v[18:19], v[26:27]
	v_mov_b32_e32 v18, v37
	v_pk_mul_f32 v[18:19], v[4:5], v[18:19] op_sel:[1,0] op_sel_hi:[0,0]
	v_pk_fma_f32 v[20:21], v[4:5], v[36:37], v[18:19] neg_lo:[0,0,1] neg_hi:[0,0,1]
	v_pk_fma_f32 v[4:5], v[4:5], v[36:37], v[18:19] op_sel_hi:[1,0,1]
	s_nop 0
	v_mov_b32_e32 v21, v5
	s_waitcnt vmcnt(2) lgkmcnt(1)
	v_pk_mul_f32 v[4:5], v[10:11], v[22:23] op_sel:[1,1] op_sel_hi:[0,1]
	v_pk_fma_f32 v[18:19], v[10:11], v[22:23], v[4:5] neg_lo:[0,0,1] neg_hi:[0,0,1]
	v_pk_fma_f32 v[4:5], v[10:11], v[22:23], v[4:5] op_sel_hi:[1,0,1]
	v_pk_add_f32 v[2:3], v[2:3], v[20:21]
	v_mov_b32_e32 v4, v25
	v_mov_b32_e32 v19, v5
	v_pk_mul_f32 v[4:5], v[12:13], v[4:5] op_sel:[1,0] op_sel_hi:[0,0]
	v_pk_fma_f32 v[10:11], v[12:13], v[24:25], v[4:5] neg_lo:[0,0,1] neg_hi:[0,0,1]
	v_pk_fma_f32 v[4:5], v[12:13], v[24:25], v[4:5] op_sel_hi:[1,0,1]
	v_pk_add_f32 v[2:3], v[2:3], v[18:19]
	v_mov_b32_e32 v11, v5
	s_waitcnt vmcnt(1) lgkmcnt(0)
	v_pk_mul_f32 v[4:5], v[14:15], v[6:7] op_sel:[1,1] op_sel_hi:[0,1]
	v_pk_add_f32 v[2:3], v[2:3], v[10:11]
	v_pk_fma_f32 v[10:11], v[14:15], v[6:7], v[4:5] neg_lo:[0,0,1] neg_hi:[0,0,1]
	v_pk_fma_f32 v[4:5], v[14:15], v[6:7], v[4:5] op_sel_hi:[1,0,1]
	s_nop 0
	v_mov_b32_e32 v4, v9
	v_mov_b32_e32 v11, v5
	v_pk_mul_f32 v[4:5], v[16:17], v[4:5] op_sel:[1,0] op_sel_hi:[0,0]
	v_pk_fma_f32 v[6:7], v[16:17], v[8:9], v[4:5] neg_lo:[0,0,1] neg_hi:[0,0,1]
	v_pk_fma_f32 v[4:5], v[16:17], v[8:9], v[4:5] op_sel_hi:[1,0,1]
	v_pk_add_f32 v[2:3], v[2:3], v[10:11]
	v_mov_b32_e32 v7, v5
	v_pk_add_f32 v[2:3], v[2:3], v[6:7]
	s_waitcnt vmcnt(0)
	v_pk_add_f32 v[2:3], v[96:97], v[2:3] neg_lo:[0,1] neg_hi:[0,1]
	scratch_store_dwordx2 off, v[2:3], off offset:88
	s_and_saveexec_b64 s[0:1], vcc
	s_cbranch_execz .LBB101_221
; %bb.220:
	scratch_load_dwordx2 v[2:3], off, off offset:80
	v_mov_b32_e32 v4, 0
	v_mov_b32_e32 v5, v4
	scratch_store_dwordx2 off, v[4:5], off offset:80
	s_waitcnt vmcnt(1)
	ds_write_b64 v1, v[2:3]
.LBB101_221:
	s_or_b64 exec, exec, s[0:1]
	s_waitcnt lgkmcnt(0)
	; wave barrier
	scratch_load_dwordx4 v[10:13], off, off offset:88
	scratch_load_dwordx4 v[30:33], off, off offset:104
	;; [unrolled: 1-line block ×13, first 2 shown]
	scratch_load_dwordx2 v[54:55], off, off offset:296
	scratch_load_dwordx2 v[80:81], off, off offset:80
	v_mov_b32_e32 v82, 0
	ds_read2_b64 v[56:59], v82 offset0:49 offset1:50
	ds_read2_b64 v[60:63], v82 offset0:51 offset1:52
	;; [unrolled: 1-line block ×10, first 2 shown]
	v_cmp_lt_u32_e32 vcc, 9, v0
	s_waitcnt vmcnt(14) lgkmcnt(9)
	v_mul_f32_e32 v83, v56, v11
	v_mul_f32_e32 v100, v58, v13
	s_waitcnt vmcnt(12) lgkmcnt(7)
	v_mul_f32_e32 v105, v64, v3
	v_mul_f32_e32 v3, v65, v3
	v_fmac_f32_e32 v83, v57, v10
	v_mul_f32_e32 v102, v60, v31
	v_fmac_f32_e32 v100, v59, v12
	v_fmac_f32_e32 v105, v65, v2
	v_fma_f32 v2, v64, v2, -v3
	v_add_f32_e32 v3, 0, v83
	v_mul_f32_e32 v104, v62, v33
	v_fmac_f32_e32 v102, v61, v30
	v_add_f32_e32 v3, v3, v100
	v_fmac_f32_e32 v104, v63, v32
	v_add_f32_e32 v3, v3, v102
	v_mul_f32_e32 v106, v66, v5
	v_add_f32_e32 v3, v3, v104
	s_waitcnt vmcnt(11) lgkmcnt(6)
	v_mul_f32_e32 v107, v68, v7
	v_fmac_f32_e32 v106, v67, v4
	v_add_f32_e32 v3, v3, v105
	v_mul_f32_e32 v108, v70, v9
	v_fmac_f32_e32 v107, v69, v6
	v_add_f32_e32 v3, v3, v106
	s_waitcnt vmcnt(10) lgkmcnt(5)
	v_mul_f32_e32 v109, v72, v19
	v_fmac_f32_e32 v108, v71, v8
	v_add_f32_e32 v3, v3, v107
	v_mul_f32_e32 v110, v74, v21
	v_fmac_f32_e32 v109, v73, v18
	v_add_f32_e32 v3, v3, v108
	s_waitcnt vmcnt(9) lgkmcnt(4)
	v_mul_f32_e32 v111, v76, v23
	v_fmac_f32_e32 v110, v75, v20
	v_add_f32_e32 v3, v3, v109
	v_mul_f32_e32 v112, v78, v25
	v_fmac_f32_e32 v111, v77, v22
	v_add_f32_e32 v3, v3, v110
	s_waitcnt vmcnt(8) lgkmcnt(3)
	v_mul_f32_e32 v113, v84, v35
	v_mul_f32_e32 v11, v57, v11
	v_fmac_f32_e32 v112, v79, v24
	v_add_f32_e32 v3, v3, v111
	v_mul_f32_e32 v190, v86, v37
	v_mul_f32_e32 v13, v59, v13
	v_fmac_f32_e32 v113, v85, v34
	v_fma_f32 v10, v56, v10, -v11
	v_add_f32_e32 v3, v3, v112
	s_waitcnt vmcnt(7) lgkmcnt(2)
	v_mul_f32_e32 v191, v88, v39
	v_mul_f32_e32 v31, v61, v31
	v_fmac_f32_e32 v190, v87, v36
	v_fma_f32 v11, v58, v12, -v13
	v_add_f32_e32 v10, 0, v10
	v_add_f32_e32 v3, v3, v113
	v_mul_f32_e32 v192, v90, v41
	v_mul_f32_e32 v33, v63, v33
	v_fmac_f32_e32 v191, v89, v38
	v_fma_f32 v12, v60, v30, -v31
	v_add_f32_e32 v10, v10, v11
	v_add_f32_e32 v3, v3, v190
	s_waitcnt vmcnt(6) lgkmcnt(1)
	v_mul_f32_e32 v193, v92, v51
	v_fmac_f32_e32 v192, v91, v40
	v_fma_f32 v13, v62, v32, -v33
	v_add_f32_e32 v10, v10, v12
	v_add_f32_e32 v3, v3, v191
	v_mul_f32_e32 v5, v67, v5
	v_fmac_f32_e32 v193, v93, v50
	v_add_f32_e32 v10, v10, v13
	v_add_f32_e32 v3, v3, v192
	;; [unrolled: 1-line block ×4, first 2 shown]
	v_fma_f32 v3, v66, v4, -v5
	v_add_f32_e32 v2, v2, v3
	v_mul_f32_e32 v3, v69, v7
	v_fma_f32 v3, v68, v6, -v3
	v_add_f32_e32 v2, v2, v3
	v_mul_f32_e32 v3, v71, v9
	;; [unrolled: 3-line block ×12, first 2 shown]
	v_mul_f32_e32 v101, v94, v53
	v_fma_f32 v100, v94, v52, -v2
	s_waitcnt vmcnt(5) lgkmcnt(0)
	v_mul_f32_e32 v2, v97, v47
	v_mov_b32_e32 v22, v49
	v_mul_f32_e32 v103, v96, v47
	v_fmac_f32_e32 v101, v95, v52
	v_fma_f32 v102, v96, v46, -v2
	ds_read2_b64 v[2:5], v82 offset0:69 offset1:70
	ds_read2_b64 v[6:9], v82 offset0:71 offset1:72
	;; [unrolled: 1-line block ×3, first 2 shown]
	ds_read_b64 v[18:19], v82 offset:600
	v_pk_mul_f32 v[22:23], v[98:99], v[22:23] op_sel:[1,0] op_sel_hi:[0,0]
	v_fmac_f32_e32 v103, v97, v46
	v_pk_add_f32 v[20:21], v[30:31], v[100:101]
	v_pk_fma_f32 v[24:25], v[98:99], v[48:49], v[22:23] neg_lo:[0,0,1] neg_hi:[0,0,1]
	v_pk_fma_f32 v[22:23], v[98:99], v[48:49], v[22:23] op_sel_hi:[1,0,1]
	v_pk_add_f32 v[20:21], v[20:21], v[102:103]
	v_mov_b32_e32 v25, v23
	s_waitcnt vmcnt(4) lgkmcnt(3)
	v_pk_mul_f32 v[22:23], v[2:3], v[42:43] op_sel:[1,1] op_sel_hi:[0,1]
	v_pk_add_f32 v[20:21], v[20:21], v[24:25]
	v_pk_fma_f32 v[24:25], v[2:3], v[42:43], v[22:23] neg_lo:[0,0,1] neg_hi:[0,0,1]
	v_pk_fma_f32 v[2:3], v[2:3], v[42:43], v[22:23] op_sel_hi:[1,0,1]
	s_nop 0
	v_mov_b32_e32 v25, v3
	v_pk_add_f32 v[2:3], v[20:21], v[24:25]
	v_mov_b32_e32 v20, v45
	v_pk_mul_f32 v[20:21], v[4:5], v[20:21] op_sel:[1,0] op_sel_hi:[0,0]
	v_pk_fma_f32 v[22:23], v[4:5], v[44:45], v[20:21] neg_lo:[0,0,1] neg_hi:[0,0,1]
	v_pk_fma_f32 v[4:5], v[4:5], v[44:45], v[20:21] op_sel_hi:[1,0,1]
	s_nop 0
	v_mov_b32_e32 v23, v5
	s_waitcnt vmcnt(3) lgkmcnt(2)
	v_pk_mul_f32 v[4:5], v[6:7], v[26:27] op_sel:[1,1] op_sel_hi:[0,1]
	v_pk_fma_f32 v[20:21], v[6:7], v[26:27], v[4:5] neg_lo:[0,0,1] neg_hi:[0,0,1]
	v_pk_fma_f32 v[4:5], v[6:7], v[26:27], v[4:5] op_sel_hi:[1,0,1]
	v_pk_add_f32 v[2:3], v[2:3], v[22:23]
	v_mov_b32_e32 v4, v29
	v_mov_b32_e32 v21, v5
	v_pk_mul_f32 v[4:5], v[8:9], v[4:5] op_sel:[1,0] op_sel_hi:[0,0]
	v_pk_fma_f32 v[6:7], v[8:9], v[28:29], v[4:5] neg_lo:[0,0,1] neg_hi:[0,0,1]
	v_pk_fma_f32 v[4:5], v[8:9], v[28:29], v[4:5] op_sel_hi:[1,0,1]
	v_pk_add_f32 v[2:3], v[2:3], v[20:21]
	v_mov_b32_e32 v7, v5
	s_waitcnt vmcnt(2) lgkmcnt(1)
	v_pk_mul_f32 v[4:5], v[10:11], v[14:15] op_sel:[1,1] op_sel_hi:[0,1]
	v_pk_add_f32 v[2:3], v[2:3], v[6:7]
	v_pk_fma_f32 v[6:7], v[10:11], v[14:15], v[4:5] neg_lo:[0,0,1] neg_hi:[0,0,1]
	v_pk_fma_f32 v[4:5], v[10:11], v[14:15], v[4:5] op_sel_hi:[1,0,1]
	s_nop 0
	v_mov_b32_e32 v4, v17
	v_mov_b32_e32 v7, v5
	v_pk_mul_f32 v[4:5], v[12:13], v[4:5] op_sel:[1,0] op_sel_hi:[0,0]
	v_pk_add_f32 v[2:3], v[2:3], v[6:7]
	v_pk_fma_f32 v[6:7], v[12:13], v[16:17], v[4:5] neg_lo:[0,0,1] neg_hi:[0,0,1]
	v_pk_fma_f32 v[4:5], v[12:13], v[16:17], v[4:5] op_sel_hi:[1,0,1]
	s_nop 0
	v_mov_b32_e32 v7, v5
	s_waitcnt vmcnt(1) lgkmcnt(0)
	v_pk_mul_f32 v[4:5], v[18:19], v[54:55] op_sel:[1,1] op_sel_hi:[0,1]
	v_pk_add_f32 v[2:3], v[2:3], v[6:7]
	v_pk_fma_f32 v[6:7], v[18:19], v[54:55], v[4:5] neg_lo:[0,0,1] neg_hi:[0,0,1]
	v_pk_fma_f32 v[4:5], v[18:19], v[54:55], v[4:5] op_sel_hi:[1,0,1]
	s_nop 0
	v_mov_b32_e32 v7, v5
	v_pk_add_f32 v[2:3], v[2:3], v[6:7]
	s_waitcnt vmcnt(0)
	v_pk_add_f32 v[2:3], v[80:81], v[2:3] neg_lo:[0,1] neg_hi:[0,1]
	scratch_store_dwordx2 off, v[2:3], off offset:80
	s_and_saveexec_b64 s[0:1], vcc
	s_cbranch_execz .LBB101_223
; %bb.222:
	scratch_load_dwordx2 v[2:3], off, off offset:72
	v_mov_b32_e32 v83, v82
	scratch_store_dwordx2 off, v[82:83], off offset:72
	s_waitcnt vmcnt(1)
	ds_write_b64 v1, v[2:3]
.LBB101_223:
	s_or_b64 exec, exec, s[0:1]
	s_waitcnt lgkmcnt(0)
	; wave barrier
	scratch_load_dwordx4 v[18:21], off, off offset:80
	scratch_load_dwordx4 v[34:37], off, off offset:96
	;; [unrolled: 1-line block ×10, first 2 shown]
	ds_read_b128 v[84:87], v82 offset:384
	ds_read_b128 v[88:91], v82 offset:400
	;; [unrolled: 1-line block ×10, first 2 shown]
	scratch_load_dwordx4 v[54:57], off, off offset:240
	scratch_load_dwordx4 v[46:49], off, off offset:256
	;; [unrolled: 1-line block ×4, first 2 shown]
	scratch_load_dwordx2 v[100:101], off, off offset:72
	v_cmp_lt_u32_e32 vcc, 8, v0
	s_waitcnt vmcnt(14) lgkmcnt(9)
	v_mul_f32_e32 v83, v84, v19
	v_mul_f32_e32 v102, v86, v21
	s_waitcnt vmcnt(12) lgkmcnt(7)
	v_mul_f32_e32 v107, v92, v3
	v_mul_f32_e32 v3, v93, v3
	v_fmac_f32_e32 v83, v85, v18
	v_mul_f32_e32 v104, v88, v35
	v_fmac_f32_e32 v102, v87, v20
	v_fmac_f32_e32 v107, v93, v2
	v_fma_f32 v2, v92, v2, -v3
	v_add_f32_e32 v3, 0, v83
	v_mul_f32_e32 v106, v90, v37
	v_fmac_f32_e32 v104, v89, v34
	v_add_f32_e32 v3, v3, v102
	v_fmac_f32_e32 v106, v91, v36
	v_add_f32_e32 v3, v3, v104
	v_mul_f32_e32 v108, v94, v5
	v_add_f32_e32 v3, v3, v106
	s_waitcnt vmcnt(11) lgkmcnt(6)
	v_mul_f32_e32 v109, v96, v7
	v_fmac_f32_e32 v108, v95, v4
	v_add_f32_e32 v3, v3, v107
	v_mul_f32_e32 v110, v98, v9
	v_fmac_f32_e32 v109, v97, v6
	v_add_f32_e32 v3, v3, v108
	s_waitcnt vmcnt(10) lgkmcnt(5)
	v_mul_f32_e32 v111, v78, v11
	v_fmac_f32_e32 v110, v99, v8
	v_add_f32_e32 v3, v3, v109
	v_mul_f32_e32 v112, v80, v13
	v_fmac_f32_e32 v111, v79, v10
	;; [unrolled: 7-line block ×4, first 2 shown]
	v_add_f32_e32 v3, v3, v190
	s_waitcnt vmcnt(7) lgkmcnt(2)
	v_mul_f32_e32 v193, v66, v39
	v_mul_f32_e32 v19, v85, v19
	v_fmac_f32_e32 v192, v73, v28
	v_add_f32_e32 v3, v3, v191
	v_mul_f32_e32 v194, v68, v41
	v_mul_f32_e32 v21, v87, v21
	v_fmac_f32_e32 v193, v67, v38
	v_fma_f32 v18, v84, v18, -v19
	v_add_f32_e32 v3, v3, v192
	s_waitcnt vmcnt(6) lgkmcnt(1)
	v_mul_f32_e32 v195, v62, v43
	v_mul_f32_e32 v35, v89, v35
	v_fmac_f32_e32 v194, v69, v40
	v_fma_f32 v19, v86, v20, -v21
	v_add_f32_e32 v18, 0, v18
	v_add_f32_e32 v3, v3, v193
	v_mul_f32_e32 v196, v64, v45
	v_mul_f32_e32 v37, v91, v37
	v_fmac_f32_e32 v195, v63, v42
	v_fma_f32 v20, v88, v34, -v35
	v_add_f32_e32 v18, v18, v19
	v_add_f32_e32 v3, v3, v194
	v_fmac_f32_e32 v196, v65, v44
	v_fma_f32 v21, v90, v36, -v37
	v_add_f32_e32 v18, v18, v20
	v_add_f32_e32 v3, v3, v195
	;; [unrolled: 1-line block ×4, first 2 shown]
	v_mul_f32_e32 v3, v95, v5
	v_add_f32_e32 v2, v18, v2
	v_fma_f32 v3, v94, v4, -v3
	v_add_f32_e32 v2, v2, v3
	v_mul_f32_e32 v3, v97, v7
	v_fma_f32 v3, v96, v6, -v3
	v_add_f32_e32 v2, v2, v3
	v_mul_f32_e32 v3, v99, v9
	;; [unrolled: 3-line block ×12, first 2 shown]
	v_fma_f32 v3, v64, v44, -v3
	v_add_f32_e32 v34, v2, v3
	s_waitcnt vmcnt(5) lgkmcnt(0)
	v_mul_f32_e32 v2, v59, v51
	v_fma_f32 v102, v58, v50, -v2
	v_mul_f32_e32 v2, v61, v53
	v_fma_f32 v104, v60, v52, -v2
	ds_read_b128 v[2:5], v82 offset:544
	ds_read_b128 v[6:9], v82 offset:560
	;; [unrolled: 1-line block ×4, first 2 shown]
	v_mul_f32_e32 v103, v58, v51
	v_mul_f32_e32 v105, v60, v53
	v_fmac_f32_e32 v103, v59, v50
	s_waitcnt vmcnt(4) lgkmcnt(3)
	v_pk_mul_f32 v[24:25], v[2:3], v[54:55] op_sel:[1,1] op_sel_hi:[0,1]
	v_fmac_f32_e32 v105, v61, v52
	v_pk_add_f32 v[22:23], v[34:35], v[102:103]
	v_pk_fma_f32 v[26:27], v[2:3], v[54:55], v[24:25] neg_lo:[0,0,1] neg_hi:[0,0,1]
	v_pk_fma_f32 v[2:3], v[2:3], v[54:55], v[24:25] op_sel_hi:[1,0,1]
	v_pk_add_f32 v[22:23], v[22:23], v[104:105]
	v_mov_b32_e32 v27, v3
	v_pk_add_f32 v[2:3], v[22:23], v[26:27]
	v_mov_b32_e32 v22, v57
	v_pk_mul_f32 v[22:23], v[4:5], v[22:23] op_sel:[1,0] op_sel_hi:[0,0]
	v_pk_fma_f32 v[24:25], v[4:5], v[56:57], v[22:23] neg_lo:[0,0,1] neg_hi:[0,0,1]
	v_pk_fma_f32 v[4:5], v[4:5], v[56:57], v[22:23] op_sel_hi:[1,0,1]
	s_nop 0
	v_mov_b32_e32 v25, v5
	s_waitcnt vmcnt(3) lgkmcnt(2)
	v_pk_mul_f32 v[4:5], v[6:7], v[46:47] op_sel:[1,1] op_sel_hi:[0,1]
	v_pk_fma_f32 v[22:23], v[6:7], v[46:47], v[4:5] neg_lo:[0,0,1] neg_hi:[0,0,1]
	v_pk_fma_f32 v[4:5], v[6:7], v[46:47], v[4:5] op_sel_hi:[1,0,1]
	v_pk_add_f32 v[2:3], v[2:3], v[24:25]
	v_mov_b32_e32 v4, v49
	v_mov_b32_e32 v23, v5
	v_pk_mul_f32 v[4:5], v[8:9], v[4:5] op_sel:[1,0] op_sel_hi:[0,0]
	v_pk_fma_f32 v[6:7], v[8:9], v[48:49], v[4:5] neg_lo:[0,0,1] neg_hi:[0,0,1]
	v_pk_fma_f32 v[4:5], v[8:9], v[48:49], v[4:5] op_sel_hi:[1,0,1]
	v_pk_add_f32 v[2:3], v[2:3], v[22:23]
	v_mov_b32_e32 v7, v5
	s_waitcnt vmcnt(2) lgkmcnt(1)
	v_pk_mul_f32 v[4:5], v[10:11], v[30:31] op_sel:[1,1] op_sel_hi:[0,1]
	v_pk_add_f32 v[2:3], v[2:3], v[6:7]
	v_pk_fma_f32 v[6:7], v[10:11], v[30:31], v[4:5] neg_lo:[0,0,1] neg_hi:[0,0,1]
	v_pk_fma_f32 v[4:5], v[10:11], v[30:31], v[4:5] op_sel_hi:[1,0,1]
	s_nop 0
	v_mov_b32_e32 v4, v33
	v_mov_b32_e32 v7, v5
	v_pk_mul_f32 v[4:5], v[12:13], v[4:5] op_sel:[1,0] op_sel_hi:[0,0]
	v_pk_add_f32 v[2:3], v[2:3], v[6:7]
	v_pk_fma_f32 v[6:7], v[12:13], v[32:33], v[4:5] neg_lo:[0,0,1] neg_hi:[0,0,1]
	v_pk_fma_f32 v[4:5], v[12:13], v[32:33], v[4:5] op_sel_hi:[1,0,1]
	s_nop 0
	v_mov_b32_e32 v7, v5
	s_waitcnt vmcnt(1) lgkmcnt(0)
	v_pk_mul_f32 v[4:5], v[18:19], v[14:15] op_sel:[1,1] op_sel_hi:[0,1]
	v_pk_add_f32 v[2:3], v[2:3], v[6:7]
	v_pk_fma_f32 v[6:7], v[18:19], v[14:15], v[4:5] neg_lo:[0,0,1] neg_hi:[0,0,1]
	v_pk_fma_f32 v[4:5], v[18:19], v[14:15], v[4:5] op_sel_hi:[1,0,1]
	s_nop 0
	v_mov_b32_e32 v4, v17
	v_mov_b32_e32 v7, v5
	v_pk_mul_f32 v[4:5], v[20:21], v[4:5] op_sel:[1,0] op_sel_hi:[0,0]
	v_pk_add_f32 v[2:3], v[2:3], v[6:7]
	v_pk_fma_f32 v[6:7], v[20:21], v[16:17], v[4:5] neg_lo:[0,0,1] neg_hi:[0,0,1]
	v_pk_fma_f32 v[4:5], v[20:21], v[16:17], v[4:5] op_sel_hi:[1,0,1]
	s_nop 0
	v_mov_b32_e32 v7, v5
	v_pk_add_f32 v[2:3], v[2:3], v[6:7]
	s_waitcnt vmcnt(0)
	v_pk_add_f32 v[2:3], v[100:101], v[2:3] neg_lo:[0,1] neg_hi:[0,1]
	scratch_store_dwordx2 off, v[2:3], off offset:72
	s_and_saveexec_b64 s[0:1], vcc
	s_cbranch_execz .LBB101_225
; %bb.224:
	scratch_load_dwordx2 v[2:3], off, off offset:64
	v_mov_b32_e32 v4, 0
	v_mov_b32_e32 v5, v4
	scratch_store_dwordx2 off, v[4:5], off offset:64
	s_waitcnt vmcnt(1)
	ds_write_b64 v1, v[2:3]
.LBB101_225:
	s_or_b64 exec, exec, s[0:1]
	s_waitcnt lgkmcnt(0)
	; wave barrier
	scratch_load_dwordx4 v[18:21], off, off offset:72
	scratch_load_dwordx4 v[2:5], off, off offset:88
	;; [unrolled: 1-line block ×14, first 2 shown]
	scratch_load_dwordx2 v[58:59], off, off offset:296
	scratch_load_dwordx2 v[100:101], off, off offset:64
	v_mov_b32_e32 v102, 0
	ds_read2_b64 v[60:63], v102 offset0:47 offset1:48
	ds_read2_b64 v[64:67], v102 offset0:49 offset1:50
	;; [unrolled: 1-line block ×12, first 2 shown]
	v_cmp_lt_u32_e32 vcc, 7, v0
	s_waitcnt vmcnt(15) lgkmcnt(11)
	v_mul_f32_e32 v103, v60, v19
	v_mul_f32_e32 v112, v62, v21
	s_waitcnt vmcnt(14) lgkmcnt(10)
	v_mul_f32_e32 v190, v64, v3
	v_mul_f32_e32 v3, v65, v3
	v_fmac_f32_e32 v103, v61, v18
	v_fmac_f32_e32 v112, v63, v20
	;; [unrolled: 1-line block ×3, first 2 shown]
	v_fma_f32 v2, v64, v2, -v3
	v_add_f32_e32 v3, 0, v103
	v_mul_f32_e32 v192, v66, v5
	v_add_f32_e32 v3, v3, v112
	s_waitcnt vmcnt(13) lgkmcnt(9)
	v_mul_f32_e32 v193, v68, v7
	v_fmac_f32_e32 v192, v67, v4
	v_add_f32_e32 v3, v3, v190
	v_mul_f32_e32 v194, v70, v9
	v_fmac_f32_e32 v193, v69, v6
	v_add_f32_e32 v3, v3, v192
	s_waitcnt vmcnt(12) lgkmcnt(8)
	v_mul_f32_e32 v195, v72, v11
	v_fmac_f32_e32 v194, v71, v8
	v_add_f32_e32 v3, v3, v193
	v_mul_f32_e32 v196, v74, v13
	v_fmac_f32_e32 v195, v73, v10
	;; [unrolled: 7-line block ×6, first 2 shown]
	v_add_f32_e32 v3, v3, v202
	s_waitcnt vmcnt(7) lgkmcnt(3)
	v_mul_f32_e32 v205, v92, v43
	v_fmac_f32_e32 v204, v91, v40
	v_add_f32_e32 v3, v3, v203
	v_mul_f32_e32 v206, v94, v45
	v_mul_f32_e32 v19, v61, v19
	v_fmac_f32_e32 v205, v93, v42
	v_add_f32_e32 v3, v3, v204
	s_waitcnt vmcnt(6) lgkmcnt(2)
	v_mul_f32_e32 v207, v96, v51
	v_mul_f32_e32 v21, v63, v21
	v_fmac_f32_e32 v206, v95, v44
	v_fma_f32 v18, v60, v18, -v19
	v_add_f32_e32 v3, v3, v205
	v_fmac_f32_e32 v207, v97, v50
	v_fma_f32 v19, v62, v20, -v21
	v_add_f32_e32 v18, 0, v18
	v_add_f32_e32 v3, v3, v206
	;; [unrolled: 1-line block ×4, first 2 shown]
	v_mul_f32_e32 v3, v67, v5
	v_add_f32_e32 v2, v18, v2
	v_fma_f32 v3, v66, v4, -v3
	v_add_f32_e32 v2, v2, v3
	v_mul_f32_e32 v3, v69, v7
	v_fma_f32 v3, v68, v6, -v3
	v_add_f32_e32 v2, v2, v3
	v_mul_f32_e32 v3, v71, v9
	;; [unrolled: 3-line block ×15, first 2 shown]
	v_fma_f32 v3, v96, v50, -v3
	v_mul_f32_e32 v113, v98, v53
	v_add_f32_e32 v18, v2, v3
	v_mul_f32_e32 v2, v99, v53
	s_waitcnt vmcnt(5)
	v_mov_b32_e32 v14, v57
	s_waitcnt lgkmcnt(1)
	v_mul_f32_e32 v191, v104, v55
	v_fmac_f32_e32 v113, v99, v52
	v_fma_f32 v112, v98, v52, -v2
	v_mul_f32_e32 v2, v105, v55
	v_pk_mul_f32 v[14:15], v[106:107], v[14:15] op_sel:[1,0] op_sel_hi:[0,0]
	v_fmac_f32_e32 v191, v105, v54
	v_fma_f32 v190, v104, v54, -v2
	v_pk_add_f32 v[12:13], v[18:19], v[112:113]
	v_pk_fma_f32 v[16:17], v[106:107], v[56:57], v[14:15] neg_lo:[0,0,1] neg_hi:[0,0,1]
	v_pk_fma_f32 v[14:15], v[106:107], v[56:57], v[14:15] op_sel_hi:[1,0,1]
	v_pk_add_f32 v[12:13], v[12:13], v[190:191]
	v_mov_b32_e32 v17, v15
	s_waitcnt vmcnt(4) lgkmcnt(0)
	v_pk_mul_f32 v[14:15], v[108:109], v[46:47] op_sel:[1,1] op_sel_hi:[0,1]
	v_pk_add_f32 v[12:13], v[12:13], v[16:17]
	v_pk_fma_f32 v[16:17], v[108:109], v[46:47], v[14:15] neg_lo:[0,0,1] neg_hi:[0,0,1]
	v_pk_fma_f32 v[14:15], v[108:109], v[46:47], v[14:15] op_sel_hi:[1,0,1]
	ds_read2_b64 v[2:5], v102 offset0:71 offset1:72
	ds_read2_b64 v[6:9], v102 offset0:73 offset1:74
	ds_read_b64 v[10:11], v102 offset:600
	v_mov_b32_e32 v14, v49
	v_mov_b32_e32 v17, v15
	v_pk_mul_f32 v[14:15], v[110:111], v[14:15] op_sel:[1,0] op_sel_hi:[0,0]
	v_pk_add_f32 v[12:13], v[12:13], v[16:17]
	v_pk_fma_f32 v[16:17], v[110:111], v[48:49], v[14:15] neg_lo:[0,0,1] neg_hi:[0,0,1]
	v_pk_fma_f32 v[14:15], v[110:111], v[48:49], v[14:15] op_sel_hi:[1,0,1]
	s_nop 0
	v_mov_b32_e32 v17, v15
	s_waitcnt vmcnt(3) lgkmcnt(2)
	v_pk_mul_f32 v[14:15], v[2:3], v[34:35] op_sel:[1,1] op_sel_hi:[0,1]
	v_pk_add_f32 v[12:13], v[12:13], v[16:17]
	v_pk_fma_f32 v[16:17], v[2:3], v[34:35], v[14:15] neg_lo:[0,0,1] neg_hi:[0,0,1]
	v_pk_fma_f32 v[2:3], v[2:3], v[34:35], v[14:15] op_sel_hi:[1,0,1]
	s_nop 0
	v_mov_b32_e32 v17, v3
	v_pk_add_f32 v[2:3], v[12:13], v[16:17]
	v_mov_b32_e32 v12, v37
	v_pk_mul_f32 v[12:13], v[4:5], v[12:13] op_sel:[1,0] op_sel_hi:[0,0]
	v_pk_fma_f32 v[14:15], v[4:5], v[36:37], v[12:13] neg_lo:[0,0,1] neg_hi:[0,0,1]
	v_pk_fma_f32 v[4:5], v[4:5], v[36:37], v[12:13] op_sel_hi:[1,0,1]
	s_nop 0
	v_mov_b32_e32 v15, v5
	s_waitcnt vmcnt(2) lgkmcnt(1)
	v_pk_mul_f32 v[4:5], v[6:7], v[22:23] op_sel:[1,1] op_sel_hi:[0,1]
	v_pk_fma_f32 v[12:13], v[6:7], v[22:23], v[4:5] neg_lo:[0,0,1] neg_hi:[0,0,1]
	v_pk_fma_f32 v[4:5], v[6:7], v[22:23], v[4:5] op_sel_hi:[1,0,1]
	v_pk_add_f32 v[2:3], v[2:3], v[14:15]
	v_mov_b32_e32 v4, v25
	v_mov_b32_e32 v13, v5
	v_pk_mul_f32 v[4:5], v[8:9], v[4:5] op_sel:[1,0] op_sel_hi:[0,0]
	v_pk_fma_f32 v[6:7], v[8:9], v[24:25], v[4:5] neg_lo:[0,0,1] neg_hi:[0,0,1]
	v_pk_fma_f32 v[4:5], v[8:9], v[24:25], v[4:5] op_sel_hi:[1,0,1]
	v_pk_add_f32 v[2:3], v[2:3], v[12:13]
	v_mov_b32_e32 v7, v5
	s_waitcnt vmcnt(1) lgkmcnt(0)
	v_pk_mul_f32 v[4:5], v[10:11], v[58:59] op_sel:[1,1] op_sel_hi:[0,1]
	v_pk_add_f32 v[2:3], v[2:3], v[6:7]
	v_pk_fma_f32 v[6:7], v[10:11], v[58:59], v[4:5] neg_lo:[0,0,1] neg_hi:[0,0,1]
	v_pk_fma_f32 v[4:5], v[10:11], v[58:59], v[4:5] op_sel_hi:[1,0,1]
	s_nop 0
	v_mov_b32_e32 v7, v5
	v_pk_add_f32 v[2:3], v[2:3], v[6:7]
	s_waitcnt vmcnt(0)
	v_pk_add_f32 v[2:3], v[100:101], v[2:3] neg_lo:[0,1] neg_hi:[0,1]
	scratch_store_dwordx2 off, v[2:3], off offset:64
	s_and_saveexec_b64 s[0:1], vcc
	s_cbranch_execz .LBB101_227
; %bb.226:
	scratch_load_dwordx2 v[2:3], off, off offset:56
	v_mov_b32_e32 v103, v102
	scratch_store_dwordx2 off, v[102:103], off offset:56
	s_waitcnt vmcnt(1)
	ds_write_b64 v1, v[2:3]
.LBB101_227:
	s_or_b64 exec, exec, s[0:1]
	s_waitcnt lgkmcnt(0)
	; wave barrier
	scratch_load_dwordx4 v[22:25], off, off offset:64
	scratch_load_dwordx4 v[2:5], off, off offset:80
	;; [unrolled: 1-line block ×11, first 2 shown]
	ds_read_b128 v[104:107], v102 offset:368
	ds_read_b128 v[98:101], v102 offset:384
	;; [unrolled: 1-line block ×10, first 2 shown]
	scratch_load_dwordx4 v[58:61], off, off offset:240
	scratch_load_dwordx4 v[50:53], off, off offset:256
	;; [unrolled: 1-line block ×4, first 2 shown]
	ds_read_b128 v[78:81], v102 offset:528
	ds_read_b128 v[108:111], v102 offset:544
	scratch_load_dwordx2 v[112:113], off, off offset:56
	v_cmp_lt_u32_e32 vcc, 6, v0
	s_waitcnt vmcnt(15) lgkmcnt(11)
	v_mul_f32_e32 v103, v104, v23
	v_mul_f32_e32 v190, v106, v25
	s_waitcnt vmcnt(14) lgkmcnt(10)
	v_mul_f32_e32 v192, v98, v3
	v_mul_f32_e32 v3, v99, v3
	v_fmac_f32_e32 v103, v105, v22
	v_fmac_f32_e32 v190, v107, v24
	v_fmac_f32_e32 v192, v99, v2
	v_fma_f32 v2, v98, v2, -v3
	v_add_f32_e32 v3, 0, v103
	v_mul_f32_e32 v194, v100, v5
	v_add_f32_e32 v3, v3, v190
	s_waitcnt vmcnt(13) lgkmcnt(9)
	v_mul_f32_e32 v195, v94, v7
	v_fmac_f32_e32 v194, v101, v4
	v_add_f32_e32 v3, v3, v192
	v_mul_f32_e32 v196, v96, v9
	v_fmac_f32_e32 v195, v95, v6
	v_add_f32_e32 v3, v3, v194
	s_waitcnt vmcnt(12) lgkmcnt(8)
	v_mul_f32_e32 v197, v90, v11
	v_fmac_f32_e32 v196, v97, v8
	v_add_f32_e32 v3, v3, v195
	v_mul_f32_e32 v198, v92, v13
	v_fmac_f32_e32 v197, v91, v10
	;; [unrolled: 7-line block ×7, first 2 shown]
	v_add_f32_e32 v3, v3, v206
	s_waitcnt vmcnt(6) lgkmcnt(2)
	v_mul_f32_e32 v209, v62, v47
	v_mul_f32_e32 v23, v105, v23
	v_fmac_f32_e32 v208, v69, v44
	v_add_f32_e32 v3, v3, v207
	v_mul_f32_e32 v210, v64, v49
	v_mul_f32_e32 v25, v107, v25
	v_fmac_f32_e32 v209, v63, v46
	v_fma_f32 v22, v104, v22, -v23
	v_add_f32_e32 v3, v3, v208
	v_fmac_f32_e32 v210, v65, v48
	v_fma_f32 v23, v106, v24, -v25
	v_add_f32_e32 v22, 0, v22
	v_add_f32_e32 v3, v3, v209
	;; [unrolled: 1-line block ×4, first 2 shown]
	v_mul_f32_e32 v3, v101, v5
	v_add_f32_e32 v2, v22, v2
	v_fma_f32 v3, v100, v4, -v3
	v_add_f32_e32 v2, v2, v3
	v_mul_f32_e32 v3, v95, v7
	v_fma_f32 v3, v94, v6, -v3
	v_add_f32_e32 v2, v2, v3
	v_mul_f32_e32 v3, v97, v9
	;; [unrolled: 3-line block ×16, first 2 shown]
	v_fma_f32 v3, v64, v48, -v3
	s_waitcnt vmcnt(5) lgkmcnt(1)
	v_mul_f32_e32 v191, v78, v55
	v_add_f32_e32 v22, v2, v3
	v_mul_f32_e32 v2, v79, v55
	s_waitcnt vmcnt(4) lgkmcnt(0)
	v_pk_mul_f32 v[16:17], v[108:109], v[58:59] op_sel:[1,1] op_sel_hi:[0,1]
	v_mul_f32_e32 v193, v80, v57
	v_fmac_f32_e32 v191, v79, v54
	v_fma_f32 v190, v78, v54, -v2
	v_mul_f32_e32 v2, v81, v57
	v_pk_fma_f32 v[18:19], v[108:109], v[58:59], v[16:17] neg_lo:[0,0,1] neg_hi:[0,0,1]
	v_pk_fma_f32 v[16:17], v[108:109], v[58:59], v[16:17] op_sel_hi:[1,0,1]
	v_fmac_f32_e32 v193, v81, v56
	v_fma_f32 v192, v80, v56, -v2
	ds_read_b128 v[2:5], v102 offset:560
	ds_read_b128 v[6:9], v102 offset:576
	;; [unrolled: 1-line block ×3, first 2 shown]
	v_pk_add_f32 v[14:15], v[22:23], v[190:191]
	v_mov_b32_e32 v16, v61
	v_pk_add_f32 v[14:15], v[14:15], v[192:193]
	v_mov_b32_e32 v19, v17
	v_pk_mul_f32 v[16:17], v[110:111], v[16:17] op_sel:[1,0] op_sel_hi:[0,0]
	v_pk_add_f32 v[14:15], v[14:15], v[18:19]
	v_pk_fma_f32 v[18:19], v[110:111], v[60:61], v[16:17] neg_lo:[0,0,1] neg_hi:[0,0,1]
	v_pk_fma_f32 v[16:17], v[110:111], v[60:61], v[16:17] op_sel_hi:[1,0,1]
	s_nop 0
	v_mov_b32_e32 v19, v17
	s_waitcnt vmcnt(3) lgkmcnt(2)
	v_pk_mul_f32 v[16:17], v[2:3], v[50:51] op_sel:[1,1] op_sel_hi:[0,1]
	v_pk_add_f32 v[14:15], v[14:15], v[18:19]
	v_pk_fma_f32 v[18:19], v[2:3], v[50:51], v[16:17] neg_lo:[0,0,1] neg_hi:[0,0,1]
	v_pk_fma_f32 v[2:3], v[2:3], v[50:51], v[16:17] op_sel_hi:[1,0,1]
	s_nop 0
	v_mov_b32_e32 v19, v3
	v_pk_add_f32 v[2:3], v[14:15], v[18:19]
	v_mov_b32_e32 v14, v53
	v_pk_mul_f32 v[14:15], v[4:5], v[14:15] op_sel:[1,0] op_sel_hi:[0,0]
	v_pk_fma_f32 v[16:17], v[4:5], v[52:53], v[14:15] neg_lo:[0,0,1] neg_hi:[0,0,1]
	v_pk_fma_f32 v[4:5], v[4:5], v[52:53], v[14:15] op_sel_hi:[1,0,1]
	s_nop 0
	v_mov_b32_e32 v17, v5
	s_waitcnt vmcnt(2) lgkmcnt(1)
	v_pk_mul_f32 v[4:5], v[6:7], v[38:39] op_sel:[1,1] op_sel_hi:[0,1]
	v_pk_fma_f32 v[14:15], v[6:7], v[38:39], v[4:5] neg_lo:[0,0,1] neg_hi:[0,0,1]
	v_pk_fma_f32 v[4:5], v[6:7], v[38:39], v[4:5] op_sel_hi:[1,0,1]
	v_pk_add_f32 v[2:3], v[2:3], v[16:17]
	v_mov_b32_e32 v4, v41
	v_mov_b32_e32 v15, v5
	v_pk_mul_f32 v[4:5], v[8:9], v[4:5] op_sel:[1,0] op_sel_hi:[0,0]
	v_pk_fma_f32 v[6:7], v[8:9], v[40:41], v[4:5] neg_lo:[0,0,1] neg_hi:[0,0,1]
	v_pk_fma_f32 v[4:5], v[8:9], v[40:41], v[4:5] op_sel_hi:[1,0,1]
	v_pk_add_f32 v[2:3], v[2:3], v[14:15]
	v_mov_b32_e32 v7, v5
	s_waitcnt vmcnt(1) lgkmcnt(0)
	v_pk_mul_f32 v[4:5], v[10:11], v[26:27] op_sel:[1,1] op_sel_hi:[0,1]
	v_pk_add_f32 v[2:3], v[2:3], v[6:7]
	v_pk_fma_f32 v[6:7], v[10:11], v[26:27], v[4:5] neg_lo:[0,0,1] neg_hi:[0,0,1]
	v_pk_fma_f32 v[4:5], v[10:11], v[26:27], v[4:5] op_sel_hi:[1,0,1]
	s_nop 0
	v_mov_b32_e32 v4, v29
	v_mov_b32_e32 v7, v5
	v_pk_mul_f32 v[4:5], v[12:13], v[4:5] op_sel:[1,0] op_sel_hi:[0,0]
	v_pk_add_f32 v[2:3], v[2:3], v[6:7]
	v_pk_fma_f32 v[6:7], v[12:13], v[28:29], v[4:5] neg_lo:[0,0,1] neg_hi:[0,0,1]
	v_pk_fma_f32 v[4:5], v[12:13], v[28:29], v[4:5] op_sel_hi:[1,0,1]
	s_nop 0
	v_mov_b32_e32 v7, v5
	v_pk_add_f32 v[2:3], v[2:3], v[6:7]
	s_waitcnt vmcnt(0)
	v_pk_add_f32 v[2:3], v[112:113], v[2:3] neg_lo:[0,1] neg_hi:[0,1]
	scratch_store_dwordx2 off, v[2:3], off offset:56
	s_and_saveexec_b64 s[0:1], vcc
	s_cbranch_execz .LBB101_229
; %bb.228:
	scratch_load_dwordx2 v[2:3], off, off offset:48
	v_mov_b32_e32 v4, 0
	v_mov_b32_e32 v5, v4
	scratch_store_dwordx2 off, v[4:5], off offset:48
	s_waitcnt vmcnt(1)
	ds_write_b64 v1, v[2:3]
.LBB101_229:
	s_or_b64 exec, exec, s[0:1]
	s_waitcnt lgkmcnt(0)
	; wave barrier
	scratch_load_dwordx4 v[2:5], off, off offset:56
	scratch_load_dwordx4 v[6:9], off, off offset:72
	;; [unrolled: 1-line block ×15, first 2 shown]
	scratch_load_dwordx2 v[62:63], off, off offset:296
	scratch_load_dwordx2 v[112:113], off, off offset:48
	v_mov_b32_e32 v190, 0
	ds_read2_b64 v[64:67], v190 offset0:45 offset1:46
	ds_read2_b64 v[68:71], v190 offset0:47 offset1:48
	;; [unrolled: 1-line block ×12, first 2 shown]
	v_cmp_lt_u32_e32 vcc, 5, v0
	s_waitcnt vmcnt(16) lgkmcnt(11)
	v_mul_f32_e32 v191, v64, v3
	v_mul_f32_e32 v192, v66, v5
	;; [unrolled: 1-line block ×3, first 2 shown]
	v_fmac_f32_e32 v191, v65, v2
	s_waitcnt vmcnt(15) lgkmcnt(10)
	v_mul_f32_e32 v194, v68, v7
	v_fmac_f32_e32 v192, v67, v4
	v_fma_f32 v2, v64, v2, -v3
	v_add_f32_e32 v3, 0, v191
	v_mul_f32_e32 v196, v70, v9
	v_fmac_f32_e32 v194, v69, v6
	v_add_f32_e32 v3, v3, v192
	s_waitcnt vmcnt(14) lgkmcnt(9)
	v_mul_f32_e32 v197, v72, v11
	v_fmac_f32_e32 v196, v71, v8
	v_add_f32_e32 v3, v3, v194
	v_mul_f32_e32 v198, v74, v13
	v_fmac_f32_e32 v197, v73, v10
	v_add_f32_e32 v3, v3, v196
	s_waitcnt vmcnt(13) lgkmcnt(8)
	v_mul_f32_e32 v199, v76, v15
	v_fmac_f32_e32 v198, v75, v12
	;; [unrolled: 7-line block ×9, first 2 shown]
	v_add_f32_e32 v3, v3, v211
	v_mul_f32_e32 v5, v67, v5
	v_fmac_f32_e32 v213, v105, v58
	v_add_f32_e32 v3, v3, v212
	v_add_f32_e32 v2, 0, v2
	;; [unrolled: 1-line block ×3, first 2 shown]
	v_fma_f32 v3, v66, v4, -v5
	v_add_f32_e32 v2, v2, v3
	v_mul_f32_e32 v3, v69, v7
	v_fma_f32 v3, v68, v6, -v3
	v_add_f32_e32 v2, v2, v3
	v_mul_f32_e32 v3, v71, v9
	;; [unrolled: 3-line block ×20, first 2 shown]
	v_mul_f32_e32 v193, v106, v61
	v_fma_f32 v192, v106, v60, -v2
	s_waitcnt vmcnt(5) lgkmcnt(0)
	v_mul_f32_e32 v2, v109, v55
	v_mov_b32_e32 v18, v57
	v_mul_f32_e32 v195, v108, v55
	v_fmac_f32_e32 v193, v107, v60
	v_fma_f32 v194, v108, v54, -v2
	ds_read2_b64 v[2:5], v190 offset0:69 offset1:70
	ds_read2_b64 v[6:9], v190 offset0:71 offset1:72
	ds_read2_b64 v[10:13], v190 offset0:73 offset1:74
	ds_read_b64 v[14:15], v190 offset:600
	v_pk_mul_f32 v[18:19], v[110:111], v[18:19] op_sel:[1,0] op_sel_hi:[0,0]
	v_fmac_f32_e32 v195, v109, v54
	v_pk_add_f32 v[16:17], v[64:65], v[192:193]
	v_pk_fma_f32 v[20:21], v[110:111], v[56:57], v[18:19] neg_lo:[0,0,1] neg_hi:[0,0,1]
	v_pk_fma_f32 v[18:19], v[110:111], v[56:57], v[18:19] op_sel_hi:[1,0,1]
	v_pk_add_f32 v[16:17], v[16:17], v[194:195]
	v_mov_b32_e32 v21, v19
	s_waitcnt vmcnt(4) lgkmcnt(3)
	v_pk_mul_f32 v[18:19], v[2:3], v[50:51] op_sel:[1,1] op_sel_hi:[0,1]
	v_pk_add_f32 v[16:17], v[16:17], v[20:21]
	v_pk_fma_f32 v[20:21], v[2:3], v[50:51], v[18:19] neg_lo:[0,0,1] neg_hi:[0,0,1]
	v_pk_fma_f32 v[2:3], v[2:3], v[50:51], v[18:19] op_sel_hi:[1,0,1]
	s_nop 0
	v_mov_b32_e32 v21, v3
	v_pk_add_f32 v[2:3], v[16:17], v[20:21]
	v_mov_b32_e32 v16, v53
	v_pk_mul_f32 v[16:17], v[4:5], v[16:17] op_sel:[1,0] op_sel_hi:[0,0]
	v_pk_fma_f32 v[18:19], v[4:5], v[52:53], v[16:17] neg_lo:[0,0,1] neg_hi:[0,0,1]
	v_pk_fma_f32 v[4:5], v[4:5], v[52:53], v[16:17] op_sel_hi:[1,0,1]
	s_nop 0
	v_mov_b32_e32 v19, v5
	s_waitcnt vmcnt(3) lgkmcnt(2)
	v_pk_mul_f32 v[4:5], v[6:7], v[38:39] op_sel:[1,1] op_sel_hi:[0,1]
	v_pk_fma_f32 v[16:17], v[6:7], v[38:39], v[4:5] neg_lo:[0,0,1] neg_hi:[0,0,1]
	v_pk_fma_f32 v[4:5], v[6:7], v[38:39], v[4:5] op_sel_hi:[1,0,1]
	v_pk_add_f32 v[2:3], v[2:3], v[18:19]
	v_mov_b32_e32 v4, v41
	v_mov_b32_e32 v17, v5
	v_pk_mul_f32 v[4:5], v[8:9], v[4:5] op_sel:[1,0] op_sel_hi:[0,0]
	v_pk_fma_f32 v[6:7], v[8:9], v[40:41], v[4:5] neg_lo:[0,0,1] neg_hi:[0,0,1]
	v_pk_fma_f32 v[4:5], v[8:9], v[40:41], v[4:5] op_sel_hi:[1,0,1]
	v_pk_add_f32 v[2:3], v[2:3], v[16:17]
	v_mov_b32_e32 v7, v5
	s_waitcnt vmcnt(2) lgkmcnt(1)
	v_pk_mul_f32 v[4:5], v[10:11], v[26:27] op_sel:[1,1] op_sel_hi:[0,1]
	v_pk_add_f32 v[2:3], v[2:3], v[6:7]
	v_pk_fma_f32 v[6:7], v[10:11], v[26:27], v[4:5] neg_lo:[0,0,1] neg_hi:[0,0,1]
	v_pk_fma_f32 v[4:5], v[10:11], v[26:27], v[4:5] op_sel_hi:[1,0,1]
	s_nop 0
	v_mov_b32_e32 v4, v29
	v_mov_b32_e32 v7, v5
	v_pk_mul_f32 v[4:5], v[12:13], v[4:5] op_sel:[1,0] op_sel_hi:[0,0]
	v_pk_add_f32 v[2:3], v[2:3], v[6:7]
	v_pk_fma_f32 v[6:7], v[12:13], v[28:29], v[4:5] neg_lo:[0,0,1] neg_hi:[0,0,1]
	v_pk_fma_f32 v[4:5], v[12:13], v[28:29], v[4:5] op_sel_hi:[1,0,1]
	s_nop 0
	v_mov_b32_e32 v7, v5
	s_waitcnt vmcnt(1) lgkmcnt(0)
	v_pk_mul_f32 v[4:5], v[14:15], v[62:63] op_sel:[1,1] op_sel_hi:[0,1]
	v_pk_add_f32 v[2:3], v[2:3], v[6:7]
	v_pk_fma_f32 v[6:7], v[14:15], v[62:63], v[4:5] neg_lo:[0,0,1] neg_hi:[0,0,1]
	v_pk_fma_f32 v[4:5], v[14:15], v[62:63], v[4:5] op_sel_hi:[1,0,1]
	s_nop 0
	v_mov_b32_e32 v7, v5
	v_pk_add_f32 v[2:3], v[2:3], v[6:7]
	s_waitcnt vmcnt(0)
	v_pk_add_f32 v[2:3], v[112:113], v[2:3] neg_lo:[0,1] neg_hi:[0,1]
	scratch_store_dwordx2 off, v[2:3], off offset:48
	s_and_saveexec_b64 s[0:1], vcc
	s_cbranch_execz .LBB101_231
; %bb.230:
	scratch_load_dwordx2 v[2:3], off, off offset:40
	v_mov_b32_e32 v191, v190
	scratch_store_dwordx2 off, v[190:191], off offset:40
	s_waitcnt vmcnt(1)
	ds_write_b64 v1, v[2:3]
.LBB101_231:
	s_or_b64 exec, exec, s[0:1]
	s_waitcnt lgkmcnt(0)
	; wave barrier
	scratch_load_dwordx4 v[2:5], off, off offset:48
	scratch_load_dwordx4 v[6:9], off, off offset:64
	;; [unrolled: 1-line block ×12, first 2 shown]
	ds_read_b128 v[110:113], v190 offset:352
	ds_read_b128 v[106:109], v190 offset:368
	;; [unrolled: 1-line block ×12, first 2 shown]
	scratch_load_dwordx4 v[62:65], off, off offset:240
	scratch_load_dwordx4 v[54:57], off, off offset:256
	;; [unrolled: 1-line block ×4, first 2 shown]
	scratch_load_dwordx2 v[192:193], off, off offset:40
	v_cmp_lt_u32_e32 vcc, 4, v0
	s_waitcnt vmcnt(16) lgkmcnt(11)
	v_mul_f32_e32 v191, v110, v3
	v_mul_f32_e32 v194, v112, v5
	;; [unrolled: 1-line block ×3, first 2 shown]
	v_fmac_f32_e32 v191, v111, v2
	s_waitcnt vmcnt(15) lgkmcnt(10)
	v_mul_f32_e32 v196, v106, v7
	v_fmac_f32_e32 v194, v113, v4
	v_fma_f32 v2, v110, v2, -v3
	v_add_f32_e32 v3, 0, v191
	v_mul_f32_e32 v198, v108, v9
	v_fmac_f32_e32 v196, v107, v6
	v_add_f32_e32 v3, v3, v194
	s_waitcnt vmcnt(14) lgkmcnt(9)
	v_mul_f32_e32 v199, v102, v11
	v_fmac_f32_e32 v198, v109, v8
	v_add_f32_e32 v3, v3, v196
	v_mul_f32_e32 v200, v104, v13
	v_fmac_f32_e32 v199, v103, v10
	v_add_f32_e32 v3, v3, v198
	s_waitcnt vmcnt(13) lgkmcnt(8)
	v_mul_f32_e32 v201, v98, v15
	v_fmac_f32_e32 v200, v105, v12
	;; [unrolled: 7-line block ×9, first 2 shown]
	v_add_f32_e32 v3, v3, v213
	v_mul_f32_e32 v216, v72, v53
	v_fmac_f32_e32 v215, v71, v50
	v_add_f32_e32 v3, v3, v214
	v_fmac_f32_e32 v216, v73, v52
	v_add_f32_e32 v3, v3, v215
	v_add_f32_e32 v111, v3, v216
	v_mul_f32_e32 v3, v113, v5
	v_add_f32_e32 v2, 0, v2
	v_fma_f32 v3, v112, v4, -v3
	v_add_f32_e32 v2, v2, v3
	v_mul_f32_e32 v3, v107, v7
	v_fma_f32 v3, v106, v6, -v3
	v_add_f32_e32 v2, v2, v3
	v_mul_f32_e32 v3, v109, v9
	;; [unrolled: 3-line block ×20, first 2 shown]
	v_fma_f32 v3, v72, v52, -v3
	v_add_f32_e32 v110, v2, v3
	s_waitcnt vmcnt(5) lgkmcnt(0)
	v_mul_f32_e32 v2, v67, v59
	v_fma_f32 v194, v66, v58, -v2
	v_mul_f32_e32 v2, v69, v61
	v_fma_f32 v196, v68, v60, -v2
	ds_read_b128 v[2:5], v190 offset:544
	ds_read_b128 v[6:9], v190 offset:560
	;; [unrolled: 1-line block ×4, first 2 shown]
	v_mul_f32_e32 v195, v66, v59
	v_mul_f32_e32 v197, v68, v61
	v_fmac_f32_e32 v195, v67, v58
	s_waitcnt vmcnt(4) lgkmcnt(3)
	v_pk_mul_f32 v[20:21], v[2:3], v[62:63] op_sel:[1,1] op_sel_hi:[0,1]
	v_fmac_f32_e32 v197, v69, v60
	v_pk_add_f32 v[18:19], v[110:111], v[194:195]
	v_pk_fma_f32 v[22:23], v[2:3], v[62:63], v[20:21] neg_lo:[0,0,1] neg_hi:[0,0,1]
	v_pk_fma_f32 v[2:3], v[2:3], v[62:63], v[20:21] op_sel_hi:[1,0,1]
	v_pk_add_f32 v[18:19], v[18:19], v[196:197]
	v_mov_b32_e32 v23, v3
	v_pk_add_f32 v[2:3], v[18:19], v[22:23]
	v_mov_b32_e32 v18, v65
	v_pk_mul_f32 v[18:19], v[4:5], v[18:19] op_sel:[1,0] op_sel_hi:[0,0]
	v_pk_fma_f32 v[20:21], v[4:5], v[64:65], v[18:19] neg_lo:[0,0,1] neg_hi:[0,0,1]
	v_pk_fma_f32 v[4:5], v[4:5], v[64:65], v[18:19] op_sel_hi:[1,0,1]
	s_nop 0
	v_mov_b32_e32 v21, v5
	s_waitcnt vmcnt(3) lgkmcnt(2)
	v_pk_mul_f32 v[4:5], v[6:7], v[54:55] op_sel:[1,1] op_sel_hi:[0,1]
	v_pk_fma_f32 v[18:19], v[6:7], v[54:55], v[4:5] neg_lo:[0,0,1] neg_hi:[0,0,1]
	v_pk_fma_f32 v[4:5], v[6:7], v[54:55], v[4:5] op_sel_hi:[1,0,1]
	v_pk_add_f32 v[2:3], v[2:3], v[20:21]
	v_mov_b32_e32 v4, v57
	v_mov_b32_e32 v19, v5
	v_pk_mul_f32 v[4:5], v[8:9], v[4:5] op_sel:[1,0] op_sel_hi:[0,0]
	v_pk_fma_f32 v[6:7], v[8:9], v[56:57], v[4:5] neg_lo:[0,0,1] neg_hi:[0,0,1]
	v_pk_fma_f32 v[4:5], v[8:9], v[56:57], v[4:5] op_sel_hi:[1,0,1]
	v_pk_add_f32 v[2:3], v[2:3], v[18:19]
	v_mov_b32_e32 v7, v5
	s_waitcnt vmcnt(2) lgkmcnt(1)
	v_pk_mul_f32 v[4:5], v[10:11], v[42:43] op_sel:[1,1] op_sel_hi:[0,1]
	v_pk_add_f32 v[2:3], v[2:3], v[6:7]
	v_pk_fma_f32 v[6:7], v[10:11], v[42:43], v[4:5] neg_lo:[0,0,1] neg_hi:[0,0,1]
	v_pk_fma_f32 v[4:5], v[10:11], v[42:43], v[4:5] op_sel_hi:[1,0,1]
	s_nop 0
	v_mov_b32_e32 v4, v45
	v_mov_b32_e32 v7, v5
	v_pk_mul_f32 v[4:5], v[12:13], v[4:5] op_sel:[1,0] op_sel_hi:[0,0]
	v_pk_add_f32 v[2:3], v[2:3], v[6:7]
	v_pk_fma_f32 v[6:7], v[12:13], v[44:45], v[4:5] neg_lo:[0,0,1] neg_hi:[0,0,1]
	v_pk_fma_f32 v[4:5], v[12:13], v[44:45], v[4:5] op_sel_hi:[1,0,1]
	s_nop 0
	v_mov_b32_e32 v7, v5
	s_waitcnt vmcnt(1) lgkmcnt(0)
	v_pk_mul_f32 v[4:5], v[14:15], v[34:35] op_sel:[1,1] op_sel_hi:[0,1]
	v_pk_add_f32 v[2:3], v[2:3], v[6:7]
	v_pk_fma_f32 v[6:7], v[14:15], v[34:35], v[4:5] neg_lo:[0,0,1] neg_hi:[0,0,1]
	v_pk_fma_f32 v[4:5], v[14:15], v[34:35], v[4:5] op_sel_hi:[1,0,1]
	s_nop 0
	v_mov_b32_e32 v4, v37
	v_mov_b32_e32 v7, v5
	v_pk_mul_f32 v[4:5], v[16:17], v[4:5] op_sel:[1,0] op_sel_hi:[0,0]
	v_pk_add_f32 v[2:3], v[2:3], v[6:7]
	v_pk_fma_f32 v[6:7], v[16:17], v[36:37], v[4:5] neg_lo:[0,0,1] neg_hi:[0,0,1]
	v_pk_fma_f32 v[4:5], v[16:17], v[36:37], v[4:5] op_sel_hi:[1,0,1]
	s_nop 0
	v_mov_b32_e32 v7, v5
	v_pk_add_f32 v[2:3], v[2:3], v[6:7]
	s_waitcnt vmcnt(0)
	v_pk_add_f32 v[2:3], v[192:193], v[2:3] neg_lo:[0,1] neg_hi:[0,1]
	scratch_store_dwordx2 off, v[2:3], off offset:40
	s_and_saveexec_b64 s[0:1], vcc
	s_cbranch_execz .LBB101_233
; %bb.232:
	scratch_load_dwordx2 v[2:3], off, off offset:32
	v_mov_b32_e32 v4, 0
	v_mov_b32_e32 v5, v4
	scratch_store_dwordx2 off, v[4:5], off offset:32
	s_waitcnt vmcnt(1)
	ds_write_b64 v1, v[2:3]
.LBB101_233:
	s_or_b64 exec, exec, s[0:1]
	s_waitcnt lgkmcnt(0)
	; wave barrier
	scratch_load_dwordx4 v[2:5], off, off offset:40
	scratch_load_dwordx4 v[6:9], off, off offset:56
	;; [unrolled: 1-line block ×13, first 2 shown]
	v_mov_b32_e32 v106, 0
	scratch_load_dwordx2 v[112:113], off, off offset:32
	ds_read2_b64 v[54:57], v106 offset0:43 offset1:44
	ds_read2_b64 v[58:61], v106 offset0:45 offset1:46
	;; [unrolled: 1-line block ×14, first 2 shown]
	v_cmp_lt_u32_e32 vcc, 3, v0
	s_waitcnt vmcnt(13) lgkmcnt(13)
	v_mul_f32_e32 v107, v54, v3
	v_mul_f32_e32 v190, v56, v5
	v_fmac_f32_e32 v107, v55, v2
	s_waitcnt vmcnt(12) lgkmcnt(12)
	v_mul_f32_e32 v191, v58, v7
	v_fmac_f32_e32 v190, v57, v4
	v_add_f32_e32 v107, 0, v107
	v_mul_f32_e32 v192, v60, v9
	v_fmac_f32_e32 v191, v59, v6
	v_add_f32_e32 v107, v107, v190
	s_waitcnt vmcnt(11) lgkmcnt(11)
	v_mul_f32_e32 v193, v62, v11
	v_fmac_f32_e32 v192, v61, v8
	v_add_f32_e32 v107, v107, v191
	v_mul_f32_e32 v194, v64, v13
	v_fmac_f32_e32 v193, v63, v10
	v_add_f32_e32 v107, v107, v192
	;; [unrolled: 7-line block ×8, first 2 shown]
	s_waitcnt vmcnt(4) lgkmcnt(4)
	v_mul_f32_e32 v209, v90, v39
	v_fmac_f32_e32 v208, v89, v36
	v_add_f32_e32 v107, v107, v207
	v_fmac_f32_e32 v209, v91, v38
	v_add_f32_e32 v107, v107, v208
	v_add_f32_e32 v107, v107, v209
	scratch_load_dwordx4 v[190:193], off, off offset:248
	scratch_load_dwordx4 v[194:197], off, off offset:264
	;; [unrolled: 1-line block ×3, first 2 shown]
	scratch_load_dwordx2 v[208:209], off, off offset:296
	v_mul_f32_e32 v3, v55, v3
	v_fma_f32 v2, v54, v2, -v3
	v_mul_f32_e32 v3, v57, v5
	v_add_f32_e32 v2, 0, v2
	v_fma_f32 v3, v56, v4, -v3
	v_add_f32_e32 v2, v2, v3
	v_mul_f32_e32 v3, v59, v7
	v_fma_f32 v3, v58, v6, -v3
	v_add_f32_e32 v2, v2, v3
	v_mul_f32_e32 v3, v61, v9
	;; [unrolled: 3-line block ×18, first 2 shown]
	v_fma_f32 v3, v92, v40, -v3
	v_add_f32_e32 v2, v2, v3
	s_waitcnt vmcnt(7) lgkmcnt(3)
	v_mul_f32_e32 v3, v95, v43
	v_fma_f32 v3, v94, v42, -v3
	v_mul_f32_e32 v210, v92, v41
	v_add_f32_e32 v2, v2, v3
	v_mul_f32_e32 v3, v97, v45
	v_mul_f32_e32 v211, v94, v43
	v_fmac_f32_e32 v210, v93, v40
	v_fma_f32 v3, v96, v44, -v3
	v_mul_f32_e32 v212, v96, v45
	v_fmac_f32_e32 v211, v95, v42
	v_add_f32_e32 v107, v107, v210
	v_add_f32_e32 v2, v2, v3
	s_waitcnt vmcnt(6) lgkmcnt(2)
	v_mul_f32_e32 v3, v99, v47
	v_mul_f32_e32 v213, v98, v47
	v_fmac_f32_e32 v212, v97, v44
	v_add_f32_e32 v107, v107, v211
	v_fma_f32 v3, v98, v46, -v3
	v_mul_f32_e32 v203, v100, v49
	v_fmac_f32_e32 v213, v99, v46
	v_add_f32_e32 v107, v107, v212
	v_add_f32_e32 v206, v2, v3
	v_mul_f32_e32 v2, v101, v49
	s_waitcnt vmcnt(5)
	v_mov_b32_e32 v14, v53
	s_waitcnt lgkmcnt(1)
	v_mul_f32_e32 v205, v102, v51
	v_fmac_f32_e32 v203, v101, v48
	v_add_f32_e32 v207, v107, v213
	v_fma_f32 v202, v100, v48, -v2
	v_mul_f32_e32 v2, v103, v51
	v_pk_mul_f32 v[14:15], v[104:105], v[14:15] op_sel:[1,0] op_sel_hi:[0,0]
	v_fmac_f32_e32 v205, v103, v50
	v_fma_f32 v204, v102, v50, -v2
	v_pk_add_f32 v[12:13], v[206:207], v[202:203]
	v_pk_fma_f32 v[16:17], v[104:105], v[52:53], v[14:15] neg_lo:[0,0,1] neg_hi:[0,0,1]
	v_pk_fma_f32 v[14:15], v[104:105], v[52:53], v[14:15] op_sel_hi:[1,0,1]
	v_pk_add_f32 v[12:13], v[12:13], v[204:205]
	v_mov_b32_e32 v17, v15
	s_waitcnt vmcnt(3) lgkmcnt(0)
	v_pk_mul_f32 v[14:15], v[108:109], v[190:191] op_sel:[1,1] op_sel_hi:[0,1]
	v_pk_add_f32 v[12:13], v[12:13], v[16:17]
	v_pk_fma_f32 v[16:17], v[108:109], v[190:191], v[14:15] neg_lo:[0,0,1] neg_hi:[0,0,1]
	v_pk_fma_f32 v[14:15], v[108:109], v[190:191], v[14:15] op_sel_hi:[1,0,1]
	ds_read2_b64 v[2:5], v106 offset0:71 offset1:72
	ds_read2_b64 v[6:9], v106 offset0:73 offset1:74
	ds_read_b64 v[10:11], v106 offset:600
	v_mov_b32_e32 v14, v193
	v_mov_b32_e32 v17, v15
	v_pk_mul_f32 v[14:15], v[110:111], v[14:15] op_sel:[1,0] op_sel_hi:[0,0]
	v_pk_add_f32 v[12:13], v[12:13], v[16:17]
	v_pk_fma_f32 v[16:17], v[110:111], v[192:193], v[14:15] neg_lo:[0,0,1] neg_hi:[0,0,1]
	v_pk_fma_f32 v[14:15], v[110:111], v[192:193], v[14:15] op_sel_hi:[1,0,1]
	s_nop 0
	v_mov_b32_e32 v17, v15
	s_waitcnt vmcnt(2) lgkmcnt(2)
	v_pk_mul_f32 v[14:15], v[2:3], v[194:195] op_sel:[1,1] op_sel_hi:[0,1]
	v_pk_add_f32 v[12:13], v[12:13], v[16:17]
	v_pk_fma_f32 v[16:17], v[2:3], v[194:195], v[14:15] neg_lo:[0,0,1] neg_hi:[0,0,1]
	v_pk_fma_f32 v[2:3], v[2:3], v[194:195], v[14:15] op_sel_hi:[1,0,1]
	s_nop 0
	v_mov_b32_e32 v17, v3
	v_pk_add_f32 v[2:3], v[12:13], v[16:17]
	v_mov_b32_e32 v12, v197
	v_pk_mul_f32 v[12:13], v[4:5], v[12:13] op_sel:[1,0] op_sel_hi:[0,0]
	v_pk_fma_f32 v[14:15], v[4:5], v[196:197], v[12:13] neg_lo:[0,0,1] neg_hi:[0,0,1]
	v_pk_fma_f32 v[4:5], v[4:5], v[196:197], v[12:13] op_sel_hi:[1,0,1]
	s_nop 0
	v_mov_b32_e32 v15, v5
	s_waitcnt vmcnt(1) lgkmcnt(1)
	v_pk_mul_f32 v[4:5], v[6:7], v[198:199] op_sel:[1,1] op_sel_hi:[0,1]
	v_pk_fma_f32 v[12:13], v[6:7], v[198:199], v[4:5] neg_lo:[0,0,1] neg_hi:[0,0,1]
	v_pk_fma_f32 v[4:5], v[6:7], v[198:199], v[4:5] op_sel_hi:[1,0,1]
	v_pk_add_f32 v[2:3], v[2:3], v[14:15]
	v_mov_b32_e32 v4, v201
	v_mov_b32_e32 v13, v5
	v_pk_mul_f32 v[4:5], v[8:9], v[4:5] op_sel:[1,0] op_sel_hi:[0,0]
	v_pk_fma_f32 v[6:7], v[8:9], v[200:201], v[4:5] neg_lo:[0,0,1] neg_hi:[0,0,1]
	v_pk_fma_f32 v[4:5], v[8:9], v[200:201], v[4:5] op_sel_hi:[1,0,1]
	v_pk_add_f32 v[2:3], v[2:3], v[12:13]
	v_mov_b32_e32 v7, v5
	s_waitcnt vmcnt(0) lgkmcnt(0)
	v_pk_mul_f32 v[4:5], v[10:11], v[208:209] op_sel:[1,1] op_sel_hi:[0,1]
	v_pk_add_f32 v[2:3], v[2:3], v[6:7]
	v_pk_fma_f32 v[6:7], v[10:11], v[208:209], v[4:5] neg_lo:[0,0,1] neg_hi:[0,0,1]
	v_pk_fma_f32 v[4:5], v[10:11], v[208:209], v[4:5] op_sel_hi:[1,0,1]
	s_nop 0
	v_mov_b32_e32 v7, v5
	v_pk_add_f32 v[2:3], v[2:3], v[6:7]
	s_nop 0
	v_pk_add_f32 v[2:3], v[112:113], v[2:3] neg_lo:[0,1] neg_hi:[0,1]
	scratch_store_dwordx2 off, v[2:3], off offset:32
	s_and_saveexec_b64 s[0:1], vcc
	s_cbranch_execz .LBB101_235
; %bb.234:
	scratch_load_dwordx2 v[2:3], off, off offset:24
	v_mov_b32_e32 v107, v106
	scratch_store_dwordx2 off, v[106:107], off offset:24
	s_waitcnt vmcnt(1)
	ds_write_b64 v1, v[2:3]
.LBB101_235:
	s_or_b64 exec, exec, s[0:1]
	s_waitcnt lgkmcnt(0)
	; wave barrier
	scratch_load_dwordx4 v[2:5], off, off offset:32
	scratch_load_dwordx4 v[6:9], off, off offset:48
	;; [unrolled: 1-line block ×13, first 2 shown]
	ds_read_b128 v[102:105], v106 offset:336
	ds_read_b128 v[98:101], v106 offset:352
	;; [unrolled: 1-line block ×14, first 2 shown]
	scratch_load_dwordx2 v[112:113], off, off offset:24
	v_cmp_lt_u32_e32 vcc, 2, v0
	s_waitcnt vmcnt(13) lgkmcnt(13)
	v_mul_f32_e32 v107, v102, v3
	v_mul_f32_e32 v190, v104, v5
	v_fmac_f32_e32 v107, v103, v2
	s_waitcnt vmcnt(12) lgkmcnt(12)
	v_mul_f32_e32 v191, v98, v7
	v_fmac_f32_e32 v190, v105, v4
	v_add_f32_e32 v107, 0, v107
	v_mul_f32_e32 v192, v100, v9
	v_fmac_f32_e32 v191, v99, v6
	v_add_f32_e32 v107, v107, v190
	s_waitcnt vmcnt(11) lgkmcnt(11)
	v_mul_f32_e32 v193, v94, v11
	v_fmac_f32_e32 v192, v101, v8
	v_add_f32_e32 v107, v107, v191
	v_mul_f32_e32 v194, v96, v13
	v_fmac_f32_e32 v193, v95, v10
	v_add_f32_e32 v107, v107, v192
	;; [unrolled: 7-line block ×7, first 2 shown]
	s_waitcnt vmcnt(5) lgkmcnt(5)
	v_mul_f32_e32 v205, v70, v35
	v_fmac_f32_e32 v204, v77, v32
	v_add_f32_e32 v107, v107, v203
	v_fmac_f32_e32 v205, v71, v34
	v_add_f32_e32 v107, v107, v204
	v_add_f32_e32 v107, v107, v205
	scratch_load_dwordx4 v[190:193], off, off offset:240
	scratch_load_dwordx4 v[194:197], off, off offset:256
	scratch_load_dwordx4 v[198:201], off, off offset:272
	scratch_load_dwordx4 v[202:205], off, off offset:288
	v_mul_f32_e32 v3, v103, v3
	v_fma_f32 v2, v102, v2, -v3
	v_mul_f32_e32 v3, v105, v5
	v_add_f32_e32 v2, 0, v2
	v_fma_f32 v3, v104, v4, -v3
	v_add_f32_e32 v2, v2, v3
	v_mul_f32_e32 v3, v99, v7
	v_fma_f32 v3, v98, v6, -v3
	v_add_f32_e32 v2, v2, v3
	v_mul_f32_e32 v3, v101, v9
	;; [unrolled: 3-line block ×16, first 2 shown]
	v_fma_f32 v3, v72, v36, -v3
	v_add_f32_e32 v2, v2, v3
	s_waitcnt vmcnt(8) lgkmcnt(4)
	v_mul_f32_e32 v3, v67, v39
	v_fma_f32 v3, v66, v38, -v3
	v_add_f32_e32 v2, v2, v3
	v_mul_f32_e32 v3, v69, v41
	v_fma_f32 v3, v68, v40, -v3
	v_add_f32_e32 v2, v2, v3
	s_waitcnt vmcnt(7) lgkmcnt(3)
	v_mul_f32_e32 v3, v63, v43
	v_mul_f32_e32 v206, v72, v37
	v_fma_f32 v3, v62, v42, -v3
	v_mul_f32_e32 v208, v66, v39
	v_fmac_f32_e32 v206, v73, v36
	v_add_f32_e32 v2, v2, v3
	v_mul_f32_e32 v3, v65, v45
	v_mul_f32_e32 v210, v68, v41
	v_fmac_f32_e32 v208, v67, v38
	v_add_f32_e32 v107, v107, v206
	v_fma_f32 v3, v64, v44, -v3
	v_mul_f32_e32 v211, v62, v43
	v_fmac_f32_e32 v210, v69, v40
	v_add_f32_e32 v107, v107, v208
	v_add_f32_e32 v2, v2, v3
	s_waitcnt vmcnt(6) lgkmcnt(2)
	v_mul_f32_e32 v3, v59, v47
	v_mul_f32_e32 v212, v64, v45
	v_fmac_f32_e32 v211, v63, v42
	v_add_f32_e32 v107, v107, v210
	v_fma_f32 v3, v58, v46, -v3
	v_mul_f32_e32 v213, v58, v47
	v_fmac_f32_e32 v212, v65, v44
	v_add_f32_e32 v107, v107, v211
	v_add_f32_e32 v2, v2, v3
	v_mul_f32_e32 v3, v61, v49
	v_mul_f32_e32 v214, v60, v49
	v_fmac_f32_e32 v213, v59, v46
	v_add_f32_e32 v107, v107, v212
	v_fma_f32 v3, v60, v48, -v3
	s_waitcnt vmcnt(5) lgkmcnt(1)
	v_mul_f32_e32 v207, v54, v51
	v_fmac_f32_e32 v214, v61, v48
	v_add_f32_e32 v107, v107, v213
	v_add_f32_e32 v210, v2, v3
	v_mul_f32_e32 v2, v55, v51
	s_waitcnt vmcnt(3) lgkmcnt(0)
	v_pk_mul_f32 v[16:17], v[108:109], v[190:191] op_sel:[1,1] op_sel_hi:[0,1]
	v_mul_f32_e32 v209, v56, v53
	v_fmac_f32_e32 v207, v55, v50
	v_add_f32_e32 v211, v107, v214
	v_fma_f32 v206, v54, v50, -v2
	v_mul_f32_e32 v2, v57, v53
	v_pk_fma_f32 v[18:19], v[108:109], v[190:191], v[16:17] neg_lo:[0,0,1] neg_hi:[0,0,1]
	v_pk_fma_f32 v[16:17], v[108:109], v[190:191], v[16:17] op_sel_hi:[1,0,1]
	v_fmac_f32_e32 v209, v57, v52
	v_fma_f32 v208, v56, v52, -v2
	ds_read_b128 v[2:5], v106 offset:560
	ds_read_b128 v[6:9], v106 offset:576
	ds_read_b128 v[10:13], v106 offset:592
	v_pk_add_f32 v[14:15], v[210:211], v[206:207]
	v_mov_b32_e32 v16, v193
	v_pk_add_f32 v[14:15], v[14:15], v[208:209]
	v_mov_b32_e32 v19, v17
	v_pk_mul_f32 v[16:17], v[110:111], v[16:17] op_sel:[1,0] op_sel_hi:[0,0]
	v_pk_add_f32 v[14:15], v[14:15], v[18:19]
	v_pk_fma_f32 v[18:19], v[110:111], v[192:193], v[16:17] neg_lo:[0,0,1] neg_hi:[0,0,1]
	v_pk_fma_f32 v[16:17], v[110:111], v[192:193], v[16:17] op_sel_hi:[1,0,1]
	s_nop 0
	v_mov_b32_e32 v19, v17
	s_waitcnt vmcnt(2) lgkmcnt(2)
	v_pk_mul_f32 v[16:17], v[2:3], v[194:195] op_sel:[1,1] op_sel_hi:[0,1]
	v_pk_add_f32 v[14:15], v[14:15], v[18:19]
	v_pk_fma_f32 v[18:19], v[2:3], v[194:195], v[16:17] neg_lo:[0,0,1] neg_hi:[0,0,1]
	v_pk_fma_f32 v[2:3], v[2:3], v[194:195], v[16:17] op_sel_hi:[1,0,1]
	s_nop 0
	v_mov_b32_e32 v19, v3
	v_pk_add_f32 v[2:3], v[14:15], v[18:19]
	v_mov_b32_e32 v14, v197
	v_pk_mul_f32 v[14:15], v[4:5], v[14:15] op_sel:[1,0] op_sel_hi:[0,0]
	v_pk_fma_f32 v[16:17], v[4:5], v[196:197], v[14:15] neg_lo:[0,0,1] neg_hi:[0,0,1]
	v_pk_fma_f32 v[4:5], v[4:5], v[196:197], v[14:15] op_sel_hi:[1,0,1]
	s_nop 0
	v_mov_b32_e32 v17, v5
	s_waitcnt vmcnt(1) lgkmcnt(1)
	v_pk_mul_f32 v[4:5], v[6:7], v[198:199] op_sel:[1,1] op_sel_hi:[0,1]
	v_pk_fma_f32 v[14:15], v[6:7], v[198:199], v[4:5] neg_lo:[0,0,1] neg_hi:[0,0,1]
	v_pk_fma_f32 v[4:5], v[6:7], v[198:199], v[4:5] op_sel_hi:[1,0,1]
	v_pk_add_f32 v[2:3], v[2:3], v[16:17]
	v_mov_b32_e32 v4, v201
	v_mov_b32_e32 v15, v5
	v_pk_mul_f32 v[4:5], v[8:9], v[4:5] op_sel:[1,0] op_sel_hi:[0,0]
	v_pk_fma_f32 v[6:7], v[8:9], v[200:201], v[4:5] neg_lo:[0,0,1] neg_hi:[0,0,1]
	v_pk_fma_f32 v[4:5], v[8:9], v[200:201], v[4:5] op_sel_hi:[1,0,1]
	v_pk_add_f32 v[2:3], v[2:3], v[14:15]
	v_mov_b32_e32 v7, v5
	s_waitcnt vmcnt(0) lgkmcnt(0)
	v_pk_mul_f32 v[4:5], v[10:11], v[202:203] op_sel:[1,1] op_sel_hi:[0,1]
	v_pk_add_f32 v[2:3], v[2:3], v[6:7]
	v_pk_fma_f32 v[6:7], v[10:11], v[202:203], v[4:5] neg_lo:[0,0,1] neg_hi:[0,0,1]
	v_pk_fma_f32 v[4:5], v[10:11], v[202:203], v[4:5] op_sel_hi:[1,0,1]
	s_nop 0
	v_mov_b32_e32 v4, v205
	v_mov_b32_e32 v7, v5
	v_pk_mul_f32 v[4:5], v[12:13], v[4:5] op_sel:[1,0] op_sel_hi:[0,0]
	v_pk_add_f32 v[2:3], v[2:3], v[6:7]
	v_pk_fma_f32 v[6:7], v[12:13], v[204:205], v[4:5] neg_lo:[0,0,1] neg_hi:[0,0,1]
	v_pk_fma_f32 v[4:5], v[12:13], v[204:205], v[4:5] op_sel_hi:[1,0,1]
	s_nop 0
	v_mov_b32_e32 v7, v5
	v_pk_add_f32 v[2:3], v[2:3], v[6:7]
	s_nop 0
	v_pk_add_f32 v[2:3], v[112:113], v[2:3] neg_lo:[0,1] neg_hi:[0,1]
	scratch_store_dwordx2 off, v[2:3], off offset:24
	s_and_saveexec_b64 s[0:1], vcc
	s_cbranch_execz .LBB101_237
; %bb.236:
	scratch_load_dwordx2 v[2:3], off, off offset:16
	v_mov_b32_e32 v4, 0
	v_mov_b32_e32 v5, v4
	scratch_store_dwordx2 off, v[4:5], off offset:16
	s_waitcnt vmcnt(1)
	ds_write_b64 v1, v[2:3]
.LBB101_237:
	s_or_b64 exec, exec, s[0:1]
	s_waitcnt lgkmcnt(0)
	; wave barrier
	scratch_load_dwordx4 v[2:5], off, off offset:24
	scratch_load_dwordx4 v[6:9], off, off offset:40
	;; [unrolled: 1-line block ×13, first 2 shown]
	v_mov_b32_e32 v190, 0
	scratch_load_dwordx4 v[54:57], off, off offset:232
	scratch_load_dwordx2 v[204:205], off, off offset:16
	ds_read2_b64 v[58:61], v190 offset0:41 offset1:42
	ds_read2_b64 v[62:65], v190 offset0:43 offset1:44
	;; [unrolled: 1-line block ×14, first 2 shown]
	v_cmp_lt_u32_e32 vcc, 1, v0
	s_waitcnt vmcnt(14) lgkmcnt(13)
	v_mul_f32_e32 v191, v58, v3
	v_mul_f32_e32 v192, v60, v5
	v_fmac_f32_e32 v191, v59, v2
	s_waitcnt vmcnt(13) lgkmcnt(12)
	v_mul_f32_e32 v193, v62, v7
	v_fmac_f32_e32 v192, v61, v4
	v_add_f32_e32 v191, 0, v191
	v_mul_f32_e32 v194, v64, v9
	v_fmac_f32_e32 v193, v63, v6
	v_add_f32_e32 v191, v191, v192
	s_waitcnt vmcnt(12) lgkmcnt(11)
	v_mul_f32_e32 v195, v66, v11
	v_fmac_f32_e32 v194, v65, v8
	v_add_f32_e32 v191, v191, v193
	v_mul_f32_e32 v196, v68, v13
	v_fmac_f32_e32 v195, v67, v10
	v_add_f32_e32 v191, v191, v194
	;; [unrolled: 7-line block ×6, first 2 shown]
	s_waitcnt vmcnt(7) lgkmcnt(6)
	v_mul_f32_e32 v207, v86, v31
	v_fmac_f32_e32 v206, v85, v28
	v_add_f32_e32 v191, v191, v203
	scratch_load_dwordx4 v[192:195], off, off offset:248
	v_mul_f32_e32 v208, v88, v33
	v_fmac_f32_e32 v207, v87, v30
	v_add_f32_e32 v191, v191, v206
	s_waitcnt vmcnt(7) lgkmcnt(5)
	v_mul_f32_e32 v209, v90, v35
	v_fmac_f32_e32 v208, v89, v32
	v_add_f32_e32 v191, v191, v207
	v_mul_f32_e32 v210, v92, v37
	v_fmac_f32_e32 v209, v91, v34
	v_add_f32_e32 v191, v191, v208
	s_waitcnt vmcnt(6) lgkmcnt(4)
	v_mul_f32_e32 v211, v94, v39
	v_fmac_f32_e32 v210, v93, v36
	v_add_f32_e32 v191, v191, v209
	;; [unrolled: 7-line block ×3, first 2 shown]
	v_fmac_f32_e32 v213, v99, v42
	v_add_f32_e32 v191, v191, v212
	v_add_f32_e32 v191, v191, v213
	scratch_load_dwordx4 v[196:199], off, off offset:264
	scratch_load_dwordx4 v[200:203], off, off offset:280
	scratch_load_dwordx2 v[212:213], off, off offset:296
	v_mul_f32_e32 v3, v59, v3
	v_fma_f32 v2, v58, v2, -v3
	v_mul_f32_e32 v3, v61, v5
	v_add_f32_e32 v2, 0, v2
	v_fma_f32 v3, v60, v4, -v3
	v_add_f32_e32 v2, v2, v3
	v_mul_f32_e32 v3, v63, v7
	v_fma_f32 v3, v62, v6, -v3
	v_add_f32_e32 v2, v2, v3
	v_mul_f32_e32 v3, v65, v9
	;; [unrolled: 3-line block ×20, first 2 shown]
	v_fma_f32 v3, v100, v44, -v3
	v_add_f32_e32 v2, v2, v3
	s_waitcnt vmcnt(7) lgkmcnt(2)
	v_mul_f32_e32 v3, v103, v47
	v_fma_f32 v3, v102, v46, -v3
	v_add_f32_e32 v2, v2, v3
	v_mul_f32_e32 v3, v105, v49
	v_mul_f32_e32 v214, v100, v45
	v_fma_f32 v3, v104, v48, -v3
	v_mul_f32_e32 v215, v102, v47
	v_fmac_f32_e32 v214, v101, v44
	v_add_f32_e32 v2, v2, v3
	s_waitcnt vmcnt(6) lgkmcnt(1)
	v_mul_f32_e32 v3, v107, v51
	v_mul_f32_e32 v216, v104, v49
	v_fmac_f32_e32 v215, v103, v46
	v_add_f32_e32 v191, v191, v214
	v_fma_f32 v3, v106, v50, -v3
	v_mul_f32_e32 v217, v106, v51
	v_fmac_f32_e32 v216, v105, v48
	v_add_f32_e32 v191, v191, v215
	v_add_f32_e32 v206, v2, v3
	v_mul_f32_e32 v2, v109, v53
	v_fmac_f32_e32 v217, v107, v50
	v_add_f32_e32 v191, v191, v216
	v_mul_f32_e32 v209, v108, v53
	v_fma_f32 v208, v108, v52, -v2
	s_waitcnt vmcnt(5) lgkmcnt(0)
	v_mul_f32_e32 v2, v111, v55
	v_mov_b32_e32 v18, v57
	v_add_f32_e32 v207, v191, v217
	v_fmac_f32_e32 v209, v109, v52
	v_mul_f32_e32 v211, v110, v55
	v_fma_f32 v210, v110, v54, -v2
	ds_read2_b64 v[2:5], v190 offset0:69 offset1:70
	ds_read2_b64 v[6:9], v190 offset0:71 offset1:72
	;; [unrolled: 1-line block ×3, first 2 shown]
	ds_read_b64 v[14:15], v190 offset:600
	v_pk_mul_f32 v[18:19], v[112:113], v[18:19] op_sel:[1,0] op_sel_hi:[0,0]
	v_fmac_f32_e32 v211, v111, v54
	v_pk_add_f32 v[16:17], v[206:207], v[208:209]
	v_pk_fma_f32 v[20:21], v[112:113], v[56:57], v[18:19] neg_lo:[0,0,1] neg_hi:[0,0,1]
	v_pk_fma_f32 v[18:19], v[112:113], v[56:57], v[18:19] op_sel_hi:[1,0,1]
	v_pk_add_f32 v[16:17], v[16:17], v[210:211]
	v_mov_b32_e32 v21, v19
	s_waitcnt vmcnt(3) lgkmcnt(3)
	v_pk_mul_f32 v[18:19], v[2:3], v[192:193] op_sel:[1,1] op_sel_hi:[0,1]
	v_pk_add_f32 v[16:17], v[16:17], v[20:21]
	v_pk_fma_f32 v[20:21], v[2:3], v[192:193], v[18:19] neg_lo:[0,0,1] neg_hi:[0,0,1]
	v_pk_fma_f32 v[2:3], v[2:3], v[192:193], v[18:19] op_sel_hi:[1,0,1]
	s_nop 0
	v_mov_b32_e32 v21, v3
	v_pk_add_f32 v[2:3], v[16:17], v[20:21]
	v_mov_b32_e32 v16, v195
	v_pk_mul_f32 v[16:17], v[4:5], v[16:17] op_sel:[1,0] op_sel_hi:[0,0]
	v_pk_fma_f32 v[18:19], v[4:5], v[194:195], v[16:17] neg_lo:[0,0,1] neg_hi:[0,0,1]
	v_pk_fma_f32 v[4:5], v[4:5], v[194:195], v[16:17] op_sel_hi:[1,0,1]
	s_nop 0
	v_mov_b32_e32 v19, v5
	s_waitcnt vmcnt(2) lgkmcnt(2)
	v_pk_mul_f32 v[4:5], v[6:7], v[196:197] op_sel:[1,1] op_sel_hi:[0,1]
	v_pk_fma_f32 v[16:17], v[6:7], v[196:197], v[4:5] neg_lo:[0,0,1] neg_hi:[0,0,1]
	v_pk_fma_f32 v[4:5], v[6:7], v[196:197], v[4:5] op_sel_hi:[1,0,1]
	v_pk_add_f32 v[2:3], v[2:3], v[18:19]
	v_mov_b32_e32 v4, v199
	v_mov_b32_e32 v17, v5
	v_pk_mul_f32 v[4:5], v[8:9], v[4:5] op_sel:[1,0] op_sel_hi:[0,0]
	v_pk_fma_f32 v[6:7], v[8:9], v[198:199], v[4:5] neg_lo:[0,0,1] neg_hi:[0,0,1]
	v_pk_fma_f32 v[4:5], v[8:9], v[198:199], v[4:5] op_sel_hi:[1,0,1]
	v_pk_add_f32 v[2:3], v[2:3], v[16:17]
	v_mov_b32_e32 v7, v5
	s_waitcnt vmcnt(1) lgkmcnt(1)
	v_pk_mul_f32 v[4:5], v[10:11], v[200:201] op_sel:[1,1] op_sel_hi:[0,1]
	v_pk_add_f32 v[2:3], v[2:3], v[6:7]
	v_pk_fma_f32 v[6:7], v[10:11], v[200:201], v[4:5] neg_lo:[0,0,1] neg_hi:[0,0,1]
	v_pk_fma_f32 v[4:5], v[10:11], v[200:201], v[4:5] op_sel_hi:[1,0,1]
	s_nop 0
	v_mov_b32_e32 v4, v203
	v_mov_b32_e32 v7, v5
	v_pk_mul_f32 v[4:5], v[12:13], v[4:5] op_sel:[1,0] op_sel_hi:[0,0]
	v_pk_add_f32 v[2:3], v[2:3], v[6:7]
	v_pk_fma_f32 v[6:7], v[12:13], v[202:203], v[4:5] neg_lo:[0,0,1] neg_hi:[0,0,1]
	v_pk_fma_f32 v[4:5], v[12:13], v[202:203], v[4:5] op_sel_hi:[1,0,1]
	s_nop 0
	v_mov_b32_e32 v7, v5
	s_waitcnt vmcnt(0) lgkmcnt(0)
	v_pk_mul_f32 v[4:5], v[14:15], v[212:213] op_sel:[1,1] op_sel_hi:[0,1]
	v_pk_add_f32 v[2:3], v[2:3], v[6:7]
	v_pk_fma_f32 v[6:7], v[14:15], v[212:213], v[4:5] neg_lo:[0,0,1] neg_hi:[0,0,1]
	v_pk_fma_f32 v[4:5], v[14:15], v[212:213], v[4:5] op_sel_hi:[1,0,1]
	s_nop 0
	v_mov_b32_e32 v7, v5
	v_pk_add_f32 v[2:3], v[2:3], v[6:7]
	s_nop 0
	v_pk_add_f32 v[2:3], v[204:205], v[2:3] neg_lo:[0,1] neg_hi:[0,1]
	scratch_store_dwordx2 off, v[2:3], off offset:16
	s_and_saveexec_b64 s[0:1], vcc
	s_cbranch_execz .LBB101_239
; %bb.238:
	scratch_load_dwordx2 v[2:3], off, off offset:8
	v_mov_b32_e32 v191, v190
	scratch_store_dwordx2 off, v[190:191], off offset:8
	s_waitcnt vmcnt(1)
	ds_write_b64 v1, v[2:3]
.LBB101_239:
	s_or_b64 exec, exec, s[0:1]
	s_waitcnt lgkmcnt(0)
	; wave barrier
	scratch_load_dwordx4 v[2:5], off, off offset:16
	scratch_load_dwordx4 v[6:9], off, off offset:32
	;; [unrolled: 1-line block ×13, first 2 shown]
	ds_read_b128 v[110:113], v190 offset:320
	ds_read_b128 v[106:109], v190 offset:336
	;; [unrolled: 1-line block ×14, first 2 shown]
	scratch_load_dwordx4 v[66:69], off, off offset:224
	scratch_load_dwordx2 v[208:209], off, off offset:8
	v_cmp_ne_u32_e32 vcc, 0, v0
	s_waitcnt vmcnt(14) lgkmcnt(13)
	v_mul_f32_e32 v191, v110, v3
	v_mul_f32_e32 v192, v112, v5
	v_fmac_f32_e32 v191, v111, v2
	s_waitcnt vmcnt(13) lgkmcnt(12)
	v_mul_f32_e32 v193, v106, v7
	v_fmac_f32_e32 v192, v113, v4
	v_add_f32_e32 v191, 0, v191
	v_mul_f32_e32 v194, v108, v9
	v_fmac_f32_e32 v193, v107, v6
	v_add_f32_e32 v191, v191, v192
	s_waitcnt vmcnt(12) lgkmcnt(11)
	v_mul_f32_e32 v195, v102, v11
	v_fmac_f32_e32 v194, v109, v8
	v_add_f32_e32 v191, v191, v193
	v_mul_f32_e32 v196, v104, v13
	v_fmac_f32_e32 v195, v103, v10
	v_add_f32_e32 v191, v191, v194
	;; [unrolled: 7-line block ×4, first 2 shown]
	s_waitcnt vmcnt(9) lgkmcnt(8)
	v_mul_f32_e32 v201, v90, v23
	v_fmac_f32_e32 v200, v97, v20
	v_add_f32_e32 v191, v191, v199
	scratch_load_dwordx4 v[192:195], off, off offset:240
	v_mul_f32_e32 v202, v92, v25
	v_fmac_f32_e32 v201, v91, v22
	v_add_f32_e32 v191, v191, v200
	s_waitcnt vmcnt(9) lgkmcnt(7)
	v_mul_f32_e32 v203, v86, v27
	v_fmac_f32_e32 v202, v93, v24
	v_add_f32_e32 v191, v191, v201
	v_mul_f32_e32 v204, v88, v29
	v_fmac_f32_e32 v203, v87, v26
	v_add_f32_e32 v191, v191, v202
	s_waitcnt vmcnt(8) lgkmcnt(6)
	v_mul_f32_e32 v205, v82, v31
	v_fmac_f32_e32 v204, v89, v28
	v_add_f32_e32 v191, v191, v203
	;; [unrolled: 7-line block ×3, first 2 shown]
	v_fmac_f32_e32 v207, v79, v34
	v_add_f32_e32 v191, v191, v206
	v_add_f32_e32 v191, v191, v207
	scratch_load_dwordx4 v[196:199], off, off offset:256
	scratch_load_dwordx4 v[200:203], off, off offset:272
	;; [unrolled: 1-line block ×3, first 2 shown]
	v_mul_f32_e32 v3, v111, v3
	v_fma_f32 v2, v110, v2, -v3
	v_mul_f32_e32 v3, v113, v5
	v_add_f32_e32 v2, 0, v2
	v_fma_f32 v3, v112, v4, -v3
	v_add_f32_e32 v2, v2, v3
	v_mul_f32_e32 v3, v107, v7
	v_fma_f32 v3, v106, v6, -v3
	v_add_f32_e32 v2, v2, v3
	v_mul_f32_e32 v3, v109, v9
	;; [unrolled: 3-line block ×16, first 2 shown]
	v_fma_f32 v3, v80, v36, -v3
	v_add_f32_e32 v2, v2, v3
	s_waitcnt vmcnt(9) lgkmcnt(4)
	v_mul_f32_e32 v3, v75, v39
	v_fma_f32 v3, v74, v38, -v3
	v_add_f32_e32 v2, v2, v3
	v_mul_f32_e32 v3, v77, v41
	v_fma_f32 v3, v76, v40, -v3
	v_add_f32_e32 v2, v2, v3
	s_waitcnt vmcnt(8) lgkmcnt(3)
	v_mul_f32_e32 v3, v71, v43
	v_fma_f32 v3, v70, v42, -v3
	v_add_f32_e32 v2, v2, v3
	v_mul_f32_e32 v3, v73, v45
	v_fma_f32 v3, v72, v44, -v3
	v_add_f32_e32 v2, v2, v3
	s_waitcnt vmcnt(7) lgkmcnt(2)
	v_mul_f32_e32 v3, v63, v47
	v_fma_f32 v3, v62, v46, -v3
	v_mul_f32_e32 v210, v80, v37
	v_add_f32_e32 v2, v2, v3
	v_mul_f32_e32 v3, v65, v49
	v_mul_f32_e32 v211, v74, v39
	v_fmac_f32_e32 v210, v81, v36
	v_fma_f32 v3, v64, v48, -v3
	v_mul_f32_e32 v212, v76, v41
	v_fmac_f32_e32 v211, v75, v38
	v_add_f32_e32 v191, v191, v210
	v_add_f32_e32 v2, v2, v3
	s_waitcnt vmcnt(6) lgkmcnt(1)
	v_mul_f32_e32 v3, v55, v51
	v_mul_f32_e32 v213, v70, v43
	v_fmac_f32_e32 v212, v77, v40
	v_add_f32_e32 v191, v191, v211
	v_fma_f32 v3, v54, v50, -v3
	v_mul_f32_e32 v214, v72, v45
	v_fmac_f32_e32 v213, v71, v42
	v_add_f32_e32 v191, v191, v212
	v_add_f32_e32 v2, v2, v3
	v_mul_f32_e32 v3, v57, v53
	v_mul_f32_e32 v215, v62, v47
	v_fmac_f32_e32 v214, v73, v44
	v_add_f32_e32 v191, v191, v213
	v_fma_f32 v3, v56, v52, -v3
	v_mul_f32_e32 v216, v64, v49
	v_fmac_f32_e32 v215, v63, v46
	v_add_f32_e32 v191, v191, v214
	v_add_f32_e32 v210, v2, v3
	s_waitcnt vmcnt(5) lgkmcnt(0)
	v_mul_f32_e32 v2, v59, v67
	v_mul_f32_e32 v217, v54, v51
	v_fmac_f32_e32 v216, v65, v48
	v_add_f32_e32 v191, v191, v215
	v_fma_f32 v212, v58, v66, -v2
	v_mul_f32_e32 v2, v61, v69
	v_mul_f32_e32 v218, v56, v53
	v_fmac_f32_e32 v217, v55, v50
	v_add_f32_e32 v191, v191, v216
	v_fma_f32 v214, v60, v68, -v2
	ds_read_b128 v[2:5], v190 offset:544
	ds_read_b128 v[6:9], v190 offset:560
	;; [unrolled: 1-line block ×4, first 2 shown]
	v_add_f32_e32 v191, v191, v217
	v_fmac_f32_e32 v218, v57, v52
	v_mul_f32_e32 v213, v58, v67
	v_add_f32_e32 v211, v191, v218
	v_fmac_f32_e32 v213, v59, v66
	v_mul_f32_e32 v215, v60, v69
	s_waitcnt vmcnt(3) lgkmcnt(3)
	v_pk_mul_f32 v[20:21], v[2:3], v[192:193] op_sel:[1,1] op_sel_hi:[0,1]
	v_fmac_f32_e32 v215, v61, v68
	v_pk_add_f32 v[18:19], v[210:211], v[212:213]
	v_pk_fma_f32 v[22:23], v[2:3], v[192:193], v[20:21] neg_lo:[0,0,1] neg_hi:[0,0,1]
	v_pk_fma_f32 v[2:3], v[2:3], v[192:193], v[20:21] op_sel_hi:[1,0,1]
	v_pk_add_f32 v[18:19], v[18:19], v[214:215]
	v_mov_b32_e32 v23, v3
	v_pk_add_f32 v[2:3], v[18:19], v[22:23]
	v_mov_b32_e32 v18, v195
	v_pk_mul_f32 v[18:19], v[4:5], v[18:19] op_sel:[1,0] op_sel_hi:[0,0]
	v_pk_fma_f32 v[20:21], v[4:5], v[194:195], v[18:19] neg_lo:[0,0,1] neg_hi:[0,0,1]
	v_pk_fma_f32 v[4:5], v[4:5], v[194:195], v[18:19] op_sel_hi:[1,0,1]
	s_nop 0
	v_mov_b32_e32 v21, v5
	s_waitcnt vmcnt(2) lgkmcnt(2)
	v_pk_mul_f32 v[4:5], v[6:7], v[196:197] op_sel:[1,1] op_sel_hi:[0,1]
	v_pk_fma_f32 v[18:19], v[6:7], v[196:197], v[4:5] neg_lo:[0,0,1] neg_hi:[0,0,1]
	v_pk_fma_f32 v[4:5], v[6:7], v[196:197], v[4:5] op_sel_hi:[1,0,1]
	v_pk_add_f32 v[2:3], v[2:3], v[20:21]
	v_mov_b32_e32 v4, v199
	v_mov_b32_e32 v19, v5
	v_pk_mul_f32 v[4:5], v[8:9], v[4:5] op_sel:[1,0] op_sel_hi:[0,0]
	v_pk_fma_f32 v[6:7], v[8:9], v[198:199], v[4:5] neg_lo:[0,0,1] neg_hi:[0,0,1]
	v_pk_fma_f32 v[4:5], v[8:9], v[198:199], v[4:5] op_sel_hi:[1,0,1]
	v_pk_add_f32 v[2:3], v[2:3], v[18:19]
	v_mov_b32_e32 v7, v5
	s_waitcnt vmcnt(1) lgkmcnt(1)
	v_pk_mul_f32 v[4:5], v[10:11], v[200:201] op_sel:[1,1] op_sel_hi:[0,1]
	v_pk_add_f32 v[2:3], v[2:3], v[6:7]
	v_pk_fma_f32 v[6:7], v[10:11], v[200:201], v[4:5] neg_lo:[0,0,1] neg_hi:[0,0,1]
	v_pk_fma_f32 v[4:5], v[10:11], v[200:201], v[4:5] op_sel_hi:[1,0,1]
	s_nop 0
	v_mov_b32_e32 v4, v203
	v_mov_b32_e32 v7, v5
	v_pk_mul_f32 v[4:5], v[12:13], v[4:5] op_sel:[1,0] op_sel_hi:[0,0]
	v_pk_add_f32 v[2:3], v[2:3], v[6:7]
	v_pk_fma_f32 v[6:7], v[12:13], v[202:203], v[4:5] neg_lo:[0,0,1] neg_hi:[0,0,1]
	v_pk_fma_f32 v[4:5], v[12:13], v[202:203], v[4:5] op_sel_hi:[1,0,1]
	s_nop 0
	v_mov_b32_e32 v7, v5
	s_waitcnt vmcnt(0) lgkmcnt(0)
	v_pk_mul_f32 v[4:5], v[14:15], v[204:205] op_sel:[1,1] op_sel_hi:[0,1]
	v_pk_add_f32 v[2:3], v[2:3], v[6:7]
	v_pk_fma_f32 v[6:7], v[14:15], v[204:205], v[4:5] neg_lo:[0,0,1] neg_hi:[0,0,1]
	v_pk_fma_f32 v[4:5], v[14:15], v[204:205], v[4:5] op_sel_hi:[1,0,1]
	s_nop 0
	v_mov_b32_e32 v4, v207
	v_mov_b32_e32 v7, v5
	v_pk_mul_f32 v[4:5], v[16:17], v[4:5] op_sel:[1,0] op_sel_hi:[0,0]
	v_pk_add_f32 v[2:3], v[2:3], v[6:7]
	v_pk_fma_f32 v[6:7], v[16:17], v[206:207], v[4:5] neg_lo:[0,0,1] neg_hi:[0,0,1]
	v_pk_fma_f32 v[4:5], v[16:17], v[206:207], v[4:5] op_sel_hi:[1,0,1]
	s_nop 0
	v_mov_b32_e32 v7, v5
	v_pk_add_f32 v[2:3], v[2:3], v[6:7]
	s_nop 0
	v_pk_add_f32 v[2:3], v[208:209], v[2:3] neg_lo:[0,1] neg_hi:[0,1]
	scratch_store_dwordx2 off, v[2:3], off offset:8
	s_and_saveexec_b64 s[0:1], vcc
	s_cbranch_execz .LBB101_241
; %bb.240:
	scratch_load_dwordx2 v[2:3], off, off
	v_mov_b32_e32 v4, 0
	v_mov_b32_e32 v5, v4
	scratch_store_dwordx2 off, v[4:5], off
	s_waitcnt vmcnt(1)
	ds_write_b64 v1, v[2:3]
.LBB101_241:
	s_or_b64 exec, exec, s[0:1]
	s_waitcnt lgkmcnt(0)
	; wave barrier
	scratch_load_dwordx4 v[0:3], off, off offset:8
	scratch_load_dwordx4 v[4:7], off, off offset:24
	;; [unrolled: 1-line block ×15, first 2 shown]
	scratch_load_dwordx2 v[214:215], off, off
	v_mov_b32_e32 v60, 0
	ds_read2_b64 v[62:65], v60 offset0:39 offset1:40
	ds_read2_b64 v[66:69], v60 offset0:41 offset1:42
	;; [unrolled: 1-line block ×14, first 2 shown]
	s_and_b64 vcc, exec, s[10:11]
	s_waitcnt vmcnt(15) lgkmcnt(13)
	v_mul_f32_e32 v61, v62, v1
	v_mul_f32_e32 v194, v64, v3
	v_fmac_f32_e32 v61, v63, v0
	s_waitcnt vmcnt(14) lgkmcnt(12)
	v_mul_f32_e32 v195, v66, v5
	v_fmac_f32_e32 v194, v65, v2
	v_add_f32_e32 v61, 0, v61
	v_mul_f32_e32 v196, v68, v7
	v_fmac_f32_e32 v195, v67, v4
	v_add_f32_e32 v61, v61, v194
	s_waitcnt vmcnt(13) lgkmcnt(11)
	v_mul_f32_e32 v197, v70, v9
	v_fmac_f32_e32 v196, v69, v6
	v_add_f32_e32 v61, v61, v195
	v_mul_f32_e32 v198, v72, v11
	v_fmac_f32_e32 v197, v71, v8
	v_add_f32_e32 v61, v61, v196
	;; [unrolled: 7-line block ×11, first 2 shown]
	s_waitcnt vmcnt(3) lgkmcnt(1)
	v_mul_f32_e32 v219, v110, v49
	v_fmac_f32_e32 v218, v109, v46
	v_add_f32_e32 v61, v61, v217
	v_add_f32_e32 v61, v61, v218
	v_fmac_f32_e32 v219, v111, v48
	v_mul_f32_e32 v194, v112, v51
	v_add_f32_e32 v61, v61, v219
	v_fmac_f32_e32 v194, v113, v50
	s_waitcnt vmcnt(2) lgkmcnt(0)
	v_mul_f32_e32 v198, v190, v53
	v_add_f32_e32 v61, v61, v194
	v_fmac_f32_e32 v198, v191, v52
	ds_read2_b64 v[194:197], v60 offset0:67 offset1:68
	v_add_f32_e32 v217, v61, v198
	ds_read2_b64 v[198:201], v60 offset0:69 offset1:70
	scratch_load_dwordx4 v[202:205], off, off offset:248
	scratch_load_dwordx4 v[206:209], off, off offset:264
	;; [unrolled: 1-line block ×3, first 2 shown]
	scratch_load_dwordx2 v[222:223], off, off offset:296
	v_mul_f32_e32 v1, v63, v1
	v_fma_f32 v0, v62, v0, -v1
	v_mul_f32_e32 v1, v65, v3
	v_add_f32_e32 v0, 0, v0
	v_fma_f32 v1, v64, v2, -v1
	v_add_f32_e32 v0, v0, v1
	v_mul_f32_e32 v1, v67, v5
	v_fma_f32 v1, v66, v4, -v1
	v_add_f32_e32 v0, v0, v1
	v_mul_f32_e32 v1, v69, v7
	;; [unrolled: 3-line block ×25, first 2 shown]
	v_fma_f32 v1, v190, v52, -v1
	v_mul_f32_e32 v219, v192, v55
	v_add_f32_e32 v216, v0, v1
	v_mul_f32_e32 v0, v193, v55
	s_waitcnt vmcnt(5)
	v_mov_b32_e32 v12, v59
	v_fmac_f32_e32 v219, v193, v54
	s_waitcnt lgkmcnt(1)
	v_mul_f32_e32 v221, v194, v57
	v_fma_f32 v218, v192, v54, -v0
	v_mul_f32_e32 v0, v195, v57
	v_pk_mul_f32 v[12:13], v[196:197], v[12:13] op_sel:[1,0] op_sel_hi:[0,0]
	v_fmac_f32_e32 v221, v195, v56
	v_fma_f32 v220, v194, v56, -v0
	v_pk_add_f32 v[10:11], v[216:217], v[218:219]
	v_pk_fma_f32 v[14:15], v[196:197], v[58:59], v[12:13] neg_lo:[0,0,1] neg_hi:[0,0,1]
	v_pk_fma_f32 v[12:13], v[196:197], v[58:59], v[12:13] op_sel_hi:[1,0,1]
	v_pk_add_f32 v[10:11], v[10:11], v[220:221]
	v_mov_b32_e32 v15, v13
	s_waitcnt vmcnt(3) lgkmcnt(0)
	v_pk_mul_f32 v[12:13], v[198:199], v[202:203] op_sel:[1,1] op_sel_hi:[0,1]
	v_pk_add_f32 v[10:11], v[10:11], v[14:15]
	v_pk_fma_f32 v[14:15], v[198:199], v[202:203], v[12:13] neg_lo:[0,0,1] neg_hi:[0,0,1]
	v_pk_fma_f32 v[12:13], v[198:199], v[202:203], v[12:13] op_sel_hi:[1,0,1]
	ds_read2_b64 v[0:3], v60 offset0:71 offset1:72
	ds_read2_b64 v[4:7], v60 offset0:73 offset1:74
	ds_read_b64 v[8:9], v60 offset:600
	v_mov_b32_e32 v12, v205
	v_mov_b32_e32 v15, v13
	v_pk_mul_f32 v[12:13], v[200:201], v[12:13] op_sel:[1,0] op_sel_hi:[0,0]
	v_pk_add_f32 v[10:11], v[10:11], v[14:15]
	v_pk_fma_f32 v[14:15], v[200:201], v[204:205], v[12:13] neg_lo:[0,0,1] neg_hi:[0,0,1]
	v_pk_fma_f32 v[12:13], v[200:201], v[204:205], v[12:13] op_sel_hi:[1,0,1]
	s_nop 0
	v_mov_b32_e32 v15, v13
	s_waitcnt vmcnt(2) lgkmcnt(2)
	v_pk_mul_f32 v[12:13], v[0:1], v[206:207] op_sel:[1,1] op_sel_hi:[0,1]
	v_pk_add_f32 v[10:11], v[10:11], v[14:15]
	v_pk_fma_f32 v[14:15], v[0:1], v[206:207], v[12:13] neg_lo:[0,0,1] neg_hi:[0,0,1]
	v_pk_fma_f32 v[0:1], v[0:1], v[206:207], v[12:13] op_sel_hi:[1,0,1]
	s_nop 0
	v_mov_b32_e32 v15, v1
	v_pk_add_f32 v[0:1], v[10:11], v[14:15]
	v_mov_b32_e32 v10, v209
	v_pk_mul_f32 v[10:11], v[2:3], v[10:11] op_sel:[1,0] op_sel_hi:[0,0]
	v_pk_fma_f32 v[12:13], v[2:3], v[208:209], v[10:11] neg_lo:[0,0,1] neg_hi:[0,0,1]
	v_pk_fma_f32 v[2:3], v[2:3], v[208:209], v[10:11] op_sel_hi:[1,0,1]
	s_nop 0
	v_mov_b32_e32 v13, v3
	s_waitcnt vmcnt(1) lgkmcnt(1)
	v_pk_mul_f32 v[2:3], v[4:5], v[210:211] op_sel:[1,1] op_sel_hi:[0,1]
	v_pk_fma_f32 v[10:11], v[4:5], v[210:211], v[2:3] neg_lo:[0,0,1] neg_hi:[0,0,1]
	v_pk_fma_f32 v[2:3], v[4:5], v[210:211], v[2:3] op_sel_hi:[1,0,1]
	v_pk_add_f32 v[0:1], v[0:1], v[12:13]
	v_mov_b32_e32 v2, v213
	v_mov_b32_e32 v11, v3
	v_pk_mul_f32 v[2:3], v[6:7], v[2:3] op_sel:[1,0] op_sel_hi:[0,0]
	v_pk_fma_f32 v[4:5], v[6:7], v[212:213], v[2:3] neg_lo:[0,0,1] neg_hi:[0,0,1]
	v_pk_fma_f32 v[2:3], v[6:7], v[212:213], v[2:3] op_sel_hi:[1,0,1]
	v_pk_add_f32 v[0:1], v[0:1], v[10:11]
	v_mov_b32_e32 v5, v3
	s_waitcnt vmcnt(0) lgkmcnt(0)
	v_pk_mul_f32 v[2:3], v[8:9], v[222:223] op_sel:[1,1] op_sel_hi:[0,1]
	v_pk_add_f32 v[0:1], v[0:1], v[4:5]
	v_pk_fma_f32 v[4:5], v[8:9], v[222:223], v[2:3] neg_lo:[0,0,1] neg_hi:[0,0,1]
	v_pk_fma_f32 v[2:3], v[8:9], v[222:223], v[2:3] op_sel_hi:[1,0,1]
	s_nop 0
	v_mov_b32_e32 v5, v3
	v_pk_add_f32 v[0:1], v[0:1], v[4:5]
	s_nop 0
	v_pk_add_f32 v[0:1], v[214:215], v[0:1] neg_lo:[0,1] neg_hi:[0,1]
	scratch_store_dwordx2 off, v[0:1], off
	s_cbranch_vccz .LBB101_316
; %bb.242:
	global_load_dword v0, v60, s[8:9] offset:144
	s_waitcnt vmcnt(0)
	v_readfirstlane_b32 s0, v0
	s_add_i32 s0, s0, -1
	s_cmp_lg_u32 s0, 36
	s_cbranch_scc0 .LBB101_244
; %bb.243:
	s_lshl_b32 s0, s0, 3
	s_nop 0
	scratch_load_dwordx2 v[0:1], off, s0
	scratch_load_dwordx2 v[2:3], off, off offset:288
	s_waitcnt vmcnt(1)
	scratch_store_dwordx2 off, v[0:1], off offset:288
	s_waitcnt vmcnt(1)
	scratch_store_dwordx2 off, v[2:3], s0
.LBB101_244:
	v_mov_b32_e32 v0, 0
	global_load_dword v1, v0, s[8:9] offset:140
	s_waitcnt vmcnt(0)
	v_readfirstlane_b32 s0, v1
	s_add_i32 s0, s0, -1
	s_cmp_eq_u32 s0, 35
	s_cbranch_scc1 .LBB101_246
; %bb.245:
	s_lshl_b32 s0, s0, 3
	s_nop 0
	scratch_load_dwordx2 v[2:3], off, s0
	scratch_load_dwordx2 v[4:5], off, off offset:280
	s_waitcnt vmcnt(1)
	scratch_store_dwordx2 off, v[2:3], off offset:280
	s_waitcnt vmcnt(1)
	scratch_store_dwordx2 off, v[4:5], s0
.LBB101_246:
	global_load_dword v0, v0, s[8:9] offset:136
	s_waitcnt vmcnt(0)
	v_readfirstlane_b32 s0, v0
	s_add_i32 s0, s0, -1
	s_cmp_eq_u32 s0, 34
	s_cbranch_scc1 .LBB101_248
; %bb.247:
	s_lshl_b32 s0, s0, 3
	s_nop 0
	scratch_load_dwordx2 v[0:1], off, s0
	scratch_load_dwordx2 v[2:3], off, off offset:272
	s_waitcnt vmcnt(1)
	scratch_store_dwordx2 off, v[0:1], off offset:272
	s_waitcnt vmcnt(1)
	scratch_store_dwordx2 off, v[2:3], s0
.LBB101_248:
	v_mov_b32_e32 v0, 0
	global_load_dword v1, v0, s[8:9] offset:132
	s_waitcnt vmcnt(0)
	v_readfirstlane_b32 s0, v1
	s_add_i32 s0, s0, -1
	s_cmp_eq_u32 s0, 33
	s_cbranch_scc1 .LBB101_250
; %bb.249:
	s_lshl_b32 s0, s0, 3
	s_nop 0
	scratch_load_dwordx2 v[2:3], off, s0
	scratch_load_dwordx2 v[4:5], off, off offset:264
	s_waitcnt vmcnt(1)
	scratch_store_dwordx2 off, v[2:3], off offset:264
	s_waitcnt vmcnt(1)
	scratch_store_dwordx2 off, v[4:5], s0
.LBB101_250:
	global_load_dword v0, v0, s[8:9] offset:128
	s_waitcnt vmcnt(0)
	v_readfirstlane_b32 s0, v0
	s_add_i32 s0, s0, -1
	s_cmp_eq_u32 s0, 32
	s_cbranch_scc1 .LBB101_252
; %bb.251:
	s_lshl_b32 s0, s0, 3
	s_nop 0
	scratch_load_dwordx2 v[0:1], off, s0
	scratch_load_dwordx2 v[2:3], off, off offset:256
	s_waitcnt vmcnt(1)
	scratch_store_dwordx2 off, v[0:1], off offset:256
	s_waitcnt vmcnt(1)
	scratch_store_dwordx2 off, v[2:3], s0
.LBB101_252:
	;; [unrolled: 33-line block ×17, first 2 shown]
	v_mov_b32_e32 v0, 0
	global_load_dword v1, v0, s[8:9] offset:4
	s_waitcnt vmcnt(0)
	v_readfirstlane_b32 s0, v1
	s_add_i32 s0, s0, -1
	s_cmp_eq_u32 s0, 1
	s_cbranch_scc1 .LBB101_314
; %bb.313:
	s_lshl_b32 s0, s0, 3
	s_nop 0
	scratch_load_dwordx2 v[2:3], off, s0
	scratch_load_dwordx2 v[4:5], off, off offset:8
	s_waitcnt vmcnt(1)
	scratch_store_dwordx2 off, v[2:3], off offset:8
	s_waitcnt vmcnt(1)
	scratch_store_dwordx2 off, v[4:5], s0
.LBB101_314:
	global_load_dword v2, v0, s[8:9]
	s_nop 0
	scratch_load_dwordx2 v[0:1], off, off
	s_waitcnt vmcnt(1)
	v_readfirstlane_b32 s0, v2
	s_add_i32 s0, s0, -1
	s_cmp_eq_u32 s0, 0
	s_cbranch_scc1 .LBB101_316
; %bb.315:
	s_lshl_b32 s0, s0, 3
	s_nop 0
	scratch_load_dwordx2 v[2:3], off, s0
	s_waitcnt vmcnt(0)
	scratch_store_dwordx2 off, v[2:3], off
	scratch_store_dwordx2 off, v[0:1], s0
	scratch_load_dwordx2 v[0:1], off, off
.LBB101_316:
	s_waitcnt vmcnt(0)
	flat_store_dwordx2 v[114:115], v[0:1]
	scratch_load_dwordx2 v[0:1], off, off offset:8
	s_waitcnt vmcnt(0)
	flat_store_dwordx2 v[116:117], v[0:1]
	scratch_load_dwordx2 v[0:1], off, off offset:16
	;; [unrolled: 3-line block ×37, first 2 shown]
	s_waitcnt vmcnt(0)
	flat_store_dwordx2 v[188:189], v[0:1]
	s_endpgm
	.section	.rodata,"a",@progbits
	.p2align	6, 0x0
	.amdhsa_kernel _ZN9rocsolver6v33100L18getri_kernel_smallILi38E19rocblas_complex_numIfEPKPS3_EEvT1_iilPiilS8_bb
		.amdhsa_group_segment_fixed_size 612
		.amdhsa_private_segment_fixed_size 320
		.amdhsa_kernarg_size 60
		.amdhsa_user_sgpr_count 2
		.amdhsa_user_sgpr_dispatch_ptr 0
		.amdhsa_user_sgpr_queue_ptr 0
		.amdhsa_user_sgpr_kernarg_segment_ptr 1
		.amdhsa_user_sgpr_dispatch_id 0
		.amdhsa_user_sgpr_kernarg_preload_length 0
		.amdhsa_user_sgpr_kernarg_preload_offset 0
		.amdhsa_user_sgpr_private_segment_size 0
		.amdhsa_uses_dynamic_stack 0
		.amdhsa_enable_private_segment 1
		.amdhsa_system_sgpr_workgroup_id_x 1
		.amdhsa_system_sgpr_workgroup_id_y 0
		.amdhsa_system_sgpr_workgroup_id_z 0
		.amdhsa_system_sgpr_workgroup_info 0
		.amdhsa_system_vgpr_workitem_id 0
		.amdhsa_next_free_vgpr 224
		.amdhsa_next_free_sgpr 17
		.amdhsa_accum_offset 224
		.amdhsa_reserve_vcc 1
		.amdhsa_float_round_mode_32 0
		.amdhsa_float_round_mode_16_64 0
		.amdhsa_float_denorm_mode_32 3
		.amdhsa_float_denorm_mode_16_64 3
		.amdhsa_dx10_clamp 1
		.amdhsa_ieee_mode 1
		.amdhsa_fp16_overflow 0
		.amdhsa_tg_split 0
		.amdhsa_exception_fp_ieee_invalid_op 0
		.amdhsa_exception_fp_denorm_src 0
		.amdhsa_exception_fp_ieee_div_zero 0
		.amdhsa_exception_fp_ieee_overflow 0
		.amdhsa_exception_fp_ieee_underflow 0
		.amdhsa_exception_fp_ieee_inexact 0
		.amdhsa_exception_int_div_zero 0
	.end_amdhsa_kernel
	.section	.text._ZN9rocsolver6v33100L18getri_kernel_smallILi38E19rocblas_complex_numIfEPKPS3_EEvT1_iilPiilS8_bb,"axG",@progbits,_ZN9rocsolver6v33100L18getri_kernel_smallILi38E19rocblas_complex_numIfEPKPS3_EEvT1_iilPiilS8_bb,comdat
.Lfunc_end101:
	.size	_ZN9rocsolver6v33100L18getri_kernel_smallILi38E19rocblas_complex_numIfEPKPS3_EEvT1_iilPiilS8_bb, .Lfunc_end101-_ZN9rocsolver6v33100L18getri_kernel_smallILi38E19rocblas_complex_numIfEPKPS3_EEvT1_iilPiilS8_bb
                                        ; -- End function
	.set _ZN9rocsolver6v33100L18getri_kernel_smallILi38E19rocblas_complex_numIfEPKPS3_EEvT1_iilPiilS8_bb.num_vgpr, 224
	.set _ZN9rocsolver6v33100L18getri_kernel_smallILi38E19rocblas_complex_numIfEPKPS3_EEvT1_iilPiilS8_bb.num_agpr, 0
	.set _ZN9rocsolver6v33100L18getri_kernel_smallILi38E19rocblas_complex_numIfEPKPS3_EEvT1_iilPiilS8_bb.numbered_sgpr, 17
	.set _ZN9rocsolver6v33100L18getri_kernel_smallILi38E19rocblas_complex_numIfEPKPS3_EEvT1_iilPiilS8_bb.num_named_barrier, 0
	.set _ZN9rocsolver6v33100L18getri_kernel_smallILi38E19rocblas_complex_numIfEPKPS3_EEvT1_iilPiilS8_bb.private_seg_size, 320
	.set _ZN9rocsolver6v33100L18getri_kernel_smallILi38E19rocblas_complex_numIfEPKPS3_EEvT1_iilPiilS8_bb.uses_vcc, 1
	.set _ZN9rocsolver6v33100L18getri_kernel_smallILi38E19rocblas_complex_numIfEPKPS3_EEvT1_iilPiilS8_bb.uses_flat_scratch, 0
	.set _ZN9rocsolver6v33100L18getri_kernel_smallILi38E19rocblas_complex_numIfEPKPS3_EEvT1_iilPiilS8_bb.has_dyn_sized_stack, 0
	.set _ZN9rocsolver6v33100L18getri_kernel_smallILi38E19rocblas_complex_numIfEPKPS3_EEvT1_iilPiilS8_bb.has_recursion, 0
	.set _ZN9rocsolver6v33100L18getri_kernel_smallILi38E19rocblas_complex_numIfEPKPS3_EEvT1_iilPiilS8_bb.has_indirect_call, 0
	.section	.AMDGPU.csdata,"",@progbits
; Kernel info:
; codeLenInByte = 47100
; TotalNumSgprs: 23
; NumVgprs: 224
; NumAgprs: 0
; TotalNumVgprs: 224
; ScratchSize: 320
; MemoryBound: 0
; FloatMode: 240
; IeeeMode: 1
; LDSByteSize: 612 bytes/workgroup (compile time only)
; SGPRBlocks: 2
; VGPRBlocks: 27
; NumSGPRsForWavesPerEU: 23
; NumVGPRsForWavesPerEU: 224
; AccumOffset: 224
; Occupancy: 2
; WaveLimiterHint : 1
; COMPUTE_PGM_RSRC2:SCRATCH_EN: 1
; COMPUTE_PGM_RSRC2:USER_SGPR: 2
; COMPUTE_PGM_RSRC2:TRAP_HANDLER: 0
; COMPUTE_PGM_RSRC2:TGID_X_EN: 1
; COMPUTE_PGM_RSRC2:TGID_Y_EN: 0
; COMPUTE_PGM_RSRC2:TGID_Z_EN: 0
; COMPUTE_PGM_RSRC2:TIDIG_COMP_CNT: 0
; COMPUTE_PGM_RSRC3_GFX90A:ACCUM_OFFSET: 55
; COMPUTE_PGM_RSRC3_GFX90A:TG_SPLIT: 0
	.section	.text._ZN9rocsolver6v33100L18getri_kernel_smallILi39E19rocblas_complex_numIfEPKPS3_EEvT1_iilPiilS8_bb,"axG",@progbits,_ZN9rocsolver6v33100L18getri_kernel_smallILi39E19rocblas_complex_numIfEPKPS3_EEvT1_iilPiilS8_bb,comdat
	.globl	_ZN9rocsolver6v33100L18getri_kernel_smallILi39E19rocblas_complex_numIfEPKPS3_EEvT1_iilPiilS8_bb ; -- Begin function _ZN9rocsolver6v33100L18getri_kernel_smallILi39E19rocblas_complex_numIfEPKPS3_EEvT1_iilPiilS8_bb
	.p2align	8
	.type	_ZN9rocsolver6v33100L18getri_kernel_smallILi39E19rocblas_complex_numIfEPKPS3_EEvT1_iilPiilS8_bb,@function
_ZN9rocsolver6v33100L18getri_kernel_smallILi39E19rocblas_complex_numIfEPKPS3_EEvT1_iilPiilS8_bb: ; @_ZN9rocsolver6v33100L18getri_kernel_smallILi39E19rocblas_complex_numIfEPKPS3_EEvT1_iilPiilS8_bb
; %bb.0:
	v_cmp_gt_u32_e32 vcc, 39, v0
	s_and_saveexec_b64 s[4:5], vcc
	s_cbranch_execz .LBB102_170
; %bb.1:
	s_load_dword s14, s[0:1], 0x38
	s_load_dwordx2 s[8:9], s[0:1], 0x0
	s_load_dwordx4 s[4:7], s[0:1], 0x28
	s_waitcnt lgkmcnt(0)
	s_bitcmp1_b32 s14, 8
	s_cselect_b64 s[10:11], -1, 0
	s_ashr_i32 s3, s2, 31
	s_lshl_b64 s[12:13], s[2:3], 3
	s_add_u32 s8, s8, s12
	s_addc_u32 s9, s9, s13
	s_load_dwordx2 s[12:13], s[8:9], 0x0
	s_bfe_u32 s8, s14, 0x10008
	s_cmp_eq_u32 s8, 0
                                        ; implicit-def: $sgpr8_sgpr9
	s_cbranch_scc1 .LBB102_3
; %bb.2:
	s_load_dword s8, s[0:1], 0x20
	s_load_dwordx2 s[14:15], s[0:1], 0x18
	s_mul_i32 s9, s4, s3
	s_mul_hi_u32 s16, s4, s2
	s_add_i32 s16, s16, s9
	s_mul_i32 s5, s5, s2
	s_add_i32 s5, s16, s5
	s_mul_i32 s4, s4, s2
	s_waitcnt lgkmcnt(0)
	s_ashr_i32 s9, s8, 31
	s_lshl_b64 s[4:5], s[4:5], 2
	s_add_u32 s14, s14, s4
	s_addc_u32 s15, s15, s5
	s_lshl_b64 s[4:5], s[8:9], 2
	s_add_u32 s8, s14, s4
	s_addc_u32 s9, s15, s5
.LBB102_3:
	s_load_dwordx2 s[4:5], s[0:1], 0x8
	s_load_dword s14, s[0:1], 0x38
	v_lshlrev_b32_e32 v2, 3, v0
	v_mov_b32_e32 v3, 0
	s_waitcnt lgkmcnt(0)
	s_ashr_i32 s1, s4, 31
	s_mov_b32 s0, s4
	s_lshl_b64 s[0:1], s[0:1], 3
	s_add_u32 s0, s12, s0
	s_addc_u32 s1, s13, s1
	v_lshl_add_u64 v[116:117], s[0:1], 0, v[2:3]
	flat_load_dwordx2 v[4:5], v[116:117]
	s_mov_b32 s12, s5
	s_ashr_i32 s13, s5, 31
	v_lshl_add_u64 v[118:119], s[12:13], 3, v[116:117]
	s_add_i32 s4, s5, s5
	v_add_u32_e32 v6, s4, v0
	v_ashrrev_i32_e32 v7, 31, v6
	v_lshl_add_u64 v[120:121], v[6:7], 3, s[0:1]
	v_add_u32_e32 v6, s5, v6
	v_ashrrev_i32_e32 v7, 31, v6
	v_lshl_add_u64 v[122:123], v[6:7], 3, s[0:1]
	;; [unrolled: 3-line block ×25, first 2 shown]
	s_waitcnt vmcnt(0) lgkmcnt(0)
	scratch_store_dwordx2 off, v[4:5], off
	flat_load_dwordx2 v[4:5], v[118:119]
	v_add_u32_e32 v6, s5, v6
	v_ashrrev_i32_e32 v7, 31, v6
	v_lshl_add_u64 v[170:171], v[6:7], 3, s[0:1]
	v_add_u32_e32 v6, s5, v6
	v_ashrrev_i32_e32 v7, 31, v6
	v_lshl_add_u64 v[172:173], v[6:7], 3, s[0:1]
	;; [unrolled: 3-line block ×12, first 2 shown]
	s_bitcmp0_b32 s14, 0
	s_mov_b64 s[4:5], -1
	s_waitcnt vmcnt(0) lgkmcnt(0)
	scratch_store_dwordx2 off, v[4:5], off offset:8
	flat_load_dwordx2 v[4:5], v[120:121]
	s_waitcnt vmcnt(0) lgkmcnt(0)
	scratch_store_dwordx2 off, v[4:5], off offset:16
	flat_load_dwordx2 v[4:5], v[122:123]
	;; [unrolled: 3-line block ×37, first 2 shown]
	s_waitcnt vmcnt(0) lgkmcnt(0)
	scratch_store_dwordx2 off, v[4:5], off offset:304
	s_cbranch_scc1 .LBB102_168
; %bb.4:
	v_cmp_eq_u32_e64 s[0:1], 0, v0
	s_and_saveexec_b64 s[4:5], s[0:1]
; %bb.5:
	v_mov_b32_e32 v1, 0
	ds_write_b32 v1, v1 offset:312
; %bb.6:
	s_or_b64 exec, exec, s[4:5]
	s_waitcnt lgkmcnt(0)
	; wave barrier
	scratch_load_dwordx2 v[4:5], v2, off
	s_waitcnt vmcnt(0)
	v_cmp_eq_f32_e32 vcc, 0, v4
	v_cmp_eq_f32_e64 s[4:5], 0, v5
	s_and_b64 s[4:5], vcc, s[4:5]
	s_and_saveexec_b64 s[12:13], s[4:5]
	s_cbranch_execz .LBB102_10
; %bb.7:
	v_mov_b32_e32 v1, 0
	ds_read_b32 v4, v1 offset:312
	v_add_u32_e32 v3, 1, v0
	s_waitcnt lgkmcnt(0)
	v_readfirstlane_b32 s4, v4
	s_cmp_eq_u32 s4, 0
	s_cselect_b64 s[14:15], -1, 0
	v_cmp_gt_i32_e32 vcc, s4, v3
	s_or_b64 s[14:15], s[14:15], vcc
	s_and_b64 exec, exec, s[14:15]
	s_cbranch_execz .LBB102_10
; %bb.8:
	s_mov_b64 s[14:15], 0
	v_mov_b32_e32 v4, s4
.LBB102_9:                              ; =>This Inner Loop Header: Depth=1
	ds_cmpst_rtn_b32 v4, v1, v4, v3 offset:312
	s_waitcnt lgkmcnt(0)
	v_cmp_ne_u32_e32 vcc, 0, v4
	v_cmp_le_i32_e64 s[4:5], v4, v3
	s_and_b64 s[4:5], vcc, s[4:5]
	s_and_b64 s[4:5], exec, s[4:5]
	s_or_b64 s[14:15], s[4:5], s[14:15]
	s_andn2_b64 exec, exec, s[14:15]
	s_cbranch_execnz .LBB102_9
.LBB102_10:
	s_or_b64 exec, exec, s[12:13]
	v_mov_b32_e32 v3, 0
	; wave barrier
	ds_read_b32 v1, v3 offset:312
	s_and_saveexec_b64 s[4:5], s[0:1]
	s_cbranch_execz .LBB102_12
; %bb.11:
	s_lshl_b64 s[12:13], s[2:3], 2
	s_add_u32 s12, s6, s12
	s_addc_u32 s13, s7, s13
	s_waitcnt lgkmcnt(0)
	global_store_dword v3, v1, s[12:13]
.LBB102_12:
	s_or_b64 exec, exec, s[4:5]
	s_waitcnt lgkmcnt(0)
	v_cmp_ne_u32_e32 vcc, 0, v1
	s_mov_b64 s[4:5], 0
	s_cbranch_vccnz .LBB102_168
; %bb.13:
	v_mov_b32_e32 v3, v2
	scratch_load_dwordx2 v[4:5], v3, off
                                        ; implicit-def: $vgpr7
                                        ; implicit-def: $vgpr8
	s_waitcnt vmcnt(0)
	v_cmp_ngt_f32_e64 s[4:5], |v4|, |v5|
	s_and_saveexec_b64 s[12:13], s[4:5]
	s_xor_b64 s[4:5], exec, s[12:13]
	s_cbranch_execz .LBB102_15
; %bb.14:
	v_div_scale_f32 v1, s[12:13], v5, v5, v4
	v_rcp_f32_e32 v6, v1
	v_div_scale_f32 v7, vcc, v4, v5, v4
	v_fma_f32 v8, -v1, v6, 1.0
	v_fmac_f32_e32 v6, v8, v6
	v_mul_f32_e32 v8, v7, v6
	v_fma_f32 v9, -v1, v8, v7
	v_fmac_f32_e32 v8, v9, v6
	v_fma_f32 v1, -v1, v8, v7
	v_div_fmas_f32 v1, v1, v6, v8
	v_div_fixup_f32 v1, v1, v5, v4
	v_fmac_f32_e32 v5, v4, v1
	v_div_scale_f32 v4, s[12:13], v5, v5, -1.0
	v_rcp_f32_e32 v6, v4
	s_nop 0
	v_fma_f32 v7, -v4, v6, 1.0
	v_fmac_f32_e32 v6, v7, v6
	v_div_scale_f32 v7, vcc, -1.0, v5, -1.0
	v_mul_f32_e32 v8, v7, v6
	v_fma_f32 v9, -v4, v8, v7
	v_fmac_f32_e32 v8, v9, v6
	v_fma_f32 v4, -v4, v8, v7
	v_div_fmas_f32 v4, v4, v6, v8
	v_div_fixup_f32 v7, v4, v5, -1.0
	v_mul_f32_e32 v8, v1, v7
	v_xor_b32_e32 v6, 0x80000000, v8
                                        ; implicit-def: $vgpr4_vgpr5
.LBB102_15:
	s_andn2_saveexec_b64 s[4:5], s[4:5]
	s_cbranch_execz .LBB102_17
; %bb.16:
	v_div_scale_f32 v1, s[12:13], v4, v4, v5
	v_rcp_f32_e32 v6, v1
	v_div_scale_f32 v7, vcc, v5, v4, v5
	v_fma_f32 v8, -v1, v6, 1.0
	v_fmac_f32_e32 v6, v8, v6
	v_mul_f32_e32 v8, v7, v6
	v_fma_f32 v9, -v1, v8, v7
	v_fmac_f32_e32 v8, v9, v6
	v_fma_f32 v1, -v1, v8, v7
	v_div_fmas_f32 v1, v1, v6, v8
	v_div_fixup_f32 v1, v1, v4, v5
	v_fmac_f32_e32 v4, v5, v1
	v_div_scale_f32 v5, s[12:13], v4, v4, 1.0
	v_rcp_f32_e32 v6, v5
	s_nop 0
	v_fma_f32 v7, -v5, v6, 1.0
	v_fmac_f32_e32 v6, v7, v6
	v_div_scale_f32 v7, vcc, 1.0, v4, 1.0
	v_mul_f32_e32 v8, v7, v6
	v_fma_f32 v9, -v5, v8, v7
	v_fmac_f32_e32 v8, v9, v6
	v_fma_f32 v5, -v5, v8, v7
	v_div_fmas_f32 v5, v5, v6, v8
	v_div_fixup_f32 v6, v5, v4, 1.0
	v_xor_b32_e32 v8, 0x80000000, v6
	v_mul_f32_e64 v7, v1, -v6
.LBB102_17:
	s_or_b64 exec, exec, s[4:5]
	scratch_store_dwordx2 v3, v[6:7], off
	scratch_load_dwordx2 v[4:5], off, off offset:8
	v_xor_b32_e32 v9, 0x80000000, v7
	v_add_u32_e32 v1, 0x140, v2
	s_waitcnt vmcnt(0)
	ds_write2_b64 v2, v[8:9], v[4:5] offset1:40
	s_waitcnt lgkmcnt(0)
	; wave barrier
	s_and_saveexec_b64 s[4:5], s[0:1]
	s_cbranch_execz .LBB102_19
; %bb.18:
	scratch_load_dwordx2 v[4:5], v3, off
	ds_read_b64 v[6:7], v1
	v_mov_b32_e32 v8, 0
	ds_read_b64 v[8:9], v8 offset:8
	s_waitcnt vmcnt(0) lgkmcnt(1)
	v_pk_mul_f32 v[10:11], v[6:7], v[4:5] op_sel:[1,1] op_sel_hi:[0,1]
	v_pk_fma_f32 v[12:13], v[6:7], v[4:5], v[10:11] neg_lo:[0,0,1] neg_hi:[0,0,1]
	v_pk_fma_f32 v[4:5], v[6:7], v[4:5], v[10:11] op_sel_hi:[1,0,1]
	s_nop 0
	v_mov_b32_e32 v13, v5
	v_pk_add_f32 v[4:5], v[12:13], 0 op_sel_hi:[1,0]
	s_waitcnt lgkmcnt(0)
	v_pk_mul_f32 v[6:7], v[4:5], v[8:9] op_sel:[1,1] op_sel_hi:[0,1]
	v_pk_fma_f32 v[10:11], v[4:5], v[8:9], v[6:7] neg_lo:[0,0,1] neg_hi:[0,0,1]
	v_pk_fma_f32 v[4:5], v[4:5], v[8:9], v[6:7] op_sel_hi:[1,0,1]
	s_nop 0
	v_mov_b32_e32 v11, v5
	scratch_store_dwordx2 off, v[10:11], off offset:8
.LBB102_19:
	s_or_b64 exec, exec, s[4:5]
	; wave barrier
	scratch_load_dwordx2 v[4:5], off, off offset:16
	v_cmp_gt_u32_e32 vcc, 2, v0
	s_waitcnt vmcnt(0)
	ds_write_b64 v1, v[4:5]
	s_waitcnt lgkmcnt(0)
	; wave barrier
	s_and_saveexec_b64 s[4:5], vcc
	s_cbranch_execz .LBB102_23
; %bb.20:
	scratch_load_dwordx2 v[4:5], v3, off
	ds_read_b64 v[6:7], v1
	s_waitcnt vmcnt(0) lgkmcnt(0)
	v_pk_mul_f32 v[8:9], v[6:7], v[4:5] op_sel:[1,1] op_sel_hi:[0,1]
	v_pk_fma_f32 v[10:11], v[6:7], v[4:5], v[8:9] neg_lo:[0,0,1] neg_hi:[0,0,1]
	v_pk_fma_f32 v[4:5], v[6:7], v[4:5], v[8:9] op_sel_hi:[1,0,1]
	s_nop 0
	v_mov_b32_e32 v11, v5
	v_pk_add_f32 v[4:5], v[10:11], 0 op_sel_hi:[1,0]
	s_and_saveexec_b64 s[12:13], s[0:1]
	s_cbranch_execz .LBB102_22
; %bb.21:
	scratch_load_dwordx2 v[6:7], off, off offset:8
	v_mov_b32_e32 v3, 0
	ds_read_b64 v[8:9], v3 offset:328
	s_waitcnt vmcnt(0) lgkmcnt(0)
	v_pk_mul_f32 v[10:11], v[8:9], v[6:7] op_sel:[1,1] op_sel_hi:[0,1]
	v_pk_fma_f32 v[12:13], v[8:9], v[6:7], v[10:11] neg_lo:[0,0,1] neg_hi:[0,0,1]
	v_pk_fma_f32 v[6:7], v[8:9], v[6:7], v[10:11] op_sel_hi:[1,0,1]
	s_nop 0
	v_mov_b32_e32 v13, v7
	v_pk_add_f32 v[4:5], v[4:5], v[12:13]
.LBB102_22:
	s_or_b64 exec, exec, s[12:13]
	v_mov_b32_e32 v3, 0
	ds_read_b64 v[6:7], v3 offset:16
	s_waitcnt lgkmcnt(0)
	v_pk_mul_f32 v[8:9], v[4:5], v[6:7] op_sel:[1,1] op_sel_hi:[0,1]
	v_pk_fma_f32 v[10:11], v[4:5], v[6:7], v[8:9] neg_lo:[0,0,1] neg_hi:[0,0,1]
	v_pk_fma_f32 v[4:5], v[4:5], v[6:7], v[8:9] op_sel_hi:[1,0,1]
	s_nop 0
	v_mov_b32_e32 v11, v5
	scratch_store_dwordx2 off, v[10:11], off offset:16
.LBB102_23:
	s_or_b64 exec, exec, s[4:5]
	; wave barrier
	scratch_load_dwordx2 v[4:5], off, off offset:24
	v_cmp_gt_u32_e32 vcc, 3, v0
	v_add_u32_e32 v6, -1, v0
	s_waitcnt vmcnt(0)
	ds_write_b64 v1, v[4:5]
	s_waitcnt lgkmcnt(0)
	; wave barrier
	s_and_saveexec_b64 s[0:1], vcc
	s_cbranch_execz .LBB102_27
; %bb.24:
	v_mov_b32_e32 v4, 0
	v_add_u32_e32 v3, -1, v0
	v_add_u32_e32 v7, 0x140, v2
	v_mov_b32_e32 v8, v2
	s_mov_b64 s[4:5], 0
	v_mov_b32_e32 v5, v4
.LBB102_25:                             ; =>This Inner Loop Header: Depth=1
	scratch_load_dwordx2 v[10:11], v8, off
	ds_read_b64 v[12:13], v7
	v_add_u32_e32 v3, 1, v3
	v_cmp_lt_u32_e32 vcc, 1, v3
	v_add_u32_e32 v7, 8, v7
	v_add_u32_e32 v8, 8, v8
	s_or_b64 s[4:5], vcc, s[4:5]
	s_waitcnt vmcnt(0) lgkmcnt(0)
	v_pk_mul_f32 v[14:15], v[12:13], v[10:11] op_sel:[1,1] op_sel_hi:[0,1]
	v_pk_fma_f32 v[16:17], v[12:13], v[10:11], v[14:15] neg_lo:[0,0,1] neg_hi:[0,0,1]
	v_pk_fma_f32 v[10:11], v[12:13], v[10:11], v[14:15] op_sel_hi:[1,0,1]
	s_nop 0
	v_mov_b32_e32 v17, v11
	v_pk_add_f32 v[4:5], v[4:5], v[16:17]
	s_andn2_b64 exec, exec, s[4:5]
	s_cbranch_execnz .LBB102_25
; %bb.26:
	s_or_b64 exec, exec, s[4:5]
	v_mov_b32_e32 v3, 0
	ds_read_b64 v[8:9], v3 offset:24
	s_waitcnt lgkmcnt(0)
	v_pk_mul_f32 v[10:11], v[4:5], v[8:9] op_sel:[1,1] op_sel_hi:[0,1]
	v_pk_fma_f32 v[12:13], v[4:5], v[8:9], v[10:11] neg_lo:[0,0,1] neg_hi:[0,0,1]
	v_pk_fma_f32 v[4:5], v[4:5], v[8:9], v[10:11] op_sel_hi:[1,0,1]
	s_nop 0
	v_mov_b32_e32 v13, v5
	scratch_store_dwordx2 off, v[12:13], off offset:24
.LBB102_27:
	s_or_b64 exec, exec, s[0:1]
	; wave barrier
	scratch_load_dwordx2 v[4:5], off, off offset:32
	v_cmp_gt_u32_e32 vcc, 4, v0
	s_waitcnt vmcnt(0)
	ds_write_b64 v1, v[4:5]
	s_waitcnt lgkmcnt(0)
	; wave barrier
	s_and_saveexec_b64 s[0:1], vcc
	s_cbranch_execz .LBB102_31
; %bb.28:
	v_mov_b32_e32 v4, 0
	v_add_u32_e32 v3, -1, v0
	v_add_u32_e32 v7, 0x140, v2
	v_mov_b32_e32 v8, v2
	s_mov_b64 s[4:5], 0
	v_mov_b32_e32 v5, v4
.LBB102_29:                             ; =>This Inner Loop Header: Depth=1
	scratch_load_dwordx2 v[10:11], v8, off
	ds_read_b64 v[12:13], v7
	v_add_u32_e32 v3, 1, v3
	v_cmp_lt_u32_e32 vcc, 2, v3
	v_add_u32_e32 v7, 8, v7
	v_add_u32_e32 v8, 8, v8
	s_or_b64 s[4:5], vcc, s[4:5]
	s_waitcnt vmcnt(0) lgkmcnt(0)
	v_pk_mul_f32 v[14:15], v[12:13], v[10:11] op_sel:[1,1] op_sel_hi:[0,1]
	v_pk_fma_f32 v[16:17], v[12:13], v[10:11], v[14:15] neg_lo:[0,0,1] neg_hi:[0,0,1]
	v_pk_fma_f32 v[10:11], v[12:13], v[10:11], v[14:15] op_sel_hi:[1,0,1]
	s_nop 0
	v_mov_b32_e32 v17, v11
	v_pk_add_f32 v[4:5], v[4:5], v[16:17]
	s_andn2_b64 exec, exec, s[4:5]
	s_cbranch_execnz .LBB102_29
; %bb.30:
	s_or_b64 exec, exec, s[4:5]
	v_mov_b32_e32 v3, 0
	ds_read_b64 v[8:9], v3 offset:32
	s_waitcnt lgkmcnt(0)
	v_pk_mul_f32 v[10:11], v[4:5], v[8:9] op_sel:[1,1] op_sel_hi:[0,1]
	v_pk_fma_f32 v[12:13], v[4:5], v[8:9], v[10:11] neg_lo:[0,0,1] neg_hi:[0,0,1]
	v_pk_fma_f32 v[4:5], v[4:5], v[8:9], v[10:11] op_sel_hi:[1,0,1]
	s_nop 0
	v_mov_b32_e32 v13, v5
	scratch_store_dwordx2 off, v[12:13], off offset:32
.LBB102_31:
	s_or_b64 exec, exec, s[0:1]
	; wave barrier
	scratch_load_dwordx2 v[4:5], off, off offset:40
	v_cmp_gt_u32_e32 vcc, 5, v0
	s_waitcnt vmcnt(0)
	ds_write_b64 v1, v[4:5]
	s_waitcnt lgkmcnt(0)
	; wave barrier
	s_and_saveexec_b64 s[0:1], vcc
	s_cbranch_execz .LBB102_35
; %bb.32:
	v_mov_b32_e32 v4, 0
	v_add_u32_e32 v3, -1, v0
	v_add_u32_e32 v7, 0x140, v2
	v_mov_b32_e32 v8, v2
	s_mov_b64 s[4:5], 0
	v_mov_b32_e32 v5, v4
.LBB102_33:                             ; =>This Inner Loop Header: Depth=1
	scratch_load_dwordx2 v[10:11], v8, off
	ds_read_b64 v[12:13], v7
	v_add_u32_e32 v3, 1, v3
	v_cmp_lt_u32_e32 vcc, 3, v3
	v_add_u32_e32 v7, 8, v7
	v_add_u32_e32 v8, 8, v8
	s_or_b64 s[4:5], vcc, s[4:5]
	s_waitcnt vmcnt(0) lgkmcnt(0)
	v_pk_mul_f32 v[14:15], v[12:13], v[10:11] op_sel:[1,1] op_sel_hi:[0,1]
	v_pk_fma_f32 v[16:17], v[12:13], v[10:11], v[14:15] neg_lo:[0,0,1] neg_hi:[0,0,1]
	v_pk_fma_f32 v[10:11], v[12:13], v[10:11], v[14:15] op_sel_hi:[1,0,1]
	s_nop 0
	v_mov_b32_e32 v17, v11
	v_pk_add_f32 v[4:5], v[4:5], v[16:17]
	s_andn2_b64 exec, exec, s[4:5]
	s_cbranch_execnz .LBB102_33
; %bb.34:
	s_or_b64 exec, exec, s[4:5]
	v_mov_b32_e32 v3, 0
	ds_read_b64 v[8:9], v3 offset:40
	s_waitcnt lgkmcnt(0)
	v_pk_mul_f32 v[10:11], v[4:5], v[8:9] op_sel:[1,1] op_sel_hi:[0,1]
	v_pk_fma_f32 v[12:13], v[4:5], v[8:9], v[10:11] neg_lo:[0,0,1] neg_hi:[0,0,1]
	v_pk_fma_f32 v[4:5], v[4:5], v[8:9], v[10:11] op_sel_hi:[1,0,1]
	s_nop 0
	v_mov_b32_e32 v13, v5
	scratch_store_dwordx2 off, v[12:13], off offset:40
.LBB102_35:
	s_or_b64 exec, exec, s[0:1]
	; wave barrier
	scratch_load_dwordx2 v[4:5], off, off offset:48
	v_cmp_gt_u32_e32 vcc, 6, v0
	s_waitcnt vmcnt(0)
	ds_write_b64 v1, v[4:5]
	s_waitcnt lgkmcnt(0)
	; wave barrier
	s_and_saveexec_b64 s[0:1], vcc
	s_cbranch_execz .LBB102_39
; %bb.36:
	v_mov_b32_e32 v4, 0
	v_add_u32_e32 v3, -1, v0
	v_add_u32_e32 v7, 0x140, v2
	v_mov_b32_e32 v8, v2
	s_mov_b64 s[4:5], 0
	v_mov_b32_e32 v5, v4
.LBB102_37:                             ; =>This Inner Loop Header: Depth=1
	scratch_load_dwordx2 v[10:11], v8, off
	ds_read_b64 v[12:13], v7
	v_add_u32_e32 v3, 1, v3
	v_cmp_lt_u32_e32 vcc, 4, v3
	v_add_u32_e32 v7, 8, v7
	v_add_u32_e32 v8, 8, v8
	s_or_b64 s[4:5], vcc, s[4:5]
	s_waitcnt vmcnt(0) lgkmcnt(0)
	v_pk_mul_f32 v[14:15], v[12:13], v[10:11] op_sel:[1,1] op_sel_hi:[0,1]
	v_pk_fma_f32 v[16:17], v[12:13], v[10:11], v[14:15] neg_lo:[0,0,1] neg_hi:[0,0,1]
	v_pk_fma_f32 v[10:11], v[12:13], v[10:11], v[14:15] op_sel_hi:[1,0,1]
	s_nop 0
	v_mov_b32_e32 v17, v11
	v_pk_add_f32 v[4:5], v[4:5], v[16:17]
	s_andn2_b64 exec, exec, s[4:5]
	s_cbranch_execnz .LBB102_37
; %bb.38:
	s_or_b64 exec, exec, s[4:5]
	v_mov_b32_e32 v3, 0
	ds_read_b64 v[8:9], v3 offset:48
	s_waitcnt lgkmcnt(0)
	v_pk_mul_f32 v[10:11], v[4:5], v[8:9] op_sel:[1,1] op_sel_hi:[0,1]
	v_pk_fma_f32 v[12:13], v[4:5], v[8:9], v[10:11] neg_lo:[0,0,1] neg_hi:[0,0,1]
	v_pk_fma_f32 v[4:5], v[4:5], v[8:9], v[10:11] op_sel_hi:[1,0,1]
	s_nop 0
	v_mov_b32_e32 v13, v5
	scratch_store_dwordx2 off, v[12:13], off offset:48
.LBB102_39:
	s_or_b64 exec, exec, s[0:1]
	; wave barrier
	scratch_load_dwordx2 v[4:5], off, off offset:56
	v_cmp_gt_u32_e32 vcc, 7, v0
	s_waitcnt vmcnt(0)
	ds_write_b64 v1, v[4:5]
	s_waitcnt lgkmcnt(0)
	; wave barrier
	s_and_saveexec_b64 s[0:1], vcc
	s_cbranch_execz .LBB102_43
; %bb.40:
	v_mov_b32_e32 v4, 0
	v_add_u32_e32 v3, -1, v0
	v_add_u32_e32 v7, 0x140, v2
	v_mov_b32_e32 v8, v2
	s_mov_b64 s[4:5], 0
	v_mov_b32_e32 v5, v4
.LBB102_41:                             ; =>This Inner Loop Header: Depth=1
	scratch_load_dwordx2 v[10:11], v8, off
	ds_read_b64 v[12:13], v7
	v_add_u32_e32 v3, 1, v3
	v_cmp_lt_u32_e32 vcc, 5, v3
	v_add_u32_e32 v7, 8, v7
	v_add_u32_e32 v8, 8, v8
	s_or_b64 s[4:5], vcc, s[4:5]
	s_waitcnt vmcnt(0) lgkmcnt(0)
	v_pk_mul_f32 v[14:15], v[12:13], v[10:11] op_sel:[1,1] op_sel_hi:[0,1]
	v_pk_fma_f32 v[16:17], v[12:13], v[10:11], v[14:15] neg_lo:[0,0,1] neg_hi:[0,0,1]
	v_pk_fma_f32 v[10:11], v[12:13], v[10:11], v[14:15] op_sel_hi:[1,0,1]
	s_nop 0
	v_mov_b32_e32 v17, v11
	v_pk_add_f32 v[4:5], v[4:5], v[16:17]
	s_andn2_b64 exec, exec, s[4:5]
	s_cbranch_execnz .LBB102_41
; %bb.42:
	s_or_b64 exec, exec, s[4:5]
	v_mov_b32_e32 v3, 0
	ds_read_b64 v[8:9], v3 offset:56
	s_waitcnt lgkmcnt(0)
	v_pk_mul_f32 v[10:11], v[4:5], v[8:9] op_sel:[1,1] op_sel_hi:[0,1]
	v_pk_fma_f32 v[12:13], v[4:5], v[8:9], v[10:11] neg_lo:[0,0,1] neg_hi:[0,0,1]
	v_pk_fma_f32 v[4:5], v[4:5], v[8:9], v[10:11] op_sel_hi:[1,0,1]
	s_nop 0
	v_mov_b32_e32 v13, v5
	scratch_store_dwordx2 off, v[12:13], off offset:56
.LBB102_43:
	s_or_b64 exec, exec, s[0:1]
	; wave barrier
	scratch_load_dwordx2 v[4:5], off, off offset:64
	v_cmp_gt_u32_e32 vcc, 8, v0
	s_waitcnt vmcnt(0)
	ds_write_b64 v1, v[4:5]
	s_waitcnt lgkmcnt(0)
	; wave barrier
	s_and_saveexec_b64 s[0:1], vcc
	s_cbranch_execz .LBB102_47
; %bb.44:
	v_mov_b32_e32 v4, 0
	v_add_u32_e32 v3, -1, v0
	v_add_u32_e32 v7, 0x140, v2
	v_mov_b32_e32 v8, v2
	s_mov_b64 s[4:5], 0
	v_mov_b32_e32 v5, v4
.LBB102_45:                             ; =>This Inner Loop Header: Depth=1
	scratch_load_dwordx2 v[10:11], v8, off
	ds_read_b64 v[12:13], v7
	v_add_u32_e32 v3, 1, v3
	v_cmp_lt_u32_e32 vcc, 6, v3
	v_add_u32_e32 v7, 8, v7
	v_add_u32_e32 v8, 8, v8
	s_or_b64 s[4:5], vcc, s[4:5]
	s_waitcnt vmcnt(0) lgkmcnt(0)
	v_pk_mul_f32 v[14:15], v[12:13], v[10:11] op_sel:[1,1] op_sel_hi:[0,1]
	v_pk_fma_f32 v[16:17], v[12:13], v[10:11], v[14:15] neg_lo:[0,0,1] neg_hi:[0,0,1]
	v_pk_fma_f32 v[10:11], v[12:13], v[10:11], v[14:15] op_sel_hi:[1,0,1]
	s_nop 0
	v_mov_b32_e32 v17, v11
	v_pk_add_f32 v[4:5], v[4:5], v[16:17]
	s_andn2_b64 exec, exec, s[4:5]
	s_cbranch_execnz .LBB102_45
; %bb.46:
	s_or_b64 exec, exec, s[4:5]
	v_mov_b32_e32 v3, 0
	ds_read_b64 v[8:9], v3 offset:64
	s_waitcnt lgkmcnt(0)
	v_pk_mul_f32 v[10:11], v[4:5], v[8:9] op_sel:[1,1] op_sel_hi:[0,1]
	v_pk_fma_f32 v[12:13], v[4:5], v[8:9], v[10:11] neg_lo:[0,0,1] neg_hi:[0,0,1]
	v_pk_fma_f32 v[4:5], v[4:5], v[8:9], v[10:11] op_sel_hi:[1,0,1]
	s_nop 0
	v_mov_b32_e32 v13, v5
	scratch_store_dwordx2 off, v[12:13], off offset:64
.LBB102_47:
	s_or_b64 exec, exec, s[0:1]
	; wave barrier
	scratch_load_dwordx2 v[4:5], off, off offset:72
	v_cmp_gt_u32_e32 vcc, 9, v0
	s_waitcnt vmcnt(0)
	ds_write_b64 v1, v[4:5]
	s_waitcnt lgkmcnt(0)
	; wave barrier
	s_and_saveexec_b64 s[0:1], vcc
	s_cbranch_execz .LBB102_51
; %bb.48:
	v_mov_b32_e32 v4, 0
	v_add_u32_e32 v3, -1, v0
	v_add_u32_e32 v7, 0x140, v2
	v_mov_b32_e32 v8, v2
	s_mov_b64 s[4:5], 0
	v_mov_b32_e32 v5, v4
.LBB102_49:                             ; =>This Inner Loop Header: Depth=1
	scratch_load_dwordx2 v[10:11], v8, off
	ds_read_b64 v[12:13], v7
	v_add_u32_e32 v3, 1, v3
	v_cmp_lt_u32_e32 vcc, 7, v3
	v_add_u32_e32 v7, 8, v7
	v_add_u32_e32 v8, 8, v8
	s_or_b64 s[4:5], vcc, s[4:5]
	s_waitcnt vmcnt(0) lgkmcnt(0)
	v_pk_mul_f32 v[14:15], v[12:13], v[10:11] op_sel:[1,1] op_sel_hi:[0,1]
	v_pk_fma_f32 v[16:17], v[12:13], v[10:11], v[14:15] neg_lo:[0,0,1] neg_hi:[0,0,1]
	v_pk_fma_f32 v[10:11], v[12:13], v[10:11], v[14:15] op_sel_hi:[1,0,1]
	s_nop 0
	v_mov_b32_e32 v17, v11
	v_pk_add_f32 v[4:5], v[4:5], v[16:17]
	s_andn2_b64 exec, exec, s[4:5]
	s_cbranch_execnz .LBB102_49
; %bb.50:
	s_or_b64 exec, exec, s[4:5]
	v_mov_b32_e32 v3, 0
	ds_read_b64 v[8:9], v3 offset:72
	s_waitcnt lgkmcnt(0)
	v_pk_mul_f32 v[10:11], v[4:5], v[8:9] op_sel:[1,1] op_sel_hi:[0,1]
	v_pk_fma_f32 v[12:13], v[4:5], v[8:9], v[10:11] neg_lo:[0,0,1] neg_hi:[0,0,1]
	v_pk_fma_f32 v[4:5], v[4:5], v[8:9], v[10:11] op_sel_hi:[1,0,1]
	s_nop 0
	v_mov_b32_e32 v13, v5
	scratch_store_dwordx2 off, v[12:13], off offset:72
.LBB102_51:
	s_or_b64 exec, exec, s[0:1]
	; wave barrier
	scratch_load_dwordx2 v[4:5], off, off offset:80
	v_cmp_gt_u32_e32 vcc, 10, v0
	s_waitcnt vmcnt(0)
	ds_write_b64 v1, v[4:5]
	s_waitcnt lgkmcnt(0)
	; wave barrier
	s_and_saveexec_b64 s[0:1], vcc
	s_cbranch_execz .LBB102_55
; %bb.52:
	v_mov_b32_e32 v4, 0
	v_add_u32_e32 v3, -1, v0
	v_add_u32_e32 v7, 0x140, v2
	v_mov_b32_e32 v8, v2
	s_mov_b64 s[4:5], 0
	v_mov_b32_e32 v5, v4
.LBB102_53:                             ; =>This Inner Loop Header: Depth=1
	scratch_load_dwordx2 v[10:11], v8, off
	ds_read_b64 v[12:13], v7
	v_add_u32_e32 v3, 1, v3
	v_cmp_lt_u32_e32 vcc, 8, v3
	v_add_u32_e32 v7, 8, v7
	v_add_u32_e32 v8, 8, v8
	s_or_b64 s[4:5], vcc, s[4:5]
	s_waitcnt vmcnt(0) lgkmcnt(0)
	v_pk_mul_f32 v[14:15], v[12:13], v[10:11] op_sel:[1,1] op_sel_hi:[0,1]
	v_pk_fma_f32 v[16:17], v[12:13], v[10:11], v[14:15] neg_lo:[0,0,1] neg_hi:[0,0,1]
	v_pk_fma_f32 v[10:11], v[12:13], v[10:11], v[14:15] op_sel_hi:[1,0,1]
	s_nop 0
	v_mov_b32_e32 v17, v11
	v_pk_add_f32 v[4:5], v[4:5], v[16:17]
	s_andn2_b64 exec, exec, s[4:5]
	s_cbranch_execnz .LBB102_53
; %bb.54:
	s_or_b64 exec, exec, s[4:5]
	v_mov_b32_e32 v3, 0
	ds_read_b64 v[8:9], v3 offset:80
	s_waitcnt lgkmcnt(0)
	v_pk_mul_f32 v[10:11], v[4:5], v[8:9] op_sel:[1,1] op_sel_hi:[0,1]
	v_pk_fma_f32 v[12:13], v[4:5], v[8:9], v[10:11] neg_lo:[0,0,1] neg_hi:[0,0,1]
	v_pk_fma_f32 v[4:5], v[4:5], v[8:9], v[10:11] op_sel_hi:[1,0,1]
	s_nop 0
	v_mov_b32_e32 v13, v5
	scratch_store_dwordx2 off, v[12:13], off offset:80
.LBB102_55:
	s_or_b64 exec, exec, s[0:1]
	; wave barrier
	scratch_load_dwordx2 v[4:5], off, off offset:88
	v_cmp_gt_u32_e32 vcc, 11, v0
	s_waitcnt vmcnt(0)
	ds_write_b64 v1, v[4:5]
	s_waitcnt lgkmcnt(0)
	; wave barrier
	s_and_saveexec_b64 s[0:1], vcc
	s_cbranch_execz .LBB102_59
; %bb.56:
	v_mov_b32_e32 v4, 0
	v_add_u32_e32 v3, -1, v0
	v_add_u32_e32 v7, 0x140, v2
	v_mov_b32_e32 v8, v2
	s_mov_b64 s[4:5], 0
	v_mov_b32_e32 v5, v4
.LBB102_57:                             ; =>This Inner Loop Header: Depth=1
	scratch_load_dwordx2 v[10:11], v8, off
	ds_read_b64 v[12:13], v7
	v_add_u32_e32 v3, 1, v3
	v_cmp_lt_u32_e32 vcc, 9, v3
	v_add_u32_e32 v7, 8, v7
	v_add_u32_e32 v8, 8, v8
	s_or_b64 s[4:5], vcc, s[4:5]
	s_waitcnt vmcnt(0) lgkmcnt(0)
	v_pk_mul_f32 v[14:15], v[12:13], v[10:11] op_sel:[1,1] op_sel_hi:[0,1]
	v_pk_fma_f32 v[16:17], v[12:13], v[10:11], v[14:15] neg_lo:[0,0,1] neg_hi:[0,0,1]
	v_pk_fma_f32 v[10:11], v[12:13], v[10:11], v[14:15] op_sel_hi:[1,0,1]
	s_nop 0
	v_mov_b32_e32 v17, v11
	v_pk_add_f32 v[4:5], v[4:5], v[16:17]
	s_andn2_b64 exec, exec, s[4:5]
	s_cbranch_execnz .LBB102_57
; %bb.58:
	s_or_b64 exec, exec, s[4:5]
	v_mov_b32_e32 v3, 0
	ds_read_b64 v[8:9], v3 offset:88
	s_waitcnt lgkmcnt(0)
	v_pk_mul_f32 v[10:11], v[4:5], v[8:9] op_sel:[1,1] op_sel_hi:[0,1]
	v_pk_fma_f32 v[12:13], v[4:5], v[8:9], v[10:11] neg_lo:[0,0,1] neg_hi:[0,0,1]
	v_pk_fma_f32 v[4:5], v[4:5], v[8:9], v[10:11] op_sel_hi:[1,0,1]
	s_nop 0
	v_mov_b32_e32 v13, v5
	scratch_store_dwordx2 off, v[12:13], off offset:88
.LBB102_59:
	s_or_b64 exec, exec, s[0:1]
	; wave barrier
	scratch_load_dwordx2 v[4:5], off, off offset:96
	v_cmp_gt_u32_e32 vcc, 12, v0
	s_waitcnt vmcnt(0)
	ds_write_b64 v1, v[4:5]
	s_waitcnt lgkmcnt(0)
	; wave barrier
	s_and_saveexec_b64 s[0:1], vcc
	s_cbranch_execz .LBB102_63
; %bb.60:
	v_mov_b32_e32 v4, 0
	v_add_u32_e32 v3, -1, v0
	v_add_u32_e32 v7, 0x140, v2
	v_mov_b32_e32 v8, v2
	s_mov_b64 s[4:5], 0
	v_mov_b32_e32 v5, v4
.LBB102_61:                             ; =>This Inner Loop Header: Depth=1
	scratch_load_dwordx2 v[10:11], v8, off
	ds_read_b64 v[12:13], v7
	v_add_u32_e32 v3, 1, v3
	v_cmp_lt_u32_e32 vcc, 10, v3
	v_add_u32_e32 v7, 8, v7
	v_add_u32_e32 v8, 8, v8
	s_or_b64 s[4:5], vcc, s[4:5]
	s_waitcnt vmcnt(0) lgkmcnt(0)
	v_pk_mul_f32 v[14:15], v[12:13], v[10:11] op_sel:[1,1] op_sel_hi:[0,1]
	v_pk_fma_f32 v[16:17], v[12:13], v[10:11], v[14:15] neg_lo:[0,0,1] neg_hi:[0,0,1]
	v_pk_fma_f32 v[10:11], v[12:13], v[10:11], v[14:15] op_sel_hi:[1,0,1]
	s_nop 0
	v_mov_b32_e32 v17, v11
	v_pk_add_f32 v[4:5], v[4:5], v[16:17]
	s_andn2_b64 exec, exec, s[4:5]
	s_cbranch_execnz .LBB102_61
; %bb.62:
	s_or_b64 exec, exec, s[4:5]
	v_mov_b32_e32 v3, 0
	ds_read_b64 v[8:9], v3 offset:96
	s_waitcnt lgkmcnt(0)
	v_pk_mul_f32 v[10:11], v[4:5], v[8:9] op_sel:[1,1] op_sel_hi:[0,1]
	v_pk_fma_f32 v[12:13], v[4:5], v[8:9], v[10:11] neg_lo:[0,0,1] neg_hi:[0,0,1]
	v_pk_fma_f32 v[4:5], v[4:5], v[8:9], v[10:11] op_sel_hi:[1,0,1]
	s_nop 0
	v_mov_b32_e32 v13, v5
	scratch_store_dwordx2 off, v[12:13], off offset:96
.LBB102_63:
	s_or_b64 exec, exec, s[0:1]
	; wave barrier
	scratch_load_dwordx2 v[4:5], off, off offset:104
	v_cmp_gt_u32_e32 vcc, 13, v0
	s_waitcnt vmcnt(0)
	ds_write_b64 v1, v[4:5]
	s_waitcnt lgkmcnt(0)
	; wave barrier
	s_and_saveexec_b64 s[0:1], vcc
	s_cbranch_execz .LBB102_67
; %bb.64:
	v_mov_b32_e32 v4, 0
	v_add_u32_e32 v3, -1, v0
	v_add_u32_e32 v7, 0x140, v2
	v_mov_b32_e32 v8, v2
	s_mov_b64 s[4:5], 0
	v_mov_b32_e32 v5, v4
.LBB102_65:                             ; =>This Inner Loop Header: Depth=1
	scratch_load_dwordx2 v[10:11], v8, off
	ds_read_b64 v[12:13], v7
	v_add_u32_e32 v3, 1, v3
	v_cmp_lt_u32_e32 vcc, 11, v3
	v_add_u32_e32 v7, 8, v7
	v_add_u32_e32 v8, 8, v8
	s_or_b64 s[4:5], vcc, s[4:5]
	s_waitcnt vmcnt(0) lgkmcnt(0)
	v_pk_mul_f32 v[14:15], v[12:13], v[10:11] op_sel:[1,1] op_sel_hi:[0,1]
	v_pk_fma_f32 v[16:17], v[12:13], v[10:11], v[14:15] neg_lo:[0,0,1] neg_hi:[0,0,1]
	v_pk_fma_f32 v[10:11], v[12:13], v[10:11], v[14:15] op_sel_hi:[1,0,1]
	s_nop 0
	v_mov_b32_e32 v17, v11
	v_pk_add_f32 v[4:5], v[4:5], v[16:17]
	s_andn2_b64 exec, exec, s[4:5]
	s_cbranch_execnz .LBB102_65
; %bb.66:
	s_or_b64 exec, exec, s[4:5]
	v_mov_b32_e32 v3, 0
	ds_read_b64 v[8:9], v3 offset:104
	s_waitcnt lgkmcnt(0)
	v_pk_mul_f32 v[10:11], v[4:5], v[8:9] op_sel:[1,1] op_sel_hi:[0,1]
	v_pk_fma_f32 v[12:13], v[4:5], v[8:9], v[10:11] neg_lo:[0,0,1] neg_hi:[0,0,1]
	v_pk_fma_f32 v[4:5], v[4:5], v[8:9], v[10:11] op_sel_hi:[1,0,1]
	s_nop 0
	v_mov_b32_e32 v13, v5
	scratch_store_dwordx2 off, v[12:13], off offset:104
.LBB102_67:
	s_or_b64 exec, exec, s[0:1]
	; wave barrier
	scratch_load_dwordx2 v[4:5], off, off offset:112
	v_cmp_gt_u32_e32 vcc, 14, v0
	s_waitcnt vmcnt(0)
	ds_write_b64 v1, v[4:5]
	s_waitcnt lgkmcnt(0)
	; wave barrier
	s_and_saveexec_b64 s[0:1], vcc
	s_cbranch_execz .LBB102_71
; %bb.68:
	v_mov_b32_e32 v4, 0
	v_add_u32_e32 v3, -1, v0
	v_add_u32_e32 v7, 0x140, v2
	v_mov_b32_e32 v8, v2
	s_mov_b64 s[4:5], 0
	v_mov_b32_e32 v5, v4
.LBB102_69:                             ; =>This Inner Loop Header: Depth=1
	scratch_load_dwordx2 v[10:11], v8, off
	ds_read_b64 v[12:13], v7
	v_add_u32_e32 v3, 1, v3
	v_cmp_lt_u32_e32 vcc, 12, v3
	v_add_u32_e32 v7, 8, v7
	v_add_u32_e32 v8, 8, v8
	s_or_b64 s[4:5], vcc, s[4:5]
	s_waitcnt vmcnt(0) lgkmcnt(0)
	v_pk_mul_f32 v[14:15], v[12:13], v[10:11] op_sel:[1,1] op_sel_hi:[0,1]
	v_pk_fma_f32 v[16:17], v[12:13], v[10:11], v[14:15] neg_lo:[0,0,1] neg_hi:[0,0,1]
	v_pk_fma_f32 v[10:11], v[12:13], v[10:11], v[14:15] op_sel_hi:[1,0,1]
	s_nop 0
	v_mov_b32_e32 v17, v11
	v_pk_add_f32 v[4:5], v[4:5], v[16:17]
	s_andn2_b64 exec, exec, s[4:5]
	s_cbranch_execnz .LBB102_69
; %bb.70:
	s_or_b64 exec, exec, s[4:5]
	v_mov_b32_e32 v3, 0
	ds_read_b64 v[8:9], v3 offset:112
	s_waitcnt lgkmcnt(0)
	v_pk_mul_f32 v[10:11], v[4:5], v[8:9] op_sel:[1,1] op_sel_hi:[0,1]
	v_pk_fma_f32 v[12:13], v[4:5], v[8:9], v[10:11] neg_lo:[0,0,1] neg_hi:[0,0,1]
	v_pk_fma_f32 v[4:5], v[4:5], v[8:9], v[10:11] op_sel_hi:[1,0,1]
	s_nop 0
	v_mov_b32_e32 v13, v5
	scratch_store_dwordx2 off, v[12:13], off offset:112
.LBB102_71:
	s_or_b64 exec, exec, s[0:1]
	; wave barrier
	scratch_load_dwordx2 v[4:5], off, off offset:120
	v_cmp_gt_u32_e32 vcc, 15, v0
	s_waitcnt vmcnt(0)
	ds_write_b64 v1, v[4:5]
	s_waitcnt lgkmcnt(0)
	; wave barrier
	s_and_saveexec_b64 s[0:1], vcc
	s_cbranch_execz .LBB102_75
; %bb.72:
	v_mov_b32_e32 v4, 0
	v_add_u32_e32 v3, -1, v0
	v_add_u32_e32 v7, 0x140, v2
	v_mov_b32_e32 v8, v2
	s_mov_b64 s[4:5], 0
	v_mov_b32_e32 v5, v4
.LBB102_73:                             ; =>This Inner Loop Header: Depth=1
	scratch_load_dwordx2 v[10:11], v8, off
	ds_read_b64 v[12:13], v7
	v_add_u32_e32 v3, 1, v3
	v_cmp_lt_u32_e32 vcc, 13, v3
	v_add_u32_e32 v7, 8, v7
	v_add_u32_e32 v8, 8, v8
	s_or_b64 s[4:5], vcc, s[4:5]
	s_waitcnt vmcnt(0) lgkmcnt(0)
	v_pk_mul_f32 v[14:15], v[12:13], v[10:11] op_sel:[1,1] op_sel_hi:[0,1]
	v_pk_fma_f32 v[16:17], v[12:13], v[10:11], v[14:15] neg_lo:[0,0,1] neg_hi:[0,0,1]
	v_pk_fma_f32 v[10:11], v[12:13], v[10:11], v[14:15] op_sel_hi:[1,0,1]
	s_nop 0
	v_mov_b32_e32 v17, v11
	v_pk_add_f32 v[4:5], v[4:5], v[16:17]
	s_andn2_b64 exec, exec, s[4:5]
	s_cbranch_execnz .LBB102_73
; %bb.74:
	s_or_b64 exec, exec, s[4:5]
	v_mov_b32_e32 v3, 0
	ds_read_b64 v[8:9], v3 offset:120
	s_waitcnt lgkmcnt(0)
	v_pk_mul_f32 v[10:11], v[4:5], v[8:9] op_sel:[1,1] op_sel_hi:[0,1]
	v_pk_fma_f32 v[12:13], v[4:5], v[8:9], v[10:11] neg_lo:[0,0,1] neg_hi:[0,0,1]
	v_pk_fma_f32 v[4:5], v[4:5], v[8:9], v[10:11] op_sel_hi:[1,0,1]
	s_nop 0
	v_mov_b32_e32 v13, v5
	scratch_store_dwordx2 off, v[12:13], off offset:120
.LBB102_75:
	s_or_b64 exec, exec, s[0:1]
	; wave barrier
	scratch_load_dwordx2 v[4:5], off, off offset:128
	v_cmp_gt_u32_e32 vcc, 16, v0
	s_waitcnt vmcnt(0)
	ds_write_b64 v1, v[4:5]
	s_waitcnt lgkmcnt(0)
	; wave barrier
	s_and_saveexec_b64 s[0:1], vcc
	s_cbranch_execz .LBB102_79
; %bb.76:
	v_mov_b32_e32 v4, 0
	v_add_u32_e32 v3, -1, v0
	v_add_u32_e32 v7, 0x140, v2
	v_mov_b32_e32 v8, v2
	s_mov_b64 s[4:5], 0
	v_mov_b32_e32 v5, v4
.LBB102_77:                             ; =>This Inner Loop Header: Depth=1
	scratch_load_dwordx2 v[10:11], v8, off
	ds_read_b64 v[12:13], v7
	v_add_u32_e32 v3, 1, v3
	v_cmp_lt_u32_e32 vcc, 14, v3
	v_add_u32_e32 v7, 8, v7
	v_add_u32_e32 v8, 8, v8
	s_or_b64 s[4:5], vcc, s[4:5]
	s_waitcnt vmcnt(0) lgkmcnt(0)
	v_pk_mul_f32 v[14:15], v[12:13], v[10:11] op_sel:[1,1] op_sel_hi:[0,1]
	v_pk_fma_f32 v[16:17], v[12:13], v[10:11], v[14:15] neg_lo:[0,0,1] neg_hi:[0,0,1]
	v_pk_fma_f32 v[10:11], v[12:13], v[10:11], v[14:15] op_sel_hi:[1,0,1]
	s_nop 0
	v_mov_b32_e32 v17, v11
	v_pk_add_f32 v[4:5], v[4:5], v[16:17]
	s_andn2_b64 exec, exec, s[4:5]
	s_cbranch_execnz .LBB102_77
; %bb.78:
	s_or_b64 exec, exec, s[4:5]
	v_mov_b32_e32 v3, 0
	ds_read_b64 v[8:9], v3 offset:128
	s_waitcnt lgkmcnt(0)
	v_pk_mul_f32 v[10:11], v[4:5], v[8:9] op_sel:[1,1] op_sel_hi:[0,1]
	v_pk_fma_f32 v[12:13], v[4:5], v[8:9], v[10:11] neg_lo:[0,0,1] neg_hi:[0,0,1]
	v_pk_fma_f32 v[4:5], v[4:5], v[8:9], v[10:11] op_sel_hi:[1,0,1]
	s_nop 0
	v_mov_b32_e32 v13, v5
	scratch_store_dwordx2 off, v[12:13], off offset:128
.LBB102_79:
	s_or_b64 exec, exec, s[0:1]
	; wave barrier
	scratch_load_dwordx2 v[4:5], off, off offset:136
	v_cmp_gt_u32_e32 vcc, 17, v0
	s_waitcnt vmcnt(0)
	ds_write_b64 v1, v[4:5]
	s_waitcnt lgkmcnt(0)
	; wave barrier
	s_and_saveexec_b64 s[0:1], vcc
	s_cbranch_execz .LBB102_83
; %bb.80:
	v_mov_b32_e32 v4, 0
	v_add_u32_e32 v3, -1, v0
	v_add_u32_e32 v7, 0x140, v2
	v_mov_b32_e32 v8, v2
	s_mov_b64 s[4:5], 0
	v_mov_b32_e32 v5, v4
.LBB102_81:                             ; =>This Inner Loop Header: Depth=1
	scratch_load_dwordx2 v[10:11], v8, off
	ds_read_b64 v[12:13], v7
	v_add_u32_e32 v3, 1, v3
	v_cmp_lt_u32_e32 vcc, 15, v3
	v_add_u32_e32 v7, 8, v7
	v_add_u32_e32 v8, 8, v8
	s_or_b64 s[4:5], vcc, s[4:5]
	s_waitcnt vmcnt(0) lgkmcnt(0)
	v_pk_mul_f32 v[14:15], v[12:13], v[10:11] op_sel:[1,1] op_sel_hi:[0,1]
	v_pk_fma_f32 v[16:17], v[12:13], v[10:11], v[14:15] neg_lo:[0,0,1] neg_hi:[0,0,1]
	v_pk_fma_f32 v[10:11], v[12:13], v[10:11], v[14:15] op_sel_hi:[1,0,1]
	s_nop 0
	v_mov_b32_e32 v17, v11
	v_pk_add_f32 v[4:5], v[4:5], v[16:17]
	s_andn2_b64 exec, exec, s[4:5]
	s_cbranch_execnz .LBB102_81
; %bb.82:
	s_or_b64 exec, exec, s[4:5]
	v_mov_b32_e32 v3, 0
	ds_read_b64 v[8:9], v3 offset:136
	s_waitcnt lgkmcnt(0)
	v_pk_mul_f32 v[10:11], v[4:5], v[8:9] op_sel:[1,1] op_sel_hi:[0,1]
	v_pk_fma_f32 v[12:13], v[4:5], v[8:9], v[10:11] neg_lo:[0,0,1] neg_hi:[0,0,1]
	v_pk_fma_f32 v[4:5], v[4:5], v[8:9], v[10:11] op_sel_hi:[1,0,1]
	s_nop 0
	v_mov_b32_e32 v13, v5
	scratch_store_dwordx2 off, v[12:13], off offset:136
.LBB102_83:
	s_or_b64 exec, exec, s[0:1]
	; wave barrier
	scratch_load_dwordx2 v[4:5], off, off offset:144
	v_cmp_gt_u32_e32 vcc, 18, v0
	s_waitcnt vmcnt(0)
	ds_write_b64 v1, v[4:5]
	s_waitcnt lgkmcnt(0)
	; wave barrier
	s_and_saveexec_b64 s[0:1], vcc
	s_cbranch_execz .LBB102_87
; %bb.84:
	v_mov_b32_e32 v4, 0
	v_add_u32_e32 v3, -1, v0
	v_add_u32_e32 v7, 0x140, v2
	v_mov_b32_e32 v8, v2
	s_mov_b64 s[4:5], 0
	v_mov_b32_e32 v5, v4
.LBB102_85:                             ; =>This Inner Loop Header: Depth=1
	scratch_load_dwordx2 v[10:11], v8, off
	ds_read_b64 v[12:13], v7
	v_add_u32_e32 v3, 1, v3
	v_cmp_lt_u32_e32 vcc, 16, v3
	v_add_u32_e32 v7, 8, v7
	v_add_u32_e32 v8, 8, v8
	s_or_b64 s[4:5], vcc, s[4:5]
	s_waitcnt vmcnt(0) lgkmcnt(0)
	v_pk_mul_f32 v[14:15], v[12:13], v[10:11] op_sel:[1,1] op_sel_hi:[0,1]
	v_pk_fma_f32 v[16:17], v[12:13], v[10:11], v[14:15] neg_lo:[0,0,1] neg_hi:[0,0,1]
	v_pk_fma_f32 v[10:11], v[12:13], v[10:11], v[14:15] op_sel_hi:[1,0,1]
	s_nop 0
	v_mov_b32_e32 v17, v11
	v_pk_add_f32 v[4:5], v[4:5], v[16:17]
	s_andn2_b64 exec, exec, s[4:5]
	s_cbranch_execnz .LBB102_85
; %bb.86:
	s_or_b64 exec, exec, s[4:5]
	v_mov_b32_e32 v3, 0
	ds_read_b64 v[8:9], v3 offset:144
	s_waitcnt lgkmcnt(0)
	v_pk_mul_f32 v[10:11], v[4:5], v[8:9] op_sel:[1,1] op_sel_hi:[0,1]
	v_pk_fma_f32 v[12:13], v[4:5], v[8:9], v[10:11] neg_lo:[0,0,1] neg_hi:[0,0,1]
	v_pk_fma_f32 v[4:5], v[4:5], v[8:9], v[10:11] op_sel_hi:[1,0,1]
	s_nop 0
	v_mov_b32_e32 v13, v5
	scratch_store_dwordx2 off, v[12:13], off offset:144
.LBB102_87:
	s_or_b64 exec, exec, s[0:1]
	; wave barrier
	scratch_load_dwordx2 v[4:5], off, off offset:152
	v_cmp_gt_u32_e32 vcc, 19, v0
	s_waitcnt vmcnt(0)
	ds_write_b64 v1, v[4:5]
	s_waitcnt lgkmcnt(0)
	; wave barrier
	s_and_saveexec_b64 s[0:1], vcc
	s_cbranch_execz .LBB102_91
; %bb.88:
	v_mov_b32_e32 v4, 0
	v_add_u32_e32 v3, -1, v0
	v_add_u32_e32 v7, 0x140, v2
	v_mov_b32_e32 v8, v2
	s_mov_b64 s[4:5], 0
	v_mov_b32_e32 v5, v4
.LBB102_89:                             ; =>This Inner Loop Header: Depth=1
	scratch_load_dwordx2 v[10:11], v8, off
	ds_read_b64 v[12:13], v7
	v_add_u32_e32 v3, 1, v3
	v_cmp_lt_u32_e32 vcc, 17, v3
	v_add_u32_e32 v7, 8, v7
	v_add_u32_e32 v8, 8, v8
	s_or_b64 s[4:5], vcc, s[4:5]
	s_waitcnt vmcnt(0) lgkmcnt(0)
	v_pk_mul_f32 v[14:15], v[12:13], v[10:11] op_sel:[1,1] op_sel_hi:[0,1]
	v_pk_fma_f32 v[16:17], v[12:13], v[10:11], v[14:15] neg_lo:[0,0,1] neg_hi:[0,0,1]
	v_pk_fma_f32 v[10:11], v[12:13], v[10:11], v[14:15] op_sel_hi:[1,0,1]
	s_nop 0
	v_mov_b32_e32 v17, v11
	v_pk_add_f32 v[4:5], v[4:5], v[16:17]
	s_andn2_b64 exec, exec, s[4:5]
	s_cbranch_execnz .LBB102_89
; %bb.90:
	s_or_b64 exec, exec, s[4:5]
	v_mov_b32_e32 v3, 0
	ds_read_b64 v[8:9], v3 offset:152
	s_waitcnt lgkmcnt(0)
	v_pk_mul_f32 v[10:11], v[4:5], v[8:9] op_sel:[1,1] op_sel_hi:[0,1]
	v_pk_fma_f32 v[12:13], v[4:5], v[8:9], v[10:11] neg_lo:[0,0,1] neg_hi:[0,0,1]
	v_pk_fma_f32 v[4:5], v[4:5], v[8:9], v[10:11] op_sel_hi:[1,0,1]
	s_nop 0
	v_mov_b32_e32 v13, v5
	scratch_store_dwordx2 off, v[12:13], off offset:152
.LBB102_91:
	s_or_b64 exec, exec, s[0:1]
	; wave barrier
	scratch_load_dwordx2 v[4:5], off, off offset:160
	v_cmp_gt_u32_e32 vcc, 20, v0
	s_waitcnt vmcnt(0)
	ds_write_b64 v1, v[4:5]
	s_waitcnt lgkmcnt(0)
	; wave barrier
	s_and_saveexec_b64 s[0:1], vcc
	s_cbranch_execz .LBB102_95
; %bb.92:
	v_mov_b32_e32 v4, 0
	v_add_u32_e32 v3, -1, v0
	v_add_u32_e32 v7, 0x140, v2
	v_mov_b32_e32 v8, v2
	s_mov_b64 s[4:5], 0
	v_mov_b32_e32 v5, v4
.LBB102_93:                             ; =>This Inner Loop Header: Depth=1
	scratch_load_dwordx2 v[10:11], v8, off
	ds_read_b64 v[12:13], v7
	v_add_u32_e32 v3, 1, v3
	v_cmp_lt_u32_e32 vcc, 18, v3
	v_add_u32_e32 v7, 8, v7
	v_add_u32_e32 v8, 8, v8
	s_or_b64 s[4:5], vcc, s[4:5]
	s_waitcnt vmcnt(0) lgkmcnt(0)
	v_pk_mul_f32 v[14:15], v[12:13], v[10:11] op_sel:[1,1] op_sel_hi:[0,1]
	v_pk_fma_f32 v[16:17], v[12:13], v[10:11], v[14:15] neg_lo:[0,0,1] neg_hi:[0,0,1]
	v_pk_fma_f32 v[10:11], v[12:13], v[10:11], v[14:15] op_sel_hi:[1,0,1]
	s_nop 0
	v_mov_b32_e32 v17, v11
	v_pk_add_f32 v[4:5], v[4:5], v[16:17]
	s_andn2_b64 exec, exec, s[4:5]
	s_cbranch_execnz .LBB102_93
; %bb.94:
	s_or_b64 exec, exec, s[4:5]
	v_mov_b32_e32 v3, 0
	ds_read_b64 v[8:9], v3 offset:160
	s_waitcnt lgkmcnt(0)
	v_pk_mul_f32 v[10:11], v[4:5], v[8:9] op_sel:[1,1] op_sel_hi:[0,1]
	v_pk_fma_f32 v[12:13], v[4:5], v[8:9], v[10:11] neg_lo:[0,0,1] neg_hi:[0,0,1]
	v_pk_fma_f32 v[4:5], v[4:5], v[8:9], v[10:11] op_sel_hi:[1,0,1]
	s_nop 0
	v_mov_b32_e32 v13, v5
	scratch_store_dwordx2 off, v[12:13], off offset:160
.LBB102_95:
	s_or_b64 exec, exec, s[0:1]
	; wave barrier
	scratch_load_dwordx2 v[4:5], off, off offset:168
	v_cmp_gt_u32_e32 vcc, 21, v0
	s_waitcnt vmcnt(0)
	ds_write_b64 v1, v[4:5]
	s_waitcnt lgkmcnt(0)
	; wave barrier
	s_and_saveexec_b64 s[0:1], vcc
	s_cbranch_execz .LBB102_99
; %bb.96:
	v_mov_b32_e32 v4, 0
	v_add_u32_e32 v3, -1, v0
	v_add_u32_e32 v7, 0x140, v2
	v_mov_b32_e32 v8, v2
	s_mov_b64 s[4:5], 0
	v_mov_b32_e32 v5, v4
.LBB102_97:                             ; =>This Inner Loop Header: Depth=1
	scratch_load_dwordx2 v[10:11], v8, off
	ds_read_b64 v[12:13], v7
	v_add_u32_e32 v3, 1, v3
	v_cmp_lt_u32_e32 vcc, 19, v3
	v_add_u32_e32 v7, 8, v7
	v_add_u32_e32 v8, 8, v8
	s_or_b64 s[4:5], vcc, s[4:5]
	s_waitcnt vmcnt(0) lgkmcnt(0)
	v_pk_mul_f32 v[14:15], v[12:13], v[10:11] op_sel:[1,1] op_sel_hi:[0,1]
	v_pk_fma_f32 v[16:17], v[12:13], v[10:11], v[14:15] neg_lo:[0,0,1] neg_hi:[0,0,1]
	v_pk_fma_f32 v[10:11], v[12:13], v[10:11], v[14:15] op_sel_hi:[1,0,1]
	s_nop 0
	v_mov_b32_e32 v17, v11
	v_pk_add_f32 v[4:5], v[4:5], v[16:17]
	s_andn2_b64 exec, exec, s[4:5]
	s_cbranch_execnz .LBB102_97
; %bb.98:
	s_or_b64 exec, exec, s[4:5]
	v_mov_b32_e32 v3, 0
	ds_read_b64 v[8:9], v3 offset:168
	s_waitcnt lgkmcnt(0)
	v_pk_mul_f32 v[10:11], v[4:5], v[8:9] op_sel:[1,1] op_sel_hi:[0,1]
	v_pk_fma_f32 v[12:13], v[4:5], v[8:9], v[10:11] neg_lo:[0,0,1] neg_hi:[0,0,1]
	v_pk_fma_f32 v[4:5], v[4:5], v[8:9], v[10:11] op_sel_hi:[1,0,1]
	s_nop 0
	v_mov_b32_e32 v13, v5
	scratch_store_dwordx2 off, v[12:13], off offset:168
.LBB102_99:
	s_or_b64 exec, exec, s[0:1]
	; wave barrier
	scratch_load_dwordx2 v[4:5], off, off offset:176
	v_cmp_gt_u32_e32 vcc, 22, v0
	s_waitcnt vmcnt(0)
	ds_write_b64 v1, v[4:5]
	s_waitcnt lgkmcnt(0)
	; wave barrier
	s_and_saveexec_b64 s[0:1], vcc
	s_cbranch_execz .LBB102_103
; %bb.100:
	v_mov_b32_e32 v4, 0
	v_add_u32_e32 v3, -1, v0
	v_add_u32_e32 v7, 0x140, v2
	v_mov_b32_e32 v8, v2
	s_mov_b64 s[4:5], 0
	v_mov_b32_e32 v5, v4
.LBB102_101:                            ; =>This Inner Loop Header: Depth=1
	scratch_load_dwordx2 v[10:11], v8, off
	ds_read_b64 v[12:13], v7
	v_add_u32_e32 v3, 1, v3
	v_cmp_lt_u32_e32 vcc, 20, v3
	v_add_u32_e32 v7, 8, v7
	v_add_u32_e32 v8, 8, v8
	s_or_b64 s[4:5], vcc, s[4:5]
	s_waitcnt vmcnt(0) lgkmcnt(0)
	v_pk_mul_f32 v[14:15], v[12:13], v[10:11] op_sel:[1,1] op_sel_hi:[0,1]
	v_pk_fma_f32 v[16:17], v[12:13], v[10:11], v[14:15] neg_lo:[0,0,1] neg_hi:[0,0,1]
	v_pk_fma_f32 v[10:11], v[12:13], v[10:11], v[14:15] op_sel_hi:[1,0,1]
	s_nop 0
	v_mov_b32_e32 v17, v11
	v_pk_add_f32 v[4:5], v[4:5], v[16:17]
	s_andn2_b64 exec, exec, s[4:5]
	s_cbranch_execnz .LBB102_101
; %bb.102:
	s_or_b64 exec, exec, s[4:5]
	v_mov_b32_e32 v3, 0
	ds_read_b64 v[8:9], v3 offset:176
	s_waitcnt lgkmcnt(0)
	v_pk_mul_f32 v[10:11], v[4:5], v[8:9] op_sel:[1,1] op_sel_hi:[0,1]
	v_pk_fma_f32 v[12:13], v[4:5], v[8:9], v[10:11] neg_lo:[0,0,1] neg_hi:[0,0,1]
	v_pk_fma_f32 v[4:5], v[4:5], v[8:9], v[10:11] op_sel_hi:[1,0,1]
	s_nop 0
	v_mov_b32_e32 v13, v5
	scratch_store_dwordx2 off, v[12:13], off offset:176
.LBB102_103:
	s_or_b64 exec, exec, s[0:1]
	; wave barrier
	scratch_load_dwordx2 v[4:5], off, off offset:184
	v_cmp_gt_u32_e32 vcc, 23, v0
	s_waitcnt vmcnt(0)
	ds_write_b64 v1, v[4:5]
	s_waitcnt lgkmcnt(0)
	; wave barrier
	s_and_saveexec_b64 s[0:1], vcc
	s_cbranch_execz .LBB102_107
; %bb.104:
	v_mov_b32_e32 v4, 0
	v_add_u32_e32 v3, -1, v0
	v_add_u32_e32 v7, 0x140, v2
	v_mov_b32_e32 v8, v2
	s_mov_b64 s[4:5], 0
	v_mov_b32_e32 v5, v4
.LBB102_105:                            ; =>This Inner Loop Header: Depth=1
	scratch_load_dwordx2 v[10:11], v8, off
	ds_read_b64 v[12:13], v7
	v_add_u32_e32 v3, 1, v3
	v_cmp_lt_u32_e32 vcc, 21, v3
	v_add_u32_e32 v7, 8, v7
	v_add_u32_e32 v8, 8, v8
	s_or_b64 s[4:5], vcc, s[4:5]
	s_waitcnt vmcnt(0) lgkmcnt(0)
	v_pk_mul_f32 v[14:15], v[12:13], v[10:11] op_sel:[1,1] op_sel_hi:[0,1]
	v_pk_fma_f32 v[16:17], v[12:13], v[10:11], v[14:15] neg_lo:[0,0,1] neg_hi:[0,0,1]
	v_pk_fma_f32 v[10:11], v[12:13], v[10:11], v[14:15] op_sel_hi:[1,0,1]
	s_nop 0
	v_mov_b32_e32 v17, v11
	v_pk_add_f32 v[4:5], v[4:5], v[16:17]
	s_andn2_b64 exec, exec, s[4:5]
	s_cbranch_execnz .LBB102_105
; %bb.106:
	s_or_b64 exec, exec, s[4:5]
	v_mov_b32_e32 v3, 0
	ds_read_b64 v[8:9], v3 offset:184
	s_waitcnt lgkmcnt(0)
	v_pk_mul_f32 v[10:11], v[4:5], v[8:9] op_sel:[1,1] op_sel_hi:[0,1]
	v_pk_fma_f32 v[12:13], v[4:5], v[8:9], v[10:11] neg_lo:[0,0,1] neg_hi:[0,0,1]
	v_pk_fma_f32 v[4:5], v[4:5], v[8:9], v[10:11] op_sel_hi:[1,0,1]
	s_nop 0
	v_mov_b32_e32 v13, v5
	scratch_store_dwordx2 off, v[12:13], off offset:184
.LBB102_107:
	s_or_b64 exec, exec, s[0:1]
	; wave barrier
	scratch_load_dwordx2 v[4:5], off, off offset:192
	v_cmp_gt_u32_e32 vcc, 24, v0
	;; [unrolled: 46-line block ×15, first 2 shown]
	s_waitcnt vmcnt(0)
	ds_write_b64 v1, v[4:5]
	s_waitcnt lgkmcnt(0)
	; wave barrier
	s_and_saveexec_b64 s[0:1], vcc
	s_cbranch_execz .LBB102_163
; %bb.160:
	v_mov_b32_e32 v4, 0
	v_add_u32_e32 v3, -1, v0
	v_add_u32_e32 v7, 0x140, v2
	v_mov_b32_e32 v8, v2
	s_mov_b64 s[4:5], 0
	v_mov_b32_e32 v5, v4
.LBB102_161:                            ; =>This Inner Loop Header: Depth=1
	scratch_load_dwordx2 v[10:11], v8, off
	ds_read_b64 v[12:13], v7
	v_add_u32_e32 v3, 1, v3
	v_cmp_lt_u32_e32 vcc, 35, v3
	v_add_u32_e32 v7, 8, v7
	v_add_u32_e32 v8, 8, v8
	s_or_b64 s[4:5], vcc, s[4:5]
	s_waitcnt vmcnt(0) lgkmcnt(0)
	v_pk_mul_f32 v[14:15], v[12:13], v[10:11] op_sel:[1,1] op_sel_hi:[0,1]
	v_pk_fma_f32 v[16:17], v[12:13], v[10:11], v[14:15] neg_lo:[0,0,1] neg_hi:[0,0,1]
	v_pk_fma_f32 v[10:11], v[12:13], v[10:11], v[14:15] op_sel_hi:[1,0,1]
	s_nop 0
	v_mov_b32_e32 v17, v11
	v_pk_add_f32 v[4:5], v[4:5], v[16:17]
	s_andn2_b64 exec, exec, s[4:5]
	s_cbranch_execnz .LBB102_161
; %bb.162:
	s_or_b64 exec, exec, s[4:5]
	v_mov_b32_e32 v3, 0
	ds_read_b64 v[8:9], v3 offset:296
	s_waitcnt lgkmcnt(0)
	v_pk_mul_f32 v[10:11], v[4:5], v[8:9] op_sel:[1,1] op_sel_hi:[0,1]
	v_pk_fma_f32 v[12:13], v[4:5], v[8:9], v[10:11] neg_lo:[0,0,1] neg_hi:[0,0,1]
	v_pk_fma_f32 v[4:5], v[4:5], v[8:9], v[10:11] op_sel_hi:[1,0,1]
	s_nop 0
	v_mov_b32_e32 v13, v5
	scratch_store_dwordx2 off, v[12:13], off offset:296
.LBB102_163:
	s_or_b64 exec, exec, s[0:1]
	; wave barrier
	scratch_load_dwordx2 v[4:5], off, off offset:304
	v_cmp_ne_u32_e32 vcc, 38, v0
	s_waitcnt vmcnt(0)
	ds_write_b64 v1, v[4:5]
	s_waitcnt lgkmcnt(0)
	; wave barrier
	s_and_saveexec_b64 s[0:1], vcc
	s_cbranch_execz .LBB102_167
; %bb.164:
	v_add_u32_e32 v1, 0x140, v2
	v_mov_b32_e32 v4, v2
	v_mov_b32_e32 v2, 0
	s_mov_b64 s[4:5], 0
	v_mov_b32_e32 v3, v2
.LBB102_165:                            ; =>This Inner Loop Header: Depth=1
	scratch_load_dwordx2 v[8:9], v4, off
	ds_read_b64 v[10:11], v1
	v_add_u32_e32 v6, 1, v6
	v_cmp_lt_u32_e32 vcc, 36, v6
	v_add_u32_e32 v1, 8, v1
	v_add_u32_e32 v4, 8, v4
	s_or_b64 s[4:5], vcc, s[4:5]
	s_waitcnt vmcnt(0) lgkmcnt(0)
	v_pk_mul_f32 v[12:13], v[10:11], v[8:9] op_sel:[1,1] op_sel_hi:[0,1]
	v_pk_fma_f32 v[14:15], v[10:11], v[8:9], v[12:13] neg_lo:[0,0,1] neg_hi:[0,0,1]
	v_pk_fma_f32 v[8:9], v[10:11], v[8:9], v[12:13] op_sel_hi:[1,0,1]
	s_nop 0
	v_mov_b32_e32 v15, v9
	v_pk_add_f32 v[2:3], v[2:3], v[14:15]
	s_andn2_b64 exec, exec, s[4:5]
	s_cbranch_execnz .LBB102_165
; %bb.166:
	s_or_b64 exec, exec, s[4:5]
	v_mov_b32_e32 v1, 0
	ds_read_b64 v[4:5], v1 offset:304
	s_waitcnt lgkmcnt(0)
	v_pk_mul_f32 v[6:7], v[2:3], v[4:5] op_sel:[1,1] op_sel_hi:[0,1]
	v_pk_fma_f32 v[8:9], v[2:3], v[4:5], v[6:7] neg_lo:[0,0,1] neg_hi:[0,0,1]
	v_pk_fma_f32 v[2:3], v[2:3], v[4:5], v[6:7] op_sel_hi:[1,0,1]
	s_nop 0
	v_mov_b32_e32 v9, v3
	scratch_store_dwordx2 off, v[8:9], off offset:304
.LBB102_167:
	s_or_b64 exec, exec, s[0:1]
	s_mov_b64 s[4:5], -1
	; wave barrier
.LBB102_168:
	s_and_b64 vcc, exec, s[4:5]
	s_cbranch_vccz .LBB102_170
; %bb.169:
	s_lshl_b64 s[0:1], s[2:3], 2
	s_add_u32 s0, s6, s0
	s_addc_u32 s1, s7, s1
	v_mov_b32_e32 v1, 0
	global_load_dword v1, v1, s[0:1]
	s_waitcnt vmcnt(0)
	v_cmp_ne_u32_e32 vcc, 0, v1
	s_cbranch_vccz .LBB102_171
.LBB102_170:
	s_endpgm
.LBB102_171:
	v_mov_b32_e32 v1, 0x140
	v_lshl_add_u32 v1, v0, 3, v1
	v_cmp_eq_u32_e32 vcc, 38, v0
	s_and_saveexec_b64 s[0:1], vcc
	s_cbranch_execz .LBB102_173
; %bb.172:
	scratch_load_dwordx2 v[2:3], off, off offset:296
	v_mov_b32_e32 v4, 0
	v_mov_b32_e32 v5, v4
	scratch_store_dwordx2 off, v[4:5], off offset:296
	s_waitcnt vmcnt(1)
	ds_write_b64 v1, v[2:3]
.LBB102_173:
	s_or_b64 exec, exec, s[0:1]
	s_waitcnt lgkmcnt(0)
	; wave barrier
	scratch_load_dwordx2 v[4:5], off, off offset:304
	scratch_load_dwordx2 v[6:7], off, off offset:296
	v_mov_b32_e32 v2, 0
	ds_read_b64 v[8:9], v2 offset:624
	v_cmp_lt_u32_e32 vcc, 36, v0
	s_waitcnt vmcnt(1) lgkmcnt(0)
	v_pk_mul_f32 v[10:11], v[8:9], v[4:5] op_sel:[1,1] op_sel_hi:[0,1]
	v_pk_fma_f32 v[12:13], v[8:9], v[4:5], v[10:11] neg_lo:[0,0,1] neg_hi:[0,0,1]
	v_pk_fma_f32 v[4:5], v[8:9], v[4:5], v[10:11] op_sel_hi:[1,0,1]
	s_nop 0
	v_mov_b32_e32 v13, v5
	v_pk_add_f32 v[4:5], v[12:13], 0 op_sel_hi:[1,0]
	s_waitcnt vmcnt(0)
	v_pk_add_f32 v[4:5], v[6:7], v[4:5] neg_lo:[0,1] neg_hi:[0,1]
	scratch_store_dwordx2 off, v[4:5], off offset:296
	s_and_saveexec_b64 s[0:1], vcc
	s_cbranch_execz .LBB102_175
; %bb.174:
	scratch_load_dwordx2 v[4:5], off, off offset:288
	v_mov_b32_e32 v3, v2
	scratch_store_dwordx2 off, v[2:3], off offset:288
	s_waitcnt vmcnt(1)
	ds_write_b64 v1, v[4:5]
.LBB102_175:
	s_or_b64 exec, exec, s[0:1]
	s_waitcnt lgkmcnt(0)
	; wave barrier
	scratch_load_dwordx4 v[4:7], off, off offset:296
	scratch_load_dwordx2 v[12:13], off, off offset:288
	ds_read2_b64 v[8:11], v2 offset0:77 offset1:78
	v_cmp_lt_u32_e32 vcc, 35, v0
	s_waitcnt vmcnt(1) lgkmcnt(0)
	v_pk_mul_f32 v[2:3], v[8:9], v[4:5] op_sel:[1,1] op_sel_hi:[0,1]
	v_mov_b32_e32 v14, v7
	v_pk_fma_f32 v[16:17], v[8:9], v[4:5], v[2:3] neg_lo:[0,0,1] neg_hi:[0,0,1]
	v_pk_fma_f32 v[2:3], v[8:9], v[4:5], v[2:3] op_sel_hi:[1,0,1]
	v_pk_mul_f32 v[4:5], v[10:11], v[14:15] op_sel:[1,0] op_sel_hi:[0,0]
	v_mov_b32_e32 v17, v3
	v_pk_fma_f32 v[2:3], v[10:11], v[6:7], v[4:5] neg_lo:[0,0,1] neg_hi:[0,0,1]
	v_pk_fma_f32 v[4:5], v[10:11], v[6:7], v[4:5] op_sel_hi:[1,0,1]
	v_pk_add_f32 v[6:7], v[16:17], 0 op_sel_hi:[1,0]
	v_mov_b32_e32 v3, v5
	v_pk_add_f32 v[2:3], v[6:7], v[2:3]
	s_waitcnt vmcnt(0)
	v_pk_add_f32 v[2:3], v[12:13], v[2:3] neg_lo:[0,1] neg_hi:[0,1]
	scratch_store_dwordx2 off, v[2:3], off offset:288
	s_and_saveexec_b64 s[0:1], vcc
	s_cbranch_execz .LBB102_177
; %bb.176:
	scratch_load_dwordx2 v[2:3], off, off offset:280
	v_mov_b32_e32 v4, 0
	v_mov_b32_e32 v5, v4
	scratch_store_dwordx2 off, v[4:5], off offset:280
	s_waitcnt vmcnt(1)
	ds_write_b64 v1, v[2:3]
.LBB102_177:
	s_or_b64 exec, exec, s[0:1]
	s_waitcnt lgkmcnt(0)
	; wave barrier
	scratch_load_dwordx4 v[4:7], off, off offset:288
	scratch_load_dwordx2 v[12:13], off, off offset:304
	scratch_load_dwordx2 v[14:15], off, off offset:280
	v_mov_b32_e32 v2, 0
	ds_read_b128 v[8:11], v2 offset:608
	ds_read_b64 v[16:17], v2 offset:624
	v_cmp_lt_u32_e32 vcc, 34, v0
	s_waitcnt vmcnt(2) lgkmcnt(1)
	v_pk_mul_f32 v[18:19], v[8:9], v[4:5] op_sel:[1,1] op_sel_hi:[0,1]
	v_mov_b32_e32 v20, v7
	v_pk_fma_f32 v[24:25], v[8:9], v[4:5], v[18:19] neg_lo:[0,0,1] neg_hi:[0,0,1]
	v_pk_fma_f32 v[4:5], v[8:9], v[4:5], v[18:19] op_sel_hi:[1,0,1]
	v_pk_mul_f32 v[8:9], v[10:11], v[20:21] op_sel:[1,0] op_sel_hi:[0,0]
	s_waitcnt vmcnt(1) lgkmcnt(0)
	v_pk_mul_f32 v[22:23], v[16:17], v[12:13] op_sel:[1,1] op_sel_hi:[0,1]
	v_mov_b32_e32 v25, v5
	v_pk_fma_f32 v[4:5], v[10:11], v[6:7], v[8:9] neg_lo:[0,0,1] neg_hi:[0,0,1]
	v_pk_fma_f32 v[6:7], v[10:11], v[6:7], v[8:9] op_sel_hi:[1,0,1]
	v_pk_fma_f32 v[18:19], v[16:17], v[12:13], v[22:23] neg_lo:[0,0,1] neg_hi:[0,0,1]
	v_pk_fma_f32 v[12:13], v[16:17], v[12:13], v[22:23] op_sel_hi:[1,0,1]
	v_pk_add_f32 v[8:9], v[24:25], 0 op_sel_hi:[1,0]
	v_mov_b32_e32 v5, v7
	v_mov_b32_e32 v19, v13
	v_pk_add_f32 v[4:5], v[8:9], v[4:5]
	s_nop 0
	v_pk_add_f32 v[4:5], v[4:5], v[18:19]
	s_waitcnt vmcnt(0)
	v_pk_add_f32 v[4:5], v[14:15], v[4:5] neg_lo:[0,1] neg_hi:[0,1]
	scratch_store_dwordx2 off, v[4:5], off offset:280
	s_and_saveexec_b64 s[0:1], vcc
	s_cbranch_execz .LBB102_179
; %bb.178:
	scratch_load_dwordx2 v[4:5], off, off offset:272
	v_mov_b32_e32 v3, v2
	scratch_store_dwordx2 off, v[2:3], off offset:272
	s_waitcnt vmcnt(1)
	ds_write_b64 v1, v[4:5]
.LBB102_179:
	s_or_b64 exec, exec, s[0:1]
	s_waitcnt lgkmcnt(0)
	; wave barrier
	scratch_load_dwordx4 v[4:7], off, off offset:280
	scratch_load_dwordx4 v[8:11], off, off offset:296
	scratch_load_dwordx2 v[20:21], off, off offset:272
	ds_read2_b64 v[12:15], v2 offset0:75 offset1:76
	ds_read2_b64 v[16:19], v2 offset0:77 offset1:78
	v_cmp_lt_u32_e32 vcc, 33, v0
	s_waitcnt vmcnt(2) lgkmcnt(1)
	v_pk_mul_f32 v[2:3], v[12:13], v[4:5] op_sel:[1,1] op_sel_hi:[0,1]
	v_mov_b32_e32 v22, v7
	s_waitcnt vmcnt(1) lgkmcnt(0)
	v_pk_mul_f32 v[24:25], v[16:17], v[8:9] op_sel:[1,1] op_sel_hi:[0,1]
	v_mov_b32_e32 v26, v11
	v_pk_fma_f32 v[28:29], v[12:13], v[4:5], v[2:3] neg_lo:[0,0,1] neg_hi:[0,0,1]
	v_pk_fma_f32 v[2:3], v[12:13], v[4:5], v[2:3] op_sel_hi:[1,0,1]
	v_pk_mul_f32 v[4:5], v[14:15], v[22:23] op_sel:[1,0] op_sel_hi:[0,0]
	v_pk_fma_f32 v[12:13], v[16:17], v[8:9], v[24:25] neg_lo:[0,0,1] neg_hi:[0,0,1]
	v_pk_fma_f32 v[8:9], v[16:17], v[8:9], v[24:25] op_sel_hi:[1,0,1]
	v_pk_mul_f32 v[16:17], v[18:19], v[26:27] op_sel:[1,0] op_sel_hi:[0,0]
	v_mov_b32_e32 v29, v3
	v_pk_fma_f32 v[2:3], v[14:15], v[6:7], v[4:5] neg_lo:[0,0,1] neg_hi:[0,0,1]
	v_pk_fma_f32 v[4:5], v[14:15], v[6:7], v[4:5] op_sel_hi:[1,0,1]
	v_mov_b32_e32 v13, v9
	v_pk_fma_f32 v[6:7], v[18:19], v[10:11], v[16:17] neg_lo:[0,0,1] neg_hi:[0,0,1]
	v_pk_fma_f32 v[8:9], v[18:19], v[10:11], v[16:17] op_sel_hi:[1,0,1]
	v_pk_add_f32 v[10:11], v[28:29], 0 op_sel_hi:[1,0]
	v_mov_b32_e32 v3, v5
	v_pk_add_f32 v[2:3], v[10:11], v[2:3]
	v_mov_b32_e32 v7, v9
	v_pk_add_f32 v[2:3], v[2:3], v[12:13]
	s_nop 0
	v_pk_add_f32 v[2:3], v[2:3], v[6:7]
	s_waitcnt vmcnt(0)
	v_pk_add_f32 v[2:3], v[20:21], v[2:3] neg_lo:[0,1] neg_hi:[0,1]
	scratch_store_dwordx2 off, v[2:3], off offset:272
	s_and_saveexec_b64 s[0:1], vcc
	s_cbranch_execz .LBB102_181
; %bb.180:
	scratch_load_dwordx2 v[2:3], off, off offset:264
	v_mov_b32_e32 v4, 0
	v_mov_b32_e32 v5, v4
	scratch_store_dwordx2 off, v[4:5], off offset:264
	s_waitcnt vmcnt(1)
	ds_write_b64 v1, v[2:3]
.LBB102_181:
	s_or_b64 exec, exec, s[0:1]
	s_waitcnt lgkmcnt(0)
	; wave barrier
	scratch_load_dwordx4 v[4:7], off, off offset:272
	scratch_load_dwordx4 v[8:11], off, off offset:288
	scratch_load_dwordx2 v[20:21], off, off offset:304
	scratch_load_dwordx2 v[22:23], off, off offset:264
	v_mov_b32_e32 v2, 0
	ds_read_b128 v[12:15], v2 offset:592
	ds_read_b128 v[16:19], v2 offset:608
	ds_read_b64 v[24:25], v2 offset:624
	v_cmp_lt_u32_e32 vcc, 32, v0
	s_waitcnt vmcnt(3) lgkmcnt(2)
	v_pk_mul_f32 v[26:27], v[12:13], v[4:5] op_sel:[1,1] op_sel_hi:[0,1]
	v_mov_b32_e32 v28, v7
	v_pk_fma_f32 v[36:37], v[12:13], v[4:5], v[26:27] neg_lo:[0,0,1] neg_hi:[0,0,1]
	v_pk_fma_f32 v[4:5], v[12:13], v[4:5], v[26:27] op_sel_hi:[1,0,1]
	v_pk_mul_f32 v[12:13], v[14:15], v[28:29] op_sel:[1,0] op_sel_hi:[0,0]
	s_waitcnt vmcnt(2) lgkmcnt(1)
	v_pk_mul_f32 v[30:31], v[16:17], v[8:9] op_sel:[1,1] op_sel_hi:[0,1]
	v_mov_b32_e32 v32, v11
	v_mov_b32_e32 v37, v5
	v_pk_fma_f32 v[4:5], v[14:15], v[6:7], v[12:13] neg_lo:[0,0,1] neg_hi:[0,0,1]
	v_pk_fma_f32 v[6:7], v[14:15], v[6:7], v[12:13] op_sel_hi:[1,0,1]
	v_pk_fma_f32 v[26:27], v[16:17], v[8:9], v[30:31] neg_lo:[0,0,1] neg_hi:[0,0,1]
	v_pk_fma_f32 v[8:9], v[16:17], v[8:9], v[30:31] op_sel_hi:[1,0,1]
	v_pk_mul_f32 v[16:17], v[18:19], v[32:33] op_sel:[1,0] op_sel_hi:[0,0]
	v_pk_add_f32 v[12:13], v[36:37], 0 op_sel_hi:[1,0]
	v_mov_b32_e32 v5, v7
	s_waitcnt vmcnt(1) lgkmcnt(0)
	v_pk_mul_f32 v[34:35], v[24:25], v[20:21] op_sel:[1,1] op_sel_hi:[0,1]
	v_mov_b32_e32 v27, v9
	v_pk_fma_f32 v[8:9], v[18:19], v[10:11], v[16:17] neg_lo:[0,0,1] neg_hi:[0,0,1]
	v_pk_fma_f32 v[10:11], v[18:19], v[10:11], v[16:17] op_sel_hi:[1,0,1]
	v_pk_add_f32 v[4:5], v[12:13], v[4:5]
	v_pk_fma_f32 v[28:29], v[24:25], v[20:21], v[34:35] neg_lo:[0,0,1] neg_hi:[0,0,1]
	v_pk_fma_f32 v[20:21], v[24:25], v[20:21], v[34:35] op_sel_hi:[1,0,1]
	v_mov_b32_e32 v9, v11
	v_pk_add_f32 v[4:5], v[4:5], v[26:27]
	v_mov_b32_e32 v29, v21
	v_pk_add_f32 v[4:5], v[4:5], v[8:9]
	s_nop 0
	v_pk_add_f32 v[4:5], v[4:5], v[28:29]
	s_waitcnt vmcnt(0)
	v_pk_add_f32 v[4:5], v[22:23], v[4:5] neg_lo:[0,1] neg_hi:[0,1]
	scratch_store_dwordx2 off, v[4:5], off offset:264
	s_and_saveexec_b64 s[0:1], vcc
	s_cbranch_execz .LBB102_183
; %bb.182:
	scratch_load_dwordx2 v[4:5], off, off offset:256
	v_mov_b32_e32 v3, v2
	scratch_store_dwordx2 off, v[2:3], off offset:256
	s_waitcnt vmcnt(1)
	ds_write_b64 v1, v[4:5]
.LBB102_183:
	s_or_b64 exec, exec, s[0:1]
	s_waitcnt lgkmcnt(0)
	; wave barrier
	scratch_load_dwordx4 v[4:7], off, off offset:264
	scratch_load_dwordx4 v[8:11], off, off offset:280
	;; [unrolled: 1-line block ×3, first 2 shown]
	scratch_load_dwordx2 v[28:29], off, off offset:256
	ds_read2_b64 v[16:19], v2 offset0:73 offset1:74
	ds_read2_b64 v[20:23], v2 offset0:75 offset1:76
	;; [unrolled: 1-line block ×3, first 2 shown]
	v_cmp_lt_u32_e32 vcc, 31, v0
	s_waitcnt vmcnt(3) lgkmcnt(2)
	v_pk_mul_f32 v[2:3], v[16:17], v[4:5] op_sel:[1,1] op_sel_hi:[0,1]
	v_mov_b32_e32 v30, v7
	s_waitcnt vmcnt(2) lgkmcnt(1)
	v_pk_mul_f32 v[32:33], v[20:21], v[8:9] op_sel:[1,1] op_sel_hi:[0,1]
	v_mov_b32_e32 v34, v11
	s_waitcnt vmcnt(1) lgkmcnt(0)
	v_pk_mul_f32 v[36:37], v[24:25], v[12:13] op_sel:[1,1] op_sel_hi:[0,1]
	v_mov_b32_e32 v38, v15
	v_pk_fma_f32 v[40:41], v[16:17], v[4:5], v[2:3] neg_lo:[0,0,1] neg_hi:[0,0,1]
	v_pk_fma_f32 v[2:3], v[16:17], v[4:5], v[2:3] op_sel_hi:[1,0,1]
	v_pk_mul_f32 v[4:5], v[18:19], v[30:31] op_sel:[1,0] op_sel_hi:[0,0]
	v_pk_fma_f32 v[16:17], v[20:21], v[8:9], v[32:33] neg_lo:[0,0,1] neg_hi:[0,0,1]
	v_pk_fma_f32 v[8:9], v[20:21], v[8:9], v[32:33] op_sel_hi:[1,0,1]
	v_pk_mul_f32 v[20:21], v[22:23], v[34:35] op_sel:[1,0] op_sel_hi:[0,0]
	;; [unrolled: 3-line block ×3, first 2 shown]
	v_mov_b32_e32 v41, v3
	v_pk_fma_f32 v[2:3], v[18:19], v[6:7], v[4:5] neg_lo:[0,0,1] neg_hi:[0,0,1]
	v_pk_fma_f32 v[4:5], v[18:19], v[6:7], v[4:5] op_sel_hi:[1,0,1]
	v_mov_b32_e32 v17, v9
	v_pk_fma_f32 v[6:7], v[22:23], v[10:11], v[20:21] neg_lo:[0,0,1] neg_hi:[0,0,1]
	v_pk_fma_f32 v[8:9], v[22:23], v[10:11], v[20:21] op_sel_hi:[1,0,1]
	;; [unrolled: 3-line block ×3, first 2 shown]
	v_pk_add_f32 v[14:15], v[40:41], 0 op_sel_hi:[1,0]
	v_mov_b32_e32 v3, v5
	v_pk_add_f32 v[2:3], v[14:15], v[2:3]
	v_mov_b32_e32 v7, v9
	v_pk_add_f32 v[2:3], v[2:3], v[16:17]
	;; [unrolled: 2-line block ×3, first 2 shown]
	s_nop 0
	v_pk_add_f32 v[2:3], v[2:3], v[30:31]
	s_nop 0
	v_pk_add_f32 v[2:3], v[2:3], v[10:11]
	s_waitcnt vmcnt(0)
	v_pk_add_f32 v[2:3], v[28:29], v[2:3] neg_lo:[0,1] neg_hi:[0,1]
	scratch_store_dwordx2 off, v[2:3], off offset:256
	s_and_saveexec_b64 s[0:1], vcc
	s_cbranch_execz .LBB102_185
; %bb.184:
	scratch_load_dwordx2 v[2:3], off, off offset:248
	v_mov_b32_e32 v4, 0
	v_mov_b32_e32 v5, v4
	scratch_store_dwordx2 off, v[4:5], off offset:248
	s_waitcnt vmcnt(1)
	ds_write_b64 v1, v[2:3]
.LBB102_185:
	s_or_b64 exec, exec, s[0:1]
	s_waitcnt lgkmcnt(0)
	; wave barrier
	scratch_load_dwordx4 v[4:7], off, off offset:256
	scratch_load_dwordx4 v[8:11], off, off offset:272
	;; [unrolled: 1-line block ×3, first 2 shown]
	scratch_load_dwordx2 v[28:29], off, off offset:304
	scratch_load_dwordx2 v[30:31], off, off offset:248
	v_mov_b32_e32 v2, 0
	ds_read_b128 v[16:19], v2 offset:576
	ds_read_b128 v[20:23], v2 offset:592
	;; [unrolled: 1-line block ×3, first 2 shown]
	ds_read_b64 v[32:33], v2 offset:624
	v_cmp_lt_u32_e32 vcc, 30, v0
	s_waitcnt vmcnt(4) lgkmcnt(3)
	v_pk_mul_f32 v[34:35], v[16:17], v[4:5] op_sel:[1,1] op_sel_hi:[0,1]
	v_mov_b32_e32 v36, v7
	v_pk_fma_f32 v[48:49], v[16:17], v[4:5], v[34:35] neg_lo:[0,0,1] neg_hi:[0,0,1]
	v_pk_fma_f32 v[4:5], v[16:17], v[4:5], v[34:35] op_sel_hi:[1,0,1]
	v_pk_mul_f32 v[16:17], v[18:19], v[36:37] op_sel:[1,0] op_sel_hi:[0,0]
	s_waitcnt vmcnt(3) lgkmcnt(2)
	v_pk_mul_f32 v[38:39], v[20:21], v[8:9] op_sel:[1,1] op_sel_hi:[0,1]
	v_mov_b32_e32 v40, v11
	v_mov_b32_e32 v49, v5
	v_pk_fma_f32 v[4:5], v[18:19], v[6:7], v[16:17] neg_lo:[0,0,1] neg_hi:[0,0,1]
	v_pk_fma_f32 v[6:7], v[18:19], v[6:7], v[16:17] op_sel_hi:[1,0,1]
	v_pk_fma_f32 v[34:35], v[20:21], v[8:9], v[38:39] neg_lo:[0,0,1] neg_hi:[0,0,1]
	v_pk_fma_f32 v[8:9], v[20:21], v[8:9], v[38:39] op_sel_hi:[1,0,1]
	v_pk_mul_f32 v[20:21], v[22:23], v[40:41] op_sel:[1,0] op_sel_hi:[0,0]
	v_pk_add_f32 v[16:17], v[48:49], 0 op_sel_hi:[1,0]
	v_mov_b32_e32 v5, v7
	s_waitcnt vmcnt(2) lgkmcnt(1)
	v_pk_mul_f32 v[42:43], v[24:25], v[12:13] op_sel:[1,1] op_sel_hi:[0,1]
	v_mov_b32_e32 v44, v15
	v_mov_b32_e32 v35, v9
	v_pk_fma_f32 v[8:9], v[22:23], v[10:11], v[20:21] neg_lo:[0,0,1] neg_hi:[0,0,1]
	v_pk_fma_f32 v[10:11], v[22:23], v[10:11], v[20:21] op_sel_hi:[1,0,1]
	v_pk_add_f32 v[4:5], v[16:17], v[4:5]
	v_pk_fma_f32 v[36:37], v[24:25], v[12:13], v[42:43] neg_lo:[0,0,1] neg_hi:[0,0,1]
	v_pk_fma_f32 v[12:13], v[24:25], v[12:13], v[42:43] op_sel_hi:[1,0,1]
	v_pk_mul_f32 v[24:25], v[26:27], v[44:45] op_sel:[1,0] op_sel_hi:[0,0]
	v_mov_b32_e32 v9, v11
	v_pk_add_f32 v[4:5], v[4:5], v[34:35]
	s_waitcnt vmcnt(1) lgkmcnt(0)
	v_pk_mul_f32 v[46:47], v[32:33], v[28:29] op_sel:[1,1] op_sel_hi:[0,1]
	v_mov_b32_e32 v37, v13
	v_pk_fma_f32 v[12:13], v[26:27], v[14:15], v[24:25] neg_lo:[0,0,1] neg_hi:[0,0,1]
	v_pk_fma_f32 v[14:15], v[26:27], v[14:15], v[24:25] op_sel_hi:[1,0,1]
	v_pk_add_f32 v[4:5], v[4:5], v[8:9]
	v_pk_fma_f32 v[38:39], v[32:33], v[28:29], v[46:47] neg_lo:[0,0,1] neg_hi:[0,0,1]
	v_pk_fma_f32 v[28:29], v[32:33], v[28:29], v[46:47] op_sel_hi:[1,0,1]
	v_mov_b32_e32 v13, v15
	v_pk_add_f32 v[4:5], v[4:5], v[36:37]
	v_mov_b32_e32 v39, v29
	v_pk_add_f32 v[4:5], v[4:5], v[12:13]
	s_nop 0
	v_pk_add_f32 v[4:5], v[4:5], v[38:39]
	s_waitcnt vmcnt(0)
	v_pk_add_f32 v[4:5], v[30:31], v[4:5] neg_lo:[0,1] neg_hi:[0,1]
	scratch_store_dwordx2 off, v[4:5], off offset:248
	s_and_saveexec_b64 s[0:1], vcc
	s_cbranch_execz .LBB102_187
; %bb.186:
	scratch_load_dwordx2 v[4:5], off, off offset:240
	v_mov_b32_e32 v3, v2
	scratch_store_dwordx2 off, v[2:3], off offset:240
	s_waitcnt vmcnt(1)
	ds_write_b64 v1, v[4:5]
.LBB102_187:
	s_or_b64 exec, exec, s[0:1]
	s_waitcnt lgkmcnt(0)
	; wave barrier
	scratch_load_dwordx4 v[4:7], off, off offset:248
	scratch_load_dwordx4 v[8:11], off, off offset:264
	;; [unrolled: 1-line block ×4, first 2 shown]
	ds_read2_b64 v[20:23], v2 offset0:71 offset1:72
	ds_read2_b64 v[24:27], v2 offset0:73 offset1:74
	;; [unrolled: 1-line block ×4, first 2 shown]
	v_cmp_lt_u32_e32 vcc, 29, v0
	s_waitcnt vmcnt(3) lgkmcnt(3)
	v_pk_mul_f32 v[2:3], v[20:21], v[4:5] op_sel:[1,1] op_sel_hi:[0,1]
	v_pk_fma_f32 v[36:37], v[20:21], v[4:5], v[2:3] neg_lo:[0,0,1] neg_hi:[0,0,1]
	v_pk_fma_f32 v[2:3], v[20:21], v[4:5], v[2:3] op_sel_hi:[1,0,1]
	v_mov_b32_e32 v4, v7
	v_pk_mul_f32 v[4:5], v[22:23], v[4:5] op_sel:[1,0] op_sel_hi:[0,0]
	v_pk_fma_f32 v[20:21], v[22:23], v[6:7], v[4:5] neg_lo:[0,0,1] neg_hi:[0,0,1]
	v_pk_fma_f32 v[4:5], v[22:23], v[6:7], v[4:5] op_sel_hi:[1,0,1]
	v_mov_b32_e32 v37, v3
	v_mov_b32_e32 v21, v5
	s_waitcnt vmcnt(2) lgkmcnt(2)
	v_pk_mul_f32 v[4:5], v[24:25], v[8:9] op_sel:[1,1] op_sel_hi:[0,1]
	v_pk_fma_f32 v[6:7], v[24:25], v[8:9], v[4:5] neg_lo:[0,0,1] neg_hi:[0,0,1]
	v_pk_fma_f32 v[4:5], v[24:25], v[8:9], v[4:5] op_sel_hi:[1,0,1]
	v_pk_add_f32 v[2:3], v[36:37], 0 op_sel_hi:[1,0]
	v_mov_b32_e32 v4, v11
	v_pk_add_f32 v[2:3], v[2:3], v[20:21]
	v_mov_b32_e32 v7, v5
	v_pk_mul_f32 v[4:5], v[26:27], v[4:5] op_sel:[1,0] op_sel_hi:[0,0]
	v_pk_add_f32 v[2:3], v[2:3], v[6:7]
	v_pk_fma_f32 v[6:7], v[26:27], v[10:11], v[4:5] neg_lo:[0,0,1] neg_hi:[0,0,1]
	v_pk_fma_f32 v[4:5], v[26:27], v[10:11], v[4:5] op_sel_hi:[1,0,1]
	s_nop 0
	v_mov_b32_e32 v7, v5
	s_waitcnt vmcnt(1) lgkmcnt(1)
	v_pk_mul_f32 v[4:5], v[28:29], v[12:13] op_sel:[1,1] op_sel_hi:[0,1]
	v_pk_add_f32 v[2:3], v[2:3], v[6:7]
	v_pk_fma_f32 v[6:7], v[28:29], v[12:13], v[4:5] neg_lo:[0,0,1] neg_hi:[0,0,1]
	v_pk_fma_f32 v[4:5], v[28:29], v[12:13], v[4:5] op_sel_hi:[1,0,1]
	s_nop 0
	v_mov_b32_e32 v4, v15
	v_mov_b32_e32 v7, v5
	v_pk_mul_f32 v[4:5], v[30:31], v[4:5] op_sel:[1,0] op_sel_hi:[0,0]
	v_pk_add_f32 v[2:3], v[2:3], v[6:7]
	v_pk_fma_f32 v[6:7], v[30:31], v[14:15], v[4:5] neg_lo:[0,0,1] neg_hi:[0,0,1]
	v_pk_fma_f32 v[4:5], v[30:31], v[14:15], v[4:5] op_sel_hi:[1,0,1]
	s_nop 0
	v_mov_b32_e32 v7, v5
	s_waitcnt vmcnt(0) lgkmcnt(0)
	v_pk_mul_f32 v[4:5], v[32:33], v[16:17] op_sel:[1,1] op_sel_hi:[0,1]
	v_pk_add_f32 v[2:3], v[2:3], v[6:7]
	v_pk_fma_f32 v[6:7], v[32:33], v[16:17], v[4:5] neg_lo:[0,0,1] neg_hi:[0,0,1]
	v_pk_fma_f32 v[4:5], v[32:33], v[16:17], v[4:5] op_sel_hi:[1,0,1]
	s_nop 0
	v_mov_b32_e32 v4, v19
	v_mov_b32_e32 v7, v5
	v_pk_mul_f32 v[4:5], v[34:35], v[4:5] op_sel:[1,0] op_sel_hi:[0,0]
	v_pk_add_f32 v[2:3], v[2:3], v[6:7]
	v_pk_fma_f32 v[6:7], v[34:35], v[18:19], v[4:5] neg_lo:[0,0,1] neg_hi:[0,0,1]
	v_pk_fma_f32 v[4:5], v[34:35], v[18:19], v[4:5] op_sel_hi:[1,0,1]
	s_nop 0
	v_mov_b32_e32 v7, v5
	scratch_load_dwordx2 v[4:5], off, off offset:240
	v_pk_add_f32 v[2:3], v[2:3], v[6:7]
	s_waitcnt vmcnt(0)
	v_pk_add_f32 v[2:3], v[4:5], v[2:3] neg_lo:[0,1] neg_hi:[0,1]
	scratch_store_dwordx2 off, v[2:3], off offset:240
	s_and_saveexec_b64 s[0:1], vcc
	s_cbranch_execz .LBB102_189
; %bb.188:
	scratch_load_dwordx2 v[2:3], off, off offset:232
	v_mov_b32_e32 v4, 0
	v_mov_b32_e32 v5, v4
	scratch_store_dwordx2 off, v[4:5], off offset:232
	s_waitcnt vmcnt(1)
	ds_write_b64 v1, v[2:3]
.LBB102_189:
	s_or_b64 exec, exec, s[0:1]
	v_mov_b32_e32 v2, 0
	s_waitcnt lgkmcnt(0)
	; wave barrier
	ds_read_b128 v[4:7], v2 offset:560
	ds_read_b128 v[8:11], v2 offset:576
	;; [unrolled: 1-line block ×4, first 2 shown]
	scratch_load_dwordx4 v[20:23], off, off offset:240
	scratch_load_dwordx4 v[24:27], off, off offset:256
	;; [unrolled: 1-line block ×4, first 2 shown]
	scratch_load_dwordx2 v[38:39], off, off offset:304
	v_cmp_lt_u32_e32 vcc, 28, v0
	s_waitcnt vmcnt(4) lgkmcnt(3)
	v_mul_f32_e32 v37, v4, v21
	v_mul_f32_e32 v3, v5, v21
	v_fmac_f32_e32 v37, v5, v20
	v_fma_f32 v36, v4, v20, -v3
	v_pk_add_f32 v[20:21], v[36:37], 0 op_sel_hi:[1,0]
	v_mov_b32_e32 v36, v23
	v_pk_mul_f32 v[36:37], v[6:7], v[36:37] op_sel:[1,0] op_sel_hi:[0,0]
	v_pk_fma_f32 v[40:41], v[6:7], v[22:23], v[36:37] neg_lo:[0,0,1] neg_hi:[0,0,1]
	v_pk_fma_f32 v[6:7], v[6:7], v[22:23], v[36:37] op_sel_hi:[1,0,1]
	ds_read_b64 v[4:5], v2 offset:624
	v_mov_b32_e32 v41, v7
	v_pk_add_f32 v[6:7], v[20:21], v[40:41]
	s_waitcnt vmcnt(3) lgkmcnt(3)
	v_pk_mul_f32 v[20:21], v[8:9], v[24:25] op_sel:[1,1] op_sel_hi:[0,1]
	v_pk_fma_f32 v[22:23], v[8:9], v[24:25], v[20:21] neg_lo:[0,0,1] neg_hi:[0,0,1]
	v_pk_fma_f32 v[8:9], v[8:9], v[24:25], v[20:21] op_sel_hi:[1,0,1]
	s_nop 0
	v_mov_b32_e32 v8, v27
	v_mov_b32_e32 v23, v9
	v_pk_mul_f32 v[8:9], v[10:11], v[8:9] op_sel:[1,0] op_sel_hi:[0,0]
	v_pk_fma_f32 v[20:21], v[10:11], v[26:27], v[8:9] neg_lo:[0,0,1] neg_hi:[0,0,1]
	v_pk_fma_f32 v[8:9], v[10:11], v[26:27], v[8:9] op_sel_hi:[1,0,1]
	v_pk_add_f32 v[6:7], v[6:7], v[22:23]
	v_mov_b32_e32 v21, v9
	s_waitcnt vmcnt(2) lgkmcnt(2)
	v_pk_mul_f32 v[8:9], v[12:13], v[28:29] op_sel:[1,1] op_sel_hi:[0,1]
	v_pk_fma_f32 v[10:11], v[12:13], v[28:29], v[8:9] neg_lo:[0,0,1] neg_hi:[0,0,1]
	v_pk_fma_f32 v[8:9], v[12:13], v[28:29], v[8:9] op_sel_hi:[1,0,1]
	v_pk_add_f32 v[6:7], v[6:7], v[20:21]
	v_mov_b32_e32 v8, v31
	v_mov_b32_e32 v11, v9
	v_pk_mul_f32 v[8:9], v[14:15], v[8:9] op_sel:[1,0] op_sel_hi:[0,0]
	v_pk_add_f32 v[6:7], v[6:7], v[10:11]
	v_pk_fma_f32 v[10:11], v[14:15], v[30:31], v[8:9] neg_lo:[0,0,1] neg_hi:[0,0,1]
	v_pk_fma_f32 v[8:9], v[14:15], v[30:31], v[8:9] op_sel_hi:[1,0,1]
	s_nop 0
	v_mov_b32_e32 v11, v9
	s_waitcnt vmcnt(1) lgkmcnt(1)
	v_pk_mul_f32 v[8:9], v[16:17], v[32:33] op_sel:[1,1] op_sel_hi:[0,1]
	v_pk_add_f32 v[6:7], v[6:7], v[10:11]
	v_pk_fma_f32 v[10:11], v[16:17], v[32:33], v[8:9] neg_lo:[0,0,1] neg_hi:[0,0,1]
	v_pk_fma_f32 v[8:9], v[16:17], v[32:33], v[8:9] op_sel_hi:[1,0,1]
	s_nop 0
	v_mov_b32_e32 v8, v35
	v_mov_b32_e32 v11, v9
	v_pk_mul_f32 v[8:9], v[18:19], v[8:9] op_sel:[1,0] op_sel_hi:[0,0]
	v_pk_add_f32 v[6:7], v[6:7], v[10:11]
	v_pk_fma_f32 v[10:11], v[18:19], v[34:35], v[8:9] neg_lo:[0,0,1] neg_hi:[0,0,1]
	v_pk_fma_f32 v[8:9], v[18:19], v[34:35], v[8:9] op_sel_hi:[1,0,1]
	s_nop 0
	v_mov_b32_e32 v11, v9
	s_waitcnt vmcnt(0) lgkmcnt(0)
	v_pk_mul_f32 v[8:9], v[4:5], v[38:39] op_sel:[1,1] op_sel_hi:[0,1]
	v_pk_add_f32 v[6:7], v[6:7], v[10:11]
	v_pk_fma_f32 v[10:11], v[4:5], v[38:39], v[8:9] neg_lo:[0,0,1] neg_hi:[0,0,1]
	v_pk_fma_f32 v[4:5], v[4:5], v[38:39], v[8:9] op_sel_hi:[1,0,1]
	s_nop 0
	v_mov_b32_e32 v11, v5
	v_pk_add_f32 v[4:5], v[6:7], v[10:11]
	scratch_load_dwordx2 v[6:7], off, off offset:232
	s_waitcnt vmcnt(0)
	v_pk_add_f32 v[4:5], v[6:7], v[4:5] neg_lo:[0,1] neg_hi:[0,1]
	scratch_store_dwordx2 off, v[4:5], off offset:232
	s_and_saveexec_b64 s[0:1], vcc
	s_cbranch_execz .LBB102_191
; %bb.190:
	scratch_load_dwordx2 v[4:5], off, off offset:224
	v_mov_b32_e32 v3, v2
	scratch_store_dwordx2 off, v[2:3], off offset:224
	s_waitcnt vmcnt(1)
	ds_write_b64 v1, v[4:5]
.LBB102_191:
	s_or_b64 exec, exec, s[0:1]
	s_waitcnt lgkmcnt(0)
	; wave barrier
	scratch_load_dwordx4 v[8:11], off, off offset:232
	ds_read2_b64 v[4:7], v2 offset0:69 offset1:70
	scratch_load_dwordx4 v[12:15], off, off offset:248
	scratch_load_dwordx4 v[16:19], off, off offset:264
	scratch_load_dwordx4 v[20:23], off, off offset:280
	scratch_load_dwordx4 v[24:27], off, off offset:296
	v_cmp_lt_u32_e32 vcc, 27, v0
	s_waitcnt vmcnt(4) lgkmcnt(0)
	v_mul_f32_e32 v3, v5, v9
	v_mul_f32_e32 v37, v4, v9
	;; [unrolled: 1-line block ×3, first 2 shown]
	v_fma_f32 v36, v4, v8, -v3
	v_mul_f32_e32 v3, v7, v11
	v_fmac_f32_e32 v37, v5, v8
	v_fmac_f32_e32 v39, v7, v10
	v_fma_f32 v38, v6, v10, -v3
	ds_read2_b64 v[4:7], v2 offset0:71 offset1:72
	ds_read2_b64 v[8:11], v2 offset0:73 offset1:74
	ds_read2_b64 v[28:31], v2 offset0:75 offset1:76
	ds_read2_b64 v[32:35], v2 offset0:77 offset1:78
	v_pk_add_f32 v[2:3], v[36:37], 0 op_sel_hi:[1,0]
	s_waitcnt vmcnt(3) lgkmcnt(3)
	v_pk_mul_f32 v[36:37], v[4:5], v[12:13] op_sel:[1,1] op_sel_hi:[0,1]
	v_pk_add_f32 v[2:3], v[2:3], v[38:39]
	v_pk_fma_f32 v[38:39], v[4:5], v[12:13], v[36:37] neg_lo:[0,0,1] neg_hi:[0,0,1]
	v_pk_fma_f32 v[4:5], v[4:5], v[12:13], v[36:37] op_sel_hi:[1,0,1]
	s_nop 0
	v_mov_b32_e32 v4, v15
	v_mov_b32_e32 v39, v5
	v_pk_mul_f32 v[4:5], v[6:7], v[4:5] op_sel:[1,0] op_sel_hi:[0,0]
	v_pk_fma_f32 v[12:13], v[6:7], v[14:15], v[4:5] neg_lo:[0,0,1] neg_hi:[0,0,1]
	v_pk_fma_f32 v[4:5], v[6:7], v[14:15], v[4:5] op_sel_hi:[1,0,1]
	v_pk_add_f32 v[2:3], v[2:3], v[38:39]
	v_mov_b32_e32 v13, v5
	s_waitcnt vmcnt(2) lgkmcnt(2)
	v_pk_mul_f32 v[4:5], v[8:9], v[16:17] op_sel:[1,1] op_sel_hi:[0,1]
	v_pk_fma_f32 v[6:7], v[8:9], v[16:17], v[4:5] neg_lo:[0,0,1] neg_hi:[0,0,1]
	v_pk_fma_f32 v[4:5], v[8:9], v[16:17], v[4:5] op_sel_hi:[1,0,1]
	v_pk_add_f32 v[2:3], v[2:3], v[12:13]
	v_mov_b32_e32 v4, v19
	v_mov_b32_e32 v7, v5
	v_pk_mul_f32 v[4:5], v[10:11], v[4:5] op_sel:[1,0] op_sel_hi:[0,0]
	v_pk_add_f32 v[2:3], v[2:3], v[6:7]
	v_pk_fma_f32 v[6:7], v[10:11], v[18:19], v[4:5] neg_lo:[0,0,1] neg_hi:[0,0,1]
	v_pk_fma_f32 v[4:5], v[10:11], v[18:19], v[4:5] op_sel_hi:[1,0,1]
	s_nop 0
	v_mov_b32_e32 v7, v5
	s_waitcnt vmcnt(1) lgkmcnt(1)
	v_pk_mul_f32 v[4:5], v[28:29], v[20:21] op_sel:[1,1] op_sel_hi:[0,1]
	v_pk_add_f32 v[2:3], v[2:3], v[6:7]
	v_pk_fma_f32 v[6:7], v[28:29], v[20:21], v[4:5] neg_lo:[0,0,1] neg_hi:[0,0,1]
	v_pk_fma_f32 v[4:5], v[28:29], v[20:21], v[4:5] op_sel_hi:[1,0,1]
	s_nop 0
	v_mov_b32_e32 v4, v23
	v_mov_b32_e32 v7, v5
	v_pk_mul_f32 v[4:5], v[30:31], v[4:5] op_sel:[1,0] op_sel_hi:[0,0]
	v_pk_add_f32 v[2:3], v[2:3], v[6:7]
	v_pk_fma_f32 v[6:7], v[30:31], v[22:23], v[4:5] neg_lo:[0,0,1] neg_hi:[0,0,1]
	v_pk_fma_f32 v[4:5], v[30:31], v[22:23], v[4:5] op_sel_hi:[1,0,1]
	s_nop 0
	v_mov_b32_e32 v7, v5
	s_waitcnt vmcnt(0) lgkmcnt(0)
	v_pk_mul_f32 v[4:5], v[32:33], v[24:25] op_sel:[1,1] op_sel_hi:[0,1]
	v_pk_add_f32 v[2:3], v[2:3], v[6:7]
	v_pk_fma_f32 v[6:7], v[32:33], v[24:25], v[4:5] neg_lo:[0,0,1] neg_hi:[0,0,1]
	v_pk_fma_f32 v[4:5], v[32:33], v[24:25], v[4:5] op_sel_hi:[1,0,1]
	s_nop 0
	v_mov_b32_e32 v4, v27
	v_mov_b32_e32 v7, v5
	v_pk_mul_f32 v[4:5], v[34:35], v[4:5] op_sel:[1,0] op_sel_hi:[0,0]
	v_pk_add_f32 v[2:3], v[2:3], v[6:7]
	v_pk_fma_f32 v[6:7], v[34:35], v[26:27], v[4:5] neg_lo:[0,0,1] neg_hi:[0,0,1]
	v_pk_fma_f32 v[4:5], v[34:35], v[26:27], v[4:5] op_sel_hi:[1,0,1]
	s_nop 0
	v_mov_b32_e32 v7, v5
	scratch_load_dwordx2 v[4:5], off, off offset:224
	v_pk_add_f32 v[2:3], v[2:3], v[6:7]
	s_waitcnt vmcnt(0)
	v_pk_add_f32 v[2:3], v[4:5], v[2:3] neg_lo:[0,1] neg_hi:[0,1]
	scratch_store_dwordx2 off, v[2:3], off offset:224
	s_and_saveexec_b64 s[0:1], vcc
	s_cbranch_execz .LBB102_193
; %bb.192:
	scratch_load_dwordx2 v[2:3], off, off offset:216
	v_mov_b32_e32 v4, 0
	v_mov_b32_e32 v5, v4
	scratch_store_dwordx2 off, v[4:5], off offset:216
	s_waitcnt vmcnt(1)
	ds_write_b64 v1, v[2:3]
.LBB102_193:
	s_or_b64 exec, exec, s[0:1]
	v_mov_b32_e32 v2, 0
	s_waitcnt lgkmcnt(0)
	; wave barrier
	ds_read_b128 v[4:7], v2 offset:544
	ds_read_b128 v[8:11], v2 offset:560
	;; [unrolled: 1-line block ×4, first 2 shown]
	scratch_load_dwordx4 v[20:23], off, off offset:224
	scratch_load_dwordx4 v[24:27], off, off offset:240
	;; [unrolled: 1-line block ×5, first 2 shown]
	scratch_load_dwordx2 v[46:47], off, off offset:304
	v_cmp_lt_u32_e32 vcc, 26, v0
	s_waitcnt vmcnt(5) lgkmcnt(3)
	v_mul_f32_e32 v3, v4, v21
	v_fmac_f32_e32 v3, v5, v20
	v_add_f32_e32 v41, 0, v3
	v_mul_f32_e32 v3, v5, v21
	v_fma_f32 v3, v4, v20, -v3
	v_mul_f32_e32 v43, v6, v23
	v_add_f32_e32 v40, 0, v3
	v_mul_f32_e32 v3, v7, v23
	v_fmac_f32_e32 v43, v7, v22
	v_fma_f32 v42, v6, v22, -v3
	s_waitcnt vmcnt(4)
	v_mov_b32_e32 v22, v27
	s_waitcnt lgkmcnt(2)
	v_mul_f32_e32 v45, v8, v25
	v_mul_f32_e32 v3, v9, v25
	v_pk_mul_f32 v[22:23], v[10:11], v[22:23] op_sel:[1,0] op_sel_hi:[0,0]
	v_fmac_f32_e32 v45, v9, v24
	v_fma_f32 v44, v8, v24, -v3
	v_pk_add_f32 v[20:21], v[40:41], v[42:43]
	v_pk_fma_f32 v[24:25], v[10:11], v[26:27], v[22:23] neg_lo:[0,0,1] neg_hi:[0,0,1]
	v_pk_fma_f32 v[10:11], v[10:11], v[26:27], v[22:23] op_sel_hi:[1,0,1]
	v_pk_add_f32 v[20:21], v[20:21], v[44:45]
	v_mov_b32_e32 v25, v11
	v_pk_add_f32 v[10:11], v[20:21], v[24:25]
	s_waitcnt vmcnt(3) lgkmcnt(1)
	v_pk_mul_f32 v[20:21], v[12:13], v[28:29] op_sel:[1,1] op_sel_hi:[0,1]
	v_pk_fma_f32 v[22:23], v[12:13], v[28:29], v[20:21] neg_lo:[0,0,1] neg_hi:[0,0,1]
	v_pk_fma_f32 v[12:13], v[12:13], v[28:29], v[20:21] op_sel_hi:[1,0,1]
	ds_read_b128 v[4:7], v2 offset:608
	ds_read_b64 v[8:9], v2 offset:624
	v_mov_b32_e32 v12, v31
	v_mov_b32_e32 v23, v13
	v_pk_mul_f32 v[12:13], v[14:15], v[12:13] op_sel:[1,0] op_sel_hi:[0,0]
	v_pk_fma_f32 v[20:21], v[14:15], v[30:31], v[12:13] neg_lo:[0,0,1] neg_hi:[0,0,1]
	v_pk_fma_f32 v[12:13], v[14:15], v[30:31], v[12:13] op_sel_hi:[1,0,1]
	v_pk_add_f32 v[10:11], v[10:11], v[22:23]
	v_mov_b32_e32 v21, v13
	s_waitcnt vmcnt(2) lgkmcnt(2)
	v_pk_mul_f32 v[12:13], v[16:17], v[32:33] op_sel:[1,1] op_sel_hi:[0,1]
	v_pk_fma_f32 v[14:15], v[16:17], v[32:33], v[12:13] neg_lo:[0,0,1] neg_hi:[0,0,1]
	v_pk_fma_f32 v[12:13], v[16:17], v[32:33], v[12:13] op_sel_hi:[1,0,1]
	v_pk_add_f32 v[10:11], v[10:11], v[20:21]
	v_mov_b32_e32 v12, v35
	v_mov_b32_e32 v15, v13
	v_pk_mul_f32 v[12:13], v[18:19], v[12:13] op_sel:[1,0] op_sel_hi:[0,0]
	v_pk_add_f32 v[10:11], v[10:11], v[14:15]
	v_pk_fma_f32 v[14:15], v[18:19], v[34:35], v[12:13] neg_lo:[0,0,1] neg_hi:[0,0,1]
	v_pk_fma_f32 v[12:13], v[18:19], v[34:35], v[12:13] op_sel_hi:[1,0,1]
	s_nop 0
	v_mov_b32_e32 v15, v13
	s_waitcnt vmcnt(1) lgkmcnt(1)
	v_pk_mul_f32 v[12:13], v[4:5], v[36:37] op_sel:[1,1] op_sel_hi:[0,1]
	v_pk_add_f32 v[10:11], v[10:11], v[14:15]
	v_pk_fma_f32 v[14:15], v[4:5], v[36:37], v[12:13] neg_lo:[0,0,1] neg_hi:[0,0,1]
	v_pk_fma_f32 v[4:5], v[4:5], v[36:37], v[12:13] op_sel_hi:[1,0,1]
	s_nop 0
	v_mov_b32_e32 v15, v5
	v_pk_add_f32 v[4:5], v[10:11], v[14:15]
	v_mov_b32_e32 v10, v39
	v_pk_mul_f32 v[10:11], v[6:7], v[10:11] op_sel:[1,0] op_sel_hi:[0,0]
	v_pk_fma_f32 v[12:13], v[6:7], v[38:39], v[10:11] neg_lo:[0,0,1] neg_hi:[0,0,1]
	v_pk_fma_f32 v[6:7], v[6:7], v[38:39], v[10:11] op_sel_hi:[1,0,1]
	s_nop 0
	v_mov_b32_e32 v13, v7
	s_waitcnt vmcnt(0) lgkmcnt(0)
	v_pk_mul_f32 v[6:7], v[8:9], v[46:47] op_sel:[1,1] op_sel_hi:[0,1]
	v_pk_fma_f32 v[10:11], v[8:9], v[46:47], v[6:7] neg_lo:[0,0,1] neg_hi:[0,0,1]
	v_pk_fma_f32 v[6:7], v[8:9], v[46:47], v[6:7] op_sel_hi:[1,0,1]
	v_pk_add_f32 v[4:5], v[4:5], v[12:13]
	v_mov_b32_e32 v11, v7
	scratch_load_dwordx2 v[6:7], off, off offset:216
	v_pk_add_f32 v[4:5], v[4:5], v[10:11]
	s_waitcnt vmcnt(0)
	v_pk_add_f32 v[4:5], v[6:7], v[4:5] neg_lo:[0,1] neg_hi:[0,1]
	scratch_store_dwordx2 off, v[4:5], off offset:216
	s_and_saveexec_b64 s[0:1], vcc
	s_cbranch_execz .LBB102_195
; %bb.194:
	scratch_load_dwordx2 v[4:5], off, off offset:208
	v_mov_b32_e32 v3, v2
	scratch_store_dwordx2 off, v[2:3], off offset:208
	s_waitcnt vmcnt(1)
	ds_write_b64 v1, v[4:5]
.LBB102_195:
	s_or_b64 exec, exec, s[0:1]
	s_waitcnt lgkmcnt(0)
	; wave barrier
	scratch_load_dwordx4 v[8:11], off, off offset:216
	scratch_load_dwordx4 v[16:19], off, off offset:232
	ds_read2_b64 v[4:7], v2 offset0:67 offset1:68
	v_cmp_lt_u32_e32 vcc, 25, v0
	s_waitcnt vmcnt(1) lgkmcnt(0)
	v_mul_f32_e32 v3, v4, v9
	v_fmac_f32_e32 v3, v5, v8
	v_mul_f32_e32 v12, v6, v11
	v_add_f32_e32 v3, 0, v3
	v_fmac_f32_e32 v12, v7, v10
	v_add_f32_e32 v37, v3, v12
	ds_read2_b64 v[12:15], v2 offset0:69 offset1:70
	scratch_load_dwordx4 v[20:23], off, off offset:248
	scratch_load_dwordx4 v[24:27], off, off offset:264
	;; [unrolled: 1-line block ×4, first 2 shown]
	v_mul_f32_e32 v3, v5, v9
	v_fma_f32 v3, v4, v8, -v3
	v_mul_f32_e32 v4, v7, v11
	v_add_f32_e32 v3, 0, v3
	v_fma_f32 v4, v6, v10, -v4
	v_add_f32_e32 v36, v3, v4
	s_waitcnt vmcnt(4) lgkmcnt(0)
	v_mul_f32_e32 v3, v13, v17
	v_mul_f32_e32 v39, v12, v17
	v_mul_f32_e32 v41, v14, v19
	v_fma_f32 v38, v12, v16, -v3
	v_mul_f32_e32 v3, v15, v19
	v_fmac_f32_e32 v39, v13, v16
	v_fmac_f32_e32 v41, v15, v18
	v_fma_f32 v40, v14, v18, -v3
	ds_read2_b64 v[4:7], v2 offset0:71 offset1:72
	ds_read2_b64 v[8:11], v2 offset0:73 offset1:74
	;; [unrolled: 1-line block ×4, first 2 shown]
	v_pk_add_f32 v[2:3], v[36:37], v[38:39]
	s_waitcnt vmcnt(3) lgkmcnt(3)
	v_pk_mul_f32 v[36:37], v[4:5], v[20:21] op_sel:[1,1] op_sel_hi:[0,1]
	v_pk_fma_f32 v[38:39], v[4:5], v[20:21], v[36:37] neg_lo:[0,0,1] neg_hi:[0,0,1]
	v_pk_fma_f32 v[4:5], v[4:5], v[20:21], v[36:37] op_sel_hi:[1,0,1]
	v_pk_add_f32 v[2:3], v[2:3], v[40:41]
	v_mov_b32_e32 v4, v23
	v_mov_b32_e32 v39, v5
	v_pk_mul_f32 v[4:5], v[6:7], v[4:5] op_sel:[1,0] op_sel_hi:[0,0]
	v_pk_fma_f32 v[20:21], v[6:7], v[22:23], v[4:5] neg_lo:[0,0,1] neg_hi:[0,0,1]
	v_pk_fma_f32 v[4:5], v[6:7], v[22:23], v[4:5] op_sel_hi:[1,0,1]
	v_pk_add_f32 v[2:3], v[2:3], v[38:39]
	v_mov_b32_e32 v21, v5
	s_waitcnt vmcnt(2) lgkmcnt(2)
	v_pk_mul_f32 v[4:5], v[8:9], v[24:25] op_sel:[1,1] op_sel_hi:[0,1]
	v_pk_fma_f32 v[6:7], v[8:9], v[24:25], v[4:5] neg_lo:[0,0,1] neg_hi:[0,0,1]
	v_pk_fma_f32 v[4:5], v[8:9], v[24:25], v[4:5] op_sel_hi:[1,0,1]
	v_pk_add_f32 v[2:3], v[2:3], v[20:21]
	v_mov_b32_e32 v4, v27
	v_mov_b32_e32 v7, v5
	v_pk_mul_f32 v[4:5], v[10:11], v[4:5] op_sel:[1,0] op_sel_hi:[0,0]
	v_pk_add_f32 v[2:3], v[2:3], v[6:7]
	v_pk_fma_f32 v[6:7], v[10:11], v[26:27], v[4:5] neg_lo:[0,0,1] neg_hi:[0,0,1]
	v_pk_fma_f32 v[4:5], v[10:11], v[26:27], v[4:5] op_sel_hi:[1,0,1]
	s_nop 0
	v_mov_b32_e32 v7, v5
	s_waitcnt vmcnt(1) lgkmcnt(1)
	v_pk_mul_f32 v[4:5], v[12:13], v[28:29] op_sel:[1,1] op_sel_hi:[0,1]
	v_pk_add_f32 v[2:3], v[2:3], v[6:7]
	v_pk_fma_f32 v[6:7], v[12:13], v[28:29], v[4:5] neg_lo:[0,0,1] neg_hi:[0,0,1]
	v_pk_fma_f32 v[4:5], v[12:13], v[28:29], v[4:5] op_sel_hi:[1,0,1]
	s_nop 0
	v_mov_b32_e32 v4, v31
	v_mov_b32_e32 v7, v5
	v_pk_mul_f32 v[4:5], v[14:15], v[4:5] op_sel:[1,0] op_sel_hi:[0,0]
	v_pk_add_f32 v[2:3], v[2:3], v[6:7]
	v_pk_fma_f32 v[6:7], v[14:15], v[30:31], v[4:5] neg_lo:[0,0,1] neg_hi:[0,0,1]
	v_pk_fma_f32 v[4:5], v[14:15], v[30:31], v[4:5] op_sel_hi:[1,0,1]
	s_nop 0
	v_mov_b32_e32 v7, v5
	s_waitcnt vmcnt(0) lgkmcnt(0)
	v_pk_mul_f32 v[4:5], v[16:17], v[32:33] op_sel:[1,1] op_sel_hi:[0,1]
	v_pk_add_f32 v[2:3], v[2:3], v[6:7]
	v_pk_fma_f32 v[6:7], v[16:17], v[32:33], v[4:5] neg_lo:[0,0,1] neg_hi:[0,0,1]
	v_pk_fma_f32 v[4:5], v[16:17], v[32:33], v[4:5] op_sel_hi:[1,0,1]
	s_nop 0
	v_mov_b32_e32 v4, v35
	v_mov_b32_e32 v7, v5
	v_pk_mul_f32 v[4:5], v[18:19], v[4:5] op_sel:[1,0] op_sel_hi:[0,0]
	v_pk_add_f32 v[2:3], v[2:3], v[6:7]
	v_pk_fma_f32 v[6:7], v[18:19], v[34:35], v[4:5] neg_lo:[0,0,1] neg_hi:[0,0,1]
	v_pk_fma_f32 v[4:5], v[18:19], v[34:35], v[4:5] op_sel_hi:[1,0,1]
	s_nop 0
	v_mov_b32_e32 v7, v5
	scratch_load_dwordx2 v[4:5], off, off offset:208
	v_pk_add_f32 v[2:3], v[2:3], v[6:7]
	s_waitcnt vmcnt(0)
	v_pk_add_f32 v[2:3], v[4:5], v[2:3] neg_lo:[0,1] neg_hi:[0,1]
	scratch_store_dwordx2 off, v[2:3], off offset:208
	s_and_saveexec_b64 s[0:1], vcc
	s_cbranch_execz .LBB102_197
; %bb.196:
	scratch_load_dwordx2 v[2:3], off, off offset:200
	v_mov_b32_e32 v4, 0
	v_mov_b32_e32 v5, v4
	scratch_store_dwordx2 off, v[4:5], off offset:200
	s_waitcnt vmcnt(1)
	ds_write_b64 v1, v[2:3]
.LBB102_197:
	s_or_b64 exec, exec, s[0:1]
	v_mov_b32_e32 v2, 0
	s_waitcnt lgkmcnt(0)
	; wave barrier
	ds_read_b128 v[4:7], v2 offset:528
	ds_read_b128 v[8:11], v2 offset:544
	;; [unrolled: 1-line block ×4, first 2 shown]
	scratch_load_dwordx4 v[20:23], off, off offset:208
	v_cmp_lt_u32_e32 vcc, 24, v0
	s_waitcnt vmcnt(0) lgkmcnt(3)
	v_mul_f32_e32 v3, v4, v21
	v_fmac_f32_e32 v3, v5, v20
	v_mul_f32_e32 v24, v6, v23
	v_add_f32_e32 v3, 0, v3
	v_fmac_f32_e32 v24, v7, v22
	v_add_f32_e32 v3, v3, v24
	scratch_load_dwordx4 v[24:27], off, off offset:224
	s_waitcnt vmcnt(0) lgkmcnt(2)
	v_mul_f32_e32 v28, v8, v25
	v_fmac_f32_e32 v28, v9, v24
	v_add_f32_e32 v45, v3, v28
	scratch_load_dwordx4 v[28:31], off, off offset:240
	scratch_load_dwordx4 v[32:35], off, off offset:256
	;; [unrolled: 1-line block ×4, first 2 shown]
	scratch_load_dwordx2 v[50:51], off, off offset:304
	v_mul_f32_e32 v3, v5, v21
	v_fma_f32 v3, v4, v20, -v3
	v_mul_f32_e32 v4, v7, v23
	v_add_f32_e32 v3, 0, v3
	v_fma_f32 v4, v6, v22, -v4
	v_add_f32_e32 v3, v3, v4
	v_mul_f32_e32 v4, v9, v25
	v_fma_f32 v4, v8, v24, -v4
	v_mul_f32_e32 v47, v10, v27
	v_add_f32_e32 v44, v3, v4
	v_mul_f32_e32 v3, v11, v27
	v_fmac_f32_e32 v47, v11, v26
	v_fma_f32 v46, v10, v26, -v3
	v_pk_add_f32 v[20:21], v[44:45], v[46:47]
	s_waitcnt vmcnt(4)
	v_mov_b32_e32 v22, v31
	s_waitcnt lgkmcnt(1)
	v_mul_f32_e32 v49, v12, v29
	v_mul_f32_e32 v3, v13, v29
	v_pk_mul_f32 v[22:23], v[14:15], v[22:23] op_sel:[1,0] op_sel_hi:[0,0]
	v_fmac_f32_e32 v49, v13, v28
	v_fma_f32 v48, v12, v28, -v3
	v_pk_fma_f32 v[24:25], v[14:15], v[30:31], v[22:23] neg_lo:[0,0,1] neg_hi:[0,0,1]
	v_pk_fma_f32 v[14:15], v[14:15], v[30:31], v[22:23] op_sel_hi:[1,0,1]
	v_pk_add_f32 v[20:21], v[20:21], v[48:49]
	v_mov_b32_e32 v25, v15
	v_pk_add_f32 v[14:15], v[20:21], v[24:25]
	s_waitcnt vmcnt(3) lgkmcnt(0)
	v_pk_mul_f32 v[20:21], v[16:17], v[32:33] op_sel:[1,1] op_sel_hi:[0,1]
	v_pk_fma_f32 v[22:23], v[16:17], v[32:33], v[20:21] neg_lo:[0,0,1] neg_hi:[0,0,1]
	v_pk_fma_f32 v[16:17], v[16:17], v[32:33], v[20:21] op_sel_hi:[1,0,1]
	ds_read_b128 v[4:7], v2 offset:592
	ds_read_b128 v[8:11], v2 offset:608
	ds_read_b64 v[12:13], v2 offset:624
	v_mov_b32_e32 v16, v35
	v_mov_b32_e32 v23, v17
	v_pk_mul_f32 v[16:17], v[18:19], v[16:17] op_sel:[1,0] op_sel_hi:[0,0]
	v_pk_fma_f32 v[20:21], v[18:19], v[34:35], v[16:17] neg_lo:[0,0,1] neg_hi:[0,0,1]
	v_pk_fma_f32 v[16:17], v[18:19], v[34:35], v[16:17] op_sel_hi:[1,0,1]
	v_pk_add_f32 v[14:15], v[14:15], v[22:23]
	v_mov_b32_e32 v21, v17
	s_waitcnt vmcnt(2) lgkmcnt(2)
	v_pk_mul_f32 v[16:17], v[4:5], v[36:37] op_sel:[1,1] op_sel_hi:[0,1]
	v_pk_fma_f32 v[18:19], v[4:5], v[36:37], v[16:17] neg_lo:[0,0,1] neg_hi:[0,0,1]
	v_pk_fma_f32 v[4:5], v[4:5], v[36:37], v[16:17] op_sel_hi:[1,0,1]
	v_pk_add_f32 v[14:15], v[14:15], v[20:21]
	v_mov_b32_e32 v19, v5
	v_pk_add_f32 v[4:5], v[14:15], v[18:19]
	v_mov_b32_e32 v14, v39
	v_pk_mul_f32 v[14:15], v[6:7], v[14:15] op_sel:[1,0] op_sel_hi:[0,0]
	v_pk_fma_f32 v[16:17], v[6:7], v[38:39], v[14:15] neg_lo:[0,0,1] neg_hi:[0,0,1]
	v_pk_fma_f32 v[6:7], v[6:7], v[38:39], v[14:15] op_sel_hi:[1,0,1]
	s_nop 0
	v_mov_b32_e32 v17, v7
	s_waitcnt vmcnt(1) lgkmcnt(1)
	v_pk_mul_f32 v[6:7], v[8:9], v[40:41] op_sel:[1,1] op_sel_hi:[0,1]
	v_pk_fma_f32 v[14:15], v[8:9], v[40:41], v[6:7] neg_lo:[0,0,1] neg_hi:[0,0,1]
	v_pk_fma_f32 v[6:7], v[8:9], v[40:41], v[6:7] op_sel_hi:[1,0,1]
	v_pk_add_f32 v[4:5], v[4:5], v[16:17]
	v_mov_b32_e32 v6, v43
	v_mov_b32_e32 v15, v7
	v_pk_mul_f32 v[6:7], v[10:11], v[6:7] op_sel:[1,0] op_sel_hi:[0,0]
	v_pk_fma_f32 v[8:9], v[10:11], v[42:43], v[6:7] neg_lo:[0,0,1] neg_hi:[0,0,1]
	v_pk_fma_f32 v[6:7], v[10:11], v[42:43], v[6:7] op_sel_hi:[1,0,1]
	v_pk_add_f32 v[4:5], v[4:5], v[14:15]
	v_mov_b32_e32 v9, v7
	s_waitcnt vmcnt(0) lgkmcnt(0)
	v_pk_mul_f32 v[6:7], v[12:13], v[50:51] op_sel:[1,1] op_sel_hi:[0,1]
	v_pk_add_f32 v[4:5], v[4:5], v[8:9]
	v_pk_fma_f32 v[8:9], v[12:13], v[50:51], v[6:7] neg_lo:[0,0,1] neg_hi:[0,0,1]
	v_pk_fma_f32 v[6:7], v[12:13], v[50:51], v[6:7] op_sel_hi:[1,0,1]
	s_nop 0
	v_mov_b32_e32 v9, v7
	scratch_load_dwordx2 v[6:7], off, off offset:200
	v_pk_add_f32 v[4:5], v[4:5], v[8:9]
	s_waitcnt vmcnt(0)
	v_pk_add_f32 v[4:5], v[6:7], v[4:5] neg_lo:[0,1] neg_hi:[0,1]
	scratch_store_dwordx2 off, v[4:5], off offset:200
	s_and_saveexec_b64 s[0:1], vcc
	s_cbranch_execz .LBB102_199
; %bb.198:
	scratch_load_dwordx2 v[4:5], off, off offset:192
	v_mov_b32_e32 v3, v2
	scratch_store_dwordx2 off, v[2:3], off offset:192
	s_waitcnt vmcnt(1)
	ds_write_b64 v1, v[4:5]
.LBB102_199:
	s_or_b64 exec, exec, s[0:1]
	s_waitcnt lgkmcnt(0)
	; wave barrier
	scratch_load_dwordx4 v[8:11], off, off offset:200
	scratch_load_dwordx4 v[16:19], off, off offset:216
	ds_read2_b64 v[4:7], v2 offset0:65 offset1:66
	scratch_load_dwordx4 v[24:27], off, off offset:232
	v_cmp_lt_u32_e32 vcc, 23, v0
	s_waitcnt vmcnt(2) lgkmcnt(0)
	v_mul_f32_e32 v3, v4, v9
	v_fmac_f32_e32 v3, v5, v8
	v_mul_f32_e32 v12, v6, v11
	v_add_f32_e32 v3, 0, v3
	v_fmac_f32_e32 v12, v7, v10
	v_add_f32_e32 v3, v3, v12
	ds_read2_b64 v[12:15], v2 offset0:67 offset1:68
	s_waitcnt vmcnt(1) lgkmcnt(0)
	v_mul_f32_e32 v20, v12, v17
	v_fmac_f32_e32 v20, v13, v16
	v_add_f32_e32 v3, v3, v20
	v_mul_f32_e32 v20, v14, v19
	v_fmac_f32_e32 v20, v15, v18
	v_add_f32_e32 v45, v3, v20
	ds_read2_b64 v[20:23], v2 offset0:69 offset1:70
	scratch_load_dwordx4 v[28:31], off, off offset:248
	scratch_load_dwordx4 v[32:35], off, off offset:264
	;; [unrolled: 1-line block ×4, first 2 shown]
	v_mul_f32_e32 v3, v5, v9
	v_fma_f32 v3, v4, v8, -v3
	v_mul_f32_e32 v4, v7, v11
	v_add_f32_e32 v3, 0, v3
	v_fma_f32 v4, v6, v10, -v4
	v_add_f32_e32 v3, v3, v4
	v_mul_f32_e32 v4, v13, v17
	v_fma_f32 v4, v12, v16, -v4
	v_add_f32_e32 v3, v3, v4
	v_mul_f32_e32 v4, v15, v19
	v_fma_f32 v4, v14, v18, -v4
	v_add_f32_e32 v44, v3, v4
	ds_read2_b64 v[4:7], v2 offset0:71 offset1:72
	ds_read2_b64 v[8:11], v2 offset0:73 offset1:74
	;; [unrolled: 1-line block ×4, first 2 shown]
	s_waitcnt vmcnt(4) lgkmcnt(4)
	v_mul_f32_e32 v47, v20, v25
	v_mul_f32_e32 v3, v21, v25
	v_fmac_f32_e32 v47, v21, v24
	v_mul_f32_e32 v49, v22, v27
	v_fma_f32 v46, v20, v24, -v3
	v_mul_f32_e32 v3, v23, v27
	v_fmac_f32_e32 v49, v23, v26
	v_fma_f32 v48, v22, v26, -v3
	v_pk_add_f32 v[2:3], v[44:45], v[46:47]
	s_waitcnt vmcnt(3) lgkmcnt(3)
	v_pk_mul_f32 v[20:21], v[4:5], v[28:29] op_sel:[1,1] op_sel_hi:[0,1]
	v_pk_fma_f32 v[22:23], v[4:5], v[28:29], v[20:21] neg_lo:[0,0,1] neg_hi:[0,0,1]
	v_pk_fma_f32 v[4:5], v[4:5], v[28:29], v[20:21] op_sel_hi:[1,0,1]
	v_pk_add_f32 v[2:3], v[2:3], v[48:49]
	v_mov_b32_e32 v4, v31
	v_mov_b32_e32 v23, v5
	v_pk_mul_f32 v[4:5], v[6:7], v[4:5] op_sel:[1,0] op_sel_hi:[0,0]
	v_pk_fma_f32 v[20:21], v[6:7], v[30:31], v[4:5] neg_lo:[0,0,1] neg_hi:[0,0,1]
	v_pk_fma_f32 v[4:5], v[6:7], v[30:31], v[4:5] op_sel_hi:[1,0,1]
	v_pk_add_f32 v[2:3], v[2:3], v[22:23]
	v_mov_b32_e32 v21, v5
	s_waitcnt vmcnt(2) lgkmcnt(2)
	v_pk_mul_f32 v[4:5], v[8:9], v[32:33] op_sel:[1,1] op_sel_hi:[0,1]
	v_pk_fma_f32 v[6:7], v[8:9], v[32:33], v[4:5] neg_lo:[0,0,1] neg_hi:[0,0,1]
	v_pk_fma_f32 v[4:5], v[8:9], v[32:33], v[4:5] op_sel_hi:[1,0,1]
	v_pk_add_f32 v[2:3], v[2:3], v[20:21]
	v_mov_b32_e32 v4, v35
	v_mov_b32_e32 v7, v5
	v_pk_mul_f32 v[4:5], v[10:11], v[4:5] op_sel:[1,0] op_sel_hi:[0,0]
	v_pk_add_f32 v[2:3], v[2:3], v[6:7]
	v_pk_fma_f32 v[6:7], v[10:11], v[34:35], v[4:5] neg_lo:[0,0,1] neg_hi:[0,0,1]
	v_pk_fma_f32 v[4:5], v[10:11], v[34:35], v[4:5] op_sel_hi:[1,0,1]
	s_nop 0
	v_mov_b32_e32 v7, v5
	s_waitcnt vmcnt(1) lgkmcnt(1)
	v_pk_mul_f32 v[4:5], v[12:13], v[36:37] op_sel:[1,1] op_sel_hi:[0,1]
	v_pk_add_f32 v[2:3], v[2:3], v[6:7]
	v_pk_fma_f32 v[6:7], v[12:13], v[36:37], v[4:5] neg_lo:[0,0,1] neg_hi:[0,0,1]
	v_pk_fma_f32 v[4:5], v[12:13], v[36:37], v[4:5] op_sel_hi:[1,0,1]
	s_nop 0
	v_mov_b32_e32 v4, v39
	v_mov_b32_e32 v7, v5
	v_pk_mul_f32 v[4:5], v[14:15], v[4:5] op_sel:[1,0] op_sel_hi:[0,0]
	v_pk_add_f32 v[2:3], v[2:3], v[6:7]
	v_pk_fma_f32 v[6:7], v[14:15], v[38:39], v[4:5] neg_lo:[0,0,1] neg_hi:[0,0,1]
	v_pk_fma_f32 v[4:5], v[14:15], v[38:39], v[4:5] op_sel_hi:[1,0,1]
	s_nop 0
	v_mov_b32_e32 v7, v5
	s_waitcnt vmcnt(0) lgkmcnt(0)
	v_pk_mul_f32 v[4:5], v[16:17], v[40:41] op_sel:[1,1] op_sel_hi:[0,1]
	v_pk_add_f32 v[2:3], v[2:3], v[6:7]
	v_pk_fma_f32 v[6:7], v[16:17], v[40:41], v[4:5] neg_lo:[0,0,1] neg_hi:[0,0,1]
	v_pk_fma_f32 v[4:5], v[16:17], v[40:41], v[4:5] op_sel_hi:[1,0,1]
	s_nop 0
	v_mov_b32_e32 v4, v43
	v_mov_b32_e32 v7, v5
	v_pk_mul_f32 v[4:5], v[18:19], v[4:5] op_sel:[1,0] op_sel_hi:[0,0]
	v_pk_add_f32 v[2:3], v[2:3], v[6:7]
	v_pk_fma_f32 v[6:7], v[18:19], v[42:43], v[4:5] neg_lo:[0,0,1] neg_hi:[0,0,1]
	v_pk_fma_f32 v[4:5], v[18:19], v[42:43], v[4:5] op_sel_hi:[1,0,1]
	s_nop 0
	v_mov_b32_e32 v7, v5
	scratch_load_dwordx2 v[4:5], off, off offset:192
	v_pk_add_f32 v[2:3], v[2:3], v[6:7]
	s_waitcnt vmcnt(0)
	v_pk_add_f32 v[2:3], v[4:5], v[2:3] neg_lo:[0,1] neg_hi:[0,1]
	scratch_store_dwordx2 off, v[2:3], off offset:192
	s_and_saveexec_b64 s[0:1], vcc
	s_cbranch_execz .LBB102_201
; %bb.200:
	scratch_load_dwordx2 v[2:3], off, off offset:184
	v_mov_b32_e32 v4, 0
	v_mov_b32_e32 v5, v4
	scratch_store_dwordx2 off, v[4:5], off offset:184
	s_waitcnt vmcnt(1)
	ds_write_b64 v1, v[2:3]
.LBB102_201:
	s_or_b64 exec, exec, s[0:1]
	s_waitcnt lgkmcnt(0)
	; wave barrier
	scratch_load_dwordx4 v[4:7], off, off offset:192
	scratch_load_dwordx4 v[8:11], off, off offset:208
	;; [unrolled: 1-line block ×7, first 2 shown]
	scratch_load_dwordx2 v[60:61], off, off offset:304
	scratch_load_dwordx2 v[62:63], off, off offset:184
	v_mov_b32_e32 v2, 0
	ds_read_b128 v[32:35], v2 offset:512
	ds_read_b128 v[36:39], v2 offset:528
	;; [unrolled: 1-line block ×7, first 2 shown]
	ds_read_b64 v[64:65], v2 offset:624
	v_cmp_lt_u32_e32 vcc, 22, v0
	s_waitcnt vmcnt(8) lgkmcnt(7)
	v_mul_f32_e32 v71, v34, v7
	v_mul_f32_e32 v3, v32, v5
	s_waitcnt vmcnt(7) lgkmcnt(6)
	v_mul_f32_e32 v75, v36, v9
	s_waitcnt vmcnt(6) lgkmcnt(5)
	v_mul_f32_e32 v83, v40, v13
	v_mul_f32_e32 v67, v42, v15
	;; [unrolled: 1-line block ×5, first 2 shown]
	s_waitcnt vmcnt(5)
	v_mov_b32_e32 v70, v19
	s_waitcnt vmcnt(3) lgkmcnt(2)
	v_pk_mul_f32 v[76:77], v[52:53], v[24:25] op_sel:[1,1] op_sel_hi:[0,1]
	s_waitcnt vmcnt(2) lgkmcnt(1)
	v_pk_mul_f32 v[80:81], v[56:57], v[28:29] op_sel:[1,1] op_sel_hi:[0,1]
	v_fmac_f32_e32 v71, v35, v6
	v_mul_f32_e32 v7, v35, v7
	v_mul_f32_e32 v9, v37, v9
	v_fmac_f32_e32 v3, v33, v4
	v_fmac_f32_e32 v75, v37, v8
	;; [unrolled: 1-line block ×4, first 2 shown]
	v_fma_f32 v32, v32, v4, -v5
	v_fma_f32 v37, v40, v12, -v13
	;; [unrolled: 1-line block ×3, first 2 shown]
	v_pk_mul_f32 v[4:5], v[46:47], v[70:71] op_sel:[1,0] op_sel_hi:[0,0]
	v_pk_fma_f32 v[12:13], v[52:53], v[24:25], v[76:77] neg_lo:[0,0,1] neg_hi:[0,0,1]
	v_pk_fma_f32 v[14:15], v[52:53], v[24:25], v[76:77] op_sel_hi:[1,0,1]
	v_pk_fma_f32 v[24:25], v[56:57], v[28:29], v[80:81] op_sel_hi:[1,0,1]
	v_fma_f32 v34, v34, v6, -v7
	v_add_f32_e32 v3, 0, v3
	v_add_f32_e32 v24, 0, v32
	v_pk_fma_f32 v[32:33], v[46:47], v[18:19], v[4:5] neg_lo:[0,0,1] neg_hi:[0,0,1]
	v_pk_fma_f32 v[4:5], v[46:47], v[18:19], v[4:5] op_sel_hi:[1,0,1]
	v_mul_f32_e32 v79, v38, v11
	v_mul_f32_e32 v11, v39, v11
	v_fma_f32 v35, v36, v8, -v9
	v_add_f32_e32 v3, v3, v71
	v_add_f32_e32 v4, v24, v34
	v_fmac_f32_e32 v79, v39, v10
	v_fma_f32 v36, v38, v10, -v11
	v_add_f32_e32 v3, v3, v75
	v_add_f32_e32 v4, v4, v35
	;; [unrolled: 1-line block ×4, first 2 shown]
	v_mul_f32_e32 v69, v44, v17
	v_mul_f32_e32 v17, v45, v17
	v_mov_b32_e32 v33, v5
	v_add_f32_e32 v5, v3, v83
	v_add_f32_e32 v4, v4, v37
	v_pk_mul_f32 v[72:73], v[48:49], v[20:21] op_sel:[1,1] op_sel_hi:[0,1]
	v_mov_b32_e32 v74, v23
	v_fmac_f32_e32 v69, v45, v16
	v_fma_f32 v68, v44, v16, -v17
	v_pk_add_f32 v[4:5], v[4:5], v[66:67]
	v_pk_fma_f32 v[6:7], v[48:49], v[20:21], v[72:73] neg_lo:[0,0,1] neg_hi:[0,0,1]
	v_pk_fma_f32 v[8:9], v[48:49], v[20:21], v[72:73] op_sel_hi:[1,0,1]
	v_pk_mul_f32 v[10:11], v[50:51], v[74:75] op_sel:[1,0] op_sel_hi:[0,0]
	v_pk_add_f32 v[4:5], v[4:5], v[68:69]
	v_mov_b32_e32 v78, v27
	v_mov_b32_e32 v7, v9
	v_pk_fma_f32 v[8:9], v[50:51], v[22:23], v[10:11] neg_lo:[0,0,1] neg_hi:[0,0,1]
	v_pk_fma_f32 v[10:11], v[50:51], v[22:23], v[10:11] op_sel_hi:[1,0,1]
	v_pk_add_f32 v[4:5], v[4:5], v[32:33]
	v_pk_mul_f32 v[16:17], v[54:55], v[78:79] op_sel:[1,0] op_sel_hi:[0,0]
	v_mov_b32_e32 v9, v11
	v_pk_add_f32 v[4:5], v[4:5], v[6:7]
	v_mov_b32_e32 v82, v31
	v_mov_b32_e32 v13, v15
	v_pk_fma_f32 v[14:15], v[54:55], v[26:27], v[16:17] neg_lo:[0,0,1] neg_hi:[0,0,1]
	v_pk_fma_f32 v[16:17], v[54:55], v[26:27], v[16:17] op_sel_hi:[1,0,1]
	v_pk_add_f32 v[4:5], v[4:5], v[8:9]
	v_pk_fma_f32 v[20:21], v[56:57], v[28:29], v[80:81] neg_lo:[0,0,1] neg_hi:[0,0,1]
	v_pk_mul_f32 v[28:29], v[58:59], v[82:83] op_sel:[1,0] op_sel_hi:[0,0]
	v_mov_b32_e32 v15, v17
	v_pk_add_f32 v[4:5], v[4:5], v[12:13]
	v_mov_b32_e32 v21, v25
	v_pk_add_f32 v[4:5], v[4:5], v[14:15]
	v_pk_fma_f32 v[6:7], v[58:59], v[30:31], v[28:29] neg_lo:[0,0,1] neg_hi:[0,0,1]
	v_pk_fma_f32 v[8:9], v[58:59], v[30:31], v[28:29] op_sel_hi:[1,0,1]
	v_pk_add_f32 v[4:5], v[4:5], v[20:21]
	v_mov_b32_e32 v7, v9
	v_pk_add_f32 v[4:5], v[4:5], v[6:7]
	s_waitcnt vmcnt(1) lgkmcnt(0)
	v_pk_mul_f32 v[6:7], v[64:65], v[60:61] op_sel:[1,1] op_sel_hi:[0,1]
	v_pk_fma_f32 v[8:9], v[64:65], v[60:61], v[6:7] neg_lo:[0,0,1] neg_hi:[0,0,1]
	v_pk_fma_f32 v[6:7], v[64:65], v[60:61], v[6:7] op_sel_hi:[1,0,1]
	s_nop 0
	v_mov_b32_e32 v9, v7
	v_pk_add_f32 v[4:5], v[4:5], v[8:9]
	s_waitcnt vmcnt(0)
	v_pk_add_f32 v[4:5], v[62:63], v[4:5] neg_lo:[0,1] neg_hi:[0,1]
	scratch_store_dwordx2 off, v[4:5], off offset:184
	s_and_saveexec_b64 s[0:1], vcc
	s_cbranch_execz .LBB102_203
; %bb.202:
	scratch_load_dwordx2 v[4:5], off, off offset:176
	v_mov_b32_e32 v3, v2
	scratch_store_dwordx2 off, v[2:3], off offset:176
	s_waitcnt vmcnt(1)
	ds_write_b64 v1, v[4:5]
.LBB102_203:
	s_or_b64 exec, exec, s[0:1]
	s_waitcnt lgkmcnt(0)
	; wave barrier
	scratch_load_dwordx4 v[4:7], off, off offset:184
	scratch_load_dwordx4 v[8:11], off, off offset:200
	;; [unrolled: 1-line block ×7, first 2 shown]
	ds_read2_b64 v[32:35], v2 offset0:63 offset1:64
	ds_read2_b64 v[36:39], v2 offset0:65 offset1:66
	;; [unrolled: 1-line block ×4, first 2 shown]
	scratch_load_dwordx4 v[48:51], off, off offset:296
	ds_read2_b64 v[52:55], v2 offset0:71 offset1:72
	ds_read2_b64 v[56:59], v2 offset0:73 offset1:74
	;; [unrolled: 1-line block ×4, first 2 shown]
	scratch_load_dwordx2 v[2:3], off, off offset:176
	v_cmp_lt_u32_e32 vcc, 21, v0
	s_waitcnt vmcnt(8) lgkmcnt(7)
	v_mul_f32_e32 v75, v32, v5
	v_mul_f32_e32 v79, v34, v7
	s_waitcnt vmcnt(7) lgkmcnt(6)
	v_mul_f32_e32 v83, v36, v9
	v_mul_f32_e32 v84, v38, v11
	;; [unrolled: 3-line block ×3, first 2 shown]
	v_mul_f32_e32 v5, v33, v5
	v_mul_f32_e32 v7, v35, v7
	;; [unrolled: 1-line block ×6, first 2 shown]
	s_waitcnt vmcnt(4) lgkmcnt(3)
	v_pk_mul_f32 v[72:73], v[52:53], v[20:21] op_sel:[1,1] op_sel_hi:[0,1]
	v_mov_b32_e32 v74, v23
	s_waitcnt vmcnt(3) lgkmcnt(2)
	v_pk_mul_f32 v[76:77], v[56:57], v[24:25] op_sel:[1,1] op_sel_hi:[0,1]
	v_mov_b32_e32 v78, v27
	v_fmac_f32_e32 v75, v33, v4
	v_fmac_f32_e32 v79, v35, v6
	;; [unrolled: 1-line block ×6, first 2 shown]
	v_fma_f32 v32, v32, v4, -v5
	v_fma_f32 v33, v34, v6, -v7
	;; [unrolled: 1-line block ×6, first 2 shown]
	v_pk_fma_f32 v[4:5], v[52:53], v[20:21], v[72:73] neg_lo:[0,0,1] neg_hi:[0,0,1]
	v_pk_fma_f32 v[6:7], v[52:53], v[20:21], v[72:73] op_sel_hi:[1,0,1]
	v_pk_mul_f32 v[8:9], v[54:55], v[74:75] op_sel:[1,0] op_sel_hi:[0,0]
	v_pk_fma_f32 v[10:11], v[56:57], v[24:25], v[76:77] neg_lo:[0,0,1] neg_hi:[0,0,1]
	v_pk_fma_f32 v[12:13], v[56:57], v[24:25], v[76:77] op_sel_hi:[1,0,1]
	v_pk_mul_f32 v[14:15], v[58:59], v[78:79] op_sel:[1,0] op_sel_hi:[0,0]
	v_add_f32_e32 v24, 0, v75
	v_add_f32_e32 v25, 0, v32
	v_mov_b32_e32 v5, v7
	v_pk_fma_f32 v[6:7], v[54:55], v[22:23], v[8:9] neg_lo:[0,0,1] neg_hi:[0,0,1]
	v_pk_fma_f32 v[8:9], v[54:55], v[22:23], v[8:9] op_sel_hi:[1,0,1]
	v_mov_b32_e32 v11, v13
	v_pk_fma_f32 v[12:13], v[58:59], v[26:27], v[14:15] neg_lo:[0,0,1] neg_hi:[0,0,1]
	v_pk_fma_f32 v[14:15], v[58:59], v[26:27], v[14:15] op_sel_hi:[1,0,1]
	v_add_f32_e32 v8, v24, v79
	v_add_f32_e32 v14, v25, v33
	v_mov_b32_e32 v7, v9
	v_add_f32_e32 v8, v8, v83
	v_add_f32_e32 v9, v14, v34
	;; [unrolled: 1-line block ×4, first 2 shown]
	v_mul_f32_e32 v69, v44, v17
	v_mul_f32_e32 v17, v45, v17
	v_add_f32_e32 v8, v8, v85
	v_add_f32_e32 v14, v9, v36
	v_mul_f32_e32 v71, v46, v19
	v_mul_f32_e32 v19, v47, v19
	v_fmac_f32_e32 v69, v45, v16
	v_fma_f32 v68, v44, v16, -v17
	v_add_f32_e32 v9, v8, v86
	v_add_f32_e32 v8, v14, v37
	v_fmac_f32_e32 v71, v47, v18
	v_fma_f32 v70, v46, v18, -v19
	v_pk_add_f32 v[8:9], v[8:9], v[68:69]
	s_waitcnt vmcnt(2) lgkmcnt(1)
	v_pk_mul_f32 v[80:81], v[60:61], v[28:29] op_sel:[1,1] op_sel_hi:[0,1]
	v_mov_b32_e32 v82, v31
	v_pk_add_f32 v[8:9], v[8:9], v[70:71]
	v_pk_fma_f32 v[16:17], v[60:61], v[28:29], v[80:81] neg_lo:[0,0,1] neg_hi:[0,0,1]
	v_pk_fma_f32 v[18:19], v[60:61], v[28:29], v[80:81] op_sel_hi:[1,0,1]
	v_pk_mul_f32 v[20:21], v[62:63], v[82:83] op_sel:[1,0] op_sel_hi:[0,0]
	v_pk_add_f32 v[4:5], v[8:9], v[4:5]
	v_mov_b32_e32 v17, v19
	v_pk_fma_f32 v[18:19], v[62:63], v[30:31], v[20:21] neg_lo:[0,0,1] neg_hi:[0,0,1]
	v_pk_add_f32 v[4:5], v[4:5], v[6:7]
	v_pk_fma_f32 v[6:7], v[62:63], v[30:31], v[20:21] op_sel_hi:[1,0,1]
	v_mov_b32_e32 v13, v15
	v_pk_add_f32 v[4:5], v[4:5], v[10:11]
	v_mov_b32_e32 v19, v7
	s_waitcnt vmcnt(1) lgkmcnt(0)
	v_pk_mul_f32 v[6:7], v[64:65], v[48:49] op_sel:[1,1] op_sel_hi:[0,1]
	v_pk_add_f32 v[4:5], v[4:5], v[12:13]
	v_pk_fma_f32 v[8:9], v[64:65], v[48:49], v[6:7] neg_lo:[0,0,1] neg_hi:[0,0,1]
	v_pk_fma_f32 v[6:7], v[64:65], v[48:49], v[6:7] op_sel_hi:[1,0,1]
	v_pk_add_f32 v[4:5], v[4:5], v[16:17]
	v_mov_b32_e32 v6, v51
	v_pk_add_f32 v[4:5], v[4:5], v[18:19]
	v_mov_b32_e32 v9, v7
	v_pk_mul_f32 v[6:7], v[66:67], v[6:7] op_sel:[1,0] op_sel_hi:[0,0]
	v_pk_add_f32 v[4:5], v[4:5], v[8:9]
	v_pk_fma_f32 v[8:9], v[66:67], v[50:51], v[6:7] neg_lo:[0,0,1] neg_hi:[0,0,1]
	v_pk_fma_f32 v[6:7], v[66:67], v[50:51], v[6:7] op_sel_hi:[1,0,1]
	s_nop 0
	v_mov_b32_e32 v9, v7
	v_pk_add_f32 v[4:5], v[4:5], v[8:9]
	s_waitcnt vmcnt(0)
	v_pk_add_f32 v[2:3], v[2:3], v[4:5] neg_lo:[0,1] neg_hi:[0,1]
	scratch_store_dwordx2 off, v[2:3], off offset:176
	s_and_saveexec_b64 s[0:1], vcc
	s_cbranch_execz .LBB102_205
; %bb.204:
	scratch_load_dwordx2 v[2:3], off, off offset:168
	v_mov_b32_e32 v4, 0
	v_mov_b32_e32 v5, v4
	scratch_store_dwordx2 off, v[4:5], off offset:168
	s_waitcnt vmcnt(1)
	ds_write_b64 v1, v[2:3]
.LBB102_205:
	s_or_b64 exec, exec, s[0:1]
	s_waitcnt lgkmcnt(0)
	; wave barrier
	scratch_load_dwordx4 v[4:7], off, off offset:176
	scratch_load_dwordx4 v[8:11], off, off offset:192
	scratch_load_dwordx4 v[12:15], off, off offset:208
	scratch_load_dwordx4 v[16:19], off, off offset:224
	scratch_load_dwordx4 v[20:23], off, off offset:240
	scratch_load_dwordx4 v[24:27], off, off offset:256
	scratch_load_dwordx4 v[28:31], off, off offset:272
	scratch_load_dwordx4 v[32:35], off, off offset:288
	scratch_load_dwordx2 v[68:69], off, off offset:304
	scratch_load_dwordx2 v[70:71], off, off offset:168
	v_mov_b32_e32 v2, 0
	ds_read_b128 v[36:39], v2 offset:496
	ds_read_b128 v[40:43], v2 offset:512
	;; [unrolled: 1-line block ×8, first 2 shown]
	ds_read_b64 v[72:73], v2 offset:624
	v_cmp_lt_u32_e32 vcc, 20, v0
	s_waitcnt vmcnt(9) lgkmcnt(8)
	v_mul_f32_e32 v79, v38, v7
	v_mul_f32_e32 v3, v36, v5
	s_waitcnt vmcnt(8) lgkmcnt(7)
	v_mul_f32_e32 v83, v40, v9
	s_waitcnt vmcnt(7) lgkmcnt(6)
	v_mul_f32_e32 v87, v44, v13
	v_mul_f32_e32 v5, v37, v5
	;; [unrolled: 1-line block ×5, first 2 shown]
	s_waitcnt vmcnt(5)
	v_mov_b32_e32 v78, v23
	s_waitcnt vmcnt(3) lgkmcnt(2)
	v_pk_mul_f32 v[84:85], v[60:61], v[28:29] op_sel:[1,1] op_sel_hi:[0,1]
	v_fmac_f32_e32 v79, v39, v6
	v_mul_f32_e32 v86, v42, v11
	v_mul_f32_e32 v89, v48, v17
	v_mul_f32_e32 v11, v43, v11
	v_mul_f32_e32 v17, v49, v17
	v_fmac_f32_e32 v3, v37, v4
	v_fmac_f32_e32 v87, v45, v12
	v_fma_f32 v36, v36, v4, -v5
	v_fma_f32 v37, v38, v6, -v7
	;; [unrolled: 1-line block ×4, first 2 shown]
	v_pk_mul_f32 v[4:5], v[54:55], v[78:79] op_sel:[1,0] op_sel_hi:[0,0]
	v_pk_fma_f32 v[12:13], v[60:61], v[28:29], v[84:85] neg_lo:[0,0,1] neg_hi:[0,0,1]
	v_fmac_f32_e32 v89, v49, v16
	v_fma_f32 v39, v42, v10, -v11
	v_fma_f32 v42, v48, v16, -v17
	v_add_f32_e32 v3, 0, v3
	v_add_f32_e32 v13, 0, v36
	v_pk_fma_f32 v[16:17], v[54:55], v[22:23], v[4:5] neg_lo:[0,0,1] neg_hi:[0,0,1]
	v_pk_fma_f32 v[4:5], v[54:55], v[22:23], v[4:5] op_sel_hi:[1,0,1]
	v_fmac_f32_e32 v83, v41, v8
	v_add_f32_e32 v3, v3, v79
	v_add_f32_e32 v4, v13, v37
	v_fmac_f32_e32 v86, v43, v10
	v_add_f32_e32 v3, v3, v83
	v_add_f32_e32 v4, v4, v38
	v_mul_f32_e32 v88, v46, v15
	v_mul_f32_e32 v15, v47, v15
	v_add_f32_e32 v3, v3, v86
	v_add_f32_e32 v4, v4, v39
	v_fmac_f32_e32 v88, v47, v14
	v_fma_f32 v41, v46, v14, -v15
	v_add_f32_e32 v3, v3, v87
	v_add_f32_e32 v4, v4, v40
	v_mul_f32_e32 v75, v50, v19
	v_mul_f32_e32 v19, v51, v19
	v_add_f32_e32 v3, v3, v88
	v_add_f32_e32 v4, v4, v41
	v_mul_f32_e32 v77, v52, v21
	v_mul_f32_e32 v21, v53, v21
	v_fmac_f32_e32 v75, v51, v18
	v_fma_f32 v74, v50, v18, -v19
	v_mov_b32_e32 v17, v5
	v_add_f32_e32 v5, v3, v89
	v_add_f32_e32 v4, v4, v42
	v_pk_mul_f32 v[80:81], v[56:57], v[24:25] op_sel:[1,1] op_sel_hi:[0,1]
	v_fmac_f32_e32 v77, v53, v20
	v_fma_f32 v76, v52, v20, -v21
	v_pk_add_f32 v[4:5], v[4:5], v[74:75]
	v_mov_b32_e32 v82, v27
	v_pk_fma_f32 v[6:7], v[56:57], v[24:25], v[80:81] neg_lo:[0,0,1] neg_hi:[0,0,1]
	v_pk_fma_f32 v[8:9], v[56:57], v[24:25], v[80:81] op_sel_hi:[1,0,1]
	v_pk_add_f32 v[4:5], v[4:5], v[76:77]
	v_pk_mul_f32 v[10:11], v[58:59], v[82:83] op_sel:[1,0] op_sel_hi:[0,0]
	v_mov_b32_e32 v7, v9
	v_pk_add_f32 v[4:5], v[4:5], v[16:17]
	v_pk_fma_f32 v[8:9], v[58:59], v[26:27], v[10:11] neg_lo:[0,0,1] neg_hi:[0,0,1]
	v_pk_fma_f32 v[10:11], v[58:59], v[26:27], v[10:11] op_sel_hi:[1,0,1]
	v_pk_add_f32 v[4:5], v[4:5], v[6:7]
	v_mov_b32_e32 v6, v31
	v_pk_fma_f32 v[14:15], v[60:61], v[28:29], v[84:85] op_sel_hi:[1,0,1]
	v_mov_b32_e32 v9, v11
	v_pk_mul_f32 v[6:7], v[62:63], v[6:7] op_sel:[1,0] op_sel_hi:[0,0]
	v_pk_add_f32 v[4:5], v[4:5], v[8:9]
	v_mov_b32_e32 v13, v15
	v_pk_fma_f32 v[8:9], v[62:63], v[30:31], v[6:7] neg_lo:[0,0,1] neg_hi:[0,0,1]
	v_pk_fma_f32 v[6:7], v[62:63], v[30:31], v[6:7] op_sel_hi:[1,0,1]
	v_pk_add_f32 v[4:5], v[4:5], v[12:13]
	v_mov_b32_e32 v9, v7
	s_waitcnt vmcnt(2) lgkmcnt(1)
	v_pk_mul_f32 v[6:7], v[64:65], v[32:33] op_sel:[1,1] op_sel_hi:[0,1]
	v_pk_add_f32 v[4:5], v[4:5], v[8:9]
	v_pk_fma_f32 v[8:9], v[64:65], v[32:33], v[6:7] neg_lo:[0,0,1] neg_hi:[0,0,1]
	v_pk_fma_f32 v[6:7], v[64:65], v[32:33], v[6:7] op_sel_hi:[1,0,1]
	s_nop 0
	v_mov_b32_e32 v6, v35
	v_mov_b32_e32 v9, v7
	v_pk_mul_f32 v[6:7], v[66:67], v[6:7] op_sel:[1,0] op_sel_hi:[0,0]
	v_pk_add_f32 v[4:5], v[4:5], v[8:9]
	v_pk_fma_f32 v[8:9], v[66:67], v[34:35], v[6:7] neg_lo:[0,0,1] neg_hi:[0,0,1]
	v_pk_fma_f32 v[6:7], v[66:67], v[34:35], v[6:7] op_sel_hi:[1,0,1]
	s_nop 0
	v_mov_b32_e32 v9, v7
	s_waitcnt vmcnt(1) lgkmcnt(0)
	v_pk_mul_f32 v[6:7], v[72:73], v[68:69] op_sel:[1,1] op_sel_hi:[0,1]
	v_pk_add_f32 v[4:5], v[4:5], v[8:9]
	v_pk_fma_f32 v[8:9], v[72:73], v[68:69], v[6:7] neg_lo:[0,0,1] neg_hi:[0,0,1]
	v_pk_fma_f32 v[6:7], v[72:73], v[68:69], v[6:7] op_sel_hi:[1,0,1]
	s_nop 0
	v_mov_b32_e32 v9, v7
	v_pk_add_f32 v[4:5], v[4:5], v[8:9]
	s_waitcnt vmcnt(0)
	v_pk_add_f32 v[4:5], v[70:71], v[4:5] neg_lo:[0,1] neg_hi:[0,1]
	scratch_store_dwordx2 off, v[4:5], off offset:168
	s_and_saveexec_b64 s[0:1], vcc
	s_cbranch_execz .LBB102_207
; %bb.206:
	scratch_load_dwordx2 v[4:5], off, off offset:160
	v_mov_b32_e32 v3, v2
	scratch_store_dwordx2 off, v[2:3], off offset:160
	s_waitcnt vmcnt(1)
	ds_write_b64 v1, v[4:5]
.LBB102_207:
	s_or_b64 exec, exec, s[0:1]
	s_waitcnt lgkmcnt(0)
	; wave barrier
	scratch_load_dwordx4 v[8:11], off, off offset:168
	scratch_load_dwordx4 v[16:19], off, off offset:184
	;; [unrolled: 1-line block ×4, first 2 shown]
	ds_read2_b64 v[4:7], v2 offset0:61 offset1:62
	scratch_load_dwordx4 v[40:43], off, off offset:232
	v_cmp_lt_u32_e32 vcc, 19, v0
	s_waitcnt vmcnt(4) lgkmcnt(0)
	v_mul_f32_e32 v3, v4, v9
	v_fmac_f32_e32 v3, v5, v8
	v_mul_f32_e32 v12, v6, v11
	v_add_f32_e32 v3, 0, v3
	v_fmac_f32_e32 v12, v7, v10
	v_add_f32_e32 v3, v3, v12
	ds_read2_b64 v[12:15], v2 offset0:63 offset1:64
	s_waitcnt vmcnt(3) lgkmcnt(0)
	v_mul_f32_e32 v20, v12, v17
	v_fmac_f32_e32 v20, v13, v16
	v_add_f32_e32 v3, v3, v20
	v_mul_f32_e32 v20, v14, v19
	v_fmac_f32_e32 v20, v15, v18
	v_add_f32_e32 v3, v3, v20
	ds_read2_b64 v[20:23], v2 offset0:65 offset1:66
	s_waitcnt vmcnt(2) lgkmcnt(0)
	v_mul_f32_e32 v28, v20, v25
	v_fmac_f32_e32 v28, v21, v24
	v_add_f32_e32 v3, v3, v28
	v_mul_f32_e32 v28, v22, v27
	;; [unrolled: 8-line block ×3, first 2 shown]
	v_fmac_f32_e32 v36, v31, v34
	v_add_f32_e32 v61, v3, v36
	ds_read2_b64 v[36:39], v2 offset0:69 offset1:70
	scratch_load_dwordx4 v[44:47], off, off offset:248
	scratch_load_dwordx4 v[48:51], off, off offset:264
	;; [unrolled: 1-line block ×4, first 2 shown]
	v_mul_f32_e32 v3, v5, v9
	v_fma_f32 v3, v4, v8, -v3
	v_mul_f32_e32 v4, v7, v11
	v_add_f32_e32 v3, 0, v3
	v_fma_f32 v4, v6, v10, -v4
	v_add_f32_e32 v3, v3, v4
	v_mul_f32_e32 v4, v13, v17
	v_fma_f32 v4, v12, v16, -v4
	v_add_f32_e32 v3, v3, v4
	v_mul_f32_e32 v4, v15, v19
	;; [unrolled: 3-line block ×6, first 2 shown]
	v_fma_f32 v4, v30, v34, -v4
	v_add_f32_e32 v60, v3, v4
	ds_read2_b64 v[4:7], v2 offset0:71 offset1:72
	ds_read2_b64 v[8:11], v2 offset0:73 offset1:74
	;; [unrolled: 1-line block ×4, first 2 shown]
	s_waitcnt vmcnt(4) lgkmcnt(4)
	v_mul_f32_e32 v63, v36, v41
	v_mul_f32_e32 v3, v37, v41
	v_fmac_f32_e32 v63, v37, v40
	v_mul_f32_e32 v65, v38, v43
	v_fma_f32 v62, v36, v40, -v3
	v_mul_f32_e32 v3, v39, v43
	v_fmac_f32_e32 v65, v39, v42
	v_fma_f32 v64, v38, v42, -v3
	v_pk_add_f32 v[2:3], v[60:61], v[62:63]
	s_waitcnt vmcnt(3) lgkmcnt(3)
	v_pk_mul_f32 v[20:21], v[4:5], v[44:45] op_sel:[1,1] op_sel_hi:[0,1]
	v_pk_fma_f32 v[22:23], v[4:5], v[44:45], v[20:21] neg_lo:[0,0,1] neg_hi:[0,0,1]
	v_pk_fma_f32 v[4:5], v[4:5], v[44:45], v[20:21] op_sel_hi:[1,0,1]
	v_pk_add_f32 v[2:3], v[2:3], v[64:65]
	v_mov_b32_e32 v4, v47
	v_mov_b32_e32 v23, v5
	v_pk_mul_f32 v[4:5], v[6:7], v[4:5] op_sel:[1,0] op_sel_hi:[0,0]
	v_pk_fma_f32 v[20:21], v[6:7], v[46:47], v[4:5] neg_lo:[0,0,1] neg_hi:[0,0,1]
	v_pk_fma_f32 v[4:5], v[6:7], v[46:47], v[4:5] op_sel_hi:[1,0,1]
	v_pk_add_f32 v[2:3], v[2:3], v[22:23]
	v_mov_b32_e32 v21, v5
	s_waitcnt vmcnt(2) lgkmcnt(2)
	v_pk_mul_f32 v[4:5], v[8:9], v[48:49] op_sel:[1,1] op_sel_hi:[0,1]
	v_pk_fma_f32 v[6:7], v[8:9], v[48:49], v[4:5] neg_lo:[0,0,1] neg_hi:[0,0,1]
	v_pk_fma_f32 v[4:5], v[8:9], v[48:49], v[4:5] op_sel_hi:[1,0,1]
	v_pk_add_f32 v[2:3], v[2:3], v[20:21]
	v_mov_b32_e32 v4, v51
	v_mov_b32_e32 v7, v5
	v_pk_mul_f32 v[4:5], v[10:11], v[4:5] op_sel:[1,0] op_sel_hi:[0,0]
	v_pk_add_f32 v[2:3], v[2:3], v[6:7]
	v_pk_fma_f32 v[6:7], v[10:11], v[50:51], v[4:5] neg_lo:[0,0,1] neg_hi:[0,0,1]
	v_pk_fma_f32 v[4:5], v[10:11], v[50:51], v[4:5] op_sel_hi:[1,0,1]
	s_nop 0
	v_mov_b32_e32 v7, v5
	s_waitcnt vmcnt(1) lgkmcnt(1)
	v_pk_mul_f32 v[4:5], v[12:13], v[52:53] op_sel:[1,1] op_sel_hi:[0,1]
	v_pk_add_f32 v[2:3], v[2:3], v[6:7]
	v_pk_fma_f32 v[6:7], v[12:13], v[52:53], v[4:5] neg_lo:[0,0,1] neg_hi:[0,0,1]
	v_pk_fma_f32 v[4:5], v[12:13], v[52:53], v[4:5] op_sel_hi:[1,0,1]
	s_nop 0
	v_mov_b32_e32 v4, v55
	v_mov_b32_e32 v7, v5
	v_pk_mul_f32 v[4:5], v[14:15], v[4:5] op_sel:[1,0] op_sel_hi:[0,0]
	v_pk_add_f32 v[2:3], v[2:3], v[6:7]
	v_pk_fma_f32 v[6:7], v[14:15], v[54:55], v[4:5] neg_lo:[0,0,1] neg_hi:[0,0,1]
	v_pk_fma_f32 v[4:5], v[14:15], v[54:55], v[4:5] op_sel_hi:[1,0,1]
	s_nop 0
	v_mov_b32_e32 v7, v5
	s_waitcnt vmcnt(0) lgkmcnt(0)
	v_pk_mul_f32 v[4:5], v[16:17], v[56:57] op_sel:[1,1] op_sel_hi:[0,1]
	v_pk_add_f32 v[2:3], v[2:3], v[6:7]
	v_pk_fma_f32 v[6:7], v[16:17], v[56:57], v[4:5] neg_lo:[0,0,1] neg_hi:[0,0,1]
	v_pk_fma_f32 v[4:5], v[16:17], v[56:57], v[4:5] op_sel_hi:[1,0,1]
	s_nop 0
	v_mov_b32_e32 v4, v59
	v_mov_b32_e32 v7, v5
	v_pk_mul_f32 v[4:5], v[18:19], v[4:5] op_sel:[1,0] op_sel_hi:[0,0]
	v_pk_add_f32 v[2:3], v[2:3], v[6:7]
	v_pk_fma_f32 v[6:7], v[18:19], v[58:59], v[4:5] neg_lo:[0,0,1] neg_hi:[0,0,1]
	v_pk_fma_f32 v[4:5], v[18:19], v[58:59], v[4:5] op_sel_hi:[1,0,1]
	s_nop 0
	v_mov_b32_e32 v7, v5
	scratch_load_dwordx2 v[4:5], off, off offset:160
	v_pk_add_f32 v[2:3], v[2:3], v[6:7]
	s_waitcnt vmcnt(0)
	v_pk_add_f32 v[2:3], v[4:5], v[2:3] neg_lo:[0,1] neg_hi:[0,1]
	scratch_store_dwordx2 off, v[2:3], off offset:160
	s_and_saveexec_b64 s[0:1], vcc
	s_cbranch_execz .LBB102_209
; %bb.208:
	scratch_load_dwordx2 v[2:3], off, off offset:152
	v_mov_b32_e32 v4, 0
	v_mov_b32_e32 v5, v4
	scratch_store_dwordx2 off, v[4:5], off offset:152
	s_waitcnt vmcnt(1)
	ds_write_b64 v1, v[2:3]
.LBB102_209:
	s_or_b64 exec, exec, s[0:1]
	v_mov_b32_e32 v2, 0
	s_waitcnt lgkmcnt(0)
	; wave barrier
	ds_read_b128 v[4:7], v2 offset:480
	ds_read_b128 v[8:11], v2 offset:496
	;; [unrolled: 1-line block ×4, first 2 shown]
	scratch_load_dwordx4 v[20:23], off, off offset:160
	scratch_load_dwordx4 v[40:43], off, off offset:224
	v_cmp_lt_u32_e32 vcc, 18, v0
	scratch_load_dwordx4 v[48:51], off, off offset:240
	s_waitcnt vmcnt(2) lgkmcnt(3)
	v_mul_f32_e32 v3, v4, v21
	v_fmac_f32_e32 v3, v5, v20
	v_mul_f32_e32 v24, v6, v23
	v_add_f32_e32 v3, 0, v3
	v_fmac_f32_e32 v24, v7, v22
	v_add_f32_e32 v3, v3, v24
	scratch_load_dwordx4 v[24:27], off, off offset:176
	s_waitcnt vmcnt(0) lgkmcnt(2)
	v_mul_f32_e32 v28, v8, v25
	v_fmac_f32_e32 v28, v9, v24
	v_add_f32_e32 v3, v3, v28
	v_mul_f32_e32 v28, v10, v27
	v_fmac_f32_e32 v28, v11, v26
	v_add_f32_e32 v3, v3, v28
	scratch_load_dwordx4 v[28:31], off, off offset:192
	s_waitcnt vmcnt(0) lgkmcnt(1)
	v_mul_f32_e32 v32, v12, v29
	v_fmac_f32_e32 v32, v13, v28
	v_add_f32_e32 v3, v3, v32
	v_mul_f32_e32 v32, v14, v31
	;; [unrolled: 8-line block ×3, first 2 shown]
	v_fmac_f32_e32 v36, v19, v34
	v_add_f32_e32 v3, v3, v36
	ds_read_b128 v[36:39], v2 offset:544
	s_waitcnt lgkmcnt(0)
	v_mul_f32_e32 v44, v36, v41
	v_fmac_f32_e32 v44, v37, v40
	v_add_f32_e32 v65, v3, v44
	ds_read_b128 v[44:47], v2 offset:560
	scratch_load_dwordx4 v[52:55], off, off offset:256
	scratch_load_dwordx4 v[56:59], off, off offset:272
	;; [unrolled: 1-line block ×3, first 2 shown]
	scratch_load_dwordx2 v[70:71], off, off offset:304
	v_mul_f32_e32 v3, v5, v21
	v_fma_f32 v3, v4, v20, -v3
	v_mul_f32_e32 v4, v7, v23
	v_add_f32_e32 v3, 0, v3
	v_fma_f32 v4, v6, v22, -v4
	v_add_f32_e32 v3, v3, v4
	v_mul_f32_e32 v4, v9, v25
	v_fma_f32 v4, v8, v24, -v4
	v_add_f32_e32 v3, v3, v4
	v_mul_f32_e32 v4, v11, v27
	;; [unrolled: 3-line block ×7, first 2 shown]
	v_fma_f32 v4, v36, v40, -v4
	v_mul_f32_e32 v67, v38, v43
	v_add_f32_e32 v64, v3, v4
	v_mul_f32_e32 v3, v39, v43
	v_mov_b32_e32 v20, v51
	v_fmac_f32_e32 v67, v39, v42
	s_waitcnt lgkmcnt(0)
	v_mul_f32_e32 v69, v44, v49
	v_fma_f32 v66, v38, v42, -v3
	v_mul_f32_e32 v3, v45, v49
	ds_read_b128 v[4:7], v2 offset:576
	ds_read_b128 v[8:11], v2 offset:592
	;; [unrolled: 1-line block ×3, first 2 shown]
	ds_read_b64 v[16:17], v2 offset:624
	v_pk_mul_f32 v[20:21], v[46:47], v[20:21] op_sel:[1,0] op_sel_hi:[0,0]
	v_fmac_f32_e32 v69, v45, v48
	v_fma_f32 v68, v44, v48, -v3
	v_pk_add_f32 v[18:19], v[64:65], v[66:67]
	v_pk_fma_f32 v[22:23], v[46:47], v[50:51], v[20:21] neg_lo:[0,0,1] neg_hi:[0,0,1]
	v_pk_fma_f32 v[20:21], v[46:47], v[50:51], v[20:21] op_sel_hi:[1,0,1]
	v_pk_add_f32 v[18:19], v[18:19], v[68:69]
	v_mov_b32_e32 v23, v21
	v_pk_add_f32 v[18:19], v[18:19], v[22:23]
	s_waitcnt vmcnt(3) lgkmcnt(3)
	v_pk_mul_f32 v[20:21], v[4:5], v[52:53] op_sel:[1,1] op_sel_hi:[0,1]
	v_pk_fma_f32 v[22:23], v[4:5], v[52:53], v[20:21] neg_lo:[0,0,1] neg_hi:[0,0,1]
	v_pk_fma_f32 v[4:5], v[4:5], v[52:53], v[20:21] op_sel_hi:[1,0,1]
	s_nop 0
	v_mov_b32_e32 v23, v5
	v_pk_add_f32 v[4:5], v[18:19], v[22:23]
	v_mov_b32_e32 v18, v55
	v_pk_mul_f32 v[18:19], v[6:7], v[18:19] op_sel:[1,0] op_sel_hi:[0,0]
	v_pk_fma_f32 v[20:21], v[6:7], v[54:55], v[18:19] neg_lo:[0,0,1] neg_hi:[0,0,1]
	v_pk_fma_f32 v[6:7], v[6:7], v[54:55], v[18:19] op_sel_hi:[1,0,1]
	s_nop 0
	v_mov_b32_e32 v21, v7
	s_waitcnt vmcnt(2) lgkmcnt(2)
	v_pk_mul_f32 v[6:7], v[8:9], v[56:57] op_sel:[1,1] op_sel_hi:[0,1]
	v_pk_fma_f32 v[18:19], v[8:9], v[56:57], v[6:7] neg_lo:[0,0,1] neg_hi:[0,0,1]
	v_pk_fma_f32 v[6:7], v[8:9], v[56:57], v[6:7] op_sel_hi:[1,0,1]
	v_pk_add_f32 v[4:5], v[4:5], v[20:21]
	v_mov_b32_e32 v6, v59
	v_mov_b32_e32 v19, v7
	v_pk_mul_f32 v[6:7], v[10:11], v[6:7] op_sel:[1,0] op_sel_hi:[0,0]
	v_pk_fma_f32 v[8:9], v[10:11], v[58:59], v[6:7] neg_lo:[0,0,1] neg_hi:[0,0,1]
	v_pk_fma_f32 v[6:7], v[10:11], v[58:59], v[6:7] op_sel_hi:[1,0,1]
	v_pk_add_f32 v[4:5], v[4:5], v[18:19]
	v_mov_b32_e32 v9, v7
	s_waitcnt vmcnt(1) lgkmcnt(1)
	v_pk_mul_f32 v[6:7], v[12:13], v[60:61] op_sel:[1,1] op_sel_hi:[0,1]
	v_pk_add_f32 v[4:5], v[4:5], v[8:9]
	v_pk_fma_f32 v[8:9], v[12:13], v[60:61], v[6:7] neg_lo:[0,0,1] neg_hi:[0,0,1]
	v_pk_fma_f32 v[6:7], v[12:13], v[60:61], v[6:7] op_sel_hi:[1,0,1]
	s_nop 0
	v_mov_b32_e32 v6, v63
	v_mov_b32_e32 v9, v7
	v_pk_mul_f32 v[6:7], v[14:15], v[6:7] op_sel:[1,0] op_sel_hi:[0,0]
	v_pk_add_f32 v[4:5], v[4:5], v[8:9]
	v_pk_fma_f32 v[8:9], v[14:15], v[62:63], v[6:7] neg_lo:[0,0,1] neg_hi:[0,0,1]
	v_pk_fma_f32 v[6:7], v[14:15], v[62:63], v[6:7] op_sel_hi:[1,0,1]
	s_nop 0
	v_mov_b32_e32 v9, v7
	s_waitcnt vmcnt(0) lgkmcnt(0)
	v_pk_mul_f32 v[6:7], v[16:17], v[70:71] op_sel:[1,1] op_sel_hi:[0,1]
	v_pk_add_f32 v[4:5], v[4:5], v[8:9]
	v_pk_fma_f32 v[8:9], v[16:17], v[70:71], v[6:7] neg_lo:[0,0,1] neg_hi:[0,0,1]
	v_pk_fma_f32 v[6:7], v[16:17], v[70:71], v[6:7] op_sel_hi:[1,0,1]
	s_nop 0
	v_mov_b32_e32 v9, v7
	scratch_load_dwordx2 v[6:7], off, off offset:152
	v_pk_add_f32 v[4:5], v[4:5], v[8:9]
	s_waitcnt vmcnt(0)
	v_pk_add_f32 v[4:5], v[6:7], v[4:5] neg_lo:[0,1] neg_hi:[0,1]
	scratch_store_dwordx2 off, v[4:5], off offset:152
	s_and_saveexec_b64 s[0:1], vcc
	s_cbranch_execz .LBB102_211
; %bb.210:
	scratch_load_dwordx2 v[4:5], off, off offset:144
	v_mov_b32_e32 v3, v2
	scratch_store_dwordx2 off, v[2:3], off offset:144
	s_waitcnt vmcnt(1)
	ds_write_b64 v1, v[4:5]
.LBB102_211:
	s_or_b64 exec, exec, s[0:1]
	s_waitcnt lgkmcnt(0)
	; wave barrier
	scratch_load_dwordx4 v[8:11], off, off offset:152
	scratch_load_dwordx4 v[16:19], off, off offset:168
	;; [unrolled: 1-line block ×6, first 2 shown]
	ds_read2_b64 v[4:7], v2 offset0:59 offset1:60
	v_cmp_lt_u32_e32 vcc, 17, v0
	s_waitcnt vmcnt(5) lgkmcnt(0)
	v_mul_f32_e32 v3, v4, v9
	v_fmac_f32_e32 v3, v5, v8
	v_mul_f32_e32 v12, v6, v11
	v_add_f32_e32 v3, 0, v3
	v_fmac_f32_e32 v12, v7, v10
	v_add_f32_e32 v3, v3, v12
	ds_read2_b64 v[12:15], v2 offset0:61 offset1:62
	s_waitcnt vmcnt(4) lgkmcnt(0)
	v_mul_f32_e32 v20, v12, v17
	v_fmac_f32_e32 v20, v13, v16
	v_add_f32_e32 v3, v3, v20
	v_mul_f32_e32 v20, v14, v19
	v_fmac_f32_e32 v20, v15, v18
	v_add_f32_e32 v3, v3, v20
	ds_read2_b64 v[20:23], v2 offset0:63 offset1:64
	s_waitcnt vmcnt(3) lgkmcnt(0)
	v_mul_f32_e32 v28, v20, v25
	v_fmac_f32_e32 v28, v21, v24
	v_add_f32_e32 v3, v3, v28
	v_mul_f32_e32 v28, v22, v27
	;; [unrolled: 8-line block ×4, first 2 shown]
	v_fmac_f32_e32 v44, v39, v42
	v_add_f32_e32 v69, v3, v44
	ds_read2_b64 v[44:47], v2 offset0:69 offset1:70
	scratch_load_dwordx4 v[52:55], off, off offset:248
	scratch_load_dwordx4 v[56:59], off, off offset:264
	;; [unrolled: 1-line block ×4, first 2 shown]
	v_mul_f32_e32 v3, v5, v9
	v_fma_f32 v3, v4, v8, -v3
	v_mul_f32_e32 v4, v7, v11
	v_add_f32_e32 v3, 0, v3
	v_fma_f32 v4, v6, v10, -v4
	v_add_f32_e32 v3, v3, v4
	v_mul_f32_e32 v4, v13, v17
	v_fma_f32 v4, v12, v16, -v4
	v_add_f32_e32 v3, v3, v4
	v_mul_f32_e32 v4, v15, v19
	;; [unrolled: 3-line block ×8, first 2 shown]
	v_fma_f32 v4, v38, v42, -v4
	v_add_f32_e32 v68, v3, v4
	ds_read2_b64 v[4:7], v2 offset0:71 offset1:72
	ds_read2_b64 v[8:11], v2 offset0:73 offset1:74
	;; [unrolled: 1-line block ×4, first 2 shown]
	s_waitcnt vmcnt(4) lgkmcnt(4)
	v_mul_f32_e32 v71, v44, v49
	v_mul_f32_e32 v3, v45, v49
	v_fmac_f32_e32 v71, v45, v48
	v_mul_f32_e32 v73, v46, v51
	v_fma_f32 v70, v44, v48, -v3
	v_mul_f32_e32 v3, v47, v51
	v_fmac_f32_e32 v73, v47, v50
	v_fma_f32 v72, v46, v50, -v3
	v_pk_add_f32 v[2:3], v[68:69], v[70:71]
	s_waitcnt vmcnt(3) lgkmcnt(3)
	v_pk_mul_f32 v[20:21], v[4:5], v[52:53] op_sel:[1,1] op_sel_hi:[0,1]
	v_pk_fma_f32 v[22:23], v[4:5], v[52:53], v[20:21] neg_lo:[0,0,1] neg_hi:[0,0,1]
	v_pk_fma_f32 v[4:5], v[4:5], v[52:53], v[20:21] op_sel_hi:[1,0,1]
	v_pk_add_f32 v[2:3], v[2:3], v[72:73]
	v_mov_b32_e32 v4, v55
	v_mov_b32_e32 v23, v5
	v_pk_mul_f32 v[4:5], v[6:7], v[4:5] op_sel:[1,0] op_sel_hi:[0,0]
	v_pk_fma_f32 v[20:21], v[6:7], v[54:55], v[4:5] neg_lo:[0,0,1] neg_hi:[0,0,1]
	v_pk_fma_f32 v[4:5], v[6:7], v[54:55], v[4:5] op_sel_hi:[1,0,1]
	v_pk_add_f32 v[2:3], v[2:3], v[22:23]
	v_mov_b32_e32 v21, v5
	s_waitcnt vmcnt(2) lgkmcnt(2)
	v_pk_mul_f32 v[4:5], v[8:9], v[56:57] op_sel:[1,1] op_sel_hi:[0,1]
	v_pk_fma_f32 v[6:7], v[8:9], v[56:57], v[4:5] neg_lo:[0,0,1] neg_hi:[0,0,1]
	v_pk_fma_f32 v[4:5], v[8:9], v[56:57], v[4:5] op_sel_hi:[1,0,1]
	v_pk_add_f32 v[2:3], v[2:3], v[20:21]
	v_mov_b32_e32 v4, v59
	v_mov_b32_e32 v7, v5
	v_pk_mul_f32 v[4:5], v[10:11], v[4:5] op_sel:[1,0] op_sel_hi:[0,0]
	v_pk_add_f32 v[2:3], v[2:3], v[6:7]
	v_pk_fma_f32 v[6:7], v[10:11], v[58:59], v[4:5] neg_lo:[0,0,1] neg_hi:[0,0,1]
	v_pk_fma_f32 v[4:5], v[10:11], v[58:59], v[4:5] op_sel_hi:[1,0,1]
	s_nop 0
	v_mov_b32_e32 v7, v5
	s_waitcnt vmcnt(1) lgkmcnt(1)
	v_pk_mul_f32 v[4:5], v[12:13], v[60:61] op_sel:[1,1] op_sel_hi:[0,1]
	v_pk_add_f32 v[2:3], v[2:3], v[6:7]
	v_pk_fma_f32 v[6:7], v[12:13], v[60:61], v[4:5] neg_lo:[0,0,1] neg_hi:[0,0,1]
	v_pk_fma_f32 v[4:5], v[12:13], v[60:61], v[4:5] op_sel_hi:[1,0,1]
	s_nop 0
	v_mov_b32_e32 v4, v63
	v_mov_b32_e32 v7, v5
	v_pk_mul_f32 v[4:5], v[14:15], v[4:5] op_sel:[1,0] op_sel_hi:[0,0]
	v_pk_add_f32 v[2:3], v[2:3], v[6:7]
	v_pk_fma_f32 v[6:7], v[14:15], v[62:63], v[4:5] neg_lo:[0,0,1] neg_hi:[0,0,1]
	v_pk_fma_f32 v[4:5], v[14:15], v[62:63], v[4:5] op_sel_hi:[1,0,1]
	s_nop 0
	v_mov_b32_e32 v7, v5
	s_waitcnt vmcnt(0) lgkmcnt(0)
	v_pk_mul_f32 v[4:5], v[16:17], v[64:65] op_sel:[1,1] op_sel_hi:[0,1]
	v_pk_add_f32 v[2:3], v[2:3], v[6:7]
	v_pk_fma_f32 v[6:7], v[16:17], v[64:65], v[4:5] neg_lo:[0,0,1] neg_hi:[0,0,1]
	v_pk_fma_f32 v[4:5], v[16:17], v[64:65], v[4:5] op_sel_hi:[1,0,1]
	s_nop 0
	v_mov_b32_e32 v4, v67
	v_mov_b32_e32 v7, v5
	v_pk_mul_f32 v[4:5], v[18:19], v[4:5] op_sel:[1,0] op_sel_hi:[0,0]
	v_pk_add_f32 v[2:3], v[2:3], v[6:7]
	v_pk_fma_f32 v[6:7], v[18:19], v[66:67], v[4:5] neg_lo:[0,0,1] neg_hi:[0,0,1]
	v_pk_fma_f32 v[4:5], v[18:19], v[66:67], v[4:5] op_sel_hi:[1,0,1]
	s_nop 0
	v_mov_b32_e32 v7, v5
	scratch_load_dwordx2 v[4:5], off, off offset:144
	v_pk_add_f32 v[2:3], v[2:3], v[6:7]
	s_waitcnt vmcnt(0)
	v_pk_add_f32 v[2:3], v[4:5], v[2:3] neg_lo:[0,1] neg_hi:[0,1]
	scratch_store_dwordx2 off, v[2:3], off offset:144
	s_and_saveexec_b64 s[0:1], vcc
	s_cbranch_execz .LBB102_213
; %bb.212:
	scratch_load_dwordx2 v[2:3], off, off offset:136
	v_mov_b32_e32 v4, 0
	v_mov_b32_e32 v5, v4
	scratch_store_dwordx2 off, v[4:5], off offset:136
	s_waitcnt vmcnt(1)
	ds_write_b64 v1, v[2:3]
.LBB102_213:
	s_or_b64 exec, exec, s[0:1]
	v_mov_b32_e32 v2, 0
	s_waitcnt lgkmcnt(0)
	; wave barrier
	ds_read_b128 v[4:7], v2 offset:464
	ds_read_b128 v[8:11], v2 offset:480
	;; [unrolled: 1-line block ×4, first 2 shown]
	scratch_load_dwordx4 v[20:23], off, off offset:144
	scratch_load_dwordx4 v[40:43], off, off offset:208
	v_cmp_lt_u32_e32 vcc, 16, v0
	scratch_load_dwordx4 v[48:51], off, off offset:224
	scratch_load_dwordx4 v[56:59], off, off offset:240
	s_waitcnt vmcnt(3) lgkmcnt(3)
	v_mul_f32_e32 v3, v4, v21
	v_fmac_f32_e32 v3, v5, v20
	v_mul_f32_e32 v24, v6, v23
	v_add_f32_e32 v3, 0, v3
	v_fmac_f32_e32 v24, v7, v22
	v_add_f32_e32 v3, v3, v24
	scratch_load_dwordx4 v[24:27], off, off offset:160
	s_waitcnt vmcnt(0) lgkmcnt(2)
	v_mul_f32_e32 v28, v8, v25
	v_fmac_f32_e32 v28, v9, v24
	v_add_f32_e32 v3, v3, v28
	v_mul_f32_e32 v28, v10, v27
	v_fmac_f32_e32 v28, v11, v26
	v_add_f32_e32 v3, v3, v28
	scratch_load_dwordx4 v[28:31], off, off offset:176
	s_waitcnt vmcnt(0) lgkmcnt(1)
	v_mul_f32_e32 v32, v12, v29
	v_fmac_f32_e32 v32, v13, v28
	v_add_f32_e32 v3, v3, v32
	v_mul_f32_e32 v32, v14, v31
	;; [unrolled: 8-line block ×3, first 2 shown]
	v_fmac_f32_e32 v36, v19, v34
	v_add_f32_e32 v3, v3, v36
	ds_read_b128 v[36:39], v2 offset:528
	s_waitcnt lgkmcnt(0)
	v_mul_f32_e32 v44, v36, v41
	v_fmac_f32_e32 v44, v37, v40
	v_add_f32_e32 v3, v3, v44
	v_mul_f32_e32 v44, v38, v43
	v_fmac_f32_e32 v44, v39, v42
	v_add_f32_e32 v3, v3, v44
	ds_read_b128 v[44:47], v2 offset:544
	s_waitcnt lgkmcnt(0)
	v_mul_f32_e32 v52, v44, v49
	v_fmac_f32_e32 v52, v45, v48
	v_add_f32_e32 v73, v3, v52
	ds_read_b128 v[52:55], v2 offset:560
	scratch_load_dwordx4 v[60:63], off, off offset:256
	scratch_load_dwordx4 v[64:67], off, off offset:272
	;; [unrolled: 1-line block ×3, first 2 shown]
	scratch_load_dwordx2 v[78:79], off, off offset:304
	v_mul_f32_e32 v3, v5, v21
	v_fma_f32 v3, v4, v20, -v3
	v_mul_f32_e32 v4, v7, v23
	v_add_f32_e32 v3, 0, v3
	v_fma_f32 v4, v6, v22, -v4
	v_add_f32_e32 v3, v3, v4
	v_mul_f32_e32 v4, v9, v25
	v_fma_f32 v4, v8, v24, -v4
	v_add_f32_e32 v3, v3, v4
	v_mul_f32_e32 v4, v11, v27
	;; [unrolled: 3-line block ×9, first 2 shown]
	v_fma_f32 v4, v44, v48, -v4
	v_mul_f32_e32 v75, v46, v51
	v_add_f32_e32 v72, v3, v4
	v_mul_f32_e32 v3, v47, v51
	v_mov_b32_e32 v20, v59
	v_fmac_f32_e32 v75, v47, v50
	s_waitcnt lgkmcnt(0)
	v_mul_f32_e32 v77, v52, v57
	v_fma_f32 v74, v46, v50, -v3
	v_mul_f32_e32 v3, v53, v57
	ds_read_b128 v[4:7], v2 offset:576
	ds_read_b128 v[8:11], v2 offset:592
	ds_read_b128 v[12:15], v2 offset:608
	ds_read_b64 v[16:17], v2 offset:624
	v_pk_mul_f32 v[20:21], v[54:55], v[20:21] op_sel:[1,0] op_sel_hi:[0,0]
	v_fmac_f32_e32 v77, v53, v56
	v_fma_f32 v76, v52, v56, -v3
	v_pk_add_f32 v[18:19], v[72:73], v[74:75]
	v_pk_fma_f32 v[22:23], v[54:55], v[58:59], v[20:21] neg_lo:[0,0,1] neg_hi:[0,0,1]
	v_pk_fma_f32 v[20:21], v[54:55], v[58:59], v[20:21] op_sel_hi:[1,0,1]
	v_pk_add_f32 v[18:19], v[18:19], v[76:77]
	v_mov_b32_e32 v23, v21
	v_pk_add_f32 v[18:19], v[18:19], v[22:23]
	s_waitcnt vmcnt(3) lgkmcnt(3)
	v_pk_mul_f32 v[20:21], v[4:5], v[60:61] op_sel:[1,1] op_sel_hi:[0,1]
	v_pk_fma_f32 v[22:23], v[4:5], v[60:61], v[20:21] neg_lo:[0,0,1] neg_hi:[0,0,1]
	v_pk_fma_f32 v[4:5], v[4:5], v[60:61], v[20:21] op_sel_hi:[1,0,1]
	s_nop 0
	v_mov_b32_e32 v23, v5
	v_pk_add_f32 v[4:5], v[18:19], v[22:23]
	v_mov_b32_e32 v18, v63
	v_pk_mul_f32 v[18:19], v[6:7], v[18:19] op_sel:[1,0] op_sel_hi:[0,0]
	v_pk_fma_f32 v[20:21], v[6:7], v[62:63], v[18:19] neg_lo:[0,0,1] neg_hi:[0,0,1]
	v_pk_fma_f32 v[6:7], v[6:7], v[62:63], v[18:19] op_sel_hi:[1,0,1]
	s_nop 0
	v_mov_b32_e32 v21, v7
	s_waitcnt vmcnt(2) lgkmcnt(2)
	v_pk_mul_f32 v[6:7], v[8:9], v[64:65] op_sel:[1,1] op_sel_hi:[0,1]
	v_pk_fma_f32 v[18:19], v[8:9], v[64:65], v[6:7] neg_lo:[0,0,1] neg_hi:[0,0,1]
	v_pk_fma_f32 v[6:7], v[8:9], v[64:65], v[6:7] op_sel_hi:[1,0,1]
	v_pk_add_f32 v[4:5], v[4:5], v[20:21]
	v_mov_b32_e32 v6, v67
	v_mov_b32_e32 v19, v7
	v_pk_mul_f32 v[6:7], v[10:11], v[6:7] op_sel:[1,0] op_sel_hi:[0,0]
	v_pk_fma_f32 v[8:9], v[10:11], v[66:67], v[6:7] neg_lo:[0,0,1] neg_hi:[0,0,1]
	v_pk_fma_f32 v[6:7], v[10:11], v[66:67], v[6:7] op_sel_hi:[1,0,1]
	v_pk_add_f32 v[4:5], v[4:5], v[18:19]
	v_mov_b32_e32 v9, v7
	s_waitcnt vmcnt(1) lgkmcnt(1)
	v_pk_mul_f32 v[6:7], v[12:13], v[68:69] op_sel:[1,1] op_sel_hi:[0,1]
	v_pk_add_f32 v[4:5], v[4:5], v[8:9]
	v_pk_fma_f32 v[8:9], v[12:13], v[68:69], v[6:7] neg_lo:[0,0,1] neg_hi:[0,0,1]
	v_pk_fma_f32 v[6:7], v[12:13], v[68:69], v[6:7] op_sel_hi:[1,0,1]
	s_nop 0
	v_mov_b32_e32 v6, v71
	v_mov_b32_e32 v9, v7
	v_pk_mul_f32 v[6:7], v[14:15], v[6:7] op_sel:[1,0] op_sel_hi:[0,0]
	v_pk_add_f32 v[4:5], v[4:5], v[8:9]
	v_pk_fma_f32 v[8:9], v[14:15], v[70:71], v[6:7] neg_lo:[0,0,1] neg_hi:[0,0,1]
	v_pk_fma_f32 v[6:7], v[14:15], v[70:71], v[6:7] op_sel_hi:[1,0,1]
	s_nop 0
	v_mov_b32_e32 v9, v7
	s_waitcnt vmcnt(0) lgkmcnt(0)
	v_pk_mul_f32 v[6:7], v[16:17], v[78:79] op_sel:[1,1] op_sel_hi:[0,1]
	v_pk_add_f32 v[4:5], v[4:5], v[8:9]
	v_pk_fma_f32 v[8:9], v[16:17], v[78:79], v[6:7] neg_lo:[0,0,1] neg_hi:[0,0,1]
	v_pk_fma_f32 v[6:7], v[16:17], v[78:79], v[6:7] op_sel_hi:[1,0,1]
	s_nop 0
	v_mov_b32_e32 v9, v7
	scratch_load_dwordx2 v[6:7], off, off offset:136
	v_pk_add_f32 v[4:5], v[4:5], v[8:9]
	s_waitcnt vmcnt(0)
	v_pk_add_f32 v[4:5], v[6:7], v[4:5] neg_lo:[0,1] neg_hi:[0,1]
	scratch_store_dwordx2 off, v[4:5], off offset:136
	s_and_saveexec_b64 s[0:1], vcc
	s_cbranch_execz .LBB102_215
; %bb.214:
	scratch_load_dwordx2 v[4:5], off, off offset:128
	v_mov_b32_e32 v3, v2
	scratch_store_dwordx2 off, v[2:3], off offset:128
	s_waitcnt vmcnt(1)
	ds_write_b64 v1, v[4:5]
.LBB102_215:
	s_or_b64 exec, exec, s[0:1]
	s_waitcnt lgkmcnt(0)
	; wave barrier
	scratch_load_dwordx4 v[8:11], off, off offset:136
	scratch_load_dwordx4 v[16:19], off, off offset:152
	;; [unrolled: 1-line block ×6, first 2 shown]
	ds_read2_b64 v[4:7], v2 offset0:57 offset1:58
	scratch_load_dwordx4 v[56:59], off, off offset:232
	v_cmp_lt_u32_e32 vcc, 15, v0
	s_waitcnt vmcnt(6) lgkmcnt(0)
	v_mul_f32_e32 v3, v4, v9
	v_fmac_f32_e32 v3, v5, v8
	v_mul_f32_e32 v12, v6, v11
	v_add_f32_e32 v3, 0, v3
	v_fmac_f32_e32 v12, v7, v10
	v_add_f32_e32 v3, v3, v12
	ds_read2_b64 v[12:15], v2 offset0:59 offset1:60
	s_waitcnt vmcnt(5) lgkmcnt(0)
	v_mul_f32_e32 v20, v12, v17
	v_fmac_f32_e32 v20, v13, v16
	v_add_f32_e32 v3, v3, v20
	v_mul_f32_e32 v20, v14, v19
	v_fmac_f32_e32 v20, v15, v18
	v_add_f32_e32 v3, v3, v20
	ds_read2_b64 v[20:23], v2 offset0:61 offset1:62
	s_waitcnt vmcnt(4) lgkmcnt(0)
	v_mul_f32_e32 v28, v20, v25
	v_fmac_f32_e32 v28, v21, v24
	v_add_f32_e32 v3, v3, v28
	v_mul_f32_e32 v28, v22, v27
	;; [unrolled: 8-line block ×5, first 2 shown]
	v_fmac_f32_e32 v52, v47, v50
	v_add_f32_e32 v77, v3, v52
	ds_read2_b64 v[52:55], v2 offset0:69 offset1:70
	scratch_load_dwordx4 v[60:63], off, off offset:248
	scratch_load_dwordx4 v[64:67], off, off offset:264
	;; [unrolled: 1-line block ×4, first 2 shown]
	v_mul_f32_e32 v3, v5, v9
	v_fma_f32 v3, v4, v8, -v3
	v_mul_f32_e32 v4, v7, v11
	v_add_f32_e32 v3, 0, v3
	v_fma_f32 v4, v6, v10, -v4
	v_add_f32_e32 v3, v3, v4
	v_mul_f32_e32 v4, v13, v17
	v_fma_f32 v4, v12, v16, -v4
	v_add_f32_e32 v3, v3, v4
	v_mul_f32_e32 v4, v15, v19
	;; [unrolled: 3-line block ×10, first 2 shown]
	v_fma_f32 v4, v46, v50, -v4
	v_add_f32_e32 v76, v3, v4
	ds_read2_b64 v[4:7], v2 offset0:71 offset1:72
	ds_read2_b64 v[8:11], v2 offset0:73 offset1:74
	;; [unrolled: 1-line block ×4, first 2 shown]
	s_waitcnt vmcnt(4) lgkmcnt(4)
	v_mul_f32_e32 v79, v52, v57
	v_mul_f32_e32 v3, v53, v57
	v_fmac_f32_e32 v79, v53, v56
	v_mul_f32_e32 v81, v54, v59
	v_fma_f32 v78, v52, v56, -v3
	v_mul_f32_e32 v3, v55, v59
	v_fmac_f32_e32 v81, v55, v58
	v_fma_f32 v80, v54, v58, -v3
	v_pk_add_f32 v[2:3], v[76:77], v[78:79]
	s_waitcnt vmcnt(3) lgkmcnt(3)
	v_pk_mul_f32 v[20:21], v[4:5], v[60:61] op_sel:[1,1] op_sel_hi:[0,1]
	v_pk_fma_f32 v[22:23], v[4:5], v[60:61], v[20:21] neg_lo:[0,0,1] neg_hi:[0,0,1]
	v_pk_fma_f32 v[4:5], v[4:5], v[60:61], v[20:21] op_sel_hi:[1,0,1]
	v_pk_add_f32 v[2:3], v[2:3], v[80:81]
	v_mov_b32_e32 v4, v63
	v_mov_b32_e32 v23, v5
	v_pk_mul_f32 v[4:5], v[6:7], v[4:5] op_sel:[1,0] op_sel_hi:[0,0]
	v_pk_fma_f32 v[20:21], v[6:7], v[62:63], v[4:5] neg_lo:[0,0,1] neg_hi:[0,0,1]
	v_pk_fma_f32 v[4:5], v[6:7], v[62:63], v[4:5] op_sel_hi:[1,0,1]
	v_pk_add_f32 v[2:3], v[2:3], v[22:23]
	v_mov_b32_e32 v21, v5
	s_waitcnt vmcnt(2) lgkmcnt(2)
	v_pk_mul_f32 v[4:5], v[8:9], v[64:65] op_sel:[1,1] op_sel_hi:[0,1]
	v_pk_fma_f32 v[6:7], v[8:9], v[64:65], v[4:5] neg_lo:[0,0,1] neg_hi:[0,0,1]
	v_pk_fma_f32 v[4:5], v[8:9], v[64:65], v[4:5] op_sel_hi:[1,0,1]
	v_pk_add_f32 v[2:3], v[2:3], v[20:21]
	v_mov_b32_e32 v4, v67
	v_mov_b32_e32 v7, v5
	v_pk_mul_f32 v[4:5], v[10:11], v[4:5] op_sel:[1,0] op_sel_hi:[0,0]
	v_pk_add_f32 v[2:3], v[2:3], v[6:7]
	v_pk_fma_f32 v[6:7], v[10:11], v[66:67], v[4:5] neg_lo:[0,0,1] neg_hi:[0,0,1]
	v_pk_fma_f32 v[4:5], v[10:11], v[66:67], v[4:5] op_sel_hi:[1,0,1]
	s_nop 0
	v_mov_b32_e32 v7, v5
	s_waitcnt vmcnt(1) lgkmcnt(1)
	v_pk_mul_f32 v[4:5], v[12:13], v[68:69] op_sel:[1,1] op_sel_hi:[0,1]
	v_pk_add_f32 v[2:3], v[2:3], v[6:7]
	v_pk_fma_f32 v[6:7], v[12:13], v[68:69], v[4:5] neg_lo:[0,0,1] neg_hi:[0,0,1]
	v_pk_fma_f32 v[4:5], v[12:13], v[68:69], v[4:5] op_sel_hi:[1,0,1]
	s_nop 0
	v_mov_b32_e32 v4, v71
	v_mov_b32_e32 v7, v5
	v_pk_mul_f32 v[4:5], v[14:15], v[4:5] op_sel:[1,0] op_sel_hi:[0,0]
	v_pk_add_f32 v[2:3], v[2:3], v[6:7]
	v_pk_fma_f32 v[6:7], v[14:15], v[70:71], v[4:5] neg_lo:[0,0,1] neg_hi:[0,0,1]
	v_pk_fma_f32 v[4:5], v[14:15], v[70:71], v[4:5] op_sel_hi:[1,0,1]
	s_nop 0
	v_mov_b32_e32 v7, v5
	s_waitcnt vmcnt(0) lgkmcnt(0)
	v_pk_mul_f32 v[4:5], v[16:17], v[72:73] op_sel:[1,1] op_sel_hi:[0,1]
	v_pk_add_f32 v[2:3], v[2:3], v[6:7]
	v_pk_fma_f32 v[6:7], v[16:17], v[72:73], v[4:5] neg_lo:[0,0,1] neg_hi:[0,0,1]
	v_pk_fma_f32 v[4:5], v[16:17], v[72:73], v[4:5] op_sel_hi:[1,0,1]
	s_nop 0
	v_mov_b32_e32 v4, v75
	v_mov_b32_e32 v7, v5
	v_pk_mul_f32 v[4:5], v[18:19], v[4:5] op_sel:[1,0] op_sel_hi:[0,0]
	v_pk_add_f32 v[2:3], v[2:3], v[6:7]
	v_pk_fma_f32 v[6:7], v[18:19], v[74:75], v[4:5] neg_lo:[0,0,1] neg_hi:[0,0,1]
	v_pk_fma_f32 v[4:5], v[18:19], v[74:75], v[4:5] op_sel_hi:[1,0,1]
	s_nop 0
	v_mov_b32_e32 v7, v5
	scratch_load_dwordx2 v[4:5], off, off offset:128
	v_pk_add_f32 v[2:3], v[2:3], v[6:7]
	s_waitcnt vmcnt(0)
	v_pk_add_f32 v[2:3], v[4:5], v[2:3] neg_lo:[0,1] neg_hi:[0,1]
	scratch_store_dwordx2 off, v[2:3], off offset:128
	s_and_saveexec_b64 s[0:1], vcc
	s_cbranch_execz .LBB102_217
; %bb.216:
	scratch_load_dwordx2 v[2:3], off, off offset:120
	v_mov_b32_e32 v4, 0
	v_mov_b32_e32 v5, v4
	scratch_store_dwordx2 off, v[4:5], off offset:120
	s_waitcnt vmcnt(1)
	ds_write_b64 v1, v[2:3]
.LBB102_217:
	s_or_b64 exec, exec, s[0:1]
	v_mov_b32_e32 v2, 0
	s_waitcnt lgkmcnt(0)
	; wave barrier
	ds_read_b128 v[4:7], v2 offset:448
	ds_read_b128 v[8:11], v2 offset:464
	;; [unrolled: 1-line block ×4, first 2 shown]
	scratch_load_dwordx4 v[20:23], off, off offset:128
	scratch_load_dwordx4 v[40:43], off, off offset:192
	v_cmp_lt_u32_e32 vcc, 14, v0
	scratch_load_dwordx4 v[48:51], off, off offset:208
	scratch_load_dwordx4 v[56:59], off, off offset:224
	;; [unrolled: 1-line block ×3, first 2 shown]
	s_waitcnt vmcnt(4) lgkmcnt(3)
	v_mul_f32_e32 v3, v4, v21
	v_fmac_f32_e32 v3, v5, v20
	v_mul_f32_e32 v24, v6, v23
	v_add_f32_e32 v3, 0, v3
	v_fmac_f32_e32 v24, v7, v22
	v_add_f32_e32 v3, v3, v24
	scratch_load_dwordx4 v[24:27], off, off offset:144
	s_waitcnt vmcnt(0) lgkmcnt(2)
	v_mul_f32_e32 v28, v8, v25
	v_fmac_f32_e32 v28, v9, v24
	v_add_f32_e32 v3, v3, v28
	v_mul_f32_e32 v28, v10, v27
	v_fmac_f32_e32 v28, v11, v26
	v_add_f32_e32 v3, v3, v28
	scratch_load_dwordx4 v[28:31], off, off offset:160
	s_waitcnt vmcnt(0) lgkmcnt(1)
	v_mul_f32_e32 v32, v12, v29
	v_fmac_f32_e32 v32, v13, v28
	v_add_f32_e32 v3, v3, v32
	v_mul_f32_e32 v32, v14, v31
	v_fmac_f32_e32 v32, v15, v30
	v_add_f32_e32 v3, v3, v32
	scratch_load_dwordx4 v[32:35], off, off offset:176
	s_waitcnt vmcnt(0) lgkmcnt(0)
	v_mul_f32_e32 v36, v16, v33
	v_fmac_f32_e32 v36, v17, v32
	v_add_f32_e32 v3, v3, v36
	v_mul_f32_e32 v36, v18, v35
	v_fmac_f32_e32 v36, v19, v34
	v_add_f32_e32 v3, v3, v36
	ds_read_b128 v[36:39], v2 offset:512
	s_waitcnt lgkmcnt(0)
	v_mul_f32_e32 v44, v36, v41
	v_fmac_f32_e32 v44, v37, v40
	v_add_f32_e32 v3, v3, v44
	v_mul_f32_e32 v44, v38, v43
	v_fmac_f32_e32 v44, v39, v42
	v_add_f32_e32 v3, v3, v44
	ds_read_b128 v[44:47], v2 offset:528
	s_waitcnt lgkmcnt(0)
	v_mul_f32_e32 v52, v44, v49
	v_fmac_f32_e32 v52, v45, v48
	v_add_f32_e32 v3, v3, v52
	v_mul_f32_e32 v52, v46, v51
	v_fmac_f32_e32 v52, v47, v50
	v_add_f32_e32 v3, v3, v52
	ds_read_b128 v[52:55], v2 offset:544
	s_waitcnt lgkmcnt(0)
	v_mul_f32_e32 v60, v52, v57
	v_fmac_f32_e32 v60, v53, v56
	v_add_f32_e32 v81, v3, v60
	ds_read_b128 v[60:63], v2 offset:560
	scratch_load_dwordx4 v[68:71], off, off offset:256
	scratch_load_dwordx4 v[72:75], off, off offset:272
	;; [unrolled: 1-line block ×3, first 2 shown]
	scratch_load_dwordx2 v[86:87], off, off offset:304
	v_mul_f32_e32 v3, v5, v21
	v_fma_f32 v3, v4, v20, -v3
	v_mul_f32_e32 v4, v7, v23
	v_add_f32_e32 v3, 0, v3
	v_fma_f32 v4, v6, v22, -v4
	v_add_f32_e32 v3, v3, v4
	v_mul_f32_e32 v4, v9, v25
	v_fma_f32 v4, v8, v24, -v4
	v_add_f32_e32 v3, v3, v4
	v_mul_f32_e32 v4, v11, v27
	;; [unrolled: 3-line block ×11, first 2 shown]
	v_fma_f32 v4, v52, v56, -v4
	v_mul_f32_e32 v83, v54, v59
	v_add_f32_e32 v80, v3, v4
	v_mul_f32_e32 v3, v55, v59
	v_mov_b32_e32 v20, v67
	v_fmac_f32_e32 v83, v55, v58
	s_waitcnt lgkmcnt(0)
	v_mul_f32_e32 v85, v60, v65
	v_fma_f32 v82, v54, v58, -v3
	v_mul_f32_e32 v3, v61, v65
	ds_read_b128 v[4:7], v2 offset:576
	ds_read_b128 v[8:11], v2 offset:592
	;; [unrolled: 1-line block ×3, first 2 shown]
	ds_read_b64 v[16:17], v2 offset:624
	v_pk_mul_f32 v[20:21], v[62:63], v[20:21] op_sel:[1,0] op_sel_hi:[0,0]
	v_fmac_f32_e32 v85, v61, v64
	v_fma_f32 v84, v60, v64, -v3
	v_pk_add_f32 v[18:19], v[80:81], v[82:83]
	v_pk_fma_f32 v[22:23], v[62:63], v[66:67], v[20:21] neg_lo:[0,0,1] neg_hi:[0,0,1]
	v_pk_fma_f32 v[20:21], v[62:63], v[66:67], v[20:21] op_sel_hi:[1,0,1]
	v_pk_add_f32 v[18:19], v[18:19], v[84:85]
	v_mov_b32_e32 v23, v21
	v_pk_add_f32 v[18:19], v[18:19], v[22:23]
	s_waitcnt vmcnt(3) lgkmcnt(3)
	v_pk_mul_f32 v[20:21], v[4:5], v[68:69] op_sel:[1,1] op_sel_hi:[0,1]
	v_pk_fma_f32 v[22:23], v[4:5], v[68:69], v[20:21] neg_lo:[0,0,1] neg_hi:[0,0,1]
	v_pk_fma_f32 v[4:5], v[4:5], v[68:69], v[20:21] op_sel_hi:[1,0,1]
	s_nop 0
	v_mov_b32_e32 v23, v5
	v_pk_add_f32 v[4:5], v[18:19], v[22:23]
	v_mov_b32_e32 v18, v71
	v_pk_mul_f32 v[18:19], v[6:7], v[18:19] op_sel:[1,0] op_sel_hi:[0,0]
	v_pk_fma_f32 v[20:21], v[6:7], v[70:71], v[18:19] neg_lo:[0,0,1] neg_hi:[0,0,1]
	v_pk_fma_f32 v[6:7], v[6:7], v[70:71], v[18:19] op_sel_hi:[1,0,1]
	s_nop 0
	v_mov_b32_e32 v21, v7
	s_waitcnt vmcnt(2) lgkmcnt(2)
	v_pk_mul_f32 v[6:7], v[8:9], v[72:73] op_sel:[1,1] op_sel_hi:[0,1]
	v_pk_fma_f32 v[18:19], v[8:9], v[72:73], v[6:7] neg_lo:[0,0,1] neg_hi:[0,0,1]
	v_pk_fma_f32 v[6:7], v[8:9], v[72:73], v[6:7] op_sel_hi:[1,0,1]
	v_pk_add_f32 v[4:5], v[4:5], v[20:21]
	v_mov_b32_e32 v6, v75
	v_mov_b32_e32 v19, v7
	v_pk_mul_f32 v[6:7], v[10:11], v[6:7] op_sel:[1,0] op_sel_hi:[0,0]
	v_pk_fma_f32 v[8:9], v[10:11], v[74:75], v[6:7] neg_lo:[0,0,1] neg_hi:[0,0,1]
	v_pk_fma_f32 v[6:7], v[10:11], v[74:75], v[6:7] op_sel_hi:[1,0,1]
	v_pk_add_f32 v[4:5], v[4:5], v[18:19]
	v_mov_b32_e32 v9, v7
	s_waitcnt vmcnt(1) lgkmcnt(1)
	v_pk_mul_f32 v[6:7], v[12:13], v[76:77] op_sel:[1,1] op_sel_hi:[0,1]
	v_pk_add_f32 v[4:5], v[4:5], v[8:9]
	v_pk_fma_f32 v[8:9], v[12:13], v[76:77], v[6:7] neg_lo:[0,0,1] neg_hi:[0,0,1]
	v_pk_fma_f32 v[6:7], v[12:13], v[76:77], v[6:7] op_sel_hi:[1,0,1]
	s_nop 0
	v_mov_b32_e32 v6, v79
	v_mov_b32_e32 v9, v7
	v_pk_mul_f32 v[6:7], v[14:15], v[6:7] op_sel:[1,0] op_sel_hi:[0,0]
	v_pk_add_f32 v[4:5], v[4:5], v[8:9]
	v_pk_fma_f32 v[8:9], v[14:15], v[78:79], v[6:7] neg_lo:[0,0,1] neg_hi:[0,0,1]
	v_pk_fma_f32 v[6:7], v[14:15], v[78:79], v[6:7] op_sel_hi:[1,0,1]
	s_nop 0
	v_mov_b32_e32 v9, v7
	s_waitcnt vmcnt(0) lgkmcnt(0)
	v_pk_mul_f32 v[6:7], v[16:17], v[86:87] op_sel:[1,1] op_sel_hi:[0,1]
	v_pk_add_f32 v[4:5], v[4:5], v[8:9]
	v_pk_fma_f32 v[8:9], v[16:17], v[86:87], v[6:7] neg_lo:[0,0,1] neg_hi:[0,0,1]
	v_pk_fma_f32 v[6:7], v[16:17], v[86:87], v[6:7] op_sel_hi:[1,0,1]
	s_nop 0
	v_mov_b32_e32 v9, v7
	scratch_load_dwordx2 v[6:7], off, off offset:120
	v_pk_add_f32 v[4:5], v[4:5], v[8:9]
	s_waitcnt vmcnt(0)
	v_pk_add_f32 v[4:5], v[6:7], v[4:5] neg_lo:[0,1] neg_hi:[0,1]
	scratch_store_dwordx2 off, v[4:5], off offset:120
	s_and_saveexec_b64 s[0:1], vcc
	s_cbranch_execz .LBB102_219
; %bb.218:
	scratch_load_dwordx2 v[4:5], off, off offset:112
	v_mov_b32_e32 v3, v2
	scratch_store_dwordx2 off, v[2:3], off offset:112
	s_waitcnt vmcnt(1)
	ds_write_b64 v1, v[4:5]
.LBB102_219:
	s_or_b64 exec, exec, s[0:1]
	s_waitcnt lgkmcnt(0)
	; wave barrier
	scratch_load_dwordx4 v[8:11], off, off offset:120
	scratch_load_dwordx4 v[16:19], off, off offset:136
	;; [unrolled: 1-line block ×8, first 2 shown]
	ds_read2_b64 v[4:7], v2 offset0:55 offset1:56
	v_cmp_lt_u32_e32 vcc, 13, v0
	s_waitcnt vmcnt(7) lgkmcnt(0)
	v_mul_f32_e32 v3, v4, v9
	v_fmac_f32_e32 v3, v5, v8
	v_mul_f32_e32 v12, v6, v11
	v_add_f32_e32 v3, 0, v3
	v_fmac_f32_e32 v12, v7, v10
	v_add_f32_e32 v3, v3, v12
	ds_read2_b64 v[12:15], v2 offset0:57 offset1:58
	s_waitcnt vmcnt(6) lgkmcnt(0)
	v_mul_f32_e32 v20, v12, v17
	v_fmac_f32_e32 v20, v13, v16
	v_add_f32_e32 v3, v3, v20
	v_mul_f32_e32 v20, v14, v19
	v_fmac_f32_e32 v20, v15, v18
	v_add_f32_e32 v3, v3, v20
	ds_read2_b64 v[20:23], v2 offset0:59 offset1:60
	s_waitcnt vmcnt(5) lgkmcnt(0)
	v_mul_f32_e32 v28, v20, v25
	v_fmac_f32_e32 v28, v21, v24
	v_add_f32_e32 v3, v3, v28
	v_mul_f32_e32 v28, v22, v27
	;; [unrolled: 8-line block ×6, first 2 shown]
	v_fmac_f32_e32 v60, v55, v58
	v_add_f32_e32 v85, v3, v60
	ds_read2_b64 v[60:63], v2 offset0:69 offset1:70
	scratch_load_dwordx4 v[68:71], off, off offset:248
	scratch_load_dwordx4 v[72:75], off, off offset:264
	;; [unrolled: 1-line block ×4, first 2 shown]
	v_mul_f32_e32 v3, v5, v9
	v_fma_f32 v3, v4, v8, -v3
	v_mul_f32_e32 v4, v7, v11
	v_add_f32_e32 v3, 0, v3
	v_fma_f32 v4, v6, v10, -v4
	v_add_f32_e32 v3, v3, v4
	v_mul_f32_e32 v4, v13, v17
	v_fma_f32 v4, v12, v16, -v4
	v_add_f32_e32 v3, v3, v4
	v_mul_f32_e32 v4, v15, v19
	;; [unrolled: 3-line block ×12, first 2 shown]
	v_fma_f32 v4, v54, v58, -v4
	v_add_f32_e32 v84, v3, v4
	ds_read2_b64 v[4:7], v2 offset0:71 offset1:72
	ds_read2_b64 v[8:11], v2 offset0:73 offset1:74
	;; [unrolled: 1-line block ×4, first 2 shown]
	s_waitcnt vmcnt(4) lgkmcnt(4)
	v_mul_f32_e32 v87, v60, v65
	v_mul_f32_e32 v3, v61, v65
	v_fmac_f32_e32 v87, v61, v64
	v_mul_f32_e32 v89, v62, v67
	v_fma_f32 v86, v60, v64, -v3
	v_mul_f32_e32 v3, v63, v67
	v_fmac_f32_e32 v89, v63, v66
	v_fma_f32 v88, v62, v66, -v3
	v_pk_add_f32 v[2:3], v[84:85], v[86:87]
	s_waitcnt vmcnt(3) lgkmcnt(3)
	v_pk_mul_f32 v[20:21], v[4:5], v[68:69] op_sel:[1,1] op_sel_hi:[0,1]
	v_pk_fma_f32 v[22:23], v[4:5], v[68:69], v[20:21] neg_lo:[0,0,1] neg_hi:[0,0,1]
	v_pk_fma_f32 v[4:5], v[4:5], v[68:69], v[20:21] op_sel_hi:[1,0,1]
	v_pk_add_f32 v[2:3], v[2:3], v[88:89]
	v_mov_b32_e32 v4, v71
	v_mov_b32_e32 v23, v5
	v_pk_mul_f32 v[4:5], v[6:7], v[4:5] op_sel:[1,0] op_sel_hi:[0,0]
	v_pk_fma_f32 v[20:21], v[6:7], v[70:71], v[4:5] neg_lo:[0,0,1] neg_hi:[0,0,1]
	v_pk_fma_f32 v[4:5], v[6:7], v[70:71], v[4:5] op_sel_hi:[1,0,1]
	v_pk_add_f32 v[2:3], v[2:3], v[22:23]
	v_mov_b32_e32 v21, v5
	s_waitcnt vmcnt(2) lgkmcnt(2)
	v_pk_mul_f32 v[4:5], v[8:9], v[72:73] op_sel:[1,1] op_sel_hi:[0,1]
	v_pk_fma_f32 v[6:7], v[8:9], v[72:73], v[4:5] neg_lo:[0,0,1] neg_hi:[0,0,1]
	v_pk_fma_f32 v[4:5], v[8:9], v[72:73], v[4:5] op_sel_hi:[1,0,1]
	v_pk_add_f32 v[2:3], v[2:3], v[20:21]
	v_mov_b32_e32 v4, v75
	v_mov_b32_e32 v7, v5
	v_pk_mul_f32 v[4:5], v[10:11], v[4:5] op_sel:[1,0] op_sel_hi:[0,0]
	v_pk_add_f32 v[2:3], v[2:3], v[6:7]
	v_pk_fma_f32 v[6:7], v[10:11], v[74:75], v[4:5] neg_lo:[0,0,1] neg_hi:[0,0,1]
	v_pk_fma_f32 v[4:5], v[10:11], v[74:75], v[4:5] op_sel_hi:[1,0,1]
	s_nop 0
	v_mov_b32_e32 v7, v5
	s_waitcnt vmcnt(1) lgkmcnt(1)
	v_pk_mul_f32 v[4:5], v[12:13], v[76:77] op_sel:[1,1] op_sel_hi:[0,1]
	v_pk_add_f32 v[2:3], v[2:3], v[6:7]
	v_pk_fma_f32 v[6:7], v[12:13], v[76:77], v[4:5] neg_lo:[0,0,1] neg_hi:[0,0,1]
	v_pk_fma_f32 v[4:5], v[12:13], v[76:77], v[4:5] op_sel_hi:[1,0,1]
	s_nop 0
	v_mov_b32_e32 v4, v79
	v_mov_b32_e32 v7, v5
	v_pk_mul_f32 v[4:5], v[14:15], v[4:5] op_sel:[1,0] op_sel_hi:[0,0]
	v_pk_add_f32 v[2:3], v[2:3], v[6:7]
	v_pk_fma_f32 v[6:7], v[14:15], v[78:79], v[4:5] neg_lo:[0,0,1] neg_hi:[0,0,1]
	v_pk_fma_f32 v[4:5], v[14:15], v[78:79], v[4:5] op_sel_hi:[1,0,1]
	s_nop 0
	v_mov_b32_e32 v7, v5
	s_waitcnt vmcnt(0) lgkmcnt(0)
	v_pk_mul_f32 v[4:5], v[16:17], v[80:81] op_sel:[1,1] op_sel_hi:[0,1]
	v_pk_add_f32 v[2:3], v[2:3], v[6:7]
	v_pk_fma_f32 v[6:7], v[16:17], v[80:81], v[4:5] neg_lo:[0,0,1] neg_hi:[0,0,1]
	v_pk_fma_f32 v[4:5], v[16:17], v[80:81], v[4:5] op_sel_hi:[1,0,1]
	s_nop 0
	v_mov_b32_e32 v4, v83
	v_mov_b32_e32 v7, v5
	v_pk_mul_f32 v[4:5], v[18:19], v[4:5] op_sel:[1,0] op_sel_hi:[0,0]
	v_pk_add_f32 v[2:3], v[2:3], v[6:7]
	v_pk_fma_f32 v[6:7], v[18:19], v[82:83], v[4:5] neg_lo:[0,0,1] neg_hi:[0,0,1]
	v_pk_fma_f32 v[4:5], v[18:19], v[82:83], v[4:5] op_sel_hi:[1,0,1]
	s_nop 0
	v_mov_b32_e32 v7, v5
	scratch_load_dwordx2 v[4:5], off, off offset:112
	v_pk_add_f32 v[2:3], v[2:3], v[6:7]
	s_waitcnt vmcnt(0)
	v_pk_add_f32 v[2:3], v[4:5], v[2:3] neg_lo:[0,1] neg_hi:[0,1]
	scratch_store_dwordx2 off, v[2:3], off offset:112
	s_and_saveexec_b64 s[0:1], vcc
	s_cbranch_execz .LBB102_221
; %bb.220:
	scratch_load_dwordx2 v[2:3], off, off offset:104
	v_mov_b32_e32 v4, 0
	v_mov_b32_e32 v5, v4
	scratch_store_dwordx2 off, v[4:5], off offset:104
	s_waitcnt vmcnt(1)
	ds_write_b64 v1, v[2:3]
.LBB102_221:
	s_or_b64 exec, exec, s[0:1]
	s_waitcnt lgkmcnt(0)
	; wave barrier
	scratch_load_dwordx4 v[10:13], off, off offset:112
	scratch_load_dwordx4 v[26:29], off, off offset:128
	;; [unrolled: 1-line block ×12, first 2 shown]
	scratch_load_dwordx2 v[50:51], off, off offset:304
	scratch_load_dwordx2 v[56:57], off, off offset:104
	v_mov_b32_e32 v58, 0
	ds_read_b128 v[52:55], v58 offset:432
	ds_read_b128 v[60:63], v58 offset:448
	;; [unrolled: 1-line block ×10, first 2 shown]
	v_cmp_lt_u32_e32 vcc, 12, v0
	s_waitcnt vmcnt(13) lgkmcnt(9)
	v_mul_f32_e32 v59, v52, v11
	v_mul_f32_e32 v96, v54, v13
	v_fmac_f32_e32 v59, v53, v10
	s_waitcnt vmcnt(10) lgkmcnt(6)
	v_mul_f32_e32 v103, v68, v7
	v_mul_f32_e32 v7, v69, v7
	;; [unrolled: 1-line block ×3, first 2 shown]
	v_fmac_f32_e32 v96, v55, v12
	v_fmac_f32_e32 v103, v69, v6
	v_fma_f32 v6, v68, v6, -v7
	v_add_f32_e32 v7, 0, v59
	v_mul_f32_e32 v100, v62, v29
	v_fmac_f32_e32 v98, v61, v26
	v_add_f32_e32 v7, v7, v96
	v_mul_f32_e32 v101, v64, v39
	v_fmac_f32_e32 v100, v63, v28
	;; [unrolled: 3-line block ×3, first 2 shown]
	v_add_f32_e32 v7, v7, v100
	v_fmac_f32_e32 v102, v67, v40
	v_add_f32_e32 v7, v7, v101
	v_mul_f32_e32 v104, v70, v9
	v_add_f32_e32 v7, v7, v102
	s_waitcnt vmcnt(9) lgkmcnt(5)
	v_mul_f32_e32 v105, v72, v15
	v_fmac_f32_e32 v104, v71, v8
	v_add_f32_e32 v7, v7, v103
	v_mul_f32_e32 v106, v74, v17
	v_mul_f32_e32 v11, v53, v11
	v_fmac_f32_e32 v105, v73, v14
	v_add_f32_e32 v7, v7, v104
	s_waitcnt vmcnt(8) lgkmcnt(4)
	v_mul_f32_e32 v107, v76, v23
	v_mul_f32_e32 v13, v55, v13
	v_fmac_f32_e32 v106, v75, v16
	v_fma_f32 v10, v52, v10, -v11
	v_add_f32_e32 v7, v7, v105
	v_mul_f32_e32 v108, v78, v25
	v_mul_f32_e32 v27, v61, v27
	v_fmac_f32_e32 v107, v77, v22
	v_fma_f32 v11, v54, v12, -v13
	v_add_f32_e32 v10, 0, v10
	v_add_f32_e32 v7, v7, v106
	s_waitcnt vmcnt(7) lgkmcnt(3)
	v_mul_f32_e32 v109, v80, v31
	v_mul_f32_e32 v29, v63, v29
	v_fmac_f32_e32 v108, v79, v24
	v_fma_f32 v12, v60, v26, -v27
	v_add_f32_e32 v10, v10, v11
	v_add_f32_e32 v7, v7, v107
	v_mul_f32_e32 v110, v82, v33
	v_mul_f32_e32 v39, v65, v39
	v_fmac_f32_e32 v109, v81, v30
	v_fma_f32 v13, v62, v28, -v29
	v_add_f32_e32 v10, v10, v12
	v_add_f32_e32 v7, v7, v108
	s_waitcnt vmcnt(6) lgkmcnt(2)
	v_mul_f32_e32 v111, v84, v43
	v_mul_f32_e32 v41, v67, v41
	v_fmac_f32_e32 v110, v83, v32
	v_fma_f32 v26, v64, v38, -v39
	v_add_f32_e32 v10, v10, v13
	v_add_f32_e32 v7, v7, v109
	v_fmac_f32_e32 v111, v85, v42
	v_fma_f32 v27, v66, v40, -v41
	v_add_f32_e32 v10, v10, v26
	v_add_f32_e32 v7, v7, v110
	;; [unrolled: 1-line block ×4, first 2 shown]
	v_mul_f32_e32 v7, v71, v9
	v_add_f32_e32 v6, v10, v6
	v_fma_f32 v7, v70, v8, -v7
	v_add_f32_e32 v6, v6, v7
	v_mul_f32_e32 v7, v73, v15
	v_fma_f32 v7, v72, v14, -v7
	v_add_f32_e32 v6, v6, v7
	v_mul_f32_e32 v7, v75, v17
	;; [unrolled: 3-line block ×7, first 2 shown]
	v_fma_f32 v7, v84, v42, -v7
	v_mul_f32_e32 v97, v86, v45
	v_add_f32_e32 v26, v6, v7
	v_mul_f32_e32 v6, v87, v45
	s_waitcnt vmcnt(5)
	v_mov_b32_e32 v22, v49
	s_waitcnt lgkmcnt(1)
	v_mul_f32_e32 v99, v88, v47
	v_fmac_f32_e32 v97, v87, v44
	v_fma_f32 v96, v86, v44, -v6
	v_mul_f32_e32 v6, v89, v47
	v_pk_mul_f32 v[22:23], v[90:91], v[22:23] op_sel:[1,0] op_sel_hi:[0,0]
	v_fmac_f32_e32 v99, v89, v46
	v_fma_f32 v98, v88, v46, -v6
	v_pk_add_f32 v[16:17], v[26:27], v[96:97]
	v_pk_fma_f32 v[24:25], v[90:91], v[48:49], v[22:23] neg_lo:[0,0,1] neg_hi:[0,0,1]
	v_pk_fma_f32 v[22:23], v[90:91], v[48:49], v[22:23] op_sel_hi:[1,0,1]
	v_pk_add_f32 v[16:17], v[16:17], v[98:99]
	v_mov_b32_e32 v25, v23
	s_waitcnt vmcnt(4) lgkmcnt(0)
	v_pk_mul_f32 v[22:23], v[92:93], v[34:35] op_sel:[1,1] op_sel_hi:[0,1]
	v_pk_add_f32 v[16:17], v[16:17], v[24:25]
	v_pk_fma_f32 v[24:25], v[92:93], v[34:35], v[22:23] neg_lo:[0,0,1] neg_hi:[0,0,1]
	v_pk_fma_f32 v[22:23], v[92:93], v[34:35], v[22:23] op_sel_hi:[1,0,1]
	ds_read_b128 v[6:9], v58 offset:592
	ds_read_b128 v[10:13], v58 offset:608
	ds_read_b64 v[14:15], v58 offset:624
	v_mov_b32_e32 v22, v37
	v_mov_b32_e32 v25, v23
	v_pk_mul_f32 v[22:23], v[94:95], v[22:23] op_sel:[1,0] op_sel_hi:[0,0]
	v_pk_add_f32 v[16:17], v[16:17], v[24:25]
	v_pk_fma_f32 v[24:25], v[94:95], v[36:37], v[22:23] neg_lo:[0,0,1] neg_hi:[0,0,1]
	v_pk_fma_f32 v[22:23], v[94:95], v[36:37], v[22:23] op_sel_hi:[1,0,1]
	s_nop 0
	v_mov_b32_e32 v25, v23
	s_waitcnt vmcnt(3) lgkmcnt(2)
	v_pk_mul_f32 v[22:23], v[6:7], v[18:19] op_sel:[1,1] op_sel_hi:[0,1]
	v_pk_add_f32 v[16:17], v[16:17], v[24:25]
	v_pk_fma_f32 v[24:25], v[6:7], v[18:19], v[22:23] neg_lo:[0,0,1] neg_hi:[0,0,1]
	v_pk_fma_f32 v[6:7], v[6:7], v[18:19], v[22:23] op_sel_hi:[1,0,1]
	s_nop 0
	v_mov_b32_e32 v25, v7
	v_pk_add_f32 v[6:7], v[16:17], v[24:25]
	v_mov_b32_e32 v16, v21
	v_pk_mul_f32 v[16:17], v[8:9], v[16:17] op_sel:[1,0] op_sel_hi:[0,0]
	v_pk_fma_f32 v[18:19], v[8:9], v[20:21], v[16:17] neg_lo:[0,0,1] neg_hi:[0,0,1]
	v_pk_fma_f32 v[8:9], v[8:9], v[20:21], v[16:17] op_sel_hi:[1,0,1]
	s_nop 0
	v_mov_b32_e32 v19, v9
	s_waitcnt vmcnt(2) lgkmcnt(1)
	v_pk_mul_f32 v[8:9], v[10:11], v[2:3] op_sel:[1,1] op_sel_hi:[0,1]
	v_pk_fma_f32 v[16:17], v[10:11], v[2:3], v[8:9] neg_lo:[0,0,1] neg_hi:[0,0,1]
	v_pk_fma_f32 v[2:3], v[10:11], v[2:3], v[8:9] op_sel_hi:[1,0,1]
	v_pk_add_f32 v[6:7], v[6:7], v[18:19]
	v_mov_b32_e32 v17, v3
	v_pk_add_f32 v[2:3], v[6:7], v[16:17]
	v_mov_b32_e32 v6, v5
	v_pk_mul_f32 v[6:7], v[12:13], v[6:7] op_sel:[1,0] op_sel_hi:[0,0]
	v_pk_fma_f32 v[8:9], v[12:13], v[4:5], v[6:7] neg_lo:[0,0,1] neg_hi:[0,0,1]
	v_pk_fma_f32 v[4:5], v[12:13], v[4:5], v[6:7] op_sel_hi:[1,0,1]
	s_nop 0
	v_mov_b32_e32 v9, v5
	s_waitcnt vmcnt(1) lgkmcnt(0)
	v_pk_mul_f32 v[4:5], v[14:15], v[50:51] op_sel:[1,1] op_sel_hi:[0,1]
	v_pk_fma_f32 v[6:7], v[14:15], v[50:51], v[4:5] neg_lo:[0,0,1] neg_hi:[0,0,1]
	v_pk_fma_f32 v[4:5], v[14:15], v[50:51], v[4:5] op_sel_hi:[1,0,1]
	v_pk_add_f32 v[2:3], v[2:3], v[8:9]
	v_mov_b32_e32 v7, v5
	v_pk_add_f32 v[2:3], v[2:3], v[6:7]
	s_waitcnt vmcnt(0)
	v_pk_add_f32 v[2:3], v[56:57], v[2:3] neg_lo:[0,1] neg_hi:[0,1]
	scratch_store_dwordx2 off, v[2:3], off offset:104
	s_and_saveexec_b64 s[0:1], vcc
	s_cbranch_execz .LBB102_223
; %bb.222:
	scratch_load_dwordx2 v[2:3], off, off offset:96
	v_mov_b32_e32 v59, v58
	scratch_store_dwordx2 off, v[58:59], off offset:96
	s_waitcnt vmcnt(1)
	ds_write_b64 v1, v[2:3]
.LBB102_223:
	s_or_b64 exec, exec, s[0:1]
	s_waitcnt lgkmcnt(0)
	; wave barrier
	scratch_load_dwordx4 v[2:5], off, off offset:104
	scratch_load_dwordx4 v[18:21], off, off offset:120
	;; [unrolled: 1-line block ×9, first 2 shown]
	ds_read2_b64 v[60:63], v58 offset0:53 offset1:54
	ds_read2_b64 v[64:67], v58 offset0:55 offset1:56
	;; [unrolled: 1-line block ×8, first 2 shown]
	scratch_load_dwordx4 v[50:53], off, off offset:248
	scratch_load_dwordx4 v[34:37], off, off offset:264
	;; [unrolled: 1-line block ×4, first 2 shown]
	ds_read2_b64 v[88:91], v58 offset0:69 offset1:70
	ds_read2_b64 v[92:95], v58 offset0:71 offset1:72
	scratch_load_dwordx2 v[96:97], off, off offset:96
	v_cmp_lt_u32_e32 vcc, 11, v0
	s_waitcnt vmcnt(13) lgkmcnt(9)
	v_mul_f32_e32 v59, v60, v3
	v_mul_f32_e32 v98, v62, v5
	v_mul_f32_e32 v3, v61, v3
	s_waitcnt vmcnt(10) lgkmcnt(6)
	v_mul_f32_e32 v105, v72, v7
	v_mul_f32_e32 v7, v73, v7
	v_fmac_f32_e32 v59, v61, v2
	v_mul_f32_e32 v100, v64, v19
	v_mul_f32_e32 v5, v63, v5
	v_fmac_f32_e32 v98, v63, v4
	v_fmac_f32_e32 v105, v73, v6
	v_fma_f32 v2, v60, v2, -v3
	v_fma_f32 v6, v72, v6, -v7
	v_add_f32_e32 v7, 0, v59
	v_mul_f32_e32 v102, v66, v21
	v_fmac_f32_e32 v100, v65, v18
	v_fma_f32 v3, v62, v4, -v5
	v_add_f32_e32 v2, 0, v2
	v_add_f32_e32 v7, v7, v98
	v_mul_f32_e32 v103, v68, v39
	v_fmac_f32_e32 v102, v67, v20
	v_add_f32_e32 v2, v2, v3
	v_add_f32_e32 v3, v7, v100
	v_mul_f32_e32 v104, v70, v41
	v_fmac_f32_e32 v103, v69, v38
	v_add_f32_e32 v3, v3, v102
	v_fmac_f32_e32 v104, v71, v40
	v_add_f32_e32 v3, v3, v103
	v_mul_f32_e32 v106, v74, v9
	v_add_f32_e32 v3, v3, v104
	s_waitcnt vmcnt(9) lgkmcnt(5)
	v_mul_f32_e32 v107, v76, v15
	v_fmac_f32_e32 v106, v75, v8
	v_add_f32_e32 v3, v3, v105
	v_mul_f32_e32 v108, v78, v17
	v_fmac_f32_e32 v107, v77, v14
	v_add_f32_e32 v3, v3, v106
	s_waitcnt vmcnt(8) lgkmcnt(4)
	v_mul_f32_e32 v109, v80, v23
	v_fmac_f32_e32 v108, v79, v16
	v_add_f32_e32 v3, v3, v107
	v_mul_f32_e32 v110, v82, v25
	v_fmac_f32_e32 v109, v81, v22
	v_add_f32_e32 v3, v3, v108
	s_waitcnt vmcnt(7) lgkmcnt(3)
	v_mul_f32_e32 v111, v84, v31
	v_mul_f32_e32 v19, v65, v19
	v_fmac_f32_e32 v110, v83, v24
	v_add_f32_e32 v3, v3, v109
	v_mul_f32_e32 v112, v86, v33
	v_mul_f32_e32 v21, v67, v21
	v_fmac_f32_e32 v111, v85, v30
	v_fma_f32 v4, v64, v18, -v19
	v_add_f32_e32 v3, v3, v110
	s_waitcnt vmcnt(6) lgkmcnt(2)
	v_mul_f32_e32 v113, v54, v43
	v_mul_f32_e32 v39, v69, v39
	v_fmac_f32_e32 v112, v87, v32
	v_fma_f32 v5, v66, v20, -v21
	v_add_f32_e32 v2, v2, v4
	v_add_f32_e32 v3, v3, v111
	v_mul_f32_e32 v114, v56, v45
	v_mul_f32_e32 v41, v71, v41
	v_fmac_f32_e32 v113, v55, v42
	v_fma_f32 v18, v68, v38, -v39
	v_add_f32_e32 v2, v2, v5
	v_add_f32_e32 v3, v3, v112
	v_fmac_f32_e32 v114, v57, v44
	v_fma_f32 v19, v70, v40, -v41
	v_add_f32_e32 v2, v2, v18
	v_add_f32_e32 v3, v3, v113
	;; [unrolled: 1-line block ×4, first 2 shown]
	v_mul_f32_e32 v3, v75, v9
	v_add_f32_e32 v2, v2, v6
	v_fma_f32 v3, v74, v8, -v3
	v_add_f32_e32 v2, v2, v3
	v_mul_f32_e32 v3, v77, v15
	v_fma_f32 v3, v76, v14, -v3
	v_add_f32_e32 v2, v2, v3
	v_mul_f32_e32 v3, v79, v17
	;; [unrolled: 3-line block ×8, first 2 shown]
	v_fma_f32 v3, v56, v44, -v3
	s_waitcnt vmcnt(5) lgkmcnt(1)
	v_mul_f32_e32 v99, v88, v47
	v_add_f32_e32 v18, v2, v3
	v_mul_f32_e32 v2, v89, v47
	s_waitcnt vmcnt(4) lgkmcnt(0)
	v_pk_mul_f32 v[20:21], v[92:93], v[50:51] op_sel:[1,1] op_sel_hi:[0,1]
	v_mul_f32_e32 v101, v90, v49
	v_fmac_f32_e32 v99, v89, v46
	v_fma_f32 v98, v88, v46, -v2
	v_mul_f32_e32 v2, v91, v49
	v_pk_fma_f32 v[22:23], v[92:93], v[50:51], v[20:21] neg_lo:[0,0,1] neg_hi:[0,0,1]
	v_pk_fma_f32 v[20:21], v[92:93], v[50:51], v[20:21] op_sel_hi:[1,0,1]
	v_fmac_f32_e32 v101, v91, v48
	v_fma_f32 v100, v90, v48, -v2
	ds_read2_b64 v[2:5], v58 offset0:73 offset1:74
	ds_read2_b64 v[6:9], v58 offset0:75 offset1:76
	;; [unrolled: 1-line block ×3, first 2 shown]
	v_pk_add_f32 v[18:19], v[18:19], v[98:99]
	v_mov_b32_e32 v20, v53
	v_pk_add_f32 v[18:19], v[18:19], v[100:101]
	v_mov_b32_e32 v23, v21
	v_pk_mul_f32 v[20:21], v[94:95], v[20:21] op_sel:[1,0] op_sel_hi:[0,0]
	v_pk_add_f32 v[18:19], v[18:19], v[22:23]
	v_pk_fma_f32 v[22:23], v[94:95], v[52:53], v[20:21] neg_lo:[0,0,1] neg_hi:[0,0,1]
	v_pk_fma_f32 v[20:21], v[94:95], v[52:53], v[20:21] op_sel_hi:[1,0,1]
	s_nop 0
	v_mov_b32_e32 v23, v21
	s_waitcnt vmcnt(3) lgkmcnt(2)
	v_pk_mul_f32 v[20:21], v[2:3], v[34:35] op_sel:[1,1] op_sel_hi:[0,1]
	v_pk_add_f32 v[18:19], v[18:19], v[22:23]
	v_pk_fma_f32 v[22:23], v[2:3], v[34:35], v[20:21] neg_lo:[0,0,1] neg_hi:[0,0,1]
	v_pk_fma_f32 v[2:3], v[2:3], v[34:35], v[20:21] op_sel_hi:[1,0,1]
	s_nop 0
	v_mov_b32_e32 v23, v3
	v_pk_add_f32 v[2:3], v[18:19], v[22:23]
	v_mov_b32_e32 v18, v37
	v_pk_mul_f32 v[18:19], v[4:5], v[18:19] op_sel:[1,0] op_sel_hi:[0,0]
	v_pk_fma_f32 v[20:21], v[4:5], v[36:37], v[18:19] neg_lo:[0,0,1] neg_hi:[0,0,1]
	v_pk_fma_f32 v[4:5], v[4:5], v[36:37], v[18:19] op_sel_hi:[1,0,1]
	s_nop 0
	v_mov_b32_e32 v21, v5
	s_waitcnt vmcnt(2) lgkmcnt(1)
	v_pk_mul_f32 v[4:5], v[6:7], v[26:27] op_sel:[1,1] op_sel_hi:[0,1]
	v_pk_fma_f32 v[18:19], v[6:7], v[26:27], v[4:5] neg_lo:[0,0,1] neg_hi:[0,0,1]
	v_pk_fma_f32 v[4:5], v[6:7], v[26:27], v[4:5] op_sel_hi:[1,0,1]
	v_pk_add_f32 v[2:3], v[2:3], v[20:21]
	v_mov_b32_e32 v4, v29
	v_mov_b32_e32 v19, v5
	v_pk_mul_f32 v[4:5], v[8:9], v[4:5] op_sel:[1,0] op_sel_hi:[0,0]
	v_pk_fma_f32 v[6:7], v[8:9], v[28:29], v[4:5] neg_lo:[0,0,1] neg_hi:[0,0,1]
	v_pk_fma_f32 v[4:5], v[8:9], v[28:29], v[4:5] op_sel_hi:[1,0,1]
	v_pk_add_f32 v[2:3], v[2:3], v[18:19]
	v_mov_b32_e32 v7, v5
	s_waitcnt vmcnt(1) lgkmcnt(0)
	v_pk_mul_f32 v[4:5], v[14:15], v[10:11] op_sel:[1,1] op_sel_hi:[0,1]
	v_pk_add_f32 v[2:3], v[2:3], v[6:7]
	v_pk_fma_f32 v[6:7], v[14:15], v[10:11], v[4:5] neg_lo:[0,0,1] neg_hi:[0,0,1]
	v_pk_fma_f32 v[4:5], v[14:15], v[10:11], v[4:5] op_sel_hi:[1,0,1]
	s_nop 0
	v_mov_b32_e32 v4, v13
	v_mov_b32_e32 v7, v5
	v_pk_mul_f32 v[4:5], v[16:17], v[4:5] op_sel:[1,0] op_sel_hi:[0,0]
	v_pk_add_f32 v[2:3], v[2:3], v[6:7]
	v_pk_fma_f32 v[6:7], v[16:17], v[12:13], v[4:5] neg_lo:[0,0,1] neg_hi:[0,0,1]
	v_pk_fma_f32 v[4:5], v[16:17], v[12:13], v[4:5] op_sel_hi:[1,0,1]
	s_nop 0
	v_mov_b32_e32 v7, v5
	v_pk_add_f32 v[2:3], v[2:3], v[6:7]
	s_waitcnt vmcnt(0)
	v_pk_add_f32 v[2:3], v[96:97], v[2:3] neg_lo:[0,1] neg_hi:[0,1]
	scratch_store_dwordx2 off, v[2:3], off offset:96
	s_and_saveexec_b64 s[0:1], vcc
	s_cbranch_execz .LBB102_225
; %bb.224:
	scratch_load_dwordx2 v[2:3], off, off offset:88
	v_mov_b32_e32 v4, 0
	v_mov_b32_e32 v5, v4
	scratch_store_dwordx2 off, v[4:5], off offset:88
	s_waitcnt vmcnt(1)
	ds_write_b64 v1, v[2:3]
.LBB102_225:
	s_or_b64 exec, exec, s[0:1]
	s_waitcnt lgkmcnt(0)
	; wave barrier
	scratch_load_dwordx4 v[18:21], off, off offset:96
	scratch_load_dwordx4 v[30:33], off, off offset:112
	;; [unrolled: 1-line block ×13, first 2 shown]
	scratch_load_dwordx2 v[54:55], off, off offset:304
	scratch_load_dwordx2 v[80:81], off, off offset:88
	v_mov_b32_e32 v82, 0
	ds_read_b128 v[56:59], v82 offset:416
	ds_read_b128 v[60:63], v82 offset:432
	;; [unrolled: 1-line block ×10, first 2 shown]
	v_cmp_lt_u32_e32 vcc, 10, v0
	s_waitcnt vmcnt(14) lgkmcnt(9)
	v_mul_f32_e32 v83, v56, v19
	v_mul_f32_e32 v100, v58, v21
	s_waitcnt vmcnt(12) lgkmcnt(7)
	v_mul_f32_e32 v105, v64, v3
	v_mul_f32_e32 v3, v65, v3
	v_fmac_f32_e32 v83, v57, v18
	v_mul_f32_e32 v102, v60, v31
	v_fmac_f32_e32 v100, v59, v20
	v_fmac_f32_e32 v105, v65, v2
	v_fma_f32 v2, v64, v2, -v3
	v_add_f32_e32 v3, 0, v83
	v_mul_f32_e32 v104, v62, v33
	v_fmac_f32_e32 v102, v61, v30
	v_add_f32_e32 v3, v3, v100
	v_fmac_f32_e32 v104, v63, v32
	v_add_f32_e32 v3, v3, v102
	v_mul_f32_e32 v106, v66, v5
	v_add_f32_e32 v3, v3, v104
	s_waitcnt vmcnt(11) lgkmcnt(6)
	v_mul_f32_e32 v107, v68, v7
	v_fmac_f32_e32 v106, v67, v4
	v_add_f32_e32 v3, v3, v105
	v_mul_f32_e32 v108, v70, v9
	v_fmac_f32_e32 v107, v69, v6
	v_add_f32_e32 v3, v3, v106
	s_waitcnt vmcnt(10) lgkmcnt(5)
	v_mul_f32_e32 v109, v72, v15
	v_fmac_f32_e32 v108, v71, v8
	v_add_f32_e32 v3, v3, v107
	v_mul_f32_e32 v110, v74, v17
	v_fmac_f32_e32 v109, v73, v14
	;; [unrolled: 7-line block ×3, first 2 shown]
	v_add_f32_e32 v3, v3, v110
	s_waitcnt vmcnt(8) lgkmcnt(3)
	v_mul_f32_e32 v113, v84, v35
	v_mul_f32_e32 v19, v57, v19
	v_fmac_f32_e32 v112, v79, v24
	v_add_f32_e32 v3, v3, v111
	v_mul_f32_e32 v114, v86, v37
	v_mul_f32_e32 v21, v59, v21
	v_fmac_f32_e32 v113, v85, v34
	v_fma_f32 v18, v56, v18, -v19
	v_add_f32_e32 v3, v3, v112
	s_waitcnt vmcnt(7) lgkmcnt(2)
	v_mul_f32_e32 v115, v88, v39
	v_mul_f32_e32 v31, v61, v31
	v_fmac_f32_e32 v114, v87, v36
	v_fma_f32 v19, v58, v20, -v21
	v_add_f32_e32 v18, 0, v18
	v_add_f32_e32 v3, v3, v113
	v_mul_f32_e32 v194, v90, v41
	v_mul_f32_e32 v33, v63, v33
	v_fmac_f32_e32 v115, v89, v38
	v_fma_f32 v20, v60, v30, -v31
	v_add_f32_e32 v18, v18, v19
	v_add_f32_e32 v3, v3, v114
	s_waitcnt vmcnt(6) lgkmcnt(1)
	v_mul_f32_e32 v195, v92, v51
	v_fmac_f32_e32 v194, v91, v40
	v_fma_f32 v21, v62, v32, -v33
	v_add_f32_e32 v18, v18, v20
	v_add_f32_e32 v3, v3, v115
	v_mul_f32_e32 v5, v67, v5
	v_fmac_f32_e32 v195, v93, v50
	v_add_f32_e32 v18, v18, v21
	v_add_f32_e32 v3, v3, v194
	;; [unrolled: 1-line block ×4, first 2 shown]
	v_fma_f32 v3, v66, v4, -v5
	v_add_f32_e32 v2, v2, v3
	v_mul_f32_e32 v3, v69, v7
	v_fma_f32 v3, v68, v6, -v3
	v_add_f32_e32 v2, v2, v3
	v_mul_f32_e32 v3, v71, v9
	;; [unrolled: 3-line block ×12, first 2 shown]
	v_mul_f32_e32 v101, v94, v53
	v_fma_f32 v100, v94, v52, -v2
	s_waitcnt vmcnt(5) lgkmcnt(0)
	v_mul_f32_e32 v2, v97, v47
	v_mov_b32_e32 v22, v49
	v_mul_f32_e32 v103, v96, v47
	v_fmac_f32_e32 v101, v95, v52
	v_fma_f32 v102, v96, v46, -v2
	ds_read_b128 v[2:5], v82 offset:576
	ds_read_b128 v[6:9], v82 offset:592
	;; [unrolled: 1-line block ×3, first 2 shown]
	ds_read_b64 v[20:21], v82 offset:624
	v_pk_mul_f32 v[22:23], v[98:99], v[22:23] op_sel:[1,0] op_sel_hi:[0,0]
	v_fmac_f32_e32 v103, v97, v46
	v_pk_add_f32 v[18:19], v[18:19], v[100:101]
	v_pk_fma_f32 v[24:25], v[98:99], v[48:49], v[22:23] neg_lo:[0,0,1] neg_hi:[0,0,1]
	v_pk_fma_f32 v[22:23], v[98:99], v[48:49], v[22:23] op_sel_hi:[1,0,1]
	v_pk_add_f32 v[18:19], v[18:19], v[102:103]
	v_mov_b32_e32 v25, v23
	s_waitcnt vmcnt(4) lgkmcnt(3)
	v_pk_mul_f32 v[22:23], v[2:3], v[42:43] op_sel:[1,1] op_sel_hi:[0,1]
	v_pk_add_f32 v[18:19], v[18:19], v[24:25]
	v_pk_fma_f32 v[24:25], v[2:3], v[42:43], v[22:23] neg_lo:[0,0,1] neg_hi:[0,0,1]
	v_pk_fma_f32 v[2:3], v[2:3], v[42:43], v[22:23] op_sel_hi:[1,0,1]
	s_nop 0
	v_mov_b32_e32 v25, v3
	v_pk_add_f32 v[2:3], v[18:19], v[24:25]
	v_mov_b32_e32 v18, v45
	v_pk_mul_f32 v[18:19], v[4:5], v[18:19] op_sel:[1,0] op_sel_hi:[0,0]
	v_pk_fma_f32 v[22:23], v[4:5], v[44:45], v[18:19] neg_lo:[0,0,1] neg_hi:[0,0,1]
	v_pk_fma_f32 v[4:5], v[4:5], v[44:45], v[18:19] op_sel_hi:[1,0,1]
	s_nop 0
	v_mov_b32_e32 v23, v5
	s_waitcnt vmcnt(3) lgkmcnt(2)
	v_pk_mul_f32 v[4:5], v[6:7], v[26:27] op_sel:[1,1] op_sel_hi:[0,1]
	v_pk_fma_f32 v[18:19], v[6:7], v[26:27], v[4:5] neg_lo:[0,0,1] neg_hi:[0,0,1]
	v_pk_fma_f32 v[4:5], v[6:7], v[26:27], v[4:5] op_sel_hi:[1,0,1]
	v_pk_add_f32 v[2:3], v[2:3], v[22:23]
	v_mov_b32_e32 v4, v29
	v_mov_b32_e32 v19, v5
	v_pk_mul_f32 v[4:5], v[8:9], v[4:5] op_sel:[1,0] op_sel_hi:[0,0]
	v_pk_fma_f32 v[6:7], v[8:9], v[28:29], v[4:5] neg_lo:[0,0,1] neg_hi:[0,0,1]
	v_pk_fma_f32 v[4:5], v[8:9], v[28:29], v[4:5] op_sel_hi:[1,0,1]
	v_pk_add_f32 v[2:3], v[2:3], v[18:19]
	v_mov_b32_e32 v7, v5
	s_waitcnt vmcnt(2) lgkmcnt(1)
	v_pk_mul_f32 v[4:5], v[14:15], v[10:11] op_sel:[1,1] op_sel_hi:[0,1]
	v_pk_add_f32 v[2:3], v[2:3], v[6:7]
	v_pk_fma_f32 v[6:7], v[14:15], v[10:11], v[4:5] neg_lo:[0,0,1] neg_hi:[0,0,1]
	v_pk_fma_f32 v[4:5], v[14:15], v[10:11], v[4:5] op_sel_hi:[1,0,1]
	s_nop 0
	v_mov_b32_e32 v4, v13
	v_mov_b32_e32 v7, v5
	v_pk_mul_f32 v[4:5], v[16:17], v[4:5] op_sel:[1,0] op_sel_hi:[0,0]
	v_pk_add_f32 v[2:3], v[2:3], v[6:7]
	v_pk_fma_f32 v[6:7], v[16:17], v[12:13], v[4:5] neg_lo:[0,0,1] neg_hi:[0,0,1]
	v_pk_fma_f32 v[4:5], v[16:17], v[12:13], v[4:5] op_sel_hi:[1,0,1]
	s_nop 0
	v_mov_b32_e32 v7, v5
	s_waitcnt vmcnt(1) lgkmcnt(0)
	v_pk_mul_f32 v[4:5], v[20:21], v[54:55] op_sel:[1,1] op_sel_hi:[0,1]
	v_pk_add_f32 v[2:3], v[2:3], v[6:7]
	v_pk_fma_f32 v[6:7], v[20:21], v[54:55], v[4:5] neg_lo:[0,0,1] neg_hi:[0,0,1]
	v_pk_fma_f32 v[4:5], v[20:21], v[54:55], v[4:5] op_sel_hi:[1,0,1]
	s_nop 0
	v_mov_b32_e32 v7, v5
	v_pk_add_f32 v[2:3], v[2:3], v[6:7]
	s_waitcnt vmcnt(0)
	v_pk_add_f32 v[2:3], v[80:81], v[2:3] neg_lo:[0,1] neg_hi:[0,1]
	scratch_store_dwordx2 off, v[2:3], off offset:88
	s_and_saveexec_b64 s[0:1], vcc
	s_cbranch_execz .LBB102_227
; %bb.226:
	scratch_load_dwordx2 v[2:3], off, off offset:80
	v_mov_b32_e32 v83, v82
	scratch_store_dwordx2 off, v[82:83], off offset:80
	s_waitcnt vmcnt(1)
	ds_write_b64 v1, v[2:3]
.LBB102_227:
	s_or_b64 exec, exec, s[0:1]
	s_waitcnt lgkmcnt(0)
	; wave barrier
	scratch_load_dwordx4 v[10:13], off, off offset:88
	scratch_load_dwordx4 v[26:29], off, off offset:104
	;; [unrolled: 1-line block ×10, first 2 shown]
	ds_read2_b64 v[84:87], v82 offset0:51 offset1:52
	ds_read2_b64 v[88:91], v82 offset0:53 offset1:54
	;; [unrolled: 1-line block ×10, first 2 shown]
	scratch_load_dwordx4 v[54:57], off, off offset:248
	scratch_load_dwordx4 v[46:49], off, off offset:264
	scratch_load_dwordx4 v[34:37], off, off offset:280
	scratch_load_dwordx4 v[18:21], off, off offset:296
	scratch_load_dwordx2 v[100:101], off, off offset:80
	v_cmp_lt_u32_e32 vcc, 9, v0
	s_waitcnt vmcnt(14) lgkmcnt(9)
	v_mul_f32_e32 v83, v84, v11
	v_mul_f32_e32 v102, v86, v13
	s_waitcnt vmcnt(12) lgkmcnt(7)
	v_mul_f32_e32 v107, v92, v3
	v_mul_f32_e32 v3, v93, v3
	v_fmac_f32_e32 v83, v85, v10
	v_mul_f32_e32 v104, v88, v27
	v_fmac_f32_e32 v102, v87, v12
	v_fmac_f32_e32 v107, v93, v2
	v_fma_f32 v2, v92, v2, -v3
	v_add_f32_e32 v3, 0, v83
	v_mul_f32_e32 v106, v90, v29
	v_fmac_f32_e32 v104, v89, v26
	v_add_f32_e32 v3, v3, v102
	v_fmac_f32_e32 v106, v91, v28
	v_add_f32_e32 v3, v3, v104
	v_mul_f32_e32 v108, v94, v5
	v_add_f32_e32 v3, v3, v106
	s_waitcnt vmcnt(11) lgkmcnt(6)
	v_mul_f32_e32 v109, v96, v7
	v_fmac_f32_e32 v108, v95, v4
	v_add_f32_e32 v3, v3, v107
	v_mul_f32_e32 v110, v98, v9
	v_fmac_f32_e32 v109, v97, v6
	v_add_f32_e32 v3, v3, v108
	s_waitcnt vmcnt(10) lgkmcnt(5)
	v_mul_f32_e32 v111, v78, v15
	v_fmac_f32_e32 v110, v99, v8
	v_add_f32_e32 v3, v3, v109
	v_mul_f32_e32 v112, v80, v17
	v_fmac_f32_e32 v111, v79, v14
	;; [unrolled: 7-line block ×4, first 2 shown]
	v_add_f32_e32 v3, v3, v114
	s_waitcnt vmcnt(7) lgkmcnt(2)
	v_mul_f32_e32 v195, v66, v39
	v_mul_f32_e32 v11, v85, v11
	v_fmac_f32_e32 v194, v73, v32
	v_add_f32_e32 v3, v3, v115
	v_mul_f32_e32 v196, v68, v41
	v_mul_f32_e32 v13, v87, v13
	v_fmac_f32_e32 v195, v67, v38
	v_fma_f32 v10, v84, v10, -v11
	v_add_f32_e32 v3, v3, v194
	s_waitcnt vmcnt(6) lgkmcnt(1)
	v_mul_f32_e32 v197, v62, v43
	v_mul_f32_e32 v27, v89, v27
	v_fmac_f32_e32 v196, v69, v40
	v_fma_f32 v11, v86, v12, -v13
	v_add_f32_e32 v10, 0, v10
	v_add_f32_e32 v3, v3, v195
	v_mul_f32_e32 v198, v64, v45
	v_mul_f32_e32 v29, v91, v29
	v_fmac_f32_e32 v197, v63, v42
	v_fma_f32 v12, v88, v26, -v27
	v_add_f32_e32 v10, v10, v11
	v_add_f32_e32 v3, v3, v196
	v_fmac_f32_e32 v198, v65, v44
	v_fma_f32 v13, v90, v28, -v29
	v_add_f32_e32 v10, v10, v12
	v_add_f32_e32 v3, v3, v197
	v_add_f32_e32 v10, v10, v13
	v_add_f32_e32 v27, v3, v198
	v_mul_f32_e32 v3, v95, v5
	v_add_f32_e32 v2, v10, v2
	v_fma_f32 v3, v94, v4, -v3
	v_add_f32_e32 v2, v2, v3
	v_mul_f32_e32 v3, v97, v7
	v_fma_f32 v3, v96, v6, -v3
	v_add_f32_e32 v2, v2, v3
	v_mul_f32_e32 v3, v99, v9
	;; [unrolled: 3-line block ×12, first 2 shown]
	v_fma_f32 v3, v64, v44, -v3
	v_add_f32_e32 v26, v2, v3
	s_waitcnt vmcnt(5) lgkmcnt(0)
	v_mul_f32_e32 v2, v59, v51
	v_fma_f32 v102, v58, v50, -v2
	v_mul_f32_e32 v2, v61, v53
	v_fma_f32 v104, v60, v52, -v2
	ds_read2_b64 v[2:5], v82 offset0:71 offset1:72
	ds_read2_b64 v[6:9], v82 offset0:73 offset1:74
	;; [unrolled: 1-line block ×4, first 2 shown]
	v_mul_f32_e32 v103, v58, v51
	v_mul_f32_e32 v105, v60, v53
	v_fmac_f32_e32 v103, v59, v50
	s_waitcnt vmcnt(4) lgkmcnt(3)
	v_pk_mul_f32 v[24:25], v[2:3], v[54:55] op_sel:[1,1] op_sel_hi:[0,1]
	v_fmac_f32_e32 v105, v61, v52
	v_pk_add_f32 v[22:23], v[26:27], v[102:103]
	v_pk_fma_f32 v[26:27], v[2:3], v[54:55], v[24:25] neg_lo:[0,0,1] neg_hi:[0,0,1]
	v_pk_fma_f32 v[2:3], v[2:3], v[54:55], v[24:25] op_sel_hi:[1,0,1]
	v_pk_add_f32 v[22:23], v[22:23], v[104:105]
	v_mov_b32_e32 v27, v3
	v_pk_add_f32 v[2:3], v[22:23], v[26:27]
	v_mov_b32_e32 v22, v57
	v_pk_mul_f32 v[22:23], v[4:5], v[22:23] op_sel:[1,0] op_sel_hi:[0,0]
	v_pk_fma_f32 v[24:25], v[4:5], v[56:57], v[22:23] neg_lo:[0,0,1] neg_hi:[0,0,1]
	v_pk_fma_f32 v[4:5], v[4:5], v[56:57], v[22:23] op_sel_hi:[1,0,1]
	s_nop 0
	v_mov_b32_e32 v25, v5
	s_waitcnt vmcnt(3) lgkmcnt(2)
	v_pk_mul_f32 v[4:5], v[6:7], v[46:47] op_sel:[1,1] op_sel_hi:[0,1]
	v_pk_fma_f32 v[22:23], v[6:7], v[46:47], v[4:5] neg_lo:[0,0,1] neg_hi:[0,0,1]
	v_pk_fma_f32 v[4:5], v[6:7], v[46:47], v[4:5] op_sel_hi:[1,0,1]
	v_pk_add_f32 v[2:3], v[2:3], v[24:25]
	v_mov_b32_e32 v4, v49
	v_mov_b32_e32 v23, v5
	v_pk_mul_f32 v[4:5], v[8:9], v[4:5] op_sel:[1,0] op_sel_hi:[0,0]
	v_pk_fma_f32 v[6:7], v[8:9], v[48:49], v[4:5] neg_lo:[0,0,1] neg_hi:[0,0,1]
	v_pk_fma_f32 v[4:5], v[8:9], v[48:49], v[4:5] op_sel_hi:[1,0,1]
	v_pk_add_f32 v[2:3], v[2:3], v[22:23]
	v_mov_b32_e32 v7, v5
	s_waitcnt vmcnt(2) lgkmcnt(1)
	v_pk_mul_f32 v[4:5], v[10:11], v[34:35] op_sel:[1,1] op_sel_hi:[0,1]
	v_pk_add_f32 v[2:3], v[2:3], v[6:7]
	v_pk_fma_f32 v[6:7], v[10:11], v[34:35], v[4:5] neg_lo:[0,0,1] neg_hi:[0,0,1]
	v_pk_fma_f32 v[4:5], v[10:11], v[34:35], v[4:5] op_sel_hi:[1,0,1]
	s_nop 0
	v_mov_b32_e32 v4, v37
	v_mov_b32_e32 v7, v5
	v_pk_mul_f32 v[4:5], v[12:13], v[4:5] op_sel:[1,0] op_sel_hi:[0,0]
	v_pk_add_f32 v[2:3], v[2:3], v[6:7]
	v_pk_fma_f32 v[6:7], v[12:13], v[36:37], v[4:5] neg_lo:[0,0,1] neg_hi:[0,0,1]
	v_pk_fma_f32 v[4:5], v[12:13], v[36:37], v[4:5] op_sel_hi:[1,0,1]
	s_nop 0
	v_mov_b32_e32 v7, v5
	s_waitcnt vmcnt(1) lgkmcnt(0)
	v_pk_mul_f32 v[4:5], v[14:15], v[18:19] op_sel:[1,1] op_sel_hi:[0,1]
	v_pk_add_f32 v[2:3], v[2:3], v[6:7]
	v_pk_fma_f32 v[6:7], v[14:15], v[18:19], v[4:5] neg_lo:[0,0,1] neg_hi:[0,0,1]
	v_pk_fma_f32 v[4:5], v[14:15], v[18:19], v[4:5] op_sel_hi:[1,0,1]
	s_nop 0
	v_mov_b32_e32 v4, v21
	v_mov_b32_e32 v7, v5
	v_pk_mul_f32 v[4:5], v[16:17], v[4:5] op_sel:[1,0] op_sel_hi:[0,0]
	v_pk_add_f32 v[2:3], v[2:3], v[6:7]
	v_pk_fma_f32 v[6:7], v[16:17], v[20:21], v[4:5] neg_lo:[0,0,1] neg_hi:[0,0,1]
	v_pk_fma_f32 v[4:5], v[16:17], v[20:21], v[4:5] op_sel_hi:[1,0,1]
	s_nop 0
	v_mov_b32_e32 v7, v5
	v_pk_add_f32 v[2:3], v[2:3], v[6:7]
	s_waitcnt vmcnt(0)
	v_pk_add_f32 v[2:3], v[100:101], v[2:3] neg_lo:[0,1] neg_hi:[0,1]
	scratch_store_dwordx2 off, v[2:3], off offset:80
	s_and_saveexec_b64 s[0:1], vcc
	s_cbranch_execz .LBB102_229
; %bb.228:
	scratch_load_dwordx2 v[2:3], off, off offset:72
	v_mov_b32_e32 v4, 0
	v_mov_b32_e32 v5, v4
	scratch_store_dwordx2 off, v[4:5], off offset:72
	s_waitcnt vmcnt(1)
	ds_write_b64 v1, v[2:3]
.LBB102_229:
	s_or_b64 exec, exec, s[0:1]
	s_waitcnt lgkmcnt(0)
	; wave barrier
	scratch_load_dwordx4 v[26:29], off, off offset:80
	scratch_load_dwordx4 v[2:5], off, off offset:96
	scratch_load_dwordx4 v[6:9], off, off offset:112
	scratch_load_dwordx4 v[10:13], off, off offset:128
	scratch_load_dwordx4 v[14:17], off, off offset:144
	scratch_load_dwordx4 v[22:25], off, off offset:160
	scratch_load_dwordx4 v[30:33], off, off offset:176
	scratch_load_dwordx4 v[38:41], off, off offset:192
	scratch_load_dwordx4 v[42:45], off, off offset:208
	scratch_load_dwordx4 v[50:53], off, off offset:224
	scratch_load_dwordx4 v[54:57], off, off offset:240
	scratch_load_dwordx4 v[46:49], off, off offset:256
	scratch_load_dwordx4 v[34:37], off, off offset:272
	scratch_load_dwordx4 v[18:21], off, off offset:288
	scratch_load_dwordx2 v[58:59], off, off offset:304
	scratch_load_dwordx2 v[100:101], off, off offset:72
	v_mov_b32_e32 v102, 0
	ds_read_b128 v[60:63], v102 offset:400
	ds_read_b128 v[64:67], v102 offset:416
	;; [unrolled: 1-line block ×12, first 2 shown]
	v_cmp_lt_u32_e32 vcc, 8, v0
	s_waitcnt vmcnt(15) lgkmcnt(11)
	v_mul_f32_e32 v103, v60, v27
	v_mul_f32_e32 v112, v62, v29
	s_waitcnt vmcnt(14) lgkmcnt(10)
	v_mul_f32_e32 v114, v64, v3
	v_mul_f32_e32 v3, v65, v3
	v_fmac_f32_e32 v103, v61, v26
	v_fmac_f32_e32 v112, v63, v28
	;; [unrolled: 1-line block ×3, first 2 shown]
	v_fma_f32 v2, v64, v2, -v3
	v_add_f32_e32 v3, 0, v103
	v_mul_f32_e32 v194, v66, v5
	v_add_f32_e32 v3, v3, v112
	s_waitcnt vmcnt(13) lgkmcnt(9)
	v_mul_f32_e32 v195, v68, v7
	v_fmac_f32_e32 v194, v67, v4
	v_add_f32_e32 v3, v3, v114
	v_mul_f32_e32 v196, v70, v9
	v_fmac_f32_e32 v195, v69, v6
	v_add_f32_e32 v3, v3, v194
	s_waitcnt vmcnt(12) lgkmcnt(8)
	v_mul_f32_e32 v197, v72, v11
	v_fmac_f32_e32 v196, v71, v8
	v_add_f32_e32 v3, v3, v195
	v_mul_f32_e32 v198, v74, v13
	v_fmac_f32_e32 v197, v73, v10
	;; [unrolled: 7-line block ×6, first 2 shown]
	v_add_f32_e32 v3, v3, v204
	s_waitcnt vmcnt(7) lgkmcnt(3)
	v_mul_f32_e32 v207, v92, v43
	v_fmac_f32_e32 v206, v91, v40
	v_add_f32_e32 v3, v3, v205
	v_mul_f32_e32 v208, v94, v45
	v_mul_f32_e32 v27, v61, v27
	v_fmac_f32_e32 v207, v93, v42
	v_add_f32_e32 v3, v3, v206
	s_waitcnt vmcnt(6) lgkmcnt(2)
	v_mul_f32_e32 v209, v96, v51
	v_mul_f32_e32 v29, v63, v29
	v_fmac_f32_e32 v208, v95, v44
	v_fma_f32 v26, v60, v26, -v27
	v_add_f32_e32 v3, v3, v207
	v_fmac_f32_e32 v209, v97, v50
	v_fma_f32 v27, v62, v28, -v29
	v_add_f32_e32 v26, 0, v26
	v_add_f32_e32 v3, v3, v208
	;; [unrolled: 1-line block ×4, first 2 shown]
	v_mul_f32_e32 v3, v67, v5
	v_add_f32_e32 v2, v26, v2
	v_fma_f32 v3, v66, v4, -v3
	v_add_f32_e32 v2, v2, v3
	v_mul_f32_e32 v3, v69, v7
	v_fma_f32 v3, v68, v6, -v3
	v_add_f32_e32 v2, v2, v3
	v_mul_f32_e32 v3, v71, v9
	;; [unrolled: 3-line block ×15, first 2 shown]
	v_fma_f32 v3, v96, v50, -v3
	v_mul_f32_e32 v113, v98, v53
	v_add_f32_e32 v26, v2, v3
	v_mul_f32_e32 v2, v99, v53
	s_waitcnt vmcnt(5)
	v_mov_b32_e32 v14, v57
	s_waitcnt lgkmcnt(1)
	v_mul_f32_e32 v115, v104, v55
	v_fmac_f32_e32 v113, v99, v52
	v_fma_f32 v112, v98, v52, -v2
	v_mul_f32_e32 v2, v105, v55
	v_pk_mul_f32 v[14:15], v[106:107], v[14:15] op_sel:[1,0] op_sel_hi:[0,0]
	v_fmac_f32_e32 v115, v105, v54
	v_fma_f32 v114, v104, v54, -v2
	v_pk_add_f32 v[12:13], v[26:27], v[112:113]
	v_pk_fma_f32 v[16:17], v[106:107], v[56:57], v[14:15] neg_lo:[0,0,1] neg_hi:[0,0,1]
	v_pk_fma_f32 v[14:15], v[106:107], v[56:57], v[14:15] op_sel_hi:[1,0,1]
	v_pk_add_f32 v[12:13], v[12:13], v[114:115]
	v_mov_b32_e32 v17, v15
	s_waitcnt vmcnt(4) lgkmcnt(0)
	v_pk_mul_f32 v[14:15], v[108:109], v[46:47] op_sel:[1,1] op_sel_hi:[0,1]
	v_pk_add_f32 v[12:13], v[12:13], v[16:17]
	v_pk_fma_f32 v[16:17], v[108:109], v[46:47], v[14:15] neg_lo:[0,0,1] neg_hi:[0,0,1]
	v_pk_fma_f32 v[14:15], v[108:109], v[46:47], v[14:15] op_sel_hi:[1,0,1]
	ds_read_b128 v[2:5], v102 offset:592
	ds_read_b128 v[6:9], v102 offset:608
	ds_read_b64 v[10:11], v102 offset:624
	v_mov_b32_e32 v14, v49
	v_mov_b32_e32 v17, v15
	v_pk_mul_f32 v[14:15], v[110:111], v[14:15] op_sel:[1,0] op_sel_hi:[0,0]
	v_pk_add_f32 v[12:13], v[12:13], v[16:17]
	v_pk_fma_f32 v[16:17], v[110:111], v[48:49], v[14:15] neg_lo:[0,0,1] neg_hi:[0,0,1]
	v_pk_fma_f32 v[14:15], v[110:111], v[48:49], v[14:15] op_sel_hi:[1,0,1]
	s_nop 0
	v_mov_b32_e32 v17, v15
	s_waitcnt vmcnt(3) lgkmcnt(2)
	v_pk_mul_f32 v[14:15], v[2:3], v[34:35] op_sel:[1,1] op_sel_hi:[0,1]
	v_pk_add_f32 v[12:13], v[12:13], v[16:17]
	v_pk_fma_f32 v[16:17], v[2:3], v[34:35], v[14:15] neg_lo:[0,0,1] neg_hi:[0,0,1]
	v_pk_fma_f32 v[2:3], v[2:3], v[34:35], v[14:15] op_sel_hi:[1,0,1]
	s_nop 0
	v_mov_b32_e32 v17, v3
	v_pk_add_f32 v[2:3], v[12:13], v[16:17]
	v_mov_b32_e32 v12, v37
	v_pk_mul_f32 v[12:13], v[4:5], v[12:13] op_sel:[1,0] op_sel_hi:[0,0]
	v_pk_fma_f32 v[14:15], v[4:5], v[36:37], v[12:13] neg_lo:[0,0,1] neg_hi:[0,0,1]
	v_pk_fma_f32 v[4:5], v[4:5], v[36:37], v[12:13] op_sel_hi:[1,0,1]
	s_nop 0
	v_mov_b32_e32 v15, v5
	s_waitcnt vmcnt(2) lgkmcnt(1)
	v_pk_mul_f32 v[4:5], v[6:7], v[18:19] op_sel:[1,1] op_sel_hi:[0,1]
	v_pk_fma_f32 v[12:13], v[6:7], v[18:19], v[4:5] neg_lo:[0,0,1] neg_hi:[0,0,1]
	v_pk_fma_f32 v[4:5], v[6:7], v[18:19], v[4:5] op_sel_hi:[1,0,1]
	v_pk_add_f32 v[2:3], v[2:3], v[14:15]
	v_mov_b32_e32 v4, v21
	v_mov_b32_e32 v13, v5
	v_pk_mul_f32 v[4:5], v[8:9], v[4:5] op_sel:[1,0] op_sel_hi:[0,0]
	v_pk_fma_f32 v[6:7], v[8:9], v[20:21], v[4:5] neg_lo:[0,0,1] neg_hi:[0,0,1]
	v_pk_fma_f32 v[4:5], v[8:9], v[20:21], v[4:5] op_sel_hi:[1,0,1]
	v_pk_add_f32 v[2:3], v[2:3], v[12:13]
	v_mov_b32_e32 v7, v5
	s_waitcnt vmcnt(1) lgkmcnt(0)
	v_pk_mul_f32 v[4:5], v[10:11], v[58:59] op_sel:[1,1] op_sel_hi:[0,1]
	v_pk_add_f32 v[2:3], v[2:3], v[6:7]
	v_pk_fma_f32 v[6:7], v[10:11], v[58:59], v[4:5] neg_lo:[0,0,1] neg_hi:[0,0,1]
	v_pk_fma_f32 v[4:5], v[10:11], v[58:59], v[4:5] op_sel_hi:[1,0,1]
	s_nop 0
	v_mov_b32_e32 v7, v5
	v_pk_add_f32 v[2:3], v[2:3], v[6:7]
	s_waitcnt vmcnt(0)
	v_pk_add_f32 v[2:3], v[100:101], v[2:3] neg_lo:[0,1] neg_hi:[0,1]
	scratch_store_dwordx2 off, v[2:3], off offset:72
	s_and_saveexec_b64 s[0:1], vcc
	s_cbranch_execz .LBB102_231
; %bb.230:
	scratch_load_dwordx2 v[2:3], off, off offset:64
	v_mov_b32_e32 v103, v102
	scratch_store_dwordx2 off, v[102:103], off offset:64
	s_waitcnt vmcnt(1)
	ds_write_b64 v1, v[2:3]
.LBB102_231:
	s_or_b64 exec, exec, s[0:1]
	s_waitcnt lgkmcnt(0)
	; wave barrier
	scratch_load_dwordx4 v[18:21], off, off offset:72
	scratch_load_dwordx4 v[2:5], off, off offset:88
	;; [unrolled: 1-line block ×11, first 2 shown]
	ds_read2_b64 v[104:107], v102 offset0:49 offset1:50
	ds_read2_b64 v[98:101], v102 offset0:51 offset1:52
	;; [unrolled: 1-line block ×10, first 2 shown]
	scratch_load_dwordx4 v[58:61], off, off offset:248
	scratch_load_dwordx4 v[50:53], off, off offset:264
	;; [unrolled: 1-line block ×4, first 2 shown]
	ds_read2_b64 v[78:81], v102 offset0:69 offset1:70
	ds_read2_b64 v[108:111], v102 offset0:71 offset1:72
	scratch_load_dwordx2 v[112:113], off, off offset:64
	v_cmp_lt_u32_e32 vcc, 7, v0
	s_waitcnt vmcnt(15) lgkmcnt(11)
	v_mul_f32_e32 v103, v104, v19
	v_mul_f32_e32 v114, v106, v21
	s_waitcnt vmcnt(14) lgkmcnt(10)
	v_mul_f32_e32 v194, v98, v3
	v_mul_f32_e32 v3, v99, v3
	v_fmac_f32_e32 v103, v105, v18
	v_fmac_f32_e32 v114, v107, v20
	;; [unrolled: 1-line block ×3, first 2 shown]
	v_fma_f32 v2, v98, v2, -v3
	v_add_f32_e32 v3, 0, v103
	v_mul_f32_e32 v196, v100, v5
	v_add_f32_e32 v3, v3, v114
	s_waitcnt vmcnt(13) lgkmcnt(9)
	v_mul_f32_e32 v197, v94, v7
	v_fmac_f32_e32 v196, v101, v4
	v_add_f32_e32 v3, v3, v194
	v_mul_f32_e32 v198, v96, v9
	v_fmac_f32_e32 v197, v95, v6
	v_add_f32_e32 v3, v3, v196
	s_waitcnt vmcnt(12) lgkmcnt(8)
	v_mul_f32_e32 v199, v90, v11
	v_fmac_f32_e32 v198, v97, v8
	v_add_f32_e32 v3, v3, v197
	v_mul_f32_e32 v200, v92, v13
	v_fmac_f32_e32 v199, v91, v10
	;; [unrolled: 7-line block ×7, first 2 shown]
	v_add_f32_e32 v3, v3, v208
	s_waitcnt vmcnt(6) lgkmcnt(2)
	v_mul_f32_e32 v211, v62, v47
	v_mul_f32_e32 v19, v105, v19
	v_fmac_f32_e32 v210, v69, v44
	v_add_f32_e32 v3, v3, v209
	v_mul_f32_e32 v212, v64, v49
	v_mul_f32_e32 v21, v107, v21
	v_fmac_f32_e32 v211, v63, v46
	v_fma_f32 v18, v104, v18, -v19
	v_add_f32_e32 v3, v3, v210
	v_fmac_f32_e32 v212, v65, v48
	v_fma_f32 v19, v106, v20, -v21
	v_add_f32_e32 v18, 0, v18
	v_add_f32_e32 v3, v3, v211
	;; [unrolled: 1-line block ×4, first 2 shown]
	v_mul_f32_e32 v3, v101, v5
	v_add_f32_e32 v2, v18, v2
	v_fma_f32 v3, v100, v4, -v3
	v_add_f32_e32 v2, v2, v3
	v_mul_f32_e32 v3, v95, v7
	v_fma_f32 v3, v94, v6, -v3
	v_add_f32_e32 v2, v2, v3
	v_mul_f32_e32 v3, v97, v9
	;; [unrolled: 3-line block ×16, first 2 shown]
	v_fma_f32 v3, v64, v48, -v3
	s_waitcnt vmcnt(5) lgkmcnt(1)
	v_mul_f32_e32 v115, v78, v55
	v_add_f32_e32 v18, v2, v3
	v_mul_f32_e32 v2, v79, v55
	v_fmac_f32_e32 v115, v79, v54
	v_fma_f32 v114, v78, v54, -v2
	s_waitcnt vmcnt(4) lgkmcnt(0)
	v_pk_mul_f32 v[16:17], v[108:109], v[58:59] op_sel:[1,1] op_sel_hi:[0,1]
	v_mul_f32_e32 v195, v80, v57
	v_mul_f32_e32 v2, v81, v57
	v_pk_add_f32 v[14:15], v[18:19], v[114:115]
	v_pk_fma_f32 v[18:19], v[108:109], v[58:59], v[16:17] neg_lo:[0,0,1] neg_hi:[0,0,1]
	v_pk_fma_f32 v[16:17], v[108:109], v[58:59], v[16:17] op_sel_hi:[1,0,1]
	v_fmac_f32_e32 v195, v81, v56
	v_fma_f32 v194, v80, v56, -v2
	ds_read2_b64 v[2:5], v102 offset0:73 offset1:74
	ds_read2_b64 v[6:9], v102 offset0:75 offset1:76
	;; [unrolled: 1-line block ×3, first 2 shown]
	v_mov_b32_e32 v16, v61
	v_pk_add_f32 v[14:15], v[14:15], v[194:195]
	v_mov_b32_e32 v19, v17
	v_pk_mul_f32 v[16:17], v[110:111], v[16:17] op_sel:[1,0] op_sel_hi:[0,0]
	v_pk_add_f32 v[14:15], v[14:15], v[18:19]
	v_pk_fma_f32 v[18:19], v[110:111], v[60:61], v[16:17] neg_lo:[0,0,1] neg_hi:[0,0,1]
	v_pk_fma_f32 v[16:17], v[110:111], v[60:61], v[16:17] op_sel_hi:[1,0,1]
	s_nop 0
	v_mov_b32_e32 v19, v17
	s_waitcnt vmcnt(3) lgkmcnt(2)
	v_pk_mul_f32 v[16:17], v[2:3], v[50:51] op_sel:[1,1] op_sel_hi:[0,1]
	v_pk_add_f32 v[14:15], v[14:15], v[18:19]
	v_pk_fma_f32 v[18:19], v[2:3], v[50:51], v[16:17] neg_lo:[0,0,1] neg_hi:[0,0,1]
	v_pk_fma_f32 v[2:3], v[2:3], v[50:51], v[16:17] op_sel_hi:[1,0,1]
	s_nop 0
	v_mov_b32_e32 v19, v3
	v_pk_add_f32 v[2:3], v[14:15], v[18:19]
	v_mov_b32_e32 v14, v53
	v_pk_mul_f32 v[14:15], v[4:5], v[14:15] op_sel:[1,0] op_sel_hi:[0,0]
	v_pk_fma_f32 v[16:17], v[4:5], v[52:53], v[14:15] neg_lo:[0,0,1] neg_hi:[0,0,1]
	v_pk_fma_f32 v[4:5], v[4:5], v[52:53], v[14:15] op_sel_hi:[1,0,1]
	s_nop 0
	v_mov_b32_e32 v17, v5
	s_waitcnt vmcnt(2) lgkmcnt(1)
	v_pk_mul_f32 v[4:5], v[6:7], v[38:39] op_sel:[1,1] op_sel_hi:[0,1]
	v_pk_fma_f32 v[14:15], v[6:7], v[38:39], v[4:5] neg_lo:[0,0,1] neg_hi:[0,0,1]
	v_pk_fma_f32 v[4:5], v[6:7], v[38:39], v[4:5] op_sel_hi:[1,0,1]
	v_pk_add_f32 v[2:3], v[2:3], v[16:17]
	v_mov_b32_e32 v4, v41
	v_mov_b32_e32 v15, v5
	v_pk_mul_f32 v[4:5], v[8:9], v[4:5] op_sel:[1,0] op_sel_hi:[0,0]
	v_pk_fma_f32 v[6:7], v[8:9], v[40:41], v[4:5] neg_lo:[0,0,1] neg_hi:[0,0,1]
	v_pk_fma_f32 v[4:5], v[8:9], v[40:41], v[4:5] op_sel_hi:[1,0,1]
	v_pk_add_f32 v[2:3], v[2:3], v[14:15]
	v_mov_b32_e32 v7, v5
	s_waitcnt vmcnt(1) lgkmcnt(0)
	v_pk_mul_f32 v[4:5], v[10:11], v[26:27] op_sel:[1,1] op_sel_hi:[0,1]
	v_pk_add_f32 v[2:3], v[2:3], v[6:7]
	v_pk_fma_f32 v[6:7], v[10:11], v[26:27], v[4:5] neg_lo:[0,0,1] neg_hi:[0,0,1]
	v_pk_fma_f32 v[4:5], v[10:11], v[26:27], v[4:5] op_sel_hi:[1,0,1]
	s_nop 0
	v_mov_b32_e32 v4, v29
	v_mov_b32_e32 v7, v5
	v_pk_mul_f32 v[4:5], v[12:13], v[4:5] op_sel:[1,0] op_sel_hi:[0,0]
	v_pk_add_f32 v[2:3], v[2:3], v[6:7]
	v_pk_fma_f32 v[6:7], v[12:13], v[28:29], v[4:5] neg_lo:[0,0,1] neg_hi:[0,0,1]
	v_pk_fma_f32 v[4:5], v[12:13], v[28:29], v[4:5] op_sel_hi:[1,0,1]
	s_nop 0
	v_mov_b32_e32 v7, v5
	v_pk_add_f32 v[2:3], v[2:3], v[6:7]
	s_waitcnt vmcnt(0)
	v_pk_add_f32 v[2:3], v[112:113], v[2:3] neg_lo:[0,1] neg_hi:[0,1]
	scratch_store_dwordx2 off, v[2:3], off offset:64
	s_and_saveexec_b64 s[0:1], vcc
	s_cbranch_execz .LBB102_233
; %bb.232:
	scratch_load_dwordx2 v[2:3], off, off offset:56
	v_mov_b32_e32 v4, 0
	v_mov_b32_e32 v5, v4
	scratch_store_dwordx2 off, v[4:5], off offset:56
	s_waitcnt vmcnt(1)
	ds_write_b64 v1, v[2:3]
.LBB102_233:
	s_or_b64 exec, exec, s[0:1]
	s_waitcnt lgkmcnt(0)
	; wave barrier
	scratch_load_dwordx4 v[2:5], off, off offset:64
	scratch_load_dwordx4 v[6:9], off, off offset:80
	;; [unrolled: 1-line block ×15, first 2 shown]
	scratch_load_dwordx2 v[62:63], off, off offset:304
	scratch_load_dwordx2 v[112:113], off, off offset:56
	v_mov_b32_e32 v114, 0
	ds_read_b128 v[64:67], v114 offset:384
	ds_read_b128 v[68:71], v114 offset:400
	ds_read_b128 v[72:75], v114 offset:416
	ds_read_b128 v[76:79], v114 offset:432
	ds_read_b128 v[80:83], v114 offset:448
	ds_read_b128 v[84:87], v114 offset:464
	ds_read_b128 v[88:91], v114 offset:480
	ds_read_b128 v[92:95], v114 offset:496
	ds_read_b128 v[96:99], v114 offset:512
	ds_read_b128 v[100:103], v114 offset:528
	ds_read_b128 v[104:107], v114 offset:544
	ds_read_b128 v[108:111], v114 offset:560
	v_cmp_lt_u32_e32 vcc, 6, v0
	s_waitcnt vmcnt(16) lgkmcnt(11)
	v_mul_f32_e32 v115, v64, v3
	v_mul_f32_e32 v194, v66, v5
	;; [unrolled: 1-line block ×3, first 2 shown]
	v_fmac_f32_e32 v115, v65, v2
	s_waitcnt vmcnt(15) lgkmcnt(10)
	v_mul_f32_e32 v196, v68, v7
	v_fmac_f32_e32 v194, v67, v4
	v_fma_f32 v2, v64, v2, -v3
	v_add_f32_e32 v3, 0, v115
	v_mul_f32_e32 v198, v70, v9
	v_fmac_f32_e32 v196, v69, v6
	v_add_f32_e32 v3, v3, v194
	s_waitcnt vmcnt(14) lgkmcnt(9)
	v_mul_f32_e32 v199, v72, v11
	v_fmac_f32_e32 v198, v71, v8
	v_add_f32_e32 v3, v3, v196
	v_mul_f32_e32 v200, v74, v13
	v_fmac_f32_e32 v199, v73, v10
	v_add_f32_e32 v3, v3, v198
	s_waitcnt vmcnt(13) lgkmcnt(8)
	v_mul_f32_e32 v201, v76, v15
	v_fmac_f32_e32 v200, v75, v12
	;; [unrolled: 7-line block ×9, first 2 shown]
	v_add_f32_e32 v3, v3, v213
	v_mul_f32_e32 v5, v67, v5
	v_fmac_f32_e32 v215, v105, v58
	v_add_f32_e32 v3, v3, v214
	v_add_f32_e32 v2, 0, v2
	;; [unrolled: 1-line block ×3, first 2 shown]
	v_fma_f32 v3, v66, v4, -v5
	v_add_f32_e32 v2, v2, v3
	v_mul_f32_e32 v3, v69, v7
	v_fma_f32 v3, v68, v6, -v3
	v_add_f32_e32 v2, v2, v3
	v_mul_f32_e32 v3, v71, v9
	;; [unrolled: 3-line block ×20, first 2 shown]
	v_mul_f32_e32 v195, v106, v61
	v_fma_f32 v194, v106, v60, -v2
	s_waitcnt vmcnt(5) lgkmcnt(0)
	v_mul_f32_e32 v2, v109, v55
	v_mov_b32_e32 v18, v57
	v_mul_f32_e32 v197, v108, v55
	v_fmac_f32_e32 v195, v107, v60
	v_fma_f32 v196, v108, v54, -v2
	ds_read_b128 v[2:5], v114 offset:576
	ds_read_b128 v[6:9], v114 offset:592
	;; [unrolled: 1-line block ×3, first 2 shown]
	ds_read_b64 v[14:15], v114 offset:624
	v_pk_mul_f32 v[18:19], v[110:111], v[18:19] op_sel:[1,0] op_sel_hi:[0,0]
	v_fmac_f32_e32 v197, v109, v54
	v_pk_add_f32 v[16:17], v[64:65], v[194:195]
	v_pk_fma_f32 v[20:21], v[110:111], v[56:57], v[18:19] neg_lo:[0,0,1] neg_hi:[0,0,1]
	v_pk_fma_f32 v[18:19], v[110:111], v[56:57], v[18:19] op_sel_hi:[1,0,1]
	v_pk_add_f32 v[16:17], v[16:17], v[196:197]
	v_mov_b32_e32 v21, v19
	s_waitcnt vmcnt(4) lgkmcnt(3)
	v_pk_mul_f32 v[18:19], v[2:3], v[50:51] op_sel:[1,1] op_sel_hi:[0,1]
	v_pk_add_f32 v[16:17], v[16:17], v[20:21]
	v_pk_fma_f32 v[20:21], v[2:3], v[50:51], v[18:19] neg_lo:[0,0,1] neg_hi:[0,0,1]
	v_pk_fma_f32 v[2:3], v[2:3], v[50:51], v[18:19] op_sel_hi:[1,0,1]
	s_nop 0
	v_mov_b32_e32 v21, v3
	v_pk_add_f32 v[2:3], v[16:17], v[20:21]
	v_mov_b32_e32 v16, v53
	v_pk_mul_f32 v[16:17], v[4:5], v[16:17] op_sel:[1,0] op_sel_hi:[0,0]
	v_pk_fma_f32 v[18:19], v[4:5], v[52:53], v[16:17] neg_lo:[0,0,1] neg_hi:[0,0,1]
	v_pk_fma_f32 v[4:5], v[4:5], v[52:53], v[16:17] op_sel_hi:[1,0,1]
	s_nop 0
	v_mov_b32_e32 v19, v5
	s_waitcnt vmcnt(3) lgkmcnt(2)
	v_pk_mul_f32 v[4:5], v[6:7], v[38:39] op_sel:[1,1] op_sel_hi:[0,1]
	v_pk_fma_f32 v[16:17], v[6:7], v[38:39], v[4:5] neg_lo:[0,0,1] neg_hi:[0,0,1]
	v_pk_fma_f32 v[4:5], v[6:7], v[38:39], v[4:5] op_sel_hi:[1,0,1]
	v_pk_add_f32 v[2:3], v[2:3], v[18:19]
	v_mov_b32_e32 v4, v41
	v_mov_b32_e32 v17, v5
	v_pk_mul_f32 v[4:5], v[8:9], v[4:5] op_sel:[1,0] op_sel_hi:[0,0]
	v_pk_fma_f32 v[6:7], v[8:9], v[40:41], v[4:5] neg_lo:[0,0,1] neg_hi:[0,0,1]
	v_pk_fma_f32 v[4:5], v[8:9], v[40:41], v[4:5] op_sel_hi:[1,0,1]
	v_pk_add_f32 v[2:3], v[2:3], v[16:17]
	v_mov_b32_e32 v7, v5
	s_waitcnt vmcnt(2) lgkmcnt(1)
	v_pk_mul_f32 v[4:5], v[10:11], v[26:27] op_sel:[1,1] op_sel_hi:[0,1]
	v_pk_add_f32 v[2:3], v[2:3], v[6:7]
	v_pk_fma_f32 v[6:7], v[10:11], v[26:27], v[4:5] neg_lo:[0,0,1] neg_hi:[0,0,1]
	v_pk_fma_f32 v[4:5], v[10:11], v[26:27], v[4:5] op_sel_hi:[1,0,1]
	s_nop 0
	v_mov_b32_e32 v4, v29
	v_mov_b32_e32 v7, v5
	v_pk_mul_f32 v[4:5], v[12:13], v[4:5] op_sel:[1,0] op_sel_hi:[0,0]
	v_pk_add_f32 v[2:3], v[2:3], v[6:7]
	v_pk_fma_f32 v[6:7], v[12:13], v[28:29], v[4:5] neg_lo:[0,0,1] neg_hi:[0,0,1]
	v_pk_fma_f32 v[4:5], v[12:13], v[28:29], v[4:5] op_sel_hi:[1,0,1]
	s_nop 0
	v_mov_b32_e32 v7, v5
	s_waitcnt vmcnt(1) lgkmcnt(0)
	v_pk_mul_f32 v[4:5], v[14:15], v[62:63] op_sel:[1,1] op_sel_hi:[0,1]
	v_pk_add_f32 v[2:3], v[2:3], v[6:7]
	v_pk_fma_f32 v[6:7], v[14:15], v[62:63], v[4:5] neg_lo:[0,0,1] neg_hi:[0,0,1]
	v_pk_fma_f32 v[4:5], v[14:15], v[62:63], v[4:5] op_sel_hi:[1,0,1]
	s_nop 0
	v_mov_b32_e32 v7, v5
	v_pk_add_f32 v[2:3], v[2:3], v[6:7]
	s_waitcnt vmcnt(0)
	v_pk_add_f32 v[2:3], v[112:113], v[2:3] neg_lo:[0,1] neg_hi:[0,1]
	scratch_store_dwordx2 off, v[2:3], off offset:56
	s_and_saveexec_b64 s[0:1], vcc
	s_cbranch_execz .LBB102_235
; %bb.234:
	scratch_load_dwordx2 v[2:3], off, off offset:48
	v_mov_b32_e32 v115, v114
	scratch_store_dwordx2 off, v[114:115], off offset:48
	s_waitcnt vmcnt(1)
	ds_write_b64 v1, v[2:3]
.LBB102_235:
	s_or_b64 exec, exec, s[0:1]
	s_waitcnt lgkmcnt(0)
	; wave barrier
	scratch_load_dwordx4 v[2:5], off, off offset:56
	scratch_load_dwordx4 v[6:9], off, off offset:72
	scratch_load_dwordx4 v[10:13], off, off offset:88
	scratch_load_dwordx4 v[14:17], off, off offset:104
	scratch_load_dwordx4 v[18:21], off, off offset:120
	scratch_load_dwordx4 v[22:25], off, off offset:136
	scratch_load_dwordx4 v[26:29], off, off offset:152
	scratch_load_dwordx4 v[30:33], off, off offset:168
	scratch_load_dwordx4 v[38:41], off, off offset:184
	scratch_load_dwordx4 v[46:49], off, off offset:200
	scratch_load_dwordx4 v[50:53], off, off offset:216
	scratch_load_dwordx4 v[58:61], off, off offset:232
	ds_read2_b64 v[110:113], v114 offset0:47 offset1:48
	ds_read2_b64 v[106:109], v114 offset0:49 offset1:50
	;; [unrolled: 1-line block ×12, first 2 shown]
	scratch_load_dwordx4 v[62:65], off, off offset:248
	scratch_load_dwordx4 v[54:57], off, off offset:264
	scratch_load_dwordx4 v[42:45], off, off offset:280
	scratch_load_dwordx4 v[34:37], off, off offset:296
	scratch_load_dwordx2 v[194:195], off, off offset:48
	v_cmp_lt_u32_e32 vcc, 5, v0
	s_waitcnt vmcnt(16) lgkmcnt(11)
	v_mul_f32_e32 v115, v110, v3
	v_mul_f32_e32 v196, v112, v5
	;; [unrolled: 1-line block ×3, first 2 shown]
	v_fmac_f32_e32 v115, v111, v2
	s_waitcnt vmcnt(15) lgkmcnt(10)
	v_mul_f32_e32 v198, v106, v7
	v_fmac_f32_e32 v196, v113, v4
	v_fma_f32 v2, v110, v2, -v3
	v_add_f32_e32 v3, 0, v115
	v_mul_f32_e32 v200, v108, v9
	v_fmac_f32_e32 v198, v107, v6
	v_add_f32_e32 v3, v3, v196
	s_waitcnt vmcnt(14) lgkmcnt(9)
	v_mul_f32_e32 v201, v102, v11
	v_fmac_f32_e32 v200, v109, v8
	v_add_f32_e32 v3, v3, v198
	v_mul_f32_e32 v202, v104, v13
	v_fmac_f32_e32 v201, v103, v10
	v_add_f32_e32 v3, v3, v200
	s_waitcnt vmcnt(13) lgkmcnt(8)
	v_mul_f32_e32 v203, v98, v15
	v_fmac_f32_e32 v202, v105, v12
	v_add_f32_e32 v3, v3, v201
	v_mul_f32_e32 v204, v100, v17
	v_fmac_f32_e32 v203, v99, v14
	v_add_f32_e32 v3, v3, v202
	s_waitcnt vmcnt(12) lgkmcnt(7)
	v_mul_f32_e32 v205, v94, v19
	v_fmac_f32_e32 v204, v101, v16
	v_add_f32_e32 v3, v3, v203
	v_mul_f32_e32 v206, v96, v21
	v_fmac_f32_e32 v205, v95, v18
	v_add_f32_e32 v3, v3, v204
	s_waitcnt vmcnt(11) lgkmcnt(6)
	v_mul_f32_e32 v207, v90, v23
	v_fmac_f32_e32 v206, v97, v20
	v_add_f32_e32 v3, v3, v205
	v_mul_f32_e32 v208, v92, v25
	v_fmac_f32_e32 v207, v91, v22
	v_add_f32_e32 v3, v3, v206
	s_waitcnt vmcnt(10) lgkmcnt(5)
	v_mul_f32_e32 v209, v86, v27
	v_fmac_f32_e32 v208, v93, v24
	v_add_f32_e32 v3, v3, v207
	v_mul_f32_e32 v210, v88, v29
	v_fmac_f32_e32 v209, v87, v26
	v_add_f32_e32 v3, v3, v208
	s_waitcnt vmcnt(9) lgkmcnt(4)
	v_mul_f32_e32 v211, v82, v31
	v_fmac_f32_e32 v210, v89, v28
	v_add_f32_e32 v3, v3, v209
	v_mul_f32_e32 v212, v84, v33
	v_fmac_f32_e32 v211, v83, v30
	v_add_f32_e32 v3, v3, v210
	s_waitcnt vmcnt(8) lgkmcnt(3)
	v_mul_f32_e32 v213, v78, v39
	v_fmac_f32_e32 v212, v85, v32
	v_add_f32_e32 v3, v3, v211
	v_mul_f32_e32 v214, v80, v41
	v_fmac_f32_e32 v213, v79, v38
	v_add_f32_e32 v3, v3, v212
	s_waitcnt vmcnt(7) lgkmcnt(2)
	v_mul_f32_e32 v215, v74, v47
	v_fmac_f32_e32 v214, v81, v40
	v_add_f32_e32 v3, v3, v213
	v_mul_f32_e32 v216, v76, v49
	v_fmac_f32_e32 v215, v75, v46
	v_add_f32_e32 v3, v3, v214
	s_waitcnt vmcnt(6) lgkmcnt(1)
	v_mul_f32_e32 v217, v70, v51
	v_fmac_f32_e32 v216, v77, v48
	v_add_f32_e32 v3, v3, v215
	v_mul_f32_e32 v218, v72, v53
	v_fmac_f32_e32 v217, v71, v50
	v_add_f32_e32 v3, v3, v216
	v_fmac_f32_e32 v218, v73, v52
	v_add_f32_e32 v3, v3, v217
	v_add_f32_e32 v111, v3, v218
	v_mul_f32_e32 v3, v113, v5
	v_add_f32_e32 v2, 0, v2
	v_fma_f32 v3, v112, v4, -v3
	v_add_f32_e32 v2, v2, v3
	v_mul_f32_e32 v3, v107, v7
	v_fma_f32 v3, v106, v6, -v3
	v_add_f32_e32 v2, v2, v3
	v_mul_f32_e32 v3, v109, v9
	;; [unrolled: 3-line block ×20, first 2 shown]
	v_fma_f32 v3, v72, v52, -v3
	v_add_f32_e32 v110, v2, v3
	s_waitcnt vmcnt(5) lgkmcnt(0)
	v_mul_f32_e32 v2, v67, v59
	v_fma_f32 v196, v66, v58, -v2
	v_mul_f32_e32 v2, v69, v61
	v_fma_f32 v198, v68, v60, -v2
	ds_read2_b64 v[2:5], v114 offset0:71 offset1:72
	ds_read2_b64 v[6:9], v114 offset0:73 offset1:74
	;; [unrolled: 1-line block ×4, first 2 shown]
	v_mul_f32_e32 v197, v66, v59
	v_mul_f32_e32 v199, v68, v61
	v_fmac_f32_e32 v197, v67, v58
	s_waitcnt vmcnt(4) lgkmcnt(3)
	v_pk_mul_f32 v[20:21], v[2:3], v[62:63] op_sel:[1,1] op_sel_hi:[0,1]
	v_fmac_f32_e32 v199, v69, v60
	v_pk_add_f32 v[18:19], v[110:111], v[196:197]
	v_pk_fma_f32 v[22:23], v[2:3], v[62:63], v[20:21] neg_lo:[0,0,1] neg_hi:[0,0,1]
	v_pk_fma_f32 v[2:3], v[2:3], v[62:63], v[20:21] op_sel_hi:[1,0,1]
	v_pk_add_f32 v[18:19], v[18:19], v[198:199]
	v_mov_b32_e32 v23, v3
	v_pk_add_f32 v[2:3], v[18:19], v[22:23]
	v_mov_b32_e32 v18, v65
	v_pk_mul_f32 v[18:19], v[4:5], v[18:19] op_sel:[1,0] op_sel_hi:[0,0]
	v_pk_fma_f32 v[20:21], v[4:5], v[64:65], v[18:19] neg_lo:[0,0,1] neg_hi:[0,0,1]
	v_pk_fma_f32 v[4:5], v[4:5], v[64:65], v[18:19] op_sel_hi:[1,0,1]
	s_nop 0
	v_mov_b32_e32 v21, v5
	s_waitcnt vmcnt(3) lgkmcnt(2)
	v_pk_mul_f32 v[4:5], v[6:7], v[54:55] op_sel:[1,1] op_sel_hi:[0,1]
	v_pk_fma_f32 v[18:19], v[6:7], v[54:55], v[4:5] neg_lo:[0,0,1] neg_hi:[0,0,1]
	v_pk_fma_f32 v[4:5], v[6:7], v[54:55], v[4:5] op_sel_hi:[1,0,1]
	v_pk_add_f32 v[2:3], v[2:3], v[20:21]
	v_mov_b32_e32 v4, v57
	v_mov_b32_e32 v19, v5
	v_pk_mul_f32 v[4:5], v[8:9], v[4:5] op_sel:[1,0] op_sel_hi:[0,0]
	v_pk_fma_f32 v[6:7], v[8:9], v[56:57], v[4:5] neg_lo:[0,0,1] neg_hi:[0,0,1]
	v_pk_fma_f32 v[4:5], v[8:9], v[56:57], v[4:5] op_sel_hi:[1,0,1]
	v_pk_add_f32 v[2:3], v[2:3], v[18:19]
	v_mov_b32_e32 v7, v5
	s_waitcnt vmcnt(2) lgkmcnt(1)
	v_pk_mul_f32 v[4:5], v[10:11], v[42:43] op_sel:[1,1] op_sel_hi:[0,1]
	v_pk_add_f32 v[2:3], v[2:3], v[6:7]
	v_pk_fma_f32 v[6:7], v[10:11], v[42:43], v[4:5] neg_lo:[0,0,1] neg_hi:[0,0,1]
	v_pk_fma_f32 v[4:5], v[10:11], v[42:43], v[4:5] op_sel_hi:[1,0,1]
	s_nop 0
	v_mov_b32_e32 v4, v45
	v_mov_b32_e32 v7, v5
	v_pk_mul_f32 v[4:5], v[12:13], v[4:5] op_sel:[1,0] op_sel_hi:[0,0]
	v_pk_add_f32 v[2:3], v[2:3], v[6:7]
	v_pk_fma_f32 v[6:7], v[12:13], v[44:45], v[4:5] neg_lo:[0,0,1] neg_hi:[0,0,1]
	v_pk_fma_f32 v[4:5], v[12:13], v[44:45], v[4:5] op_sel_hi:[1,0,1]
	s_nop 0
	v_mov_b32_e32 v7, v5
	s_waitcnt vmcnt(1) lgkmcnt(0)
	v_pk_mul_f32 v[4:5], v[14:15], v[34:35] op_sel:[1,1] op_sel_hi:[0,1]
	v_pk_add_f32 v[2:3], v[2:3], v[6:7]
	v_pk_fma_f32 v[6:7], v[14:15], v[34:35], v[4:5] neg_lo:[0,0,1] neg_hi:[0,0,1]
	v_pk_fma_f32 v[4:5], v[14:15], v[34:35], v[4:5] op_sel_hi:[1,0,1]
	s_nop 0
	v_mov_b32_e32 v4, v37
	v_mov_b32_e32 v7, v5
	v_pk_mul_f32 v[4:5], v[16:17], v[4:5] op_sel:[1,0] op_sel_hi:[0,0]
	v_pk_add_f32 v[2:3], v[2:3], v[6:7]
	v_pk_fma_f32 v[6:7], v[16:17], v[36:37], v[4:5] neg_lo:[0,0,1] neg_hi:[0,0,1]
	v_pk_fma_f32 v[4:5], v[16:17], v[36:37], v[4:5] op_sel_hi:[1,0,1]
	s_nop 0
	v_mov_b32_e32 v7, v5
	v_pk_add_f32 v[2:3], v[2:3], v[6:7]
	s_waitcnt vmcnt(0)
	v_pk_add_f32 v[2:3], v[194:195], v[2:3] neg_lo:[0,1] neg_hi:[0,1]
	scratch_store_dwordx2 off, v[2:3], off offset:48
	s_and_saveexec_b64 s[0:1], vcc
	s_cbranch_execz .LBB102_237
; %bb.236:
	scratch_load_dwordx2 v[2:3], off, off offset:40
	v_mov_b32_e32 v4, 0
	v_mov_b32_e32 v5, v4
	scratch_store_dwordx2 off, v[4:5], off offset:40
	s_waitcnt vmcnt(1)
	ds_write_b64 v1, v[2:3]
.LBB102_237:
	s_or_b64 exec, exec, s[0:1]
	s_waitcnt lgkmcnt(0)
	; wave barrier
	scratch_load_dwordx4 v[2:5], off, off offset:48
	scratch_load_dwordx4 v[6:9], off, off offset:64
	;; [unrolled: 1-line block ×13, first 2 shown]
	v_mov_b32_e32 v106, 0
	scratch_load_dwordx2 v[202:203], off, off offset:40
	ds_read_b128 v[54:57], v106 offset:368
	ds_read_b128 v[58:61], v106 offset:384
	;; [unrolled: 1-line block ×14, first 2 shown]
	v_cmp_lt_u32_e32 vcc, 4, v0
	s_waitcnt vmcnt(13) lgkmcnt(13)
	v_mul_f32_e32 v107, v54, v3
	v_mul_f32_e32 v112, v56, v5
	v_fmac_f32_e32 v107, v55, v2
	s_waitcnt vmcnt(12) lgkmcnt(12)
	v_mul_f32_e32 v113, v58, v7
	v_fmac_f32_e32 v112, v57, v4
	v_add_f32_e32 v107, 0, v107
	v_mul_f32_e32 v114, v60, v9
	v_fmac_f32_e32 v113, v59, v6
	v_add_f32_e32 v107, v107, v112
	s_waitcnt vmcnt(11) lgkmcnt(11)
	v_mul_f32_e32 v115, v62, v11
	v_fmac_f32_e32 v114, v61, v8
	v_add_f32_e32 v107, v107, v113
	v_mul_f32_e32 v194, v64, v13
	v_fmac_f32_e32 v115, v63, v10
	v_add_f32_e32 v107, v107, v114
	;; [unrolled: 7-line block ×8, first 2 shown]
	s_waitcnt vmcnt(4) lgkmcnt(4)
	v_mul_f32_e32 v211, v90, v39
	v_fmac_f32_e32 v210, v89, v36
	v_add_f32_e32 v107, v107, v209
	v_fmac_f32_e32 v211, v91, v38
	v_add_f32_e32 v107, v107, v210
	v_add_f32_e32 v107, v107, v211
	scratch_load_dwordx4 v[112:115], off, off offset:256
	scratch_load_dwordx4 v[194:197], off, off offset:272
	;; [unrolled: 1-line block ×3, first 2 shown]
	scratch_load_dwordx2 v[210:211], off, off offset:304
	v_mul_f32_e32 v3, v55, v3
	v_fma_f32 v2, v54, v2, -v3
	v_mul_f32_e32 v3, v57, v5
	v_add_f32_e32 v2, 0, v2
	v_fma_f32 v3, v56, v4, -v3
	v_add_f32_e32 v2, v2, v3
	v_mul_f32_e32 v3, v59, v7
	v_fma_f32 v3, v58, v6, -v3
	v_add_f32_e32 v2, v2, v3
	v_mul_f32_e32 v3, v61, v9
	;; [unrolled: 3-line block ×18, first 2 shown]
	v_fma_f32 v3, v92, v40, -v3
	v_add_f32_e32 v2, v2, v3
	s_waitcnt vmcnt(7) lgkmcnt(3)
	v_mul_f32_e32 v3, v95, v43
	v_fma_f32 v3, v94, v42, -v3
	v_mul_f32_e32 v212, v92, v41
	v_add_f32_e32 v2, v2, v3
	v_mul_f32_e32 v3, v97, v45
	v_mul_f32_e32 v213, v94, v43
	v_fmac_f32_e32 v212, v93, v40
	v_fma_f32 v3, v96, v44, -v3
	v_mul_f32_e32 v214, v96, v45
	v_fmac_f32_e32 v213, v95, v42
	v_add_f32_e32 v107, v107, v212
	v_add_f32_e32 v2, v2, v3
	s_waitcnt vmcnt(6) lgkmcnt(2)
	v_mul_f32_e32 v3, v99, v47
	v_mul_f32_e32 v215, v98, v47
	v_fmac_f32_e32 v214, v97, v44
	v_add_f32_e32 v107, v107, v213
	v_fma_f32 v3, v98, v46, -v3
	v_mul_f32_e32 v205, v100, v49
	v_fmac_f32_e32 v215, v99, v46
	v_add_f32_e32 v107, v107, v214
	v_add_f32_e32 v208, v2, v3
	v_mul_f32_e32 v2, v101, v49
	s_waitcnt vmcnt(5)
	v_mov_b32_e32 v14, v53
	s_waitcnt lgkmcnt(1)
	v_mul_f32_e32 v207, v102, v51
	v_fmac_f32_e32 v205, v101, v48
	v_add_f32_e32 v209, v107, v215
	v_fma_f32 v204, v100, v48, -v2
	v_mul_f32_e32 v2, v103, v51
	v_pk_mul_f32 v[14:15], v[104:105], v[14:15] op_sel:[1,0] op_sel_hi:[0,0]
	v_fmac_f32_e32 v207, v103, v50
	v_fma_f32 v206, v102, v50, -v2
	v_pk_add_f32 v[12:13], v[208:209], v[204:205]
	v_pk_fma_f32 v[16:17], v[104:105], v[52:53], v[14:15] neg_lo:[0,0,1] neg_hi:[0,0,1]
	v_pk_fma_f32 v[14:15], v[104:105], v[52:53], v[14:15] op_sel_hi:[1,0,1]
	v_pk_add_f32 v[12:13], v[12:13], v[206:207]
	v_mov_b32_e32 v17, v15
	s_waitcnt vmcnt(3) lgkmcnt(0)
	v_pk_mul_f32 v[14:15], v[108:109], v[112:113] op_sel:[1,1] op_sel_hi:[0,1]
	v_pk_add_f32 v[12:13], v[12:13], v[16:17]
	v_pk_fma_f32 v[16:17], v[108:109], v[112:113], v[14:15] neg_lo:[0,0,1] neg_hi:[0,0,1]
	v_pk_fma_f32 v[14:15], v[108:109], v[112:113], v[14:15] op_sel_hi:[1,0,1]
	ds_read_b128 v[2:5], v106 offset:592
	ds_read_b128 v[6:9], v106 offset:608
	ds_read_b64 v[10:11], v106 offset:624
	v_mov_b32_e32 v14, v115
	v_mov_b32_e32 v17, v15
	v_pk_mul_f32 v[14:15], v[110:111], v[14:15] op_sel:[1,0] op_sel_hi:[0,0]
	v_pk_add_f32 v[12:13], v[12:13], v[16:17]
	v_pk_fma_f32 v[16:17], v[110:111], v[114:115], v[14:15] neg_lo:[0,0,1] neg_hi:[0,0,1]
	v_pk_fma_f32 v[14:15], v[110:111], v[114:115], v[14:15] op_sel_hi:[1,0,1]
	s_nop 0
	v_mov_b32_e32 v17, v15
	s_waitcnt vmcnt(2) lgkmcnt(2)
	v_pk_mul_f32 v[14:15], v[2:3], v[194:195] op_sel:[1,1] op_sel_hi:[0,1]
	v_pk_add_f32 v[12:13], v[12:13], v[16:17]
	v_pk_fma_f32 v[16:17], v[2:3], v[194:195], v[14:15] neg_lo:[0,0,1] neg_hi:[0,0,1]
	v_pk_fma_f32 v[2:3], v[2:3], v[194:195], v[14:15] op_sel_hi:[1,0,1]
	s_nop 0
	v_mov_b32_e32 v17, v3
	v_pk_add_f32 v[2:3], v[12:13], v[16:17]
	v_mov_b32_e32 v12, v197
	v_pk_mul_f32 v[12:13], v[4:5], v[12:13] op_sel:[1,0] op_sel_hi:[0,0]
	v_pk_fma_f32 v[14:15], v[4:5], v[196:197], v[12:13] neg_lo:[0,0,1] neg_hi:[0,0,1]
	v_pk_fma_f32 v[4:5], v[4:5], v[196:197], v[12:13] op_sel_hi:[1,0,1]
	s_nop 0
	v_mov_b32_e32 v15, v5
	s_waitcnt vmcnt(1) lgkmcnt(1)
	v_pk_mul_f32 v[4:5], v[6:7], v[198:199] op_sel:[1,1] op_sel_hi:[0,1]
	v_pk_fma_f32 v[12:13], v[6:7], v[198:199], v[4:5] neg_lo:[0,0,1] neg_hi:[0,0,1]
	v_pk_fma_f32 v[4:5], v[6:7], v[198:199], v[4:5] op_sel_hi:[1,0,1]
	v_pk_add_f32 v[2:3], v[2:3], v[14:15]
	v_mov_b32_e32 v4, v201
	v_mov_b32_e32 v13, v5
	v_pk_mul_f32 v[4:5], v[8:9], v[4:5] op_sel:[1,0] op_sel_hi:[0,0]
	v_pk_fma_f32 v[6:7], v[8:9], v[200:201], v[4:5] neg_lo:[0,0,1] neg_hi:[0,0,1]
	v_pk_fma_f32 v[4:5], v[8:9], v[200:201], v[4:5] op_sel_hi:[1,0,1]
	v_pk_add_f32 v[2:3], v[2:3], v[12:13]
	v_mov_b32_e32 v7, v5
	s_waitcnt vmcnt(0) lgkmcnt(0)
	v_pk_mul_f32 v[4:5], v[10:11], v[210:211] op_sel:[1,1] op_sel_hi:[0,1]
	v_pk_add_f32 v[2:3], v[2:3], v[6:7]
	v_pk_fma_f32 v[6:7], v[10:11], v[210:211], v[4:5] neg_lo:[0,0,1] neg_hi:[0,0,1]
	v_pk_fma_f32 v[4:5], v[10:11], v[210:211], v[4:5] op_sel_hi:[1,0,1]
	s_nop 0
	v_mov_b32_e32 v7, v5
	v_pk_add_f32 v[2:3], v[2:3], v[6:7]
	s_nop 0
	v_pk_add_f32 v[2:3], v[202:203], v[2:3] neg_lo:[0,1] neg_hi:[0,1]
	scratch_store_dwordx2 off, v[2:3], off offset:40
	s_and_saveexec_b64 s[0:1], vcc
	s_cbranch_execz .LBB102_239
; %bb.238:
	scratch_load_dwordx2 v[2:3], off, off offset:32
	v_mov_b32_e32 v107, v106
	scratch_store_dwordx2 off, v[106:107], off offset:32
	s_waitcnt vmcnt(1)
	ds_write_b64 v1, v[2:3]
.LBB102_239:
	s_or_b64 exec, exec, s[0:1]
	s_waitcnt lgkmcnt(0)
	; wave barrier
	scratch_load_dwordx4 v[2:5], off, off offset:40
	scratch_load_dwordx4 v[6:9], off, off offset:56
	;; [unrolled: 1-line block ×13, first 2 shown]
	ds_read2_b64 v[102:105], v106 offset0:45 offset1:46
	ds_read2_b64 v[98:101], v106 offset0:47 offset1:48
	;; [unrolled: 1-line block ×14, first 2 shown]
	scratch_load_dwordx2 v[206:207], off, off offset:32
	v_cmp_lt_u32_e32 vcc, 3, v0
	s_waitcnt vmcnt(13) lgkmcnt(13)
	v_mul_f32_e32 v107, v102, v3
	v_mul_f32_e32 v112, v104, v5
	v_fmac_f32_e32 v107, v103, v2
	s_waitcnt vmcnt(12) lgkmcnt(12)
	v_mul_f32_e32 v113, v98, v7
	v_fmac_f32_e32 v112, v105, v4
	v_add_f32_e32 v107, 0, v107
	v_mul_f32_e32 v114, v100, v9
	v_fmac_f32_e32 v113, v99, v6
	v_add_f32_e32 v107, v107, v112
	s_waitcnt vmcnt(11) lgkmcnt(11)
	v_mul_f32_e32 v115, v94, v11
	v_fmac_f32_e32 v114, v101, v8
	v_add_f32_e32 v107, v107, v113
	v_mul_f32_e32 v194, v96, v13
	v_fmac_f32_e32 v115, v95, v10
	v_add_f32_e32 v107, v107, v114
	;; [unrolled: 7-line block ×7, first 2 shown]
	s_waitcnt vmcnt(5) lgkmcnt(5)
	v_mul_f32_e32 v205, v70, v35
	v_fmac_f32_e32 v204, v77, v32
	v_add_f32_e32 v107, v107, v203
	v_fmac_f32_e32 v205, v71, v34
	v_add_f32_e32 v107, v107, v204
	v_add_f32_e32 v107, v107, v205
	scratch_load_dwordx4 v[112:115], off, off offset:248
	scratch_load_dwordx4 v[194:197], off, off offset:264
	;; [unrolled: 1-line block ×4, first 2 shown]
	v_mul_f32_e32 v3, v103, v3
	v_fma_f32 v2, v102, v2, -v3
	v_mul_f32_e32 v3, v105, v5
	v_add_f32_e32 v2, 0, v2
	v_fma_f32 v3, v104, v4, -v3
	v_add_f32_e32 v2, v2, v3
	v_mul_f32_e32 v3, v99, v7
	v_fma_f32 v3, v98, v6, -v3
	v_add_f32_e32 v2, v2, v3
	v_mul_f32_e32 v3, v101, v9
	;; [unrolled: 3-line block ×16, first 2 shown]
	v_fma_f32 v3, v72, v36, -v3
	v_add_f32_e32 v2, v2, v3
	s_waitcnt vmcnt(8) lgkmcnt(4)
	v_mul_f32_e32 v3, v67, v39
	v_fma_f32 v3, v66, v38, -v3
	v_add_f32_e32 v2, v2, v3
	v_mul_f32_e32 v3, v69, v41
	v_fma_f32 v3, v68, v40, -v3
	v_add_f32_e32 v2, v2, v3
	s_waitcnt vmcnt(7) lgkmcnt(3)
	v_mul_f32_e32 v3, v63, v43
	v_mul_f32_e32 v208, v72, v37
	v_fma_f32 v3, v62, v42, -v3
	v_mul_f32_e32 v210, v66, v39
	v_fmac_f32_e32 v208, v73, v36
	v_add_f32_e32 v2, v2, v3
	v_mul_f32_e32 v3, v65, v45
	v_mul_f32_e32 v212, v68, v41
	v_fmac_f32_e32 v210, v67, v38
	v_add_f32_e32 v107, v107, v208
	v_fma_f32 v3, v64, v44, -v3
	v_mul_f32_e32 v213, v62, v43
	v_fmac_f32_e32 v212, v69, v40
	v_add_f32_e32 v107, v107, v210
	v_add_f32_e32 v2, v2, v3
	s_waitcnt vmcnt(6) lgkmcnt(2)
	v_mul_f32_e32 v3, v59, v47
	v_mul_f32_e32 v214, v64, v45
	v_fmac_f32_e32 v213, v63, v42
	v_add_f32_e32 v107, v107, v212
	v_fma_f32 v3, v58, v46, -v3
	v_mul_f32_e32 v215, v58, v47
	v_fmac_f32_e32 v214, v65, v44
	v_add_f32_e32 v107, v107, v213
	v_add_f32_e32 v2, v2, v3
	v_mul_f32_e32 v3, v61, v49
	v_mul_f32_e32 v216, v60, v49
	v_fmac_f32_e32 v215, v59, v46
	v_add_f32_e32 v107, v107, v214
	v_fma_f32 v3, v60, v48, -v3
	s_waitcnt vmcnt(5) lgkmcnt(1)
	v_mul_f32_e32 v209, v54, v51
	v_fmac_f32_e32 v216, v61, v48
	v_add_f32_e32 v107, v107, v215
	v_add_f32_e32 v212, v2, v3
	v_mul_f32_e32 v2, v55, v51
	s_waitcnt vmcnt(3) lgkmcnt(0)
	v_pk_mul_f32 v[16:17], v[108:109], v[112:113] op_sel:[1,1] op_sel_hi:[0,1]
	v_mul_f32_e32 v211, v56, v53
	v_fmac_f32_e32 v209, v55, v50
	v_add_f32_e32 v213, v107, v216
	v_fma_f32 v208, v54, v50, -v2
	v_mul_f32_e32 v2, v57, v53
	v_pk_fma_f32 v[18:19], v[108:109], v[112:113], v[16:17] neg_lo:[0,0,1] neg_hi:[0,0,1]
	v_pk_fma_f32 v[16:17], v[108:109], v[112:113], v[16:17] op_sel_hi:[1,0,1]
	v_fmac_f32_e32 v211, v57, v52
	v_fma_f32 v210, v56, v52, -v2
	ds_read2_b64 v[2:5], v106 offset0:73 offset1:74
	ds_read2_b64 v[6:9], v106 offset0:75 offset1:76
	;; [unrolled: 1-line block ×3, first 2 shown]
	v_pk_add_f32 v[14:15], v[212:213], v[208:209]
	v_mov_b32_e32 v16, v115
	v_pk_add_f32 v[14:15], v[14:15], v[210:211]
	v_mov_b32_e32 v19, v17
	v_pk_mul_f32 v[16:17], v[110:111], v[16:17] op_sel:[1,0] op_sel_hi:[0,0]
	v_pk_add_f32 v[14:15], v[14:15], v[18:19]
	v_pk_fma_f32 v[18:19], v[110:111], v[114:115], v[16:17] neg_lo:[0,0,1] neg_hi:[0,0,1]
	v_pk_fma_f32 v[16:17], v[110:111], v[114:115], v[16:17] op_sel_hi:[1,0,1]
	s_nop 0
	v_mov_b32_e32 v19, v17
	s_waitcnt vmcnt(2) lgkmcnt(2)
	v_pk_mul_f32 v[16:17], v[2:3], v[194:195] op_sel:[1,1] op_sel_hi:[0,1]
	v_pk_add_f32 v[14:15], v[14:15], v[18:19]
	v_pk_fma_f32 v[18:19], v[2:3], v[194:195], v[16:17] neg_lo:[0,0,1] neg_hi:[0,0,1]
	v_pk_fma_f32 v[2:3], v[2:3], v[194:195], v[16:17] op_sel_hi:[1,0,1]
	s_nop 0
	v_mov_b32_e32 v19, v3
	v_pk_add_f32 v[2:3], v[14:15], v[18:19]
	v_mov_b32_e32 v14, v197
	v_pk_mul_f32 v[14:15], v[4:5], v[14:15] op_sel:[1,0] op_sel_hi:[0,0]
	v_pk_fma_f32 v[16:17], v[4:5], v[196:197], v[14:15] neg_lo:[0,0,1] neg_hi:[0,0,1]
	v_pk_fma_f32 v[4:5], v[4:5], v[196:197], v[14:15] op_sel_hi:[1,0,1]
	s_nop 0
	v_mov_b32_e32 v17, v5
	s_waitcnt vmcnt(1) lgkmcnt(1)
	v_pk_mul_f32 v[4:5], v[6:7], v[198:199] op_sel:[1,1] op_sel_hi:[0,1]
	v_pk_fma_f32 v[14:15], v[6:7], v[198:199], v[4:5] neg_lo:[0,0,1] neg_hi:[0,0,1]
	v_pk_fma_f32 v[4:5], v[6:7], v[198:199], v[4:5] op_sel_hi:[1,0,1]
	v_pk_add_f32 v[2:3], v[2:3], v[16:17]
	v_mov_b32_e32 v4, v201
	v_mov_b32_e32 v15, v5
	v_pk_mul_f32 v[4:5], v[8:9], v[4:5] op_sel:[1,0] op_sel_hi:[0,0]
	v_pk_fma_f32 v[6:7], v[8:9], v[200:201], v[4:5] neg_lo:[0,0,1] neg_hi:[0,0,1]
	v_pk_fma_f32 v[4:5], v[8:9], v[200:201], v[4:5] op_sel_hi:[1,0,1]
	v_pk_add_f32 v[2:3], v[2:3], v[14:15]
	v_mov_b32_e32 v7, v5
	s_waitcnt vmcnt(0) lgkmcnt(0)
	v_pk_mul_f32 v[4:5], v[10:11], v[202:203] op_sel:[1,1] op_sel_hi:[0,1]
	v_pk_add_f32 v[2:3], v[2:3], v[6:7]
	v_pk_fma_f32 v[6:7], v[10:11], v[202:203], v[4:5] neg_lo:[0,0,1] neg_hi:[0,0,1]
	v_pk_fma_f32 v[4:5], v[10:11], v[202:203], v[4:5] op_sel_hi:[1,0,1]
	s_nop 0
	v_mov_b32_e32 v4, v205
	v_mov_b32_e32 v7, v5
	v_pk_mul_f32 v[4:5], v[12:13], v[4:5] op_sel:[1,0] op_sel_hi:[0,0]
	v_pk_add_f32 v[2:3], v[2:3], v[6:7]
	v_pk_fma_f32 v[6:7], v[12:13], v[204:205], v[4:5] neg_lo:[0,0,1] neg_hi:[0,0,1]
	v_pk_fma_f32 v[4:5], v[12:13], v[204:205], v[4:5] op_sel_hi:[1,0,1]
	s_nop 0
	v_mov_b32_e32 v7, v5
	v_pk_add_f32 v[2:3], v[2:3], v[6:7]
	s_nop 0
	v_pk_add_f32 v[2:3], v[206:207], v[2:3] neg_lo:[0,1] neg_hi:[0,1]
	scratch_store_dwordx2 off, v[2:3], off offset:32
	s_and_saveexec_b64 s[0:1], vcc
	s_cbranch_execz .LBB102_241
; %bb.240:
	scratch_load_dwordx2 v[2:3], off, off offset:24
	v_mov_b32_e32 v4, 0
	v_mov_b32_e32 v5, v4
	scratch_store_dwordx2 off, v[4:5], off offset:24
	s_waitcnt vmcnt(1)
	ds_write_b64 v1, v[2:3]
.LBB102_241:
	s_or_b64 exec, exec, s[0:1]
	s_waitcnt lgkmcnt(0)
	; wave barrier
	scratch_load_dwordx4 v[2:5], off, off offset:32
	scratch_load_dwordx4 v[6:9], off, off offset:48
	;; [unrolled: 1-line block ×13, first 2 shown]
	v_mov_b32_e32 v114, 0
	scratch_load_dwordx4 v[54:57], off, off offset:240
	scratch_load_dwordx2 v[206:207], off, off offset:24
	ds_read_b128 v[58:61], v114 offset:352
	ds_read_b128 v[62:65], v114 offset:368
	;; [unrolled: 1-line block ×14, first 2 shown]
	v_cmp_lt_u32_e32 vcc, 2, v0
	s_waitcnt vmcnt(14) lgkmcnt(13)
	v_mul_f32_e32 v115, v58, v3
	v_mul_f32_e32 v194, v60, v5
	v_fmac_f32_e32 v115, v59, v2
	s_waitcnt vmcnt(13) lgkmcnt(12)
	v_mul_f32_e32 v195, v62, v7
	v_fmac_f32_e32 v194, v61, v4
	v_add_f32_e32 v115, 0, v115
	v_mul_f32_e32 v196, v64, v9
	v_fmac_f32_e32 v195, v63, v6
	v_add_f32_e32 v115, v115, v194
	s_waitcnt vmcnt(12) lgkmcnt(11)
	v_mul_f32_e32 v197, v66, v11
	v_fmac_f32_e32 v196, v65, v8
	v_add_f32_e32 v115, v115, v195
	v_mul_f32_e32 v198, v68, v13
	v_fmac_f32_e32 v197, v67, v10
	v_add_f32_e32 v115, v115, v196
	;; [unrolled: 7-line block ×6, first 2 shown]
	s_waitcnt vmcnt(7) lgkmcnt(6)
	v_mul_f32_e32 v209, v86, v31
	v_fmac_f32_e32 v208, v85, v28
	v_add_f32_e32 v115, v115, v205
	scratch_load_dwordx4 v[194:197], off, off offset:256
	v_mul_f32_e32 v210, v88, v33
	v_fmac_f32_e32 v209, v87, v30
	v_add_f32_e32 v115, v115, v208
	s_waitcnt vmcnt(7) lgkmcnt(5)
	v_mul_f32_e32 v211, v90, v35
	v_fmac_f32_e32 v210, v89, v32
	v_add_f32_e32 v115, v115, v209
	v_mul_f32_e32 v212, v92, v37
	v_fmac_f32_e32 v211, v91, v34
	v_add_f32_e32 v115, v115, v210
	s_waitcnt vmcnt(6) lgkmcnt(4)
	v_mul_f32_e32 v213, v94, v39
	v_fmac_f32_e32 v212, v93, v36
	v_add_f32_e32 v115, v115, v211
	;; [unrolled: 7-line block ×3, first 2 shown]
	v_fmac_f32_e32 v215, v99, v42
	v_add_f32_e32 v115, v115, v214
	v_add_f32_e32 v115, v115, v215
	scratch_load_dwordx4 v[198:201], off, off offset:272
	scratch_load_dwordx4 v[202:205], off, off offset:288
	scratch_load_dwordx2 v[214:215], off, off offset:304
	v_mul_f32_e32 v3, v59, v3
	v_fma_f32 v2, v58, v2, -v3
	v_mul_f32_e32 v3, v61, v5
	v_add_f32_e32 v2, 0, v2
	v_fma_f32 v3, v60, v4, -v3
	v_add_f32_e32 v2, v2, v3
	v_mul_f32_e32 v3, v63, v7
	v_fma_f32 v3, v62, v6, -v3
	v_add_f32_e32 v2, v2, v3
	v_mul_f32_e32 v3, v65, v9
	;; [unrolled: 3-line block ×20, first 2 shown]
	v_fma_f32 v3, v100, v44, -v3
	v_add_f32_e32 v2, v2, v3
	s_waitcnt vmcnt(7) lgkmcnt(2)
	v_mul_f32_e32 v3, v103, v47
	v_fma_f32 v3, v102, v46, -v3
	v_add_f32_e32 v2, v2, v3
	v_mul_f32_e32 v3, v105, v49
	v_mul_f32_e32 v216, v100, v45
	v_fma_f32 v3, v104, v48, -v3
	v_mul_f32_e32 v217, v102, v47
	v_fmac_f32_e32 v216, v101, v44
	v_add_f32_e32 v2, v2, v3
	s_waitcnt vmcnt(6) lgkmcnt(1)
	v_mul_f32_e32 v3, v107, v51
	v_mul_f32_e32 v218, v104, v49
	v_fmac_f32_e32 v217, v103, v46
	v_add_f32_e32 v115, v115, v216
	v_fma_f32 v3, v106, v50, -v3
	v_mul_f32_e32 v219, v106, v51
	v_fmac_f32_e32 v218, v105, v48
	v_add_f32_e32 v115, v115, v217
	v_add_f32_e32 v208, v2, v3
	v_mul_f32_e32 v2, v109, v53
	v_fmac_f32_e32 v219, v107, v50
	v_add_f32_e32 v115, v115, v218
	v_mul_f32_e32 v211, v108, v53
	v_fma_f32 v210, v108, v52, -v2
	s_waitcnt vmcnt(5) lgkmcnt(0)
	v_mul_f32_e32 v2, v111, v55
	v_mov_b32_e32 v18, v57
	v_add_f32_e32 v209, v115, v219
	v_fmac_f32_e32 v211, v109, v52
	v_mul_f32_e32 v213, v110, v55
	v_fma_f32 v212, v110, v54, -v2
	ds_read_b128 v[2:5], v114 offset:576
	ds_read_b128 v[6:9], v114 offset:592
	;; [unrolled: 1-line block ×3, first 2 shown]
	ds_read_b64 v[14:15], v114 offset:624
	v_pk_mul_f32 v[18:19], v[112:113], v[18:19] op_sel:[1,0] op_sel_hi:[0,0]
	v_fmac_f32_e32 v213, v111, v54
	v_pk_add_f32 v[16:17], v[208:209], v[210:211]
	v_pk_fma_f32 v[20:21], v[112:113], v[56:57], v[18:19] neg_lo:[0,0,1] neg_hi:[0,0,1]
	v_pk_fma_f32 v[18:19], v[112:113], v[56:57], v[18:19] op_sel_hi:[1,0,1]
	v_pk_add_f32 v[16:17], v[16:17], v[212:213]
	v_mov_b32_e32 v21, v19
	s_waitcnt vmcnt(3) lgkmcnt(3)
	v_pk_mul_f32 v[18:19], v[2:3], v[194:195] op_sel:[1,1] op_sel_hi:[0,1]
	v_pk_add_f32 v[16:17], v[16:17], v[20:21]
	v_pk_fma_f32 v[20:21], v[2:3], v[194:195], v[18:19] neg_lo:[0,0,1] neg_hi:[0,0,1]
	v_pk_fma_f32 v[2:3], v[2:3], v[194:195], v[18:19] op_sel_hi:[1,0,1]
	s_nop 0
	v_mov_b32_e32 v21, v3
	v_pk_add_f32 v[2:3], v[16:17], v[20:21]
	v_mov_b32_e32 v16, v197
	v_pk_mul_f32 v[16:17], v[4:5], v[16:17] op_sel:[1,0] op_sel_hi:[0,0]
	v_pk_fma_f32 v[18:19], v[4:5], v[196:197], v[16:17] neg_lo:[0,0,1] neg_hi:[0,0,1]
	v_pk_fma_f32 v[4:5], v[4:5], v[196:197], v[16:17] op_sel_hi:[1,0,1]
	s_nop 0
	v_mov_b32_e32 v19, v5
	s_waitcnt vmcnt(2) lgkmcnt(2)
	v_pk_mul_f32 v[4:5], v[6:7], v[198:199] op_sel:[1,1] op_sel_hi:[0,1]
	v_pk_fma_f32 v[16:17], v[6:7], v[198:199], v[4:5] neg_lo:[0,0,1] neg_hi:[0,0,1]
	v_pk_fma_f32 v[4:5], v[6:7], v[198:199], v[4:5] op_sel_hi:[1,0,1]
	v_pk_add_f32 v[2:3], v[2:3], v[18:19]
	v_mov_b32_e32 v4, v201
	v_mov_b32_e32 v17, v5
	v_pk_mul_f32 v[4:5], v[8:9], v[4:5] op_sel:[1,0] op_sel_hi:[0,0]
	v_pk_fma_f32 v[6:7], v[8:9], v[200:201], v[4:5] neg_lo:[0,0,1] neg_hi:[0,0,1]
	v_pk_fma_f32 v[4:5], v[8:9], v[200:201], v[4:5] op_sel_hi:[1,0,1]
	v_pk_add_f32 v[2:3], v[2:3], v[16:17]
	v_mov_b32_e32 v7, v5
	s_waitcnt vmcnt(1) lgkmcnt(1)
	v_pk_mul_f32 v[4:5], v[10:11], v[202:203] op_sel:[1,1] op_sel_hi:[0,1]
	v_pk_add_f32 v[2:3], v[2:3], v[6:7]
	v_pk_fma_f32 v[6:7], v[10:11], v[202:203], v[4:5] neg_lo:[0,0,1] neg_hi:[0,0,1]
	v_pk_fma_f32 v[4:5], v[10:11], v[202:203], v[4:5] op_sel_hi:[1,0,1]
	s_nop 0
	v_mov_b32_e32 v4, v205
	v_mov_b32_e32 v7, v5
	v_pk_mul_f32 v[4:5], v[12:13], v[4:5] op_sel:[1,0] op_sel_hi:[0,0]
	v_pk_add_f32 v[2:3], v[2:3], v[6:7]
	v_pk_fma_f32 v[6:7], v[12:13], v[204:205], v[4:5] neg_lo:[0,0,1] neg_hi:[0,0,1]
	v_pk_fma_f32 v[4:5], v[12:13], v[204:205], v[4:5] op_sel_hi:[1,0,1]
	s_nop 0
	v_mov_b32_e32 v7, v5
	s_waitcnt vmcnt(0) lgkmcnt(0)
	v_pk_mul_f32 v[4:5], v[14:15], v[214:215] op_sel:[1,1] op_sel_hi:[0,1]
	v_pk_add_f32 v[2:3], v[2:3], v[6:7]
	v_pk_fma_f32 v[6:7], v[14:15], v[214:215], v[4:5] neg_lo:[0,0,1] neg_hi:[0,0,1]
	v_pk_fma_f32 v[4:5], v[14:15], v[214:215], v[4:5] op_sel_hi:[1,0,1]
	s_nop 0
	v_mov_b32_e32 v7, v5
	v_pk_add_f32 v[2:3], v[2:3], v[6:7]
	s_nop 0
	v_pk_add_f32 v[2:3], v[206:207], v[2:3] neg_lo:[0,1] neg_hi:[0,1]
	scratch_store_dwordx2 off, v[2:3], off offset:24
	s_and_saveexec_b64 s[0:1], vcc
	s_cbranch_execz .LBB102_243
; %bb.242:
	scratch_load_dwordx2 v[2:3], off, off offset:16
	v_mov_b32_e32 v115, v114
	scratch_store_dwordx2 off, v[114:115], off offset:16
	s_waitcnt vmcnt(1)
	ds_write_b64 v1, v[2:3]
.LBB102_243:
	s_or_b64 exec, exec, s[0:1]
	s_waitcnt lgkmcnt(0)
	; wave barrier
	scratch_load_dwordx4 v[2:5], off, off offset:24
	scratch_load_dwordx4 v[6:9], off, off offset:40
	;; [unrolled: 1-line block ×13, first 2 shown]
	ds_read2_b64 v[110:113], v114 offset0:43 offset1:44
	ds_read2_b64 v[106:109], v114 offset0:45 offset1:46
	;; [unrolled: 1-line block ×14, first 2 shown]
	scratch_load_dwordx4 v[66:69], off, off offset:232
	scratch_load_dwordx2 v[210:211], off, off offset:16
	v_cmp_lt_u32_e32 vcc, 1, v0
	s_waitcnt vmcnt(14) lgkmcnt(13)
	v_mul_f32_e32 v115, v110, v3
	v_mul_f32_e32 v194, v112, v5
	v_fmac_f32_e32 v115, v111, v2
	s_waitcnt vmcnt(13) lgkmcnt(12)
	v_mul_f32_e32 v195, v106, v7
	v_fmac_f32_e32 v194, v113, v4
	v_add_f32_e32 v115, 0, v115
	v_mul_f32_e32 v196, v108, v9
	v_fmac_f32_e32 v195, v107, v6
	v_add_f32_e32 v115, v115, v194
	s_waitcnt vmcnt(12) lgkmcnt(11)
	v_mul_f32_e32 v197, v102, v11
	v_fmac_f32_e32 v196, v109, v8
	v_add_f32_e32 v115, v115, v195
	v_mul_f32_e32 v198, v104, v13
	v_fmac_f32_e32 v197, v103, v10
	v_add_f32_e32 v115, v115, v196
	;; [unrolled: 7-line block ×4, first 2 shown]
	s_waitcnt vmcnt(9) lgkmcnt(8)
	v_mul_f32_e32 v203, v90, v23
	v_fmac_f32_e32 v202, v97, v20
	v_add_f32_e32 v115, v115, v201
	scratch_load_dwordx4 v[194:197], off, off offset:248
	v_mul_f32_e32 v204, v92, v25
	v_fmac_f32_e32 v203, v91, v22
	v_add_f32_e32 v115, v115, v202
	s_waitcnt vmcnt(9) lgkmcnt(7)
	v_mul_f32_e32 v205, v86, v27
	v_fmac_f32_e32 v204, v93, v24
	v_add_f32_e32 v115, v115, v203
	v_mul_f32_e32 v206, v88, v29
	v_fmac_f32_e32 v205, v87, v26
	v_add_f32_e32 v115, v115, v204
	s_waitcnt vmcnt(8) lgkmcnt(6)
	v_mul_f32_e32 v207, v82, v31
	v_fmac_f32_e32 v206, v89, v28
	v_add_f32_e32 v115, v115, v205
	;; [unrolled: 7-line block ×3, first 2 shown]
	v_fmac_f32_e32 v209, v79, v34
	v_add_f32_e32 v115, v115, v208
	v_add_f32_e32 v115, v115, v209
	scratch_load_dwordx4 v[198:201], off, off offset:264
	scratch_load_dwordx4 v[202:205], off, off offset:280
	;; [unrolled: 1-line block ×3, first 2 shown]
	v_mul_f32_e32 v3, v111, v3
	v_fma_f32 v2, v110, v2, -v3
	v_mul_f32_e32 v3, v113, v5
	v_add_f32_e32 v2, 0, v2
	v_fma_f32 v3, v112, v4, -v3
	v_add_f32_e32 v2, v2, v3
	v_mul_f32_e32 v3, v107, v7
	v_fma_f32 v3, v106, v6, -v3
	v_add_f32_e32 v2, v2, v3
	v_mul_f32_e32 v3, v109, v9
	;; [unrolled: 3-line block ×16, first 2 shown]
	v_fma_f32 v3, v80, v36, -v3
	v_add_f32_e32 v2, v2, v3
	s_waitcnt vmcnt(9) lgkmcnt(4)
	v_mul_f32_e32 v3, v75, v39
	v_fma_f32 v3, v74, v38, -v3
	v_add_f32_e32 v2, v2, v3
	v_mul_f32_e32 v3, v77, v41
	v_fma_f32 v3, v76, v40, -v3
	v_add_f32_e32 v2, v2, v3
	s_waitcnt vmcnt(8) lgkmcnt(3)
	v_mul_f32_e32 v3, v71, v43
	v_fma_f32 v3, v70, v42, -v3
	v_add_f32_e32 v2, v2, v3
	v_mul_f32_e32 v3, v73, v45
	v_fma_f32 v3, v72, v44, -v3
	v_add_f32_e32 v2, v2, v3
	s_waitcnt vmcnt(7) lgkmcnt(2)
	v_mul_f32_e32 v3, v63, v47
	v_fma_f32 v3, v62, v46, -v3
	v_mul_f32_e32 v212, v80, v37
	v_add_f32_e32 v2, v2, v3
	v_mul_f32_e32 v3, v65, v49
	v_mul_f32_e32 v213, v74, v39
	v_fmac_f32_e32 v212, v81, v36
	v_fma_f32 v3, v64, v48, -v3
	v_mul_f32_e32 v214, v76, v41
	v_fmac_f32_e32 v213, v75, v38
	v_add_f32_e32 v115, v115, v212
	v_add_f32_e32 v2, v2, v3
	s_waitcnt vmcnt(6) lgkmcnt(1)
	v_mul_f32_e32 v3, v55, v51
	v_mul_f32_e32 v215, v70, v43
	v_fmac_f32_e32 v214, v77, v40
	v_add_f32_e32 v115, v115, v213
	v_fma_f32 v3, v54, v50, -v3
	v_mul_f32_e32 v216, v72, v45
	v_fmac_f32_e32 v215, v71, v42
	v_add_f32_e32 v115, v115, v214
	v_add_f32_e32 v2, v2, v3
	v_mul_f32_e32 v3, v57, v53
	v_mul_f32_e32 v217, v62, v47
	v_fmac_f32_e32 v216, v73, v44
	v_add_f32_e32 v115, v115, v215
	v_fma_f32 v3, v56, v52, -v3
	v_mul_f32_e32 v218, v64, v49
	v_fmac_f32_e32 v217, v63, v46
	v_add_f32_e32 v115, v115, v216
	v_add_f32_e32 v212, v2, v3
	s_waitcnt vmcnt(5) lgkmcnt(0)
	v_mul_f32_e32 v2, v59, v67
	v_mul_f32_e32 v219, v54, v51
	v_fmac_f32_e32 v218, v65, v48
	v_add_f32_e32 v115, v115, v217
	v_fma_f32 v214, v58, v66, -v2
	v_mul_f32_e32 v2, v61, v69
	v_mul_f32_e32 v220, v56, v53
	v_fmac_f32_e32 v219, v55, v50
	v_add_f32_e32 v115, v115, v218
	v_fma_f32 v216, v60, v68, -v2
	ds_read2_b64 v[2:5], v114 offset0:71 offset1:72
	ds_read2_b64 v[6:9], v114 offset0:73 offset1:74
	;; [unrolled: 1-line block ×4, first 2 shown]
	v_add_f32_e32 v115, v115, v219
	v_fmac_f32_e32 v220, v57, v52
	v_mul_f32_e32 v215, v58, v67
	v_add_f32_e32 v213, v115, v220
	v_fmac_f32_e32 v215, v59, v66
	v_mul_f32_e32 v217, v60, v69
	s_waitcnt vmcnt(3) lgkmcnt(3)
	v_pk_mul_f32 v[20:21], v[2:3], v[194:195] op_sel:[1,1] op_sel_hi:[0,1]
	v_fmac_f32_e32 v217, v61, v68
	v_pk_add_f32 v[18:19], v[212:213], v[214:215]
	v_pk_fma_f32 v[22:23], v[2:3], v[194:195], v[20:21] neg_lo:[0,0,1] neg_hi:[0,0,1]
	v_pk_fma_f32 v[2:3], v[2:3], v[194:195], v[20:21] op_sel_hi:[1,0,1]
	v_pk_add_f32 v[18:19], v[18:19], v[216:217]
	v_mov_b32_e32 v23, v3
	v_pk_add_f32 v[2:3], v[18:19], v[22:23]
	v_mov_b32_e32 v18, v197
	v_pk_mul_f32 v[18:19], v[4:5], v[18:19] op_sel:[1,0] op_sel_hi:[0,0]
	v_pk_fma_f32 v[20:21], v[4:5], v[196:197], v[18:19] neg_lo:[0,0,1] neg_hi:[0,0,1]
	v_pk_fma_f32 v[4:5], v[4:5], v[196:197], v[18:19] op_sel_hi:[1,0,1]
	s_nop 0
	v_mov_b32_e32 v21, v5
	s_waitcnt vmcnt(2) lgkmcnt(2)
	v_pk_mul_f32 v[4:5], v[6:7], v[198:199] op_sel:[1,1] op_sel_hi:[0,1]
	v_pk_fma_f32 v[18:19], v[6:7], v[198:199], v[4:5] neg_lo:[0,0,1] neg_hi:[0,0,1]
	v_pk_fma_f32 v[4:5], v[6:7], v[198:199], v[4:5] op_sel_hi:[1,0,1]
	v_pk_add_f32 v[2:3], v[2:3], v[20:21]
	v_mov_b32_e32 v4, v201
	v_mov_b32_e32 v19, v5
	v_pk_mul_f32 v[4:5], v[8:9], v[4:5] op_sel:[1,0] op_sel_hi:[0,0]
	v_pk_fma_f32 v[6:7], v[8:9], v[200:201], v[4:5] neg_lo:[0,0,1] neg_hi:[0,0,1]
	v_pk_fma_f32 v[4:5], v[8:9], v[200:201], v[4:5] op_sel_hi:[1,0,1]
	v_pk_add_f32 v[2:3], v[2:3], v[18:19]
	v_mov_b32_e32 v7, v5
	s_waitcnt vmcnt(1) lgkmcnt(1)
	v_pk_mul_f32 v[4:5], v[10:11], v[202:203] op_sel:[1,1] op_sel_hi:[0,1]
	v_pk_add_f32 v[2:3], v[2:3], v[6:7]
	v_pk_fma_f32 v[6:7], v[10:11], v[202:203], v[4:5] neg_lo:[0,0,1] neg_hi:[0,0,1]
	v_pk_fma_f32 v[4:5], v[10:11], v[202:203], v[4:5] op_sel_hi:[1,0,1]
	s_nop 0
	v_mov_b32_e32 v4, v205
	v_mov_b32_e32 v7, v5
	v_pk_mul_f32 v[4:5], v[12:13], v[4:5] op_sel:[1,0] op_sel_hi:[0,0]
	v_pk_add_f32 v[2:3], v[2:3], v[6:7]
	v_pk_fma_f32 v[6:7], v[12:13], v[204:205], v[4:5] neg_lo:[0,0,1] neg_hi:[0,0,1]
	v_pk_fma_f32 v[4:5], v[12:13], v[204:205], v[4:5] op_sel_hi:[1,0,1]
	s_nop 0
	v_mov_b32_e32 v7, v5
	s_waitcnt vmcnt(0) lgkmcnt(0)
	v_pk_mul_f32 v[4:5], v[14:15], v[206:207] op_sel:[1,1] op_sel_hi:[0,1]
	v_pk_add_f32 v[2:3], v[2:3], v[6:7]
	v_pk_fma_f32 v[6:7], v[14:15], v[206:207], v[4:5] neg_lo:[0,0,1] neg_hi:[0,0,1]
	v_pk_fma_f32 v[4:5], v[14:15], v[206:207], v[4:5] op_sel_hi:[1,0,1]
	s_nop 0
	v_mov_b32_e32 v4, v209
	v_mov_b32_e32 v7, v5
	v_pk_mul_f32 v[4:5], v[16:17], v[4:5] op_sel:[1,0] op_sel_hi:[0,0]
	v_pk_add_f32 v[2:3], v[2:3], v[6:7]
	v_pk_fma_f32 v[6:7], v[16:17], v[208:209], v[4:5] neg_lo:[0,0,1] neg_hi:[0,0,1]
	v_pk_fma_f32 v[4:5], v[16:17], v[208:209], v[4:5] op_sel_hi:[1,0,1]
	s_nop 0
	v_mov_b32_e32 v7, v5
	v_pk_add_f32 v[2:3], v[2:3], v[6:7]
	s_nop 0
	v_pk_add_f32 v[2:3], v[210:211], v[2:3] neg_lo:[0,1] neg_hi:[0,1]
	scratch_store_dwordx2 off, v[2:3], off offset:16
	s_and_saveexec_b64 s[0:1], vcc
	s_cbranch_execz .LBB102_245
; %bb.244:
	scratch_load_dwordx2 v[2:3], off, off offset:8
	v_mov_b32_e32 v4, 0
	v_mov_b32_e32 v5, v4
	scratch_store_dwordx2 off, v[4:5], off offset:8
	s_waitcnt vmcnt(1)
	ds_write_b64 v1, v[2:3]
.LBB102_245:
	s_or_b64 exec, exec, s[0:1]
	s_waitcnt lgkmcnt(0)
	; wave barrier
	scratch_load_dwordx4 v[2:5], off, off offset:16
	scratch_load_dwordx4 v[6:9], off, off offset:32
	;; [unrolled: 1-line block ×15, first 2 shown]
	scratch_load_dwordx2 v[114:115], off, off offset:8
	v_mov_b32_e32 v194, 0
	ds_read_b128 v[62:65], v194 offset:336
	ds_read_b128 v[66:69], v194 offset:352
	;; [unrolled: 1-line block ×14, first 2 shown]
	v_cmp_ne_u32_e32 vcc, 0, v0
	s_waitcnt vmcnt(15) lgkmcnt(13)
	v_mul_f32_e32 v195, v62, v3
	v_mul_f32_e32 v200, v64, v5
	v_fmac_f32_e32 v195, v63, v2
	s_waitcnt vmcnt(14) lgkmcnt(12)
	v_mul_f32_e32 v201, v66, v7
	v_fmac_f32_e32 v200, v65, v4
	v_add_f32_e32 v195, 0, v195
	v_mul_f32_e32 v202, v68, v9
	v_fmac_f32_e32 v201, v67, v6
	v_add_f32_e32 v195, v195, v200
	s_waitcnt vmcnt(13) lgkmcnt(11)
	v_mul_f32_e32 v203, v70, v11
	v_fmac_f32_e32 v202, v69, v8
	v_add_f32_e32 v195, v195, v201
	v_mul_f32_e32 v204, v72, v13
	v_fmac_f32_e32 v203, v71, v10
	v_add_f32_e32 v195, v195, v202
	;; [unrolled: 7-line block ×11, first 2 shown]
	s_waitcnt vmcnt(3) lgkmcnt(1)
	v_mul_f32_e32 v223, v110, v51
	v_fmac_f32_e32 v222, v109, v48
	v_add_f32_e32 v195, v195, v221
	v_add_f32_e32 v195, v195, v222
	v_fmac_f32_e32 v223, v111, v50
	v_mul_f32_e32 v200, v112, v53
	v_add_f32_e32 v195, v195, v223
	v_fmac_f32_e32 v200, v113, v52
	s_waitcnt vmcnt(2) lgkmcnt(0)
	v_mul_f32_e32 v204, v196, v55
	v_add_f32_e32 v195, v195, v200
	v_fmac_f32_e32 v204, v197, v54
	ds_read_b128 v[200:203], v194 offset:560
	v_add_f32_e32 v221, v195, v204
	ds_read_b128 v[204:207], v194 offset:576
	scratch_load_dwordx4 v[208:211], off, off offset:256
	scratch_load_dwordx4 v[212:215], off, off offset:272
	;; [unrolled: 1-line block ×3, first 2 shown]
	scratch_load_dwordx2 v[226:227], off, off offset:304
	v_mul_f32_e32 v3, v63, v3
	v_fma_f32 v2, v62, v2, -v3
	v_mul_f32_e32 v3, v65, v5
	v_add_f32_e32 v2, 0, v2
	v_fma_f32 v3, v64, v4, -v3
	v_add_f32_e32 v2, v2, v3
	v_mul_f32_e32 v3, v67, v7
	v_fma_f32 v3, v66, v6, -v3
	v_add_f32_e32 v2, v2, v3
	v_mul_f32_e32 v3, v69, v9
	;; [unrolled: 3-line block ×25, first 2 shown]
	v_fma_f32 v3, v196, v54, -v3
	v_mul_f32_e32 v223, v198, v57
	v_add_f32_e32 v220, v2, v3
	v_mul_f32_e32 v2, v199, v57
	s_waitcnt vmcnt(5)
	v_mov_b32_e32 v14, v61
	v_fmac_f32_e32 v223, v199, v56
	s_waitcnt lgkmcnt(1)
	v_mul_f32_e32 v225, v200, v59
	v_fma_f32 v222, v198, v56, -v2
	v_mul_f32_e32 v2, v201, v59
	v_pk_mul_f32 v[14:15], v[202:203], v[14:15] op_sel:[1,0] op_sel_hi:[0,0]
	v_fmac_f32_e32 v225, v201, v58
	v_fma_f32 v224, v200, v58, -v2
	v_pk_add_f32 v[12:13], v[220:221], v[222:223]
	v_pk_fma_f32 v[16:17], v[202:203], v[60:61], v[14:15] neg_lo:[0,0,1] neg_hi:[0,0,1]
	v_pk_fma_f32 v[14:15], v[202:203], v[60:61], v[14:15] op_sel_hi:[1,0,1]
	v_pk_add_f32 v[12:13], v[12:13], v[224:225]
	v_mov_b32_e32 v17, v15
	s_waitcnt vmcnt(3) lgkmcnt(0)
	v_pk_mul_f32 v[14:15], v[204:205], v[208:209] op_sel:[1,1] op_sel_hi:[0,1]
	v_pk_add_f32 v[12:13], v[12:13], v[16:17]
	v_pk_fma_f32 v[16:17], v[204:205], v[208:209], v[14:15] neg_lo:[0,0,1] neg_hi:[0,0,1]
	v_pk_fma_f32 v[14:15], v[204:205], v[208:209], v[14:15] op_sel_hi:[1,0,1]
	ds_read_b128 v[2:5], v194 offset:592
	ds_read_b128 v[6:9], v194 offset:608
	ds_read_b64 v[10:11], v194 offset:624
	v_mov_b32_e32 v14, v211
	v_mov_b32_e32 v17, v15
	v_pk_mul_f32 v[14:15], v[206:207], v[14:15] op_sel:[1,0] op_sel_hi:[0,0]
	v_pk_add_f32 v[12:13], v[12:13], v[16:17]
	v_pk_fma_f32 v[16:17], v[206:207], v[210:211], v[14:15] neg_lo:[0,0,1] neg_hi:[0,0,1]
	v_pk_fma_f32 v[14:15], v[206:207], v[210:211], v[14:15] op_sel_hi:[1,0,1]
	s_nop 0
	v_mov_b32_e32 v17, v15
	s_waitcnt vmcnt(2) lgkmcnt(2)
	v_pk_mul_f32 v[14:15], v[2:3], v[212:213] op_sel:[1,1] op_sel_hi:[0,1]
	v_pk_add_f32 v[12:13], v[12:13], v[16:17]
	v_pk_fma_f32 v[16:17], v[2:3], v[212:213], v[14:15] neg_lo:[0,0,1] neg_hi:[0,0,1]
	v_pk_fma_f32 v[2:3], v[2:3], v[212:213], v[14:15] op_sel_hi:[1,0,1]
	s_nop 0
	v_mov_b32_e32 v17, v3
	v_pk_add_f32 v[2:3], v[12:13], v[16:17]
	v_mov_b32_e32 v12, v215
	v_pk_mul_f32 v[12:13], v[4:5], v[12:13] op_sel:[1,0] op_sel_hi:[0,0]
	v_pk_fma_f32 v[14:15], v[4:5], v[214:215], v[12:13] neg_lo:[0,0,1] neg_hi:[0,0,1]
	v_pk_fma_f32 v[4:5], v[4:5], v[214:215], v[12:13] op_sel_hi:[1,0,1]
	s_nop 0
	v_mov_b32_e32 v15, v5
	s_waitcnt vmcnt(1) lgkmcnt(1)
	v_pk_mul_f32 v[4:5], v[6:7], v[216:217] op_sel:[1,1] op_sel_hi:[0,1]
	v_pk_fma_f32 v[12:13], v[6:7], v[216:217], v[4:5] neg_lo:[0,0,1] neg_hi:[0,0,1]
	v_pk_fma_f32 v[4:5], v[6:7], v[216:217], v[4:5] op_sel_hi:[1,0,1]
	v_pk_add_f32 v[2:3], v[2:3], v[14:15]
	v_mov_b32_e32 v4, v219
	v_mov_b32_e32 v13, v5
	v_pk_mul_f32 v[4:5], v[8:9], v[4:5] op_sel:[1,0] op_sel_hi:[0,0]
	v_pk_fma_f32 v[6:7], v[8:9], v[218:219], v[4:5] neg_lo:[0,0,1] neg_hi:[0,0,1]
	v_pk_fma_f32 v[4:5], v[8:9], v[218:219], v[4:5] op_sel_hi:[1,0,1]
	v_pk_add_f32 v[2:3], v[2:3], v[12:13]
	v_mov_b32_e32 v7, v5
	s_waitcnt vmcnt(0) lgkmcnt(0)
	v_pk_mul_f32 v[4:5], v[10:11], v[226:227] op_sel:[1,1] op_sel_hi:[0,1]
	v_pk_add_f32 v[2:3], v[2:3], v[6:7]
	v_pk_fma_f32 v[6:7], v[10:11], v[226:227], v[4:5] neg_lo:[0,0,1] neg_hi:[0,0,1]
	v_pk_fma_f32 v[4:5], v[10:11], v[226:227], v[4:5] op_sel_hi:[1,0,1]
	s_nop 0
	v_mov_b32_e32 v7, v5
	v_pk_add_f32 v[2:3], v[2:3], v[6:7]
	s_nop 0
	v_pk_add_f32 v[2:3], v[114:115], v[2:3] neg_lo:[0,1] neg_hi:[0,1]
	scratch_store_dwordx2 off, v[2:3], off offset:8
	s_and_saveexec_b64 s[0:1], vcc
	s_cbranch_execz .LBB102_247
; %bb.246:
	scratch_load_dwordx2 v[2:3], off, off
	v_mov_b32_e32 v195, v194
	scratch_store_dwordx2 off, v[194:195], off
	s_waitcnt vmcnt(1)
	ds_write_b64 v1, v[2:3]
.LBB102_247:
	s_or_b64 exec, exec, s[0:1]
	s_waitcnt lgkmcnt(0)
	; wave barrier
	scratch_load_dwordx4 v[0:3], off, off offset:8
	scratch_load_dwordx4 v[4:7], off, off offset:24
	;; [unrolled: 1-line block ×13, first 2 shown]
	ds_read2_b64 v[112:115], v194 offset0:41 offset1:42
	ds_read2_b64 v[108:111], v194 offset0:43 offset1:44
	;; [unrolled: 1-line block ×14, first 2 shown]
	scratch_load_dwordx4 v[60:63], off, off offset:216
	scratch_load_dwordx4 v[68:71], off, off offset:232
	scratch_load_dwordx2 v[220:221], off, off
	s_and_b64 vcc, exec, s[10:11]
	s_waitcnt vmcnt(15) lgkmcnt(13)
	v_mul_f32_e32 v195, v112, v1
	v_mul_f32_e32 v196, v114, v3
	v_fmac_f32_e32 v195, v113, v0
	s_waitcnt vmcnt(14) lgkmcnt(12)
	v_mul_f32_e32 v197, v108, v5
	v_fmac_f32_e32 v196, v115, v2
	v_add_f32_e32 v195, 0, v195
	v_mul_f32_e32 v198, v110, v7
	v_fmac_f32_e32 v197, v109, v4
	v_add_f32_e32 v195, v195, v196
	s_waitcnt vmcnt(13) lgkmcnt(11)
	v_mul_f32_e32 v199, v104, v9
	v_fmac_f32_e32 v198, v111, v6
	v_add_f32_e32 v195, v195, v197
	v_mul_f32_e32 v200, v106, v11
	v_fmac_f32_e32 v199, v105, v8
	v_add_f32_e32 v195, v195, v198
	;; [unrolled: 7-line block ×11, first 2 shown]
	s_waitcnt vmcnt(3) lgkmcnt(1)
	v_mul_f32_e32 v219, v52, v49
	v_fmac_f32_e32 v218, v67, v46
	v_add_f32_e32 v195, v195, v217
	v_fmac_f32_e32 v219, v53, v48
	v_add_f32_e32 v195, v195, v218
	v_mul_f32_e32 v196, v54, v51
	v_add_f32_e32 v195, v195, v219
	v_fmac_f32_e32 v196, v55, v50
	v_add_f32_e32 v195, v195, v196
	s_waitcnt vmcnt(2) lgkmcnt(0)
	v_mul_f32_e32 v196, v56, v61
	v_fmac_f32_e32 v196, v57, v60
	v_mul_f32_e32 v200, v58, v63
	v_add_f32_e32 v195, v195, v196
	v_fmac_f32_e32 v200, v59, v62
	ds_read2_b64 v[196:199], v194 offset0:69 offset1:70
	v_add_f32_e32 v223, v195, v200
	ds_read2_b64 v[200:203], v194 offset0:71 offset1:72
	scratch_load_dwordx4 v[204:207], off, off offset:248
	scratch_load_dwordx4 v[208:211], off, off offset:264
	;; [unrolled: 1-line block ×4, first 2 shown]
	v_mul_f32_e32 v1, v113, v1
	v_fma_f32 v0, v112, v0, -v1
	v_mul_f32_e32 v1, v115, v3
	v_add_f32_e32 v0, 0, v0
	v_fma_f32 v1, v114, v2, -v1
	v_add_f32_e32 v0, v0, v1
	v_mul_f32_e32 v1, v109, v5
	v_fma_f32 v1, v108, v4, -v1
	v_add_f32_e32 v0, v0, v1
	v_mul_f32_e32 v1, v111, v7
	;; [unrolled: 3-line block ×26, first 2 shown]
	v_fma_f32 v1, v58, v62, -v1
	s_waitcnt vmcnt(5) lgkmcnt(1)
	v_mul_f32_e32 v225, v196, v69
	v_add_f32_e32 v222, v0, v1
	v_mul_f32_e32 v0, v197, v69
	s_waitcnt vmcnt(3) lgkmcnt(0)
	v_pk_mul_f32 v[14:15], v[200:201], v[204:205] op_sel:[1,1] op_sel_hi:[0,1]
	v_fmac_f32_e32 v225, v197, v68
	v_mul_f32_e32 v227, v198, v71
	v_fma_f32 v224, v196, v68, -v0
	v_mul_f32_e32 v0, v199, v71
	v_pk_fma_f32 v[16:17], v[200:201], v[204:205], v[14:15] neg_lo:[0,0,1] neg_hi:[0,0,1]
	v_pk_fma_f32 v[14:15], v[200:201], v[204:205], v[14:15] op_sel_hi:[1,0,1]
	v_fmac_f32_e32 v227, v199, v70
	v_fma_f32 v226, v198, v70, -v0
	ds_read2_b64 v[0:3], v194 offset0:73 offset1:74
	ds_read2_b64 v[4:7], v194 offset0:75 offset1:76
	;; [unrolled: 1-line block ×3, first 2 shown]
	v_pk_add_f32 v[12:13], v[222:223], v[224:225]
	v_mov_b32_e32 v14, v207
	v_pk_add_f32 v[12:13], v[12:13], v[226:227]
	v_mov_b32_e32 v17, v15
	v_pk_mul_f32 v[14:15], v[202:203], v[14:15] op_sel:[1,0] op_sel_hi:[0,0]
	v_pk_add_f32 v[12:13], v[12:13], v[16:17]
	v_pk_fma_f32 v[16:17], v[202:203], v[206:207], v[14:15] neg_lo:[0,0,1] neg_hi:[0,0,1]
	v_pk_fma_f32 v[14:15], v[202:203], v[206:207], v[14:15] op_sel_hi:[1,0,1]
	s_nop 0
	v_mov_b32_e32 v17, v15
	s_waitcnt vmcnt(2) lgkmcnt(2)
	v_pk_mul_f32 v[14:15], v[0:1], v[208:209] op_sel:[1,1] op_sel_hi:[0,1]
	v_pk_add_f32 v[12:13], v[12:13], v[16:17]
	v_pk_fma_f32 v[16:17], v[0:1], v[208:209], v[14:15] neg_lo:[0,0,1] neg_hi:[0,0,1]
	v_pk_fma_f32 v[0:1], v[0:1], v[208:209], v[14:15] op_sel_hi:[1,0,1]
	s_nop 0
	v_mov_b32_e32 v17, v1
	v_pk_add_f32 v[0:1], v[12:13], v[16:17]
	v_mov_b32_e32 v12, v211
	v_pk_mul_f32 v[12:13], v[2:3], v[12:13] op_sel:[1,0] op_sel_hi:[0,0]
	v_pk_fma_f32 v[14:15], v[2:3], v[210:211], v[12:13] neg_lo:[0,0,1] neg_hi:[0,0,1]
	v_pk_fma_f32 v[2:3], v[2:3], v[210:211], v[12:13] op_sel_hi:[1,0,1]
	s_nop 0
	v_mov_b32_e32 v15, v3
	s_waitcnt vmcnt(1) lgkmcnt(1)
	v_pk_mul_f32 v[2:3], v[4:5], v[212:213] op_sel:[1,1] op_sel_hi:[0,1]
	v_pk_fma_f32 v[12:13], v[4:5], v[212:213], v[2:3] neg_lo:[0,0,1] neg_hi:[0,0,1]
	v_pk_fma_f32 v[2:3], v[4:5], v[212:213], v[2:3] op_sel_hi:[1,0,1]
	v_pk_add_f32 v[0:1], v[0:1], v[14:15]
	v_mov_b32_e32 v2, v215
	v_mov_b32_e32 v13, v3
	v_pk_mul_f32 v[2:3], v[6:7], v[2:3] op_sel:[1,0] op_sel_hi:[0,0]
	v_pk_fma_f32 v[4:5], v[6:7], v[214:215], v[2:3] neg_lo:[0,0,1] neg_hi:[0,0,1]
	v_pk_fma_f32 v[2:3], v[6:7], v[214:215], v[2:3] op_sel_hi:[1,0,1]
	v_pk_add_f32 v[0:1], v[0:1], v[12:13]
	v_mov_b32_e32 v5, v3
	s_waitcnt vmcnt(0) lgkmcnt(0)
	v_pk_mul_f32 v[2:3], v[8:9], v[216:217] op_sel:[1,1] op_sel_hi:[0,1]
	v_pk_add_f32 v[0:1], v[0:1], v[4:5]
	v_pk_fma_f32 v[4:5], v[8:9], v[216:217], v[2:3] neg_lo:[0,0,1] neg_hi:[0,0,1]
	v_pk_fma_f32 v[2:3], v[8:9], v[216:217], v[2:3] op_sel_hi:[1,0,1]
	s_nop 0
	v_mov_b32_e32 v2, v219
	v_mov_b32_e32 v5, v3
	v_pk_mul_f32 v[2:3], v[10:11], v[2:3] op_sel:[1,0] op_sel_hi:[0,0]
	v_pk_add_f32 v[0:1], v[0:1], v[4:5]
	v_pk_fma_f32 v[4:5], v[10:11], v[218:219], v[2:3] neg_lo:[0,0,1] neg_hi:[0,0,1]
	v_pk_fma_f32 v[2:3], v[10:11], v[218:219], v[2:3] op_sel_hi:[1,0,1]
	s_nop 0
	v_mov_b32_e32 v5, v3
	v_pk_add_f32 v[0:1], v[0:1], v[4:5]
	s_nop 0
	v_pk_add_f32 v[0:1], v[220:221], v[0:1] neg_lo:[0,1] neg_hi:[0,1]
	scratch_store_dwordx2 off, v[0:1], off
	s_cbranch_vccz .LBB102_324
; %bb.248:
	v_mov_b32_e32 v0, 0
	global_load_dword v1, v0, s[8:9] offset:148
	s_waitcnt vmcnt(0)
	v_readfirstlane_b32 s0, v1
	s_add_i32 s0, s0, -1
	s_cmp_lg_u32 s0, 37
	s_cbranch_scc0 .LBB102_250
; %bb.249:
	s_lshl_b32 s0, s0, 3
	s_nop 0
	scratch_load_dwordx2 v[2:3], off, s0
	scratch_load_dwordx2 v[4:5], off, off offset:296
	s_waitcnt vmcnt(1)
	scratch_store_dwordx2 off, v[2:3], off offset:296
	s_waitcnt vmcnt(1)
	scratch_store_dwordx2 off, v[4:5], s0
.LBB102_250:
	global_load_dword v0, v0, s[8:9] offset:144
	s_waitcnt vmcnt(0)
	v_readfirstlane_b32 s0, v0
	s_add_i32 s0, s0, -1
	s_cmp_eq_u32 s0, 36
	s_cbranch_scc1 .LBB102_252
; %bb.251:
	s_lshl_b32 s0, s0, 3
	s_nop 0
	scratch_load_dwordx2 v[0:1], off, s0
	scratch_load_dwordx2 v[2:3], off, off offset:288
	s_waitcnt vmcnt(1)
	scratch_store_dwordx2 off, v[0:1], off offset:288
	s_waitcnt vmcnt(1)
	scratch_store_dwordx2 off, v[2:3], s0
.LBB102_252:
	v_mov_b32_e32 v0, 0
	global_load_dword v1, v0, s[8:9] offset:140
	s_waitcnt vmcnt(0)
	v_readfirstlane_b32 s0, v1
	s_add_i32 s0, s0, -1
	s_cmp_eq_u32 s0, 35
	s_cbranch_scc1 .LBB102_254
; %bb.253:
	s_lshl_b32 s0, s0, 3
	s_nop 0
	scratch_load_dwordx2 v[2:3], off, s0
	scratch_load_dwordx2 v[4:5], off, off offset:280
	s_waitcnt vmcnt(1)
	scratch_store_dwordx2 off, v[2:3], off offset:280
	s_waitcnt vmcnt(1)
	scratch_store_dwordx2 off, v[4:5], s0
.LBB102_254:
	global_load_dword v0, v0, s[8:9] offset:136
	s_waitcnt vmcnt(0)
	v_readfirstlane_b32 s0, v0
	s_add_i32 s0, s0, -1
	s_cmp_eq_u32 s0, 34
	s_cbranch_scc1 .LBB102_256
; %bb.255:
	s_lshl_b32 s0, s0, 3
	s_nop 0
	scratch_load_dwordx2 v[0:1], off, s0
	scratch_load_dwordx2 v[2:3], off, off offset:272
	s_waitcnt vmcnt(1)
	scratch_store_dwordx2 off, v[0:1], off offset:272
	s_waitcnt vmcnt(1)
	scratch_store_dwordx2 off, v[2:3], s0
.LBB102_256:
	v_mov_b32_e32 v0, 0
	global_load_dword v1, v0, s[8:9] offset:132
	s_waitcnt vmcnt(0)
	v_readfirstlane_b32 s0, v1
	s_add_i32 s0, s0, -1
	s_cmp_eq_u32 s0, 33
	s_cbranch_scc1 .LBB102_258
; %bb.257:
	s_lshl_b32 s0, s0, 3
	s_nop 0
	scratch_load_dwordx2 v[2:3], off, s0
	scratch_load_dwordx2 v[4:5], off, off offset:264
	s_waitcnt vmcnt(1)
	scratch_store_dwordx2 off, v[2:3], off offset:264
	s_waitcnt vmcnt(1)
	scratch_store_dwordx2 off, v[4:5], s0
.LBB102_258:
	;; [unrolled: 33-line block ×18, first 2 shown]
	global_load_dword v2, v0, s[8:9]
	s_nop 0
	scratch_load_dwordx2 v[0:1], off, off
	s_waitcnt vmcnt(1)
	v_readfirstlane_b32 s0, v2
	s_add_i32 s0, s0, -1
	s_cmp_eq_u32 s0, 0
	s_cbranch_scc1 .LBB102_324
; %bb.323:
	s_lshl_b32 s0, s0, 3
	s_nop 0
	scratch_load_dwordx2 v[2:3], off, s0
	s_waitcnt vmcnt(0)
	scratch_store_dwordx2 off, v[2:3], off
	scratch_store_dwordx2 off, v[0:1], s0
	scratch_load_dwordx2 v[0:1], off, off
.LBB102_324:
	s_waitcnt vmcnt(0)
	flat_store_dwordx2 v[116:117], v[0:1]
	scratch_load_dwordx2 v[0:1], off, off offset:8
	s_waitcnt vmcnt(0)
	flat_store_dwordx2 v[118:119], v[0:1]
	scratch_load_dwordx2 v[0:1], off, off offset:16
	;; [unrolled: 3-line block ×38, first 2 shown]
	s_waitcnt vmcnt(0)
	flat_store_dwordx2 v[192:193], v[0:1]
	s_endpgm
	.section	.rodata,"a",@progbits
	.p2align	6, 0x0
	.amdhsa_kernel _ZN9rocsolver6v33100L18getri_kernel_smallILi39E19rocblas_complex_numIfEPKPS3_EEvT1_iilPiilS8_bb
		.amdhsa_group_segment_fixed_size 632
		.amdhsa_private_segment_fixed_size 320
		.amdhsa_kernarg_size 60
		.amdhsa_user_sgpr_count 2
		.amdhsa_user_sgpr_dispatch_ptr 0
		.amdhsa_user_sgpr_queue_ptr 0
		.amdhsa_user_sgpr_kernarg_segment_ptr 1
		.amdhsa_user_sgpr_dispatch_id 0
		.amdhsa_user_sgpr_kernarg_preload_length 0
		.amdhsa_user_sgpr_kernarg_preload_offset 0
		.amdhsa_user_sgpr_private_segment_size 0
		.amdhsa_uses_dynamic_stack 0
		.amdhsa_enable_private_segment 1
		.amdhsa_system_sgpr_workgroup_id_x 1
		.amdhsa_system_sgpr_workgroup_id_y 0
		.amdhsa_system_sgpr_workgroup_id_z 0
		.amdhsa_system_sgpr_workgroup_info 0
		.amdhsa_system_vgpr_workitem_id 0
		.amdhsa_next_free_vgpr 228
		.amdhsa_next_free_sgpr 17
		.amdhsa_accum_offset 228
		.amdhsa_reserve_vcc 1
		.amdhsa_float_round_mode_32 0
		.amdhsa_float_round_mode_16_64 0
		.amdhsa_float_denorm_mode_32 3
		.amdhsa_float_denorm_mode_16_64 3
		.amdhsa_dx10_clamp 1
		.amdhsa_ieee_mode 1
		.amdhsa_fp16_overflow 0
		.amdhsa_tg_split 0
		.amdhsa_exception_fp_ieee_invalid_op 0
		.amdhsa_exception_fp_denorm_src 0
		.amdhsa_exception_fp_ieee_div_zero 0
		.amdhsa_exception_fp_ieee_overflow 0
		.amdhsa_exception_fp_ieee_underflow 0
		.amdhsa_exception_fp_ieee_inexact 0
		.amdhsa_exception_int_div_zero 0
	.end_amdhsa_kernel
	.section	.text._ZN9rocsolver6v33100L18getri_kernel_smallILi39E19rocblas_complex_numIfEPKPS3_EEvT1_iilPiilS8_bb,"axG",@progbits,_ZN9rocsolver6v33100L18getri_kernel_smallILi39E19rocblas_complex_numIfEPKPS3_EEvT1_iilPiilS8_bb,comdat
.Lfunc_end102:
	.size	_ZN9rocsolver6v33100L18getri_kernel_smallILi39E19rocblas_complex_numIfEPKPS3_EEvT1_iilPiilS8_bb, .Lfunc_end102-_ZN9rocsolver6v33100L18getri_kernel_smallILi39E19rocblas_complex_numIfEPKPS3_EEvT1_iilPiilS8_bb
                                        ; -- End function
	.set _ZN9rocsolver6v33100L18getri_kernel_smallILi39E19rocblas_complex_numIfEPKPS3_EEvT1_iilPiilS8_bb.num_vgpr, 228
	.set _ZN9rocsolver6v33100L18getri_kernel_smallILi39E19rocblas_complex_numIfEPKPS3_EEvT1_iilPiilS8_bb.num_agpr, 0
	.set _ZN9rocsolver6v33100L18getri_kernel_smallILi39E19rocblas_complex_numIfEPKPS3_EEvT1_iilPiilS8_bb.numbered_sgpr, 17
	.set _ZN9rocsolver6v33100L18getri_kernel_smallILi39E19rocblas_complex_numIfEPKPS3_EEvT1_iilPiilS8_bb.num_named_barrier, 0
	.set _ZN9rocsolver6v33100L18getri_kernel_smallILi39E19rocblas_complex_numIfEPKPS3_EEvT1_iilPiilS8_bb.private_seg_size, 320
	.set _ZN9rocsolver6v33100L18getri_kernel_smallILi39E19rocblas_complex_numIfEPKPS3_EEvT1_iilPiilS8_bb.uses_vcc, 1
	.set _ZN9rocsolver6v33100L18getri_kernel_smallILi39E19rocblas_complex_numIfEPKPS3_EEvT1_iilPiilS8_bb.uses_flat_scratch, 0
	.set _ZN9rocsolver6v33100L18getri_kernel_smallILi39E19rocblas_complex_numIfEPKPS3_EEvT1_iilPiilS8_bb.has_dyn_sized_stack, 0
	.set _ZN9rocsolver6v33100L18getri_kernel_smallILi39E19rocblas_complex_numIfEPKPS3_EEvT1_iilPiilS8_bb.has_recursion, 0
	.set _ZN9rocsolver6v33100L18getri_kernel_smallILi39E19rocblas_complex_numIfEPKPS3_EEvT1_iilPiilS8_bb.has_indirect_call, 0
	.section	.AMDGPU.csdata,"",@progbits
; Kernel info:
; codeLenInByte = 49096
; TotalNumSgprs: 23
; NumVgprs: 228
; NumAgprs: 0
; TotalNumVgprs: 228
; ScratchSize: 320
; MemoryBound: 0
; FloatMode: 240
; IeeeMode: 1
; LDSByteSize: 632 bytes/workgroup (compile time only)
; SGPRBlocks: 2
; VGPRBlocks: 28
; NumSGPRsForWavesPerEU: 23
; NumVGPRsForWavesPerEU: 228
; AccumOffset: 228
; Occupancy: 2
; WaveLimiterHint : 1
; COMPUTE_PGM_RSRC2:SCRATCH_EN: 1
; COMPUTE_PGM_RSRC2:USER_SGPR: 2
; COMPUTE_PGM_RSRC2:TRAP_HANDLER: 0
; COMPUTE_PGM_RSRC2:TGID_X_EN: 1
; COMPUTE_PGM_RSRC2:TGID_Y_EN: 0
; COMPUTE_PGM_RSRC2:TGID_Z_EN: 0
; COMPUTE_PGM_RSRC2:TIDIG_COMP_CNT: 0
; COMPUTE_PGM_RSRC3_GFX90A:ACCUM_OFFSET: 56
; COMPUTE_PGM_RSRC3_GFX90A:TG_SPLIT: 0
	.section	.text._ZN9rocsolver6v33100L18getri_kernel_smallILi40E19rocblas_complex_numIfEPKPS3_EEvT1_iilPiilS8_bb,"axG",@progbits,_ZN9rocsolver6v33100L18getri_kernel_smallILi40E19rocblas_complex_numIfEPKPS3_EEvT1_iilPiilS8_bb,comdat
	.globl	_ZN9rocsolver6v33100L18getri_kernel_smallILi40E19rocblas_complex_numIfEPKPS3_EEvT1_iilPiilS8_bb ; -- Begin function _ZN9rocsolver6v33100L18getri_kernel_smallILi40E19rocblas_complex_numIfEPKPS3_EEvT1_iilPiilS8_bb
	.p2align	8
	.type	_ZN9rocsolver6v33100L18getri_kernel_smallILi40E19rocblas_complex_numIfEPKPS3_EEvT1_iilPiilS8_bb,@function
_ZN9rocsolver6v33100L18getri_kernel_smallILi40E19rocblas_complex_numIfEPKPS3_EEvT1_iilPiilS8_bb: ; @_ZN9rocsolver6v33100L18getri_kernel_smallILi40E19rocblas_complex_numIfEPKPS3_EEvT1_iilPiilS8_bb
; %bb.0:
	v_cmp_gt_u32_e32 vcc, 40, v0
	s_and_saveexec_b64 s[4:5], vcc
	s_cbranch_execz .LBB103_174
; %bb.1:
	s_load_dword s14, s[0:1], 0x38
	s_load_dwordx2 s[8:9], s[0:1], 0x0
	s_load_dwordx4 s[4:7], s[0:1], 0x28
	s_waitcnt lgkmcnt(0)
	s_bitcmp1_b32 s14, 8
	s_cselect_b64 s[10:11], -1, 0
	s_ashr_i32 s3, s2, 31
	s_lshl_b64 s[12:13], s[2:3], 3
	s_add_u32 s8, s8, s12
	s_addc_u32 s9, s9, s13
	s_load_dwordx2 s[12:13], s[8:9], 0x0
	s_bfe_u32 s8, s14, 0x10008
	s_cmp_eq_u32 s8, 0
                                        ; implicit-def: $sgpr8_sgpr9
	s_cbranch_scc1 .LBB103_3
; %bb.2:
	s_load_dword s8, s[0:1], 0x20
	s_load_dwordx2 s[14:15], s[0:1], 0x18
	s_mul_i32 s9, s4, s3
	s_mul_hi_u32 s16, s4, s2
	s_add_i32 s16, s16, s9
	s_mul_i32 s5, s5, s2
	s_add_i32 s5, s16, s5
	s_mul_i32 s4, s4, s2
	s_waitcnt lgkmcnt(0)
	s_ashr_i32 s9, s8, 31
	s_lshl_b64 s[4:5], s[4:5], 2
	s_add_u32 s14, s14, s4
	s_addc_u32 s15, s15, s5
	s_lshl_b64 s[4:5], s[8:9], 2
	s_add_u32 s8, s14, s4
	s_addc_u32 s9, s15, s5
.LBB103_3:
	s_load_dwordx2 s[4:5], s[0:1], 0x8
	s_load_dword s14, s[0:1], 0x38
	v_lshlrev_b32_e32 v2, 3, v0
	v_mov_b32_e32 v3, 0
	s_waitcnt lgkmcnt(0)
	s_ashr_i32 s1, s4, 31
	s_mov_b32 s0, s4
	s_lshl_b64 s[0:1], s[0:1], 3
	s_add_u32 s0, s12, s0
	s_addc_u32 s1, s13, s1
	v_lshl_add_u64 v[118:119], s[0:1], 0, v[2:3]
	flat_load_dwordx2 v[4:5], v[118:119]
	s_mov_b32 s12, s5
	s_ashr_i32 s13, s5, 31
	v_lshl_add_u64 v[120:121], s[12:13], 3, v[118:119]
	s_add_i32 s4, s5, s5
	v_add_u32_e32 v6, s4, v0
	v_ashrrev_i32_e32 v7, 31, v6
	v_lshl_add_u64 v[122:123], v[6:7], 3, s[0:1]
	v_add_u32_e32 v6, s5, v6
	v_ashrrev_i32_e32 v7, 31, v6
	v_lshl_add_u64 v[124:125], v[6:7], 3, s[0:1]
	;; [unrolled: 3-line block ×25, first 2 shown]
	s_waitcnt vmcnt(0) lgkmcnt(0)
	scratch_store_dwordx2 off, v[4:5], off
	flat_load_dwordx2 v[4:5], v[120:121]
	v_add_u32_e32 v6, s5, v6
	v_ashrrev_i32_e32 v7, 31, v6
	v_lshl_add_u64 v[172:173], v[6:7], 3, s[0:1]
	v_add_u32_e32 v6, s5, v6
	v_ashrrev_i32_e32 v7, 31, v6
	v_lshl_add_u64 v[174:175], v[6:7], 3, s[0:1]
	;; [unrolled: 3-line block ×13, first 2 shown]
	s_bitcmp0_b32 s14, 0
	s_mov_b64 s[4:5], -1
	s_waitcnt vmcnt(0) lgkmcnt(0)
	scratch_store_dwordx2 off, v[4:5], off offset:8
	flat_load_dwordx2 v[4:5], v[122:123]
	s_waitcnt vmcnt(0) lgkmcnt(0)
	scratch_store_dwordx2 off, v[4:5], off offset:16
	flat_load_dwordx2 v[4:5], v[124:125]
	;; [unrolled: 3-line block ×38, first 2 shown]
	s_waitcnt vmcnt(0) lgkmcnt(0)
	scratch_store_dwordx2 off, v[4:5], off offset:312
	s_cbranch_scc1 .LBB103_172
; %bb.4:
	v_cmp_eq_u32_e64 s[0:1], 0, v0
	s_and_saveexec_b64 s[4:5], s[0:1]
; %bb.5:
	v_mov_b32_e32 v1, 0
	ds_write_b32 v1, v1 offset:640
; %bb.6:
	s_or_b64 exec, exec, s[4:5]
	s_waitcnt lgkmcnt(0)
	; wave barrier
	scratch_load_dwordx2 v[4:5], v2, off
	s_waitcnt vmcnt(0)
	v_cmp_eq_f32_e32 vcc, 0, v4
	v_cmp_eq_f32_e64 s[4:5], 0, v5
	s_and_b64 s[4:5], vcc, s[4:5]
	s_and_saveexec_b64 s[12:13], s[4:5]
	s_cbranch_execz .LBB103_10
; %bb.7:
	v_mov_b32_e32 v1, 0
	ds_read_b32 v4, v1 offset:640
	v_add_u32_e32 v3, 1, v0
	s_waitcnt lgkmcnt(0)
	v_readfirstlane_b32 s4, v4
	s_cmp_eq_u32 s4, 0
	s_cselect_b64 s[14:15], -1, 0
	v_cmp_gt_i32_e32 vcc, s4, v3
	s_or_b64 s[14:15], s[14:15], vcc
	s_and_b64 exec, exec, s[14:15]
	s_cbranch_execz .LBB103_10
; %bb.8:
	s_mov_b64 s[14:15], 0
	v_mov_b32_e32 v4, s4
.LBB103_9:                              ; =>This Inner Loop Header: Depth=1
	ds_cmpst_rtn_b32 v4, v1, v4, v3 offset:640
	s_waitcnt lgkmcnt(0)
	v_cmp_ne_u32_e32 vcc, 0, v4
	v_cmp_le_i32_e64 s[4:5], v4, v3
	s_and_b64 s[4:5], vcc, s[4:5]
	s_and_b64 s[4:5], exec, s[4:5]
	s_or_b64 s[14:15], s[4:5], s[14:15]
	s_andn2_b64 exec, exec, s[14:15]
	s_cbranch_execnz .LBB103_9
.LBB103_10:
	s_or_b64 exec, exec, s[12:13]
	v_mov_b32_e32 v3, 0
	; wave barrier
	ds_read_b32 v1, v3 offset:640
	s_and_saveexec_b64 s[4:5], s[0:1]
	s_cbranch_execz .LBB103_12
; %bb.11:
	s_lshl_b64 s[12:13], s[2:3], 2
	s_add_u32 s12, s6, s12
	s_addc_u32 s13, s7, s13
	s_waitcnt lgkmcnt(0)
	global_store_dword v3, v1, s[12:13]
.LBB103_12:
	s_or_b64 exec, exec, s[4:5]
	s_waitcnt lgkmcnt(0)
	v_cmp_ne_u32_e32 vcc, 0, v1
	s_mov_b64 s[4:5], 0
	s_cbranch_vccnz .LBB103_172
; %bb.13:
	v_mov_b32_e32 v3, v2
	scratch_load_dwordx2 v[4:5], v3, off
                                        ; implicit-def: $vgpr7
                                        ; implicit-def: $vgpr8
	s_waitcnt vmcnt(0)
	v_cmp_ngt_f32_e64 s[4:5], |v4|, |v5|
	s_and_saveexec_b64 s[12:13], s[4:5]
	s_xor_b64 s[4:5], exec, s[12:13]
	s_cbranch_execz .LBB103_15
; %bb.14:
	v_div_scale_f32 v1, s[12:13], v5, v5, v4
	v_rcp_f32_e32 v6, v1
	v_div_scale_f32 v7, vcc, v4, v5, v4
	v_fma_f32 v8, -v1, v6, 1.0
	v_fmac_f32_e32 v6, v8, v6
	v_mul_f32_e32 v8, v7, v6
	v_fma_f32 v9, -v1, v8, v7
	v_fmac_f32_e32 v8, v9, v6
	v_fma_f32 v1, -v1, v8, v7
	v_div_fmas_f32 v1, v1, v6, v8
	v_div_fixup_f32 v1, v1, v5, v4
	v_fmac_f32_e32 v5, v4, v1
	v_div_scale_f32 v4, s[12:13], v5, v5, -1.0
	v_rcp_f32_e32 v6, v4
	s_nop 0
	v_fma_f32 v7, -v4, v6, 1.0
	v_fmac_f32_e32 v6, v7, v6
	v_div_scale_f32 v7, vcc, -1.0, v5, -1.0
	v_mul_f32_e32 v8, v7, v6
	v_fma_f32 v9, -v4, v8, v7
	v_fmac_f32_e32 v8, v9, v6
	v_fma_f32 v4, -v4, v8, v7
	v_div_fmas_f32 v4, v4, v6, v8
	v_div_fixup_f32 v7, v4, v5, -1.0
	v_mul_f32_e32 v8, v1, v7
	v_xor_b32_e32 v6, 0x80000000, v8
                                        ; implicit-def: $vgpr4_vgpr5
.LBB103_15:
	s_andn2_saveexec_b64 s[4:5], s[4:5]
	s_cbranch_execz .LBB103_17
; %bb.16:
	v_div_scale_f32 v1, s[12:13], v4, v4, v5
	v_rcp_f32_e32 v6, v1
	v_div_scale_f32 v7, vcc, v5, v4, v5
	v_fma_f32 v8, -v1, v6, 1.0
	v_fmac_f32_e32 v6, v8, v6
	v_mul_f32_e32 v8, v7, v6
	v_fma_f32 v9, -v1, v8, v7
	v_fmac_f32_e32 v8, v9, v6
	v_fma_f32 v1, -v1, v8, v7
	v_div_fmas_f32 v1, v1, v6, v8
	v_div_fixup_f32 v1, v1, v4, v5
	v_fmac_f32_e32 v4, v5, v1
	v_div_scale_f32 v5, s[12:13], v4, v4, 1.0
	v_rcp_f32_e32 v6, v5
	s_nop 0
	v_fma_f32 v7, -v5, v6, 1.0
	v_fmac_f32_e32 v6, v7, v6
	v_div_scale_f32 v7, vcc, 1.0, v4, 1.0
	v_mul_f32_e32 v8, v7, v6
	v_fma_f32 v9, -v5, v8, v7
	v_fmac_f32_e32 v8, v9, v6
	v_fma_f32 v5, -v5, v8, v7
	v_div_fmas_f32 v5, v5, v6, v8
	v_div_fixup_f32 v6, v5, v4, 1.0
	v_xor_b32_e32 v8, 0x80000000, v6
	v_mul_f32_e64 v7, v1, -v6
.LBB103_17:
	s_or_b64 exec, exec, s[4:5]
	scratch_store_dwordx2 v3, v[6:7], off
	scratch_load_dwordx2 v[4:5], off, off offset:8
	v_xor_b32_e32 v9, 0x80000000, v7
	v_add_u32_e32 v1, 0x140, v2
	s_waitcnt vmcnt(0)
	ds_write2_b64 v2, v[8:9], v[4:5] offset1:40
	s_waitcnt lgkmcnt(0)
	; wave barrier
	s_and_saveexec_b64 s[4:5], s[0:1]
	s_cbranch_execz .LBB103_19
; %bb.18:
	scratch_load_dwordx2 v[4:5], v3, off
	ds_read_b64 v[6:7], v1
	v_mov_b32_e32 v8, 0
	ds_read_b64 v[8:9], v8 offset:8
	s_waitcnt vmcnt(0) lgkmcnt(1)
	v_pk_mul_f32 v[10:11], v[6:7], v[4:5] op_sel:[1,1] op_sel_hi:[0,1]
	v_pk_fma_f32 v[12:13], v[6:7], v[4:5], v[10:11] neg_lo:[0,0,1] neg_hi:[0,0,1]
	v_pk_fma_f32 v[4:5], v[6:7], v[4:5], v[10:11] op_sel_hi:[1,0,1]
	s_nop 0
	v_mov_b32_e32 v13, v5
	v_pk_add_f32 v[4:5], v[12:13], 0 op_sel_hi:[1,0]
	s_waitcnt lgkmcnt(0)
	v_pk_mul_f32 v[6:7], v[4:5], v[8:9] op_sel:[1,1] op_sel_hi:[0,1]
	v_pk_fma_f32 v[10:11], v[4:5], v[8:9], v[6:7] neg_lo:[0,0,1] neg_hi:[0,0,1]
	v_pk_fma_f32 v[4:5], v[4:5], v[8:9], v[6:7] op_sel_hi:[1,0,1]
	s_nop 0
	v_mov_b32_e32 v11, v5
	scratch_store_dwordx2 off, v[10:11], off offset:8
.LBB103_19:
	s_or_b64 exec, exec, s[4:5]
	; wave barrier
	scratch_load_dwordx2 v[4:5], off, off offset:16
	v_cmp_gt_u32_e32 vcc, 2, v0
	s_waitcnt vmcnt(0)
	ds_write_b64 v1, v[4:5]
	s_waitcnt lgkmcnt(0)
	; wave barrier
	s_and_saveexec_b64 s[4:5], vcc
	s_cbranch_execz .LBB103_23
; %bb.20:
	scratch_load_dwordx2 v[4:5], v3, off
	ds_read_b64 v[6:7], v1
	s_waitcnt vmcnt(0) lgkmcnt(0)
	v_pk_mul_f32 v[8:9], v[6:7], v[4:5] op_sel:[1,1] op_sel_hi:[0,1]
	v_pk_fma_f32 v[10:11], v[6:7], v[4:5], v[8:9] neg_lo:[0,0,1] neg_hi:[0,0,1]
	v_pk_fma_f32 v[4:5], v[6:7], v[4:5], v[8:9] op_sel_hi:[1,0,1]
	s_nop 0
	v_mov_b32_e32 v11, v5
	v_pk_add_f32 v[4:5], v[10:11], 0 op_sel_hi:[1,0]
	s_and_saveexec_b64 s[12:13], s[0:1]
	s_cbranch_execz .LBB103_22
; %bb.21:
	scratch_load_dwordx2 v[6:7], off, off offset:8
	v_mov_b32_e32 v3, 0
	ds_read_b64 v[8:9], v3 offset:328
	s_waitcnt vmcnt(0) lgkmcnt(0)
	v_pk_mul_f32 v[10:11], v[8:9], v[6:7] op_sel:[1,1] op_sel_hi:[0,1]
	v_pk_fma_f32 v[12:13], v[8:9], v[6:7], v[10:11] neg_lo:[0,0,1] neg_hi:[0,0,1]
	v_pk_fma_f32 v[6:7], v[8:9], v[6:7], v[10:11] op_sel_hi:[1,0,1]
	s_nop 0
	v_mov_b32_e32 v13, v7
	v_pk_add_f32 v[4:5], v[4:5], v[12:13]
.LBB103_22:
	s_or_b64 exec, exec, s[12:13]
	v_mov_b32_e32 v3, 0
	ds_read_b64 v[6:7], v3 offset:16
	s_waitcnt lgkmcnt(0)
	v_pk_mul_f32 v[8:9], v[4:5], v[6:7] op_sel:[1,1] op_sel_hi:[0,1]
	v_pk_fma_f32 v[10:11], v[4:5], v[6:7], v[8:9] neg_lo:[0,0,1] neg_hi:[0,0,1]
	v_pk_fma_f32 v[4:5], v[4:5], v[6:7], v[8:9] op_sel_hi:[1,0,1]
	s_nop 0
	v_mov_b32_e32 v11, v5
	scratch_store_dwordx2 off, v[10:11], off offset:16
.LBB103_23:
	s_or_b64 exec, exec, s[4:5]
	; wave barrier
	scratch_load_dwordx2 v[4:5], off, off offset:24
	v_cmp_gt_u32_e32 vcc, 3, v0
	v_add_u32_e32 v6, -1, v0
	s_waitcnt vmcnt(0)
	ds_write_b64 v1, v[4:5]
	s_waitcnt lgkmcnt(0)
	; wave barrier
	s_and_saveexec_b64 s[0:1], vcc
	s_cbranch_execz .LBB103_27
; %bb.24:
	v_mov_b32_e32 v4, 0
	v_add_u32_e32 v3, -1, v0
	v_add_u32_e32 v7, 0x140, v2
	v_mov_b32_e32 v8, v2
	s_mov_b64 s[4:5], 0
	v_mov_b32_e32 v5, v4
.LBB103_25:                             ; =>This Inner Loop Header: Depth=1
	scratch_load_dwordx2 v[10:11], v8, off
	ds_read_b64 v[12:13], v7
	v_add_u32_e32 v3, 1, v3
	v_cmp_lt_u32_e32 vcc, 1, v3
	v_add_u32_e32 v7, 8, v7
	v_add_u32_e32 v8, 8, v8
	s_or_b64 s[4:5], vcc, s[4:5]
	s_waitcnt vmcnt(0) lgkmcnt(0)
	v_pk_mul_f32 v[14:15], v[12:13], v[10:11] op_sel:[1,1] op_sel_hi:[0,1]
	v_pk_fma_f32 v[16:17], v[12:13], v[10:11], v[14:15] neg_lo:[0,0,1] neg_hi:[0,0,1]
	v_pk_fma_f32 v[10:11], v[12:13], v[10:11], v[14:15] op_sel_hi:[1,0,1]
	s_nop 0
	v_mov_b32_e32 v17, v11
	v_pk_add_f32 v[4:5], v[4:5], v[16:17]
	s_andn2_b64 exec, exec, s[4:5]
	s_cbranch_execnz .LBB103_25
; %bb.26:
	s_or_b64 exec, exec, s[4:5]
	v_mov_b32_e32 v3, 0
	ds_read_b64 v[8:9], v3 offset:24
	s_waitcnt lgkmcnt(0)
	v_pk_mul_f32 v[10:11], v[4:5], v[8:9] op_sel:[1,1] op_sel_hi:[0,1]
	v_pk_fma_f32 v[12:13], v[4:5], v[8:9], v[10:11] neg_lo:[0,0,1] neg_hi:[0,0,1]
	v_pk_fma_f32 v[4:5], v[4:5], v[8:9], v[10:11] op_sel_hi:[1,0,1]
	s_nop 0
	v_mov_b32_e32 v13, v5
	scratch_store_dwordx2 off, v[12:13], off offset:24
.LBB103_27:
	s_or_b64 exec, exec, s[0:1]
	; wave barrier
	scratch_load_dwordx2 v[4:5], off, off offset:32
	v_cmp_gt_u32_e32 vcc, 4, v0
	s_waitcnt vmcnt(0)
	ds_write_b64 v1, v[4:5]
	s_waitcnt lgkmcnt(0)
	; wave barrier
	s_and_saveexec_b64 s[0:1], vcc
	s_cbranch_execz .LBB103_31
; %bb.28:
	v_mov_b32_e32 v4, 0
	v_add_u32_e32 v3, -1, v0
	v_add_u32_e32 v7, 0x140, v2
	v_mov_b32_e32 v8, v2
	s_mov_b64 s[4:5], 0
	v_mov_b32_e32 v5, v4
.LBB103_29:                             ; =>This Inner Loop Header: Depth=1
	scratch_load_dwordx2 v[10:11], v8, off
	ds_read_b64 v[12:13], v7
	v_add_u32_e32 v3, 1, v3
	v_cmp_lt_u32_e32 vcc, 2, v3
	v_add_u32_e32 v7, 8, v7
	v_add_u32_e32 v8, 8, v8
	s_or_b64 s[4:5], vcc, s[4:5]
	s_waitcnt vmcnt(0) lgkmcnt(0)
	v_pk_mul_f32 v[14:15], v[12:13], v[10:11] op_sel:[1,1] op_sel_hi:[0,1]
	v_pk_fma_f32 v[16:17], v[12:13], v[10:11], v[14:15] neg_lo:[0,0,1] neg_hi:[0,0,1]
	v_pk_fma_f32 v[10:11], v[12:13], v[10:11], v[14:15] op_sel_hi:[1,0,1]
	s_nop 0
	v_mov_b32_e32 v17, v11
	v_pk_add_f32 v[4:5], v[4:5], v[16:17]
	s_andn2_b64 exec, exec, s[4:5]
	s_cbranch_execnz .LBB103_29
; %bb.30:
	s_or_b64 exec, exec, s[4:5]
	v_mov_b32_e32 v3, 0
	ds_read_b64 v[8:9], v3 offset:32
	s_waitcnt lgkmcnt(0)
	v_pk_mul_f32 v[10:11], v[4:5], v[8:9] op_sel:[1,1] op_sel_hi:[0,1]
	v_pk_fma_f32 v[12:13], v[4:5], v[8:9], v[10:11] neg_lo:[0,0,1] neg_hi:[0,0,1]
	v_pk_fma_f32 v[4:5], v[4:5], v[8:9], v[10:11] op_sel_hi:[1,0,1]
	s_nop 0
	v_mov_b32_e32 v13, v5
	scratch_store_dwordx2 off, v[12:13], off offset:32
.LBB103_31:
	s_or_b64 exec, exec, s[0:1]
	; wave barrier
	scratch_load_dwordx2 v[4:5], off, off offset:40
	v_cmp_gt_u32_e32 vcc, 5, v0
	;; [unrolled: 46-line block ×19, first 2 shown]
	s_waitcnt vmcnt(0)
	ds_write_b64 v1, v[4:5]
	s_waitcnt lgkmcnt(0)
	; wave barrier
	s_and_saveexec_b64 s[0:1], vcc
	s_cbranch_execz .LBB103_103
; %bb.100:
	v_mov_b32_e32 v4, 0
	v_add_u32_e32 v3, -1, v0
	v_add_u32_e32 v7, 0x140, v2
	v_mov_b32_e32 v8, v2
	s_mov_b64 s[4:5], 0
	v_mov_b32_e32 v5, v4
.LBB103_101:                            ; =>This Inner Loop Header: Depth=1
	scratch_load_dwordx2 v[10:11], v8, off
	ds_read_b64 v[12:13], v7
	v_add_u32_e32 v3, 1, v3
	v_cmp_lt_u32_e32 vcc, 20, v3
	v_add_u32_e32 v7, 8, v7
	v_add_u32_e32 v8, 8, v8
	s_or_b64 s[4:5], vcc, s[4:5]
	s_waitcnt vmcnt(0) lgkmcnt(0)
	v_pk_mul_f32 v[14:15], v[12:13], v[10:11] op_sel:[1,1] op_sel_hi:[0,1]
	v_pk_fma_f32 v[16:17], v[12:13], v[10:11], v[14:15] neg_lo:[0,0,1] neg_hi:[0,0,1]
	v_pk_fma_f32 v[10:11], v[12:13], v[10:11], v[14:15] op_sel_hi:[1,0,1]
	s_nop 0
	v_mov_b32_e32 v17, v11
	v_pk_add_f32 v[4:5], v[4:5], v[16:17]
	s_andn2_b64 exec, exec, s[4:5]
	s_cbranch_execnz .LBB103_101
; %bb.102:
	s_or_b64 exec, exec, s[4:5]
	v_mov_b32_e32 v3, 0
	ds_read_b64 v[8:9], v3 offset:176
	s_waitcnt lgkmcnt(0)
	v_pk_mul_f32 v[10:11], v[4:5], v[8:9] op_sel:[1,1] op_sel_hi:[0,1]
	v_pk_fma_f32 v[12:13], v[4:5], v[8:9], v[10:11] neg_lo:[0,0,1] neg_hi:[0,0,1]
	v_pk_fma_f32 v[4:5], v[4:5], v[8:9], v[10:11] op_sel_hi:[1,0,1]
	s_nop 0
	v_mov_b32_e32 v13, v5
	scratch_store_dwordx2 off, v[12:13], off offset:176
.LBB103_103:
	s_or_b64 exec, exec, s[0:1]
	; wave barrier
	scratch_load_dwordx2 v[4:5], off, off offset:184
	v_cmp_gt_u32_e32 vcc, 23, v0
	s_waitcnt vmcnt(0)
	ds_write_b64 v1, v[4:5]
	s_waitcnt lgkmcnt(0)
	; wave barrier
	s_and_saveexec_b64 s[0:1], vcc
	s_cbranch_execz .LBB103_107
; %bb.104:
	v_mov_b32_e32 v4, 0
	v_add_u32_e32 v3, -1, v0
	v_add_u32_e32 v7, 0x140, v2
	v_mov_b32_e32 v8, v2
	s_mov_b64 s[4:5], 0
	v_mov_b32_e32 v5, v4
.LBB103_105:                            ; =>This Inner Loop Header: Depth=1
	scratch_load_dwordx2 v[10:11], v8, off
	ds_read_b64 v[12:13], v7
	v_add_u32_e32 v3, 1, v3
	v_cmp_lt_u32_e32 vcc, 21, v3
	v_add_u32_e32 v7, 8, v7
	v_add_u32_e32 v8, 8, v8
	s_or_b64 s[4:5], vcc, s[4:5]
	s_waitcnt vmcnt(0) lgkmcnt(0)
	v_pk_mul_f32 v[14:15], v[12:13], v[10:11] op_sel:[1,1] op_sel_hi:[0,1]
	v_pk_fma_f32 v[16:17], v[12:13], v[10:11], v[14:15] neg_lo:[0,0,1] neg_hi:[0,0,1]
	v_pk_fma_f32 v[10:11], v[12:13], v[10:11], v[14:15] op_sel_hi:[1,0,1]
	s_nop 0
	v_mov_b32_e32 v17, v11
	v_pk_add_f32 v[4:5], v[4:5], v[16:17]
	s_andn2_b64 exec, exec, s[4:5]
	s_cbranch_execnz .LBB103_105
; %bb.106:
	s_or_b64 exec, exec, s[4:5]
	v_mov_b32_e32 v3, 0
	ds_read_b64 v[8:9], v3 offset:184
	s_waitcnt lgkmcnt(0)
	v_pk_mul_f32 v[10:11], v[4:5], v[8:9] op_sel:[1,1] op_sel_hi:[0,1]
	v_pk_fma_f32 v[12:13], v[4:5], v[8:9], v[10:11] neg_lo:[0,0,1] neg_hi:[0,0,1]
	v_pk_fma_f32 v[4:5], v[4:5], v[8:9], v[10:11] op_sel_hi:[1,0,1]
	s_nop 0
	v_mov_b32_e32 v13, v5
	scratch_store_dwordx2 off, v[12:13], off offset:184
.LBB103_107:
	s_or_b64 exec, exec, s[0:1]
	; wave barrier
	scratch_load_dwordx2 v[4:5], off, off offset:192
	v_cmp_gt_u32_e32 vcc, 24, v0
	s_waitcnt vmcnt(0)
	ds_write_b64 v1, v[4:5]
	s_waitcnt lgkmcnt(0)
	; wave barrier
	s_and_saveexec_b64 s[0:1], vcc
	s_cbranch_execz .LBB103_111
; %bb.108:
	v_mov_b32_e32 v4, 0
	v_add_u32_e32 v3, -1, v0
	v_add_u32_e32 v7, 0x140, v2
	v_mov_b32_e32 v8, v2
	s_mov_b64 s[4:5], 0
	v_mov_b32_e32 v5, v4
.LBB103_109:                            ; =>This Inner Loop Header: Depth=1
	scratch_load_dwordx2 v[10:11], v8, off
	ds_read_b64 v[12:13], v7
	v_add_u32_e32 v3, 1, v3
	v_cmp_lt_u32_e32 vcc, 22, v3
	v_add_u32_e32 v7, 8, v7
	v_add_u32_e32 v8, 8, v8
	s_or_b64 s[4:5], vcc, s[4:5]
	s_waitcnt vmcnt(0) lgkmcnt(0)
	v_pk_mul_f32 v[14:15], v[12:13], v[10:11] op_sel:[1,1] op_sel_hi:[0,1]
	v_pk_fma_f32 v[16:17], v[12:13], v[10:11], v[14:15] neg_lo:[0,0,1] neg_hi:[0,0,1]
	v_pk_fma_f32 v[10:11], v[12:13], v[10:11], v[14:15] op_sel_hi:[1,0,1]
	s_nop 0
	v_mov_b32_e32 v17, v11
	v_pk_add_f32 v[4:5], v[4:5], v[16:17]
	s_andn2_b64 exec, exec, s[4:5]
	s_cbranch_execnz .LBB103_109
; %bb.110:
	s_or_b64 exec, exec, s[4:5]
	v_mov_b32_e32 v3, 0
	ds_read_b64 v[8:9], v3 offset:192
	s_waitcnt lgkmcnt(0)
	v_pk_mul_f32 v[10:11], v[4:5], v[8:9] op_sel:[1,1] op_sel_hi:[0,1]
	v_pk_fma_f32 v[12:13], v[4:5], v[8:9], v[10:11] neg_lo:[0,0,1] neg_hi:[0,0,1]
	v_pk_fma_f32 v[4:5], v[4:5], v[8:9], v[10:11] op_sel_hi:[1,0,1]
	s_nop 0
	v_mov_b32_e32 v13, v5
	scratch_store_dwordx2 off, v[12:13], off offset:192
.LBB103_111:
	s_or_b64 exec, exec, s[0:1]
	; wave barrier
	scratch_load_dwordx2 v[4:5], off, off offset:200
	v_cmp_gt_u32_e32 vcc, 25, v0
	s_waitcnt vmcnt(0)
	ds_write_b64 v1, v[4:5]
	s_waitcnt lgkmcnt(0)
	; wave barrier
	s_and_saveexec_b64 s[0:1], vcc
	s_cbranch_execz .LBB103_115
; %bb.112:
	v_mov_b32_e32 v4, 0
	v_add_u32_e32 v3, -1, v0
	v_add_u32_e32 v7, 0x140, v2
	v_mov_b32_e32 v8, v2
	s_mov_b64 s[4:5], 0
	v_mov_b32_e32 v5, v4
.LBB103_113:                            ; =>This Inner Loop Header: Depth=1
	scratch_load_dwordx2 v[10:11], v8, off
	ds_read_b64 v[12:13], v7
	v_add_u32_e32 v3, 1, v3
	v_cmp_lt_u32_e32 vcc, 23, v3
	v_add_u32_e32 v7, 8, v7
	v_add_u32_e32 v8, 8, v8
	s_or_b64 s[4:5], vcc, s[4:5]
	s_waitcnt vmcnt(0) lgkmcnt(0)
	v_pk_mul_f32 v[14:15], v[12:13], v[10:11] op_sel:[1,1] op_sel_hi:[0,1]
	v_pk_fma_f32 v[16:17], v[12:13], v[10:11], v[14:15] neg_lo:[0,0,1] neg_hi:[0,0,1]
	v_pk_fma_f32 v[10:11], v[12:13], v[10:11], v[14:15] op_sel_hi:[1,0,1]
	s_nop 0
	v_mov_b32_e32 v17, v11
	v_pk_add_f32 v[4:5], v[4:5], v[16:17]
	s_andn2_b64 exec, exec, s[4:5]
	s_cbranch_execnz .LBB103_113
; %bb.114:
	s_or_b64 exec, exec, s[4:5]
	v_mov_b32_e32 v3, 0
	ds_read_b64 v[8:9], v3 offset:200
	s_waitcnt lgkmcnt(0)
	v_pk_mul_f32 v[10:11], v[4:5], v[8:9] op_sel:[1,1] op_sel_hi:[0,1]
	v_pk_fma_f32 v[12:13], v[4:5], v[8:9], v[10:11] neg_lo:[0,0,1] neg_hi:[0,0,1]
	v_pk_fma_f32 v[4:5], v[4:5], v[8:9], v[10:11] op_sel_hi:[1,0,1]
	s_nop 0
	v_mov_b32_e32 v13, v5
	scratch_store_dwordx2 off, v[12:13], off offset:200
.LBB103_115:
	s_or_b64 exec, exec, s[0:1]
	; wave barrier
	scratch_load_dwordx2 v[4:5], off, off offset:208
	v_cmp_gt_u32_e32 vcc, 26, v0
	s_waitcnt vmcnt(0)
	ds_write_b64 v1, v[4:5]
	s_waitcnt lgkmcnt(0)
	; wave barrier
	s_and_saveexec_b64 s[0:1], vcc
	s_cbranch_execz .LBB103_119
; %bb.116:
	v_mov_b32_e32 v4, 0
	v_add_u32_e32 v3, -1, v0
	v_add_u32_e32 v7, 0x140, v2
	v_mov_b32_e32 v8, v2
	s_mov_b64 s[4:5], 0
	v_mov_b32_e32 v5, v4
.LBB103_117:                            ; =>This Inner Loop Header: Depth=1
	scratch_load_dwordx2 v[10:11], v8, off
	ds_read_b64 v[12:13], v7
	v_add_u32_e32 v3, 1, v3
	v_cmp_lt_u32_e32 vcc, 24, v3
	v_add_u32_e32 v7, 8, v7
	v_add_u32_e32 v8, 8, v8
	s_or_b64 s[4:5], vcc, s[4:5]
	s_waitcnt vmcnt(0) lgkmcnt(0)
	v_pk_mul_f32 v[14:15], v[12:13], v[10:11] op_sel:[1,1] op_sel_hi:[0,1]
	v_pk_fma_f32 v[16:17], v[12:13], v[10:11], v[14:15] neg_lo:[0,0,1] neg_hi:[0,0,1]
	v_pk_fma_f32 v[10:11], v[12:13], v[10:11], v[14:15] op_sel_hi:[1,0,1]
	s_nop 0
	v_mov_b32_e32 v17, v11
	v_pk_add_f32 v[4:5], v[4:5], v[16:17]
	s_andn2_b64 exec, exec, s[4:5]
	s_cbranch_execnz .LBB103_117
; %bb.118:
	s_or_b64 exec, exec, s[4:5]
	v_mov_b32_e32 v3, 0
	ds_read_b64 v[8:9], v3 offset:208
	s_waitcnt lgkmcnt(0)
	v_pk_mul_f32 v[10:11], v[4:5], v[8:9] op_sel:[1,1] op_sel_hi:[0,1]
	v_pk_fma_f32 v[12:13], v[4:5], v[8:9], v[10:11] neg_lo:[0,0,1] neg_hi:[0,0,1]
	v_pk_fma_f32 v[4:5], v[4:5], v[8:9], v[10:11] op_sel_hi:[1,0,1]
	s_nop 0
	v_mov_b32_e32 v13, v5
	scratch_store_dwordx2 off, v[12:13], off offset:208
.LBB103_119:
	s_or_b64 exec, exec, s[0:1]
	; wave barrier
	scratch_load_dwordx2 v[4:5], off, off offset:216
	v_cmp_gt_u32_e32 vcc, 27, v0
	s_waitcnt vmcnt(0)
	ds_write_b64 v1, v[4:5]
	s_waitcnt lgkmcnt(0)
	; wave barrier
	s_and_saveexec_b64 s[0:1], vcc
	s_cbranch_execz .LBB103_123
; %bb.120:
	v_mov_b32_e32 v4, 0
	v_add_u32_e32 v3, -1, v0
	v_add_u32_e32 v7, 0x140, v2
	v_mov_b32_e32 v8, v2
	s_mov_b64 s[4:5], 0
	v_mov_b32_e32 v5, v4
.LBB103_121:                            ; =>This Inner Loop Header: Depth=1
	scratch_load_dwordx2 v[10:11], v8, off
	ds_read_b64 v[12:13], v7
	v_add_u32_e32 v3, 1, v3
	v_cmp_lt_u32_e32 vcc, 25, v3
	v_add_u32_e32 v7, 8, v7
	v_add_u32_e32 v8, 8, v8
	s_or_b64 s[4:5], vcc, s[4:5]
	s_waitcnt vmcnt(0) lgkmcnt(0)
	v_pk_mul_f32 v[14:15], v[12:13], v[10:11] op_sel:[1,1] op_sel_hi:[0,1]
	v_pk_fma_f32 v[16:17], v[12:13], v[10:11], v[14:15] neg_lo:[0,0,1] neg_hi:[0,0,1]
	v_pk_fma_f32 v[10:11], v[12:13], v[10:11], v[14:15] op_sel_hi:[1,0,1]
	s_nop 0
	v_mov_b32_e32 v17, v11
	v_pk_add_f32 v[4:5], v[4:5], v[16:17]
	s_andn2_b64 exec, exec, s[4:5]
	s_cbranch_execnz .LBB103_121
; %bb.122:
	s_or_b64 exec, exec, s[4:5]
	v_mov_b32_e32 v3, 0
	ds_read_b64 v[8:9], v3 offset:216
	s_waitcnt lgkmcnt(0)
	v_pk_mul_f32 v[10:11], v[4:5], v[8:9] op_sel:[1,1] op_sel_hi:[0,1]
	v_pk_fma_f32 v[12:13], v[4:5], v[8:9], v[10:11] neg_lo:[0,0,1] neg_hi:[0,0,1]
	v_pk_fma_f32 v[4:5], v[4:5], v[8:9], v[10:11] op_sel_hi:[1,0,1]
	s_nop 0
	v_mov_b32_e32 v13, v5
	scratch_store_dwordx2 off, v[12:13], off offset:216
.LBB103_123:
	s_or_b64 exec, exec, s[0:1]
	; wave barrier
	scratch_load_dwordx2 v[4:5], off, off offset:224
	v_cmp_gt_u32_e32 vcc, 28, v0
	s_waitcnt vmcnt(0)
	ds_write_b64 v1, v[4:5]
	s_waitcnt lgkmcnt(0)
	; wave barrier
	s_and_saveexec_b64 s[0:1], vcc
	s_cbranch_execz .LBB103_127
; %bb.124:
	v_mov_b32_e32 v4, 0
	v_add_u32_e32 v3, -1, v0
	v_add_u32_e32 v7, 0x140, v2
	v_mov_b32_e32 v8, v2
	s_mov_b64 s[4:5], 0
	v_mov_b32_e32 v5, v4
.LBB103_125:                            ; =>This Inner Loop Header: Depth=1
	scratch_load_dwordx2 v[10:11], v8, off
	ds_read_b64 v[12:13], v7
	v_add_u32_e32 v3, 1, v3
	v_cmp_lt_u32_e32 vcc, 26, v3
	v_add_u32_e32 v7, 8, v7
	v_add_u32_e32 v8, 8, v8
	s_or_b64 s[4:5], vcc, s[4:5]
	s_waitcnt vmcnt(0) lgkmcnt(0)
	v_pk_mul_f32 v[14:15], v[12:13], v[10:11] op_sel:[1,1] op_sel_hi:[0,1]
	v_pk_fma_f32 v[16:17], v[12:13], v[10:11], v[14:15] neg_lo:[0,0,1] neg_hi:[0,0,1]
	v_pk_fma_f32 v[10:11], v[12:13], v[10:11], v[14:15] op_sel_hi:[1,0,1]
	s_nop 0
	v_mov_b32_e32 v17, v11
	v_pk_add_f32 v[4:5], v[4:5], v[16:17]
	s_andn2_b64 exec, exec, s[4:5]
	s_cbranch_execnz .LBB103_125
; %bb.126:
	s_or_b64 exec, exec, s[4:5]
	v_mov_b32_e32 v3, 0
	ds_read_b64 v[8:9], v3 offset:224
	s_waitcnt lgkmcnt(0)
	v_pk_mul_f32 v[10:11], v[4:5], v[8:9] op_sel:[1,1] op_sel_hi:[0,1]
	v_pk_fma_f32 v[12:13], v[4:5], v[8:9], v[10:11] neg_lo:[0,0,1] neg_hi:[0,0,1]
	v_pk_fma_f32 v[4:5], v[4:5], v[8:9], v[10:11] op_sel_hi:[1,0,1]
	s_nop 0
	v_mov_b32_e32 v13, v5
	scratch_store_dwordx2 off, v[12:13], off offset:224
.LBB103_127:
	s_or_b64 exec, exec, s[0:1]
	; wave barrier
	scratch_load_dwordx2 v[4:5], off, off offset:232
	v_cmp_gt_u32_e32 vcc, 29, v0
	s_waitcnt vmcnt(0)
	ds_write_b64 v1, v[4:5]
	s_waitcnt lgkmcnt(0)
	; wave barrier
	s_and_saveexec_b64 s[0:1], vcc
	s_cbranch_execz .LBB103_131
; %bb.128:
	v_mov_b32_e32 v4, 0
	v_add_u32_e32 v3, -1, v0
	v_add_u32_e32 v7, 0x140, v2
	v_mov_b32_e32 v8, v2
	s_mov_b64 s[4:5], 0
	v_mov_b32_e32 v5, v4
.LBB103_129:                            ; =>This Inner Loop Header: Depth=1
	scratch_load_dwordx2 v[10:11], v8, off
	ds_read_b64 v[12:13], v7
	v_add_u32_e32 v3, 1, v3
	v_cmp_lt_u32_e32 vcc, 27, v3
	v_add_u32_e32 v7, 8, v7
	v_add_u32_e32 v8, 8, v8
	s_or_b64 s[4:5], vcc, s[4:5]
	s_waitcnt vmcnt(0) lgkmcnt(0)
	v_pk_mul_f32 v[14:15], v[12:13], v[10:11] op_sel:[1,1] op_sel_hi:[0,1]
	v_pk_fma_f32 v[16:17], v[12:13], v[10:11], v[14:15] neg_lo:[0,0,1] neg_hi:[0,0,1]
	v_pk_fma_f32 v[10:11], v[12:13], v[10:11], v[14:15] op_sel_hi:[1,0,1]
	s_nop 0
	v_mov_b32_e32 v17, v11
	v_pk_add_f32 v[4:5], v[4:5], v[16:17]
	s_andn2_b64 exec, exec, s[4:5]
	s_cbranch_execnz .LBB103_129
; %bb.130:
	s_or_b64 exec, exec, s[4:5]
	v_mov_b32_e32 v3, 0
	ds_read_b64 v[8:9], v3 offset:232
	s_waitcnt lgkmcnt(0)
	v_pk_mul_f32 v[10:11], v[4:5], v[8:9] op_sel:[1,1] op_sel_hi:[0,1]
	v_pk_fma_f32 v[12:13], v[4:5], v[8:9], v[10:11] neg_lo:[0,0,1] neg_hi:[0,0,1]
	v_pk_fma_f32 v[4:5], v[4:5], v[8:9], v[10:11] op_sel_hi:[1,0,1]
	s_nop 0
	v_mov_b32_e32 v13, v5
	scratch_store_dwordx2 off, v[12:13], off offset:232
.LBB103_131:
	s_or_b64 exec, exec, s[0:1]
	; wave barrier
	scratch_load_dwordx2 v[4:5], off, off offset:240
	v_cmp_gt_u32_e32 vcc, 30, v0
	s_waitcnt vmcnt(0)
	ds_write_b64 v1, v[4:5]
	s_waitcnt lgkmcnt(0)
	; wave barrier
	s_and_saveexec_b64 s[0:1], vcc
	s_cbranch_execz .LBB103_135
; %bb.132:
	v_mov_b32_e32 v4, 0
	v_add_u32_e32 v3, -1, v0
	v_add_u32_e32 v7, 0x140, v2
	v_mov_b32_e32 v8, v2
	s_mov_b64 s[4:5], 0
	v_mov_b32_e32 v5, v4
.LBB103_133:                            ; =>This Inner Loop Header: Depth=1
	scratch_load_dwordx2 v[10:11], v8, off
	ds_read_b64 v[12:13], v7
	v_add_u32_e32 v3, 1, v3
	v_cmp_lt_u32_e32 vcc, 28, v3
	v_add_u32_e32 v7, 8, v7
	v_add_u32_e32 v8, 8, v8
	s_or_b64 s[4:5], vcc, s[4:5]
	s_waitcnt vmcnt(0) lgkmcnt(0)
	v_pk_mul_f32 v[14:15], v[12:13], v[10:11] op_sel:[1,1] op_sel_hi:[0,1]
	v_pk_fma_f32 v[16:17], v[12:13], v[10:11], v[14:15] neg_lo:[0,0,1] neg_hi:[0,0,1]
	v_pk_fma_f32 v[10:11], v[12:13], v[10:11], v[14:15] op_sel_hi:[1,0,1]
	s_nop 0
	v_mov_b32_e32 v17, v11
	v_pk_add_f32 v[4:5], v[4:5], v[16:17]
	s_andn2_b64 exec, exec, s[4:5]
	s_cbranch_execnz .LBB103_133
; %bb.134:
	s_or_b64 exec, exec, s[4:5]
	v_mov_b32_e32 v3, 0
	ds_read_b64 v[8:9], v3 offset:240
	s_waitcnt lgkmcnt(0)
	v_pk_mul_f32 v[10:11], v[4:5], v[8:9] op_sel:[1,1] op_sel_hi:[0,1]
	v_pk_fma_f32 v[12:13], v[4:5], v[8:9], v[10:11] neg_lo:[0,0,1] neg_hi:[0,0,1]
	v_pk_fma_f32 v[4:5], v[4:5], v[8:9], v[10:11] op_sel_hi:[1,0,1]
	s_nop 0
	v_mov_b32_e32 v13, v5
	scratch_store_dwordx2 off, v[12:13], off offset:240
.LBB103_135:
	s_or_b64 exec, exec, s[0:1]
	; wave barrier
	scratch_load_dwordx2 v[4:5], off, off offset:248
	v_cmp_gt_u32_e32 vcc, 31, v0
	s_waitcnt vmcnt(0)
	ds_write_b64 v1, v[4:5]
	s_waitcnt lgkmcnt(0)
	; wave barrier
	s_and_saveexec_b64 s[0:1], vcc
	s_cbranch_execz .LBB103_139
; %bb.136:
	v_mov_b32_e32 v4, 0
	v_add_u32_e32 v3, -1, v0
	v_add_u32_e32 v7, 0x140, v2
	v_mov_b32_e32 v8, v2
	s_mov_b64 s[4:5], 0
	v_mov_b32_e32 v5, v4
.LBB103_137:                            ; =>This Inner Loop Header: Depth=1
	scratch_load_dwordx2 v[10:11], v8, off
	ds_read_b64 v[12:13], v7
	v_add_u32_e32 v3, 1, v3
	v_cmp_lt_u32_e32 vcc, 29, v3
	v_add_u32_e32 v7, 8, v7
	v_add_u32_e32 v8, 8, v8
	s_or_b64 s[4:5], vcc, s[4:5]
	s_waitcnt vmcnt(0) lgkmcnt(0)
	v_pk_mul_f32 v[14:15], v[12:13], v[10:11] op_sel:[1,1] op_sel_hi:[0,1]
	v_pk_fma_f32 v[16:17], v[12:13], v[10:11], v[14:15] neg_lo:[0,0,1] neg_hi:[0,0,1]
	v_pk_fma_f32 v[10:11], v[12:13], v[10:11], v[14:15] op_sel_hi:[1,0,1]
	s_nop 0
	v_mov_b32_e32 v17, v11
	v_pk_add_f32 v[4:5], v[4:5], v[16:17]
	s_andn2_b64 exec, exec, s[4:5]
	s_cbranch_execnz .LBB103_137
; %bb.138:
	s_or_b64 exec, exec, s[4:5]
	v_mov_b32_e32 v3, 0
	ds_read_b64 v[8:9], v3 offset:248
	s_waitcnt lgkmcnt(0)
	v_pk_mul_f32 v[10:11], v[4:5], v[8:9] op_sel:[1,1] op_sel_hi:[0,1]
	v_pk_fma_f32 v[12:13], v[4:5], v[8:9], v[10:11] neg_lo:[0,0,1] neg_hi:[0,0,1]
	v_pk_fma_f32 v[4:5], v[4:5], v[8:9], v[10:11] op_sel_hi:[1,0,1]
	s_nop 0
	v_mov_b32_e32 v13, v5
	scratch_store_dwordx2 off, v[12:13], off offset:248
.LBB103_139:
	s_or_b64 exec, exec, s[0:1]
	; wave barrier
	scratch_load_dwordx2 v[4:5], off, off offset:256
	v_cmp_gt_u32_e32 vcc, 32, v0
	s_waitcnt vmcnt(0)
	ds_write_b64 v1, v[4:5]
	s_waitcnt lgkmcnt(0)
	; wave barrier
	s_and_saveexec_b64 s[0:1], vcc
	s_cbranch_execz .LBB103_143
; %bb.140:
	v_mov_b32_e32 v4, 0
	v_add_u32_e32 v3, -1, v0
	v_add_u32_e32 v7, 0x140, v2
	v_mov_b32_e32 v8, v2
	s_mov_b64 s[4:5], 0
	v_mov_b32_e32 v5, v4
.LBB103_141:                            ; =>This Inner Loop Header: Depth=1
	scratch_load_dwordx2 v[10:11], v8, off
	ds_read_b64 v[12:13], v7
	v_add_u32_e32 v3, 1, v3
	v_cmp_lt_u32_e32 vcc, 30, v3
	v_add_u32_e32 v7, 8, v7
	v_add_u32_e32 v8, 8, v8
	s_or_b64 s[4:5], vcc, s[4:5]
	s_waitcnt vmcnt(0) lgkmcnt(0)
	v_pk_mul_f32 v[14:15], v[12:13], v[10:11] op_sel:[1,1] op_sel_hi:[0,1]
	v_pk_fma_f32 v[16:17], v[12:13], v[10:11], v[14:15] neg_lo:[0,0,1] neg_hi:[0,0,1]
	v_pk_fma_f32 v[10:11], v[12:13], v[10:11], v[14:15] op_sel_hi:[1,0,1]
	s_nop 0
	v_mov_b32_e32 v17, v11
	v_pk_add_f32 v[4:5], v[4:5], v[16:17]
	s_andn2_b64 exec, exec, s[4:5]
	s_cbranch_execnz .LBB103_141
; %bb.142:
	s_or_b64 exec, exec, s[4:5]
	v_mov_b32_e32 v3, 0
	ds_read_b64 v[8:9], v3 offset:256
	s_waitcnt lgkmcnt(0)
	v_pk_mul_f32 v[10:11], v[4:5], v[8:9] op_sel:[1,1] op_sel_hi:[0,1]
	v_pk_fma_f32 v[12:13], v[4:5], v[8:9], v[10:11] neg_lo:[0,0,1] neg_hi:[0,0,1]
	v_pk_fma_f32 v[4:5], v[4:5], v[8:9], v[10:11] op_sel_hi:[1,0,1]
	s_nop 0
	v_mov_b32_e32 v13, v5
	scratch_store_dwordx2 off, v[12:13], off offset:256
.LBB103_143:
	s_or_b64 exec, exec, s[0:1]
	; wave barrier
	scratch_load_dwordx2 v[4:5], off, off offset:264
	v_cmp_gt_u32_e32 vcc, 33, v0
	s_waitcnt vmcnt(0)
	ds_write_b64 v1, v[4:5]
	s_waitcnt lgkmcnt(0)
	; wave barrier
	s_and_saveexec_b64 s[0:1], vcc
	s_cbranch_execz .LBB103_147
; %bb.144:
	v_mov_b32_e32 v4, 0
	v_add_u32_e32 v3, -1, v0
	v_add_u32_e32 v7, 0x140, v2
	v_mov_b32_e32 v8, v2
	s_mov_b64 s[4:5], 0
	v_mov_b32_e32 v5, v4
.LBB103_145:                            ; =>This Inner Loop Header: Depth=1
	scratch_load_dwordx2 v[10:11], v8, off
	ds_read_b64 v[12:13], v7
	v_add_u32_e32 v3, 1, v3
	v_cmp_lt_u32_e32 vcc, 31, v3
	v_add_u32_e32 v7, 8, v7
	v_add_u32_e32 v8, 8, v8
	s_or_b64 s[4:5], vcc, s[4:5]
	s_waitcnt vmcnt(0) lgkmcnt(0)
	v_pk_mul_f32 v[14:15], v[12:13], v[10:11] op_sel:[1,1] op_sel_hi:[0,1]
	v_pk_fma_f32 v[16:17], v[12:13], v[10:11], v[14:15] neg_lo:[0,0,1] neg_hi:[0,0,1]
	v_pk_fma_f32 v[10:11], v[12:13], v[10:11], v[14:15] op_sel_hi:[1,0,1]
	s_nop 0
	v_mov_b32_e32 v17, v11
	v_pk_add_f32 v[4:5], v[4:5], v[16:17]
	s_andn2_b64 exec, exec, s[4:5]
	s_cbranch_execnz .LBB103_145
; %bb.146:
	s_or_b64 exec, exec, s[4:5]
	v_mov_b32_e32 v3, 0
	ds_read_b64 v[8:9], v3 offset:264
	s_waitcnt lgkmcnt(0)
	v_pk_mul_f32 v[10:11], v[4:5], v[8:9] op_sel:[1,1] op_sel_hi:[0,1]
	v_pk_fma_f32 v[12:13], v[4:5], v[8:9], v[10:11] neg_lo:[0,0,1] neg_hi:[0,0,1]
	v_pk_fma_f32 v[4:5], v[4:5], v[8:9], v[10:11] op_sel_hi:[1,0,1]
	s_nop 0
	v_mov_b32_e32 v13, v5
	scratch_store_dwordx2 off, v[12:13], off offset:264
.LBB103_147:
	s_or_b64 exec, exec, s[0:1]
	; wave barrier
	scratch_load_dwordx2 v[4:5], off, off offset:272
	v_cmp_gt_u32_e32 vcc, 34, v0
	s_waitcnt vmcnt(0)
	ds_write_b64 v1, v[4:5]
	s_waitcnt lgkmcnt(0)
	; wave barrier
	s_and_saveexec_b64 s[0:1], vcc
	s_cbranch_execz .LBB103_151
; %bb.148:
	v_mov_b32_e32 v4, 0
	v_add_u32_e32 v3, -1, v0
	v_add_u32_e32 v7, 0x140, v2
	v_mov_b32_e32 v8, v2
	s_mov_b64 s[4:5], 0
	v_mov_b32_e32 v5, v4
.LBB103_149:                            ; =>This Inner Loop Header: Depth=1
	scratch_load_dwordx2 v[10:11], v8, off
	ds_read_b64 v[12:13], v7
	v_add_u32_e32 v3, 1, v3
	v_cmp_lt_u32_e32 vcc, 32, v3
	v_add_u32_e32 v7, 8, v7
	v_add_u32_e32 v8, 8, v8
	s_or_b64 s[4:5], vcc, s[4:5]
	s_waitcnt vmcnt(0) lgkmcnt(0)
	v_pk_mul_f32 v[14:15], v[12:13], v[10:11] op_sel:[1,1] op_sel_hi:[0,1]
	v_pk_fma_f32 v[16:17], v[12:13], v[10:11], v[14:15] neg_lo:[0,0,1] neg_hi:[0,0,1]
	v_pk_fma_f32 v[10:11], v[12:13], v[10:11], v[14:15] op_sel_hi:[1,0,1]
	s_nop 0
	v_mov_b32_e32 v17, v11
	v_pk_add_f32 v[4:5], v[4:5], v[16:17]
	s_andn2_b64 exec, exec, s[4:5]
	s_cbranch_execnz .LBB103_149
; %bb.150:
	s_or_b64 exec, exec, s[4:5]
	v_mov_b32_e32 v3, 0
	ds_read_b64 v[8:9], v3 offset:272
	s_waitcnt lgkmcnt(0)
	v_pk_mul_f32 v[10:11], v[4:5], v[8:9] op_sel:[1,1] op_sel_hi:[0,1]
	v_pk_fma_f32 v[12:13], v[4:5], v[8:9], v[10:11] neg_lo:[0,0,1] neg_hi:[0,0,1]
	v_pk_fma_f32 v[4:5], v[4:5], v[8:9], v[10:11] op_sel_hi:[1,0,1]
	s_nop 0
	v_mov_b32_e32 v13, v5
	scratch_store_dwordx2 off, v[12:13], off offset:272
.LBB103_151:
	s_or_b64 exec, exec, s[0:1]
	; wave barrier
	scratch_load_dwordx2 v[4:5], off, off offset:280
	v_cmp_gt_u32_e32 vcc, 35, v0
	s_waitcnt vmcnt(0)
	ds_write_b64 v1, v[4:5]
	s_waitcnt lgkmcnt(0)
	; wave barrier
	s_and_saveexec_b64 s[0:1], vcc
	s_cbranch_execz .LBB103_155
; %bb.152:
	v_mov_b32_e32 v4, 0
	v_add_u32_e32 v3, -1, v0
	v_add_u32_e32 v7, 0x140, v2
	v_mov_b32_e32 v8, v2
	s_mov_b64 s[4:5], 0
	v_mov_b32_e32 v5, v4
.LBB103_153:                            ; =>This Inner Loop Header: Depth=1
	scratch_load_dwordx2 v[10:11], v8, off
	ds_read_b64 v[12:13], v7
	v_add_u32_e32 v3, 1, v3
	v_cmp_lt_u32_e32 vcc, 33, v3
	v_add_u32_e32 v7, 8, v7
	v_add_u32_e32 v8, 8, v8
	s_or_b64 s[4:5], vcc, s[4:5]
	s_waitcnt vmcnt(0) lgkmcnt(0)
	v_pk_mul_f32 v[14:15], v[12:13], v[10:11] op_sel:[1,1] op_sel_hi:[0,1]
	v_pk_fma_f32 v[16:17], v[12:13], v[10:11], v[14:15] neg_lo:[0,0,1] neg_hi:[0,0,1]
	v_pk_fma_f32 v[10:11], v[12:13], v[10:11], v[14:15] op_sel_hi:[1,0,1]
	s_nop 0
	v_mov_b32_e32 v17, v11
	v_pk_add_f32 v[4:5], v[4:5], v[16:17]
	s_andn2_b64 exec, exec, s[4:5]
	s_cbranch_execnz .LBB103_153
; %bb.154:
	s_or_b64 exec, exec, s[4:5]
	v_mov_b32_e32 v3, 0
	ds_read_b64 v[8:9], v3 offset:280
	s_waitcnt lgkmcnt(0)
	v_pk_mul_f32 v[10:11], v[4:5], v[8:9] op_sel:[1,1] op_sel_hi:[0,1]
	v_pk_fma_f32 v[12:13], v[4:5], v[8:9], v[10:11] neg_lo:[0,0,1] neg_hi:[0,0,1]
	v_pk_fma_f32 v[4:5], v[4:5], v[8:9], v[10:11] op_sel_hi:[1,0,1]
	s_nop 0
	v_mov_b32_e32 v13, v5
	scratch_store_dwordx2 off, v[12:13], off offset:280
.LBB103_155:
	s_or_b64 exec, exec, s[0:1]
	; wave barrier
	scratch_load_dwordx2 v[4:5], off, off offset:288
	v_cmp_gt_u32_e32 vcc, 36, v0
	s_waitcnt vmcnt(0)
	ds_write_b64 v1, v[4:5]
	s_waitcnt lgkmcnt(0)
	; wave barrier
	s_and_saveexec_b64 s[0:1], vcc
	s_cbranch_execz .LBB103_159
; %bb.156:
	v_mov_b32_e32 v4, 0
	v_add_u32_e32 v3, -1, v0
	v_add_u32_e32 v7, 0x140, v2
	v_mov_b32_e32 v8, v2
	s_mov_b64 s[4:5], 0
	v_mov_b32_e32 v5, v4
.LBB103_157:                            ; =>This Inner Loop Header: Depth=1
	scratch_load_dwordx2 v[10:11], v8, off
	ds_read_b64 v[12:13], v7
	v_add_u32_e32 v3, 1, v3
	v_cmp_lt_u32_e32 vcc, 34, v3
	v_add_u32_e32 v7, 8, v7
	v_add_u32_e32 v8, 8, v8
	s_or_b64 s[4:5], vcc, s[4:5]
	s_waitcnt vmcnt(0) lgkmcnt(0)
	v_pk_mul_f32 v[14:15], v[12:13], v[10:11] op_sel:[1,1] op_sel_hi:[0,1]
	v_pk_fma_f32 v[16:17], v[12:13], v[10:11], v[14:15] neg_lo:[0,0,1] neg_hi:[0,0,1]
	v_pk_fma_f32 v[10:11], v[12:13], v[10:11], v[14:15] op_sel_hi:[1,0,1]
	s_nop 0
	v_mov_b32_e32 v17, v11
	v_pk_add_f32 v[4:5], v[4:5], v[16:17]
	s_andn2_b64 exec, exec, s[4:5]
	s_cbranch_execnz .LBB103_157
; %bb.158:
	s_or_b64 exec, exec, s[4:5]
	v_mov_b32_e32 v3, 0
	ds_read_b64 v[8:9], v3 offset:288
	s_waitcnt lgkmcnt(0)
	v_pk_mul_f32 v[10:11], v[4:5], v[8:9] op_sel:[1,1] op_sel_hi:[0,1]
	v_pk_fma_f32 v[12:13], v[4:5], v[8:9], v[10:11] neg_lo:[0,0,1] neg_hi:[0,0,1]
	v_pk_fma_f32 v[4:5], v[4:5], v[8:9], v[10:11] op_sel_hi:[1,0,1]
	s_nop 0
	v_mov_b32_e32 v13, v5
	scratch_store_dwordx2 off, v[12:13], off offset:288
.LBB103_159:
	s_or_b64 exec, exec, s[0:1]
	; wave barrier
	scratch_load_dwordx2 v[4:5], off, off offset:296
	v_cmp_gt_u32_e32 vcc, 37, v0
	s_waitcnt vmcnt(0)
	ds_write_b64 v1, v[4:5]
	s_waitcnt lgkmcnt(0)
	; wave barrier
	s_and_saveexec_b64 s[0:1], vcc
	s_cbranch_execz .LBB103_163
; %bb.160:
	v_mov_b32_e32 v4, 0
	v_add_u32_e32 v3, -1, v0
	v_add_u32_e32 v7, 0x140, v2
	v_mov_b32_e32 v8, v2
	s_mov_b64 s[4:5], 0
	v_mov_b32_e32 v5, v4
.LBB103_161:                            ; =>This Inner Loop Header: Depth=1
	scratch_load_dwordx2 v[10:11], v8, off
	ds_read_b64 v[12:13], v7
	v_add_u32_e32 v3, 1, v3
	v_cmp_lt_u32_e32 vcc, 35, v3
	v_add_u32_e32 v7, 8, v7
	v_add_u32_e32 v8, 8, v8
	s_or_b64 s[4:5], vcc, s[4:5]
	s_waitcnt vmcnt(0) lgkmcnt(0)
	v_pk_mul_f32 v[14:15], v[12:13], v[10:11] op_sel:[1,1] op_sel_hi:[0,1]
	v_pk_fma_f32 v[16:17], v[12:13], v[10:11], v[14:15] neg_lo:[0,0,1] neg_hi:[0,0,1]
	v_pk_fma_f32 v[10:11], v[12:13], v[10:11], v[14:15] op_sel_hi:[1,0,1]
	s_nop 0
	v_mov_b32_e32 v17, v11
	v_pk_add_f32 v[4:5], v[4:5], v[16:17]
	s_andn2_b64 exec, exec, s[4:5]
	s_cbranch_execnz .LBB103_161
; %bb.162:
	s_or_b64 exec, exec, s[4:5]
	v_mov_b32_e32 v3, 0
	ds_read_b64 v[8:9], v3 offset:296
	s_waitcnt lgkmcnt(0)
	v_pk_mul_f32 v[10:11], v[4:5], v[8:9] op_sel:[1,1] op_sel_hi:[0,1]
	v_pk_fma_f32 v[12:13], v[4:5], v[8:9], v[10:11] neg_lo:[0,0,1] neg_hi:[0,0,1]
	v_pk_fma_f32 v[4:5], v[4:5], v[8:9], v[10:11] op_sel_hi:[1,0,1]
	s_nop 0
	v_mov_b32_e32 v13, v5
	scratch_store_dwordx2 off, v[12:13], off offset:296
.LBB103_163:
	s_or_b64 exec, exec, s[0:1]
	; wave barrier
	scratch_load_dwordx2 v[4:5], off, off offset:304
	v_cmp_gt_u32_e32 vcc, 38, v0
	s_waitcnt vmcnt(0)
	ds_write_b64 v1, v[4:5]
	s_waitcnt lgkmcnt(0)
	; wave barrier
	s_and_saveexec_b64 s[0:1], vcc
	s_cbranch_execz .LBB103_167
; %bb.164:
	v_mov_b32_e32 v4, 0
	v_add_u32_e32 v3, -1, v0
	v_add_u32_e32 v7, 0x140, v2
	v_mov_b32_e32 v8, v2
	s_mov_b64 s[4:5], 0
	v_mov_b32_e32 v5, v4
.LBB103_165:                            ; =>This Inner Loop Header: Depth=1
	scratch_load_dwordx2 v[10:11], v8, off
	ds_read_b64 v[12:13], v7
	v_add_u32_e32 v3, 1, v3
	v_cmp_lt_u32_e32 vcc, 36, v3
	v_add_u32_e32 v7, 8, v7
	v_add_u32_e32 v8, 8, v8
	s_or_b64 s[4:5], vcc, s[4:5]
	s_waitcnt vmcnt(0) lgkmcnt(0)
	v_pk_mul_f32 v[14:15], v[12:13], v[10:11] op_sel:[1,1] op_sel_hi:[0,1]
	v_pk_fma_f32 v[16:17], v[12:13], v[10:11], v[14:15] neg_lo:[0,0,1] neg_hi:[0,0,1]
	v_pk_fma_f32 v[10:11], v[12:13], v[10:11], v[14:15] op_sel_hi:[1,0,1]
	s_nop 0
	v_mov_b32_e32 v17, v11
	v_pk_add_f32 v[4:5], v[4:5], v[16:17]
	s_andn2_b64 exec, exec, s[4:5]
	s_cbranch_execnz .LBB103_165
; %bb.166:
	s_or_b64 exec, exec, s[4:5]
	v_mov_b32_e32 v3, 0
	ds_read_b64 v[8:9], v3 offset:304
	s_waitcnt lgkmcnt(0)
	v_pk_mul_f32 v[10:11], v[4:5], v[8:9] op_sel:[1,1] op_sel_hi:[0,1]
	v_pk_fma_f32 v[12:13], v[4:5], v[8:9], v[10:11] neg_lo:[0,0,1] neg_hi:[0,0,1]
	v_pk_fma_f32 v[4:5], v[4:5], v[8:9], v[10:11] op_sel_hi:[1,0,1]
	s_nop 0
	v_mov_b32_e32 v13, v5
	scratch_store_dwordx2 off, v[12:13], off offset:304
.LBB103_167:
	s_or_b64 exec, exec, s[0:1]
	; wave barrier
	scratch_load_dwordx2 v[4:5], off, off offset:312
	v_cmp_ne_u32_e32 vcc, 39, v0
	s_waitcnt vmcnt(0)
	ds_write_b64 v1, v[4:5]
	s_waitcnt lgkmcnt(0)
	; wave barrier
	s_and_saveexec_b64 s[0:1], vcc
	s_cbranch_execz .LBB103_171
; %bb.168:
	v_add_u32_e32 v1, 0x140, v2
	v_mov_b32_e32 v4, v2
	v_mov_b32_e32 v2, 0
	s_mov_b64 s[4:5], 0
	v_mov_b32_e32 v3, v2
.LBB103_169:                            ; =>This Inner Loop Header: Depth=1
	scratch_load_dwordx2 v[8:9], v4, off
	ds_read_b64 v[10:11], v1
	v_add_u32_e32 v6, 1, v6
	v_cmp_lt_u32_e32 vcc, 37, v6
	v_add_u32_e32 v1, 8, v1
	v_add_u32_e32 v4, 8, v4
	s_or_b64 s[4:5], vcc, s[4:5]
	s_waitcnt vmcnt(0) lgkmcnt(0)
	v_pk_mul_f32 v[12:13], v[10:11], v[8:9] op_sel:[1,1] op_sel_hi:[0,1]
	v_pk_fma_f32 v[14:15], v[10:11], v[8:9], v[12:13] neg_lo:[0,0,1] neg_hi:[0,0,1]
	v_pk_fma_f32 v[8:9], v[10:11], v[8:9], v[12:13] op_sel_hi:[1,0,1]
	s_nop 0
	v_mov_b32_e32 v15, v9
	v_pk_add_f32 v[2:3], v[2:3], v[14:15]
	s_andn2_b64 exec, exec, s[4:5]
	s_cbranch_execnz .LBB103_169
; %bb.170:
	s_or_b64 exec, exec, s[4:5]
	v_mov_b32_e32 v1, 0
	ds_read_b64 v[4:5], v1 offset:312
	s_waitcnt lgkmcnt(0)
	v_pk_mul_f32 v[6:7], v[2:3], v[4:5] op_sel:[1,1] op_sel_hi:[0,1]
	v_pk_fma_f32 v[8:9], v[2:3], v[4:5], v[6:7] neg_lo:[0,0,1] neg_hi:[0,0,1]
	v_pk_fma_f32 v[2:3], v[2:3], v[4:5], v[6:7] op_sel_hi:[1,0,1]
	s_nop 0
	v_mov_b32_e32 v9, v3
	scratch_store_dwordx2 off, v[8:9], off offset:312
.LBB103_171:
	s_or_b64 exec, exec, s[0:1]
	s_mov_b64 s[4:5], -1
	; wave barrier
.LBB103_172:
	s_and_b64 vcc, exec, s[4:5]
	s_cbranch_vccz .LBB103_174
; %bb.173:
	s_lshl_b64 s[0:1], s[2:3], 2
	s_add_u32 s0, s6, s0
	s_addc_u32 s1, s7, s1
	v_mov_b32_e32 v1, 0
	global_load_dword v1, v1, s[0:1]
	s_waitcnt vmcnt(0)
	v_cmp_ne_u32_e32 vcc, 0, v1
	s_cbranch_vccz .LBB103_175
.LBB103_174:
	s_endpgm
.LBB103_175:
	v_mov_b32_e32 v1, 0x140
	v_lshl_add_u32 v1, v0, 3, v1
	v_cmp_eq_u32_e32 vcc, 39, v0
	s_and_saveexec_b64 s[0:1], vcc
	s_cbranch_execz .LBB103_177
; %bb.176:
	scratch_load_dwordx2 v[2:3], off, off offset:304
	v_mov_b32_e32 v4, 0
	v_mov_b32_e32 v5, v4
	scratch_store_dwordx2 off, v[4:5], off offset:304
	s_waitcnt vmcnt(1)
	ds_write_b64 v1, v[2:3]
.LBB103_177:
	s_or_b64 exec, exec, s[0:1]
	s_waitcnt lgkmcnt(0)
	; wave barrier
	scratch_load_dwordx2 v[4:5], off, off offset:312
	scratch_load_dwordx2 v[6:7], off, off offset:304
	v_mov_b32_e32 v2, 0
	ds_read_b64 v[8:9], v2 offset:632
	v_cmp_lt_u32_e32 vcc, 37, v0
	s_waitcnt vmcnt(1) lgkmcnt(0)
	v_pk_mul_f32 v[10:11], v[8:9], v[4:5] op_sel:[1,1] op_sel_hi:[0,1]
	v_pk_fma_f32 v[12:13], v[8:9], v[4:5], v[10:11] neg_lo:[0,0,1] neg_hi:[0,0,1]
	v_pk_fma_f32 v[4:5], v[8:9], v[4:5], v[10:11] op_sel_hi:[1,0,1]
	s_nop 0
	v_mov_b32_e32 v13, v5
	v_pk_add_f32 v[4:5], v[12:13], 0 op_sel_hi:[1,0]
	s_waitcnt vmcnt(0)
	v_pk_add_f32 v[4:5], v[6:7], v[4:5] neg_lo:[0,1] neg_hi:[0,1]
	scratch_store_dwordx2 off, v[4:5], off offset:304
	s_and_saveexec_b64 s[0:1], vcc
	s_cbranch_execz .LBB103_179
; %bb.178:
	scratch_load_dwordx2 v[4:5], off, off offset:296
	v_mov_b32_e32 v3, v2
	scratch_store_dwordx2 off, v[2:3], off offset:296
	s_waitcnt vmcnt(1)
	ds_write_b64 v1, v[4:5]
.LBB103_179:
	s_or_b64 exec, exec, s[0:1]
	s_waitcnt lgkmcnt(0)
	; wave barrier
	scratch_load_dwordx4 v[4:7], off, off offset:304
	scratch_load_dwordx2 v[12:13], off, off offset:296
	ds_read_b128 v[8:11], v2 offset:624
	v_cmp_lt_u32_e32 vcc, 36, v0
	s_waitcnt vmcnt(1) lgkmcnt(0)
	v_pk_mul_f32 v[2:3], v[8:9], v[4:5] op_sel:[1,1] op_sel_hi:[0,1]
	v_mov_b32_e32 v14, v7
	v_pk_fma_f32 v[16:17], v[8:9], v[4:5], v[2:3] neg_lo:[0,0,1] neg_hi:[0,0,1]
	v_pk_fma_f32 v[2:3], v[8:9], v[4:5], v[2:3] op_sel_hi:[1,0,1]
	v_pk_mul_f32 v[4:5], v[10:11], v[14:15] op_sel:[1,0] op_sel_hi:[0,0]
	v_mov_b32_e32 v17, v3
	v_pk_fma_f32 v[2:3], v[10:11], v[6:7], v[4:5] neg_lo:[0,0,1] neg_hi:[0,0,1]
	v_pk_fma_f32 v[4:5], v[10:11], v[6:7], v[4:5] op_sel_hi:[1,0,1]
	v_pk_add_f32 v[6:7], v[16:17], 0 op_sel_hi:[1,0]
	v_mov_b32_e32 v3, v5
	v_pk_add_f32 v[2:3], v[6:7], v[2:3]
	s_waitcnt vmcnt(0)
	v_pk_add_f32 v[2:3], v[12:13], v[2:3] neg_lo:[0,1] neg_hi:[0,1]
	scratch_store_dwordx2 off, v[2:3], off offset:296
	s_and_saveexec_b64 s[0:1], vcc
	s_cbranch_execz .LBB103_181
; %bb.180:
	scratch_load_dwordx2 v[2:3], off, off offset:288
	v_mov_b32_e32 v4, 0
	v_mov_b32_e32 v5, v4
	scratch_store_dwordx2 off, v[4:5], off offset:288
	s_waitcnt vmcnt(1)
	ds_write_b64 v1, v[2:3]
.LBB103_181:
	s_or_b64 exec, exec, s[0:1]
	s_waitcnt lgkmcnt(0)
	; wave barrier
	scratch_load_dwordx4 v[4:7], off, off offset:296
	scratch_load_dwordx2 v[12:13], off, off offset:312
	scratch_load_dwordx2 v[14:15], off, off offset:288
	v_mov_b32_e32 v2, 0
	ds_read2_b64 v[8:11], v2 offset0:77 offset1:78
	ds_read_b64 v[16:17], v2 offset:632
	v_cmp_lt_u32_e32 vcc, 35, v0
	s_waitcnt vmcnt(2) lgkmcnt(1)
	v_pk_mul_f32 v[18:19], v[8:9], v[4:5] op_sel:[1,1] op_sel_hi:[0,1]
	v_mov_b32_e32 v20, v7
	v_pk_fma_f32 v[24:25], v[8:9], v[4:5], v[18:19] neg_lo:[0,0,1] neg_hi:[0,0,1]
	v_pk_fma_f32 v[4:5], v[8:9], v[4:5], v[18:19] op_sel_hi:[1,0,1]
	v_pk_mul_f32 v[8:9], v[10:11], v[20:21] op_sel:[1,0] op_sel_hi:[0,0]
	s_waitcnt vmcnt(1) lgkmcnt(0)
	v_pk_mul_f32 v[22:23], v[16:17], v[12:13] op_sel:[1,1] op_sel_hi:[0,1]
	v_mov_b32_e32 v25, v5
	v_pk_fma_f32 v[4:5], v[10:11], v[6:7], v[8:9] neg_lo:[0,0,1] neg_hi:[0,0,1]
	v_pk_fma_f32 v[6:7], v[10:11], v[6:7], v[8:9] op_sel_hi:[1,0,1]
	v_pk_fma_f32 v[18:19], v[16:17], v[12:13], v[22:23] neg_lo:[0,0,1] neg_hi:[0,0,1]
	v_pk_fma_f32 v[12:13], v[16:17], v[12:13], v[22:23] op_sel_hi:[1,0,1]
	v_pk_add_f32 v[8:9], v[24:25], 0 op_sel_hi:[1,0]
	v_mov_b32_e32 v5, v7
	v_mov_b32_e32 v19, v13
	v_pk_add_f32 v[4:5], v[8:9], v[4:5]
	s_nop 0
	v_pk_add_f32 v[4:5], v[4:5], v[18:19]
	s_waitcnt vmcnt(0)
	v_pk_add_f32 v[4:5], v[14:15], v[4:5] neg_lo:[0,1] neg_hi:[0,1]
	scratch_store_dwordx2 off, v[4:5], off offset:288
	s_and_saveexec_b64 s[0:1], vcc
	s_cbranch_execz .LBB103_183
; %bb.182:
	scratch_load_dwordx2 v[4:5], off, off offset:280
	v_mov_b32_e32 v3, v2
	scratch_store_dwordx2 off, v[2:3], off offset:280
	s_waitcnt vmcnt(1)
	ds_write_b64 v1, v[4:5]
.LBB103_183:
	s_or_b64 exec, exec, s[0:1]
	s_waitcnt lgkmcnt(0)
	; wave barrier
	scratch_load_dwordx4 v[4:7], off, off offset:288
	scratch_load_dwordx4 v[8:11], off, off offset:304
	scratch_load_dwordx2 v[20:21], off, off offset:280
	ds_read_b128 v[12:15], v2 offset:608
	ds_read_b128 v[16:19], v2 offset:624
	v_cmp_lt_u32_e32 vcc, 34, v0
	s_waitcnt vmcnt(2) lgkmcnt(1)
	v_pk_mul_f32 v[2:3], v[12:13], v[4:5] op_sel:[1,1] op_sel_hi:[0,1]
	v_mov_b32_e32 v22, v7
	s_waitcnt vmcnt(1) lgkmcnt(0)
	v_pk_mul_f32 v[24:25], v[16:17], v[8:9] op_sel:[1,1] op_sel_hi:[0,1]
	v_mov_b32_e32 v26, v11
	v_pk_fma_f32 v[28:29], v[12:13], v[4:5], v[2:3] neg_lo:[0,0,1] neg_hi:[0,0,1]
	v_pk_fma_f32 v[2:3], v[12:13], v[4:5], v[2:3] op_sel_hi:[1,0,1]
	v_pk_mul_f32 v[4:5], v[14:15], v[22:23] op_sel:[1,0] op_sel_hi:[0,0]
	v_pk_fma_f32 v[12:13], v[16:17], v[8:9], v[24:25] neg_lo:[0,0,1] neg_hi:[0,0,1]
	v_pk_fma_f32 v[8:9], v[16:17], v[8:9], v[24:25] op_sel_hi:[1,0,1]
	v_pk_mul_f32 v[16:17], v[18:19], v[26:27] op_sel:[1,0] op_sel_hi:[0,0]
	v_mov_b32_e32 v29, v3
	v_pk_fma_f32 v[2:3], v[14:15], v[6:7], v[4:5] neg_lo:[0,0,1] neg_hi:[0,0,1]
	v_pk_fma_f32 v[4:5], v[14:15], v[6:7], v[4:5] op_sel_hi:[1,0,1]
	v_mov_b32_e32 v13, v9
	v_pk_fma_f32 v[6:7], v[18:19], v[10:11], v[16:17] neg_lo:[0,0,1] neg_hi:[0,0,1]
	v_pk_fma_f32 v[8:9], v[18:19], v[10:11], v[16:17] op_sel_hi:[1,0,1]
	v_pk_add_f32 v[10:11], v[28:29], 0 op_sel_hi:[1,0]
	v_mov_b32_e32 v3, v5
	v_pk_add_f32 v[2:3], v[10:11], v[2:3]
	v_mov_b32_e32 v7, v9
	v_pk_add_f32 v[2:3], v[2:3], v[12:13]
	s_nop 0
	v_pk_add_f32 v[2:3], v[2:3], v[6:7]
	s_waitcnt vmcnt(0)
	v_pk_add_f32 v[2:3], v[20:21], v[2:3] neg_lo:[0,1] neg_hi:[0,1]
	scratch_store_dwordx2 off, v[2:3], off offset:280
	s_and_saveexec_b64 s[0:1], vcc
	s_cbranch_execz .LBB103_185
; %bb.184:
	scratch_load_dwordx2 v[2:3], off, off offset:272
	v_mov_b32_e32 v4, 0
	v_mov_b32_e32 v5, v4
	scratch_store_dwordx2 off, v[4:5], off offset:272
	s_waitcnt vmcnt(1)
	ds_write_b64 v1, v[2:3]
.LBB103_185:
	s_or_b64 exec, exec, s[0:1]
	s_waitcnt lgkmcnt(0)
	; wave barrier
	scratch_load_dwordx4 v[4:7], off, off offset:280
	scratch_load_dwordx4 v[8:11], off, off offset:296
	scratch_load_dwordx2 v[20:21], off, off offset:312
	scratch_load_dwordx2 v[22:23], off, off offset:272
	v_mov_b32_e32 v2, 0
	ds_read2_b64 v[12:15], v2 offset0:75 offset1:76
	ds_read2_b64 v[16:19], v2 offset0:77 offset1:78
	ds_read_b64 v[24:25], v2 offset:632
	v_cmp_lt_u32_e32 vcc, 33, v0
	s_waitcnt vmcnt(3) lgkmcnt(2)
	v_pk_mul_f32 v[26:27], v[12:13], v[4:5] op_sel:[1,1] op_sel_hi:[0,1]
	v_mov_b32_e32 v28, v7
	v_pk_fma_f32 v[36:37], v[12:13], v[4:5], v[26:27] neg_lo:[0,0,1] neg_hi:[0,0,1]
	v_pk_fma_f32 v[4:5], v[12:13], v[4:5], v[26:27] op_sel_hi:[1,0,1]
	v_pk_mul_f32 v[12:13], v[14:15], v[28:29] op_sel:[1,0] op_sel_hi:[0,0]
	s_waitcnt vmcnt(2) lgkmcnt(1)
	v_pk_mul_f32 v[30:31], v[16:17], v[8:9] op_sel:[1,1] op_sel_hi:[0,1]
	v_mov_b32_e32 v32, v11
	v_mov_b32_e32 v37, v5
	v_pk_fma_f32 v[4:5], v[14:15], v[6:7], v[12:13] neg_lo:[0,0,1] neg_hi:[0,0,1]
	v_pk_fma_f32 v[6:7], v[14:15], v[6:7], v[12:13] op_sel_hi:[1,0,1]
	v_pk_fma_f32 v[26:27], v[16:17], v[8:9], v[30:31] neg_lo:[0,0,1] neg_hi:[0,0,1]
	v_pk_fma_f32 v[8:9], v[16:17], v[8:9], v[30:31] op_sel_hi:[1,0,1]
	v_pk_mul_f32 v[16:17], v[18:19], v[32:33] op_sel:[1,0] op_sel_hi:[0,0]
	v_pk_add_f32 v[12:13], v[36:37], 0 op_sel_hi:[1,0]
	v_mov_b32_e32 v5, v7
	s_waitcnt vmcnt(1) lgkmcnt(0)
	v_pk_mul_f32 v[34:35], v[24:25], v[20:21] op_sel:[1,1] op_sel_hi:[0,1]
	v_mov_b32_e32 v27, v9
	v_pk_fma_f32 v[8:9], v[18:19], v[10:11], v[16:17] neg_lo:[0,0,1] neg_hi:[0,0,1]
	v_pk_fma_f32 v[10:11], v[18:19], v[10:11], v[16:17] op_sel_hi:[1,0,1]
	v_pk_add_f32 v[4:5], v[12:13], v[4:5]
	v_pk_fma_f32 v[28:29], v[24:25], v[20:21], v[34:35] neg_lo:[0,0,1] neg_hi:[0,0,1]
	v_pk_fma_f32 v[20:21], v[24:25], v[20:21], v[34:35] op_sel_hi:[1,0,1]
	v_mov_b32_e32 v9, v11
	v_pk_add_f32 v[4:5], v[4:5], v[26:27]
	v_mov_b32_e32 v29, v21
	v_pk_add_f32 v[4:5], v[4:5], v[8:9]
	s_nop 0
	v_pk_add_f32 v[4:5], v[4:5], v[28:29]
	s_waitcnt vmcnt(0)
	v_pk_add_f32 v[4:5], v[22:23], v[4:5] neg_lo:[0,1] neg_hi:[0,1]
	scratch_store_dwordx2 off, v[4:5], off offset:272
	s_and_saveexec_b64 s[0:1], vcc
	s_cbranch_execz .LBB103_187
; %bb.186:
	scratch_load_dwordx2 v[4:5], off, off offset:264
	v_mov_b32_e32 v3, v2
	scratch_store_dwordx2 off, v[2:3], off offset:264
	s_waitcnt vmcnt(1)
	ds_write_b64 v1, v[4:5]
.LBB103_187:
	s_or_b64 exec, exec, s[0:1]
	s_waitcnt lgkmcnt(0)
	; wave barrier
	scratch_load_dwordx4 v[4:7], off, off offset:272
	scratch_load_dwordx4 v[8:11], off, off offset:288
	;; [unrolled: 1-line block ×3, first 2 shown]
	scratch_load_dwordx2 v[28:29], off, off offset:264
	ds_read_b128 v[16:19], v2 offset:592
	ds_read_b128 v[20:23], v2 offset:608
	;; [unrolled: 1-line block ×3, first 2 shown]
	v_cmp_lt_u32_e32 vcc, 32, v0
	s_waitcnt vmcnt(3) lgkmcnt(2)
	v_pk_mul_f32 v[2:3], v[16:17], v[4:5] op_sel:[1,1] op_sel_hi:[0,1]
	v_mov_b32_e32 v30, v7
	s_waitcnt vmcnt(2) lgkmcnt(1)
	v_pk_mul_f32 v[32:33], v[20:21], v[8:9] op_sel:[1,1] op_sel_hi:[0,1]
	v_mov_b32_e32 v34, v11
	;; [unrolled: 3-line block ×3, first 2 shown]
	v_pk_fma_f32 v[40:41], v[16:17], v[4:5], v[2:3] neg_lo:[0,0,1] neg_hi:[0,0,1]
	v_pk_fma_f32 v[2:3], v[16:17], v[4:5], v[2:3] op_sel_hi:[1,0,1]
	v_pk_mul_f32 v[4:5], v[18:19], v[30:31] op_sel:[1,0] op_sel_hi:[0,0]
	v_pk_fma_f32 v[16:17], v[20:21], v[8:9], v[32:33] neg_lo:[0,0,1] neg_hi:[0,0,1]
	v_pk_fma_f32 v[8:9], v[20:21], v[8:9], v[32:33] op_sel_hi:[1,0,1]
	v_pk_mul_f32 v[20:21], v[22:23], v[34:35] op_sel:[1,0] op_sel_hi:[0,0]
	;; [unrolled: 3-line block ×3, first 2 shown]
	v_mov_b32_e32 v41, v3
	v_pk_fma_f32 v[2:3], v[18:19], v[6:7], v[4:5] neg_lo:[0,0,1] neg_hi:[0,0,1]
	v_pk_fma_f32 v[4:5], v[18:19], v[6:7], v[4:5] op_sel_hi:[1,0,1]
	v_mov_b32_e32 v17, v9
	v_pk_fma_f32 v[6:7], v[22:23], v[10:11], v[20:21] neg_lo:[0,0,1] neg_hi:[0,0,1]
	v_pk_fma_f32 v[8:9], v[22:23], v[10:11], v[20:21] op_sel_hi:[1,0,1]
	;; [unrolled: 3-line block ×3, first 2 shown]
	v_pk_add_f32 v[14:15], v[40:41], 0 op_sel_hi:[1,0]
	v_mov_b32_e32 v3, v5
	v_pk_add_f32 v[2:3], v[14:15], v[2:3]
	v_mov_b32_e32 v7, v9
	v_pk_add_f32 v[2:3], v[2:3], v[16:17]
	;; [unrolled: 2-line block ×3, first 2 shown]
	s_nop 0
	v_pk_add_f32 v[2:3], v[2:3], v[30:31]
	s_nop 0
	v_pk_add_f32 v[2:3], v[2:3], v[10:11]
	s_waitcnt vmcnt(0)
	v_pk_add_f32 v[2:3], v[28:29], v[2:3] neg_lo:[0,1] neg_hi:[0,1]
	scratch_store_dwordx2 off, v[2:3], off offset:264
	s_and_saveexec_b64 s[0:1], vcc
	s_cbranch_execz .LBB103_189
; %bb.188:
	scratch_load_dwordx2 v[2:3], off, off offset:256
	v_mov_b32_e32 v4, 0
	v_mov_b32_e32 v5, v4
	scratch_store_dwordx2 off, v[4:5], off offset:256
	s_waitcnt vmcnt(1)
	ds_write_b64 v1, v[2:3]
.LBB103_189:
	s_or_b64 exec, exec, s[0:1]
	s_waitcnt lgkmcnt(0)
	; wave barrier
	scratch_load_dwordx4 v[4:7], off, off offset:264
	scratch_load_dwordx4 v[8:11], off, off offset:280
	;; [unrolled: 1-line block ×3, first 2 shown]
	scratch_load_dwordx2 v[28:29], off, off offset:312
	scratch_load_dwordx2 v[30:31], off, off offset:256
	v_mov_b32_e32 v2, 0
	ds_read2_b64 v[16:19], v2 offset0:73 offset1:74
	ds_read2_b64 v[20:23], v2 offset0:75 offset1:76
	;; [unrolled: 1-line block ×3, first 2 shown]
	ds_read_b64 v[32:33], v2 offset:632
	v_cmp_lt_u32_e32 vcc, 31, v0
	s_waitcnt vmcnt(4) lgkmcnt(3)
	v_pk_mul_f32 v[34:35], v[16:17], v[4:5] op_sel:[1,1] op_sel_hi:[0,1]
	v_mov_b32_e32 v36, v7
	v_pk_fma_f32 v[48:49], v[16:17], v[4:5], v[34:35] neg_lo:[0,0,1] neg_hi:[0,0,1]
	v_pk_fma_f32 v[4:5], v[16:17], v[4:5], v[34:35] op_sel_hi:[1,0,1]
	v_pk_mul_f32 v[16:17], v[18:19], v[36:37] op_sel:[1,0] op_sel_hi:[0,0]
	s_waitcnt vmcnt(3) lgkmcnt(2)
	v_pk_mul_f32 v[38:39], v[20:21], v[8:9] op_sel:[1,1] op_sel_hi:[0,1]
	v_mov_b32_e32 v40, v11
	v_mov_b32_e32 v49, v5
	v_pk_fma_f32 v[4:5], v[18:19], v[6:7], v[16:17] neg_lo:[0,0,1] neg_hi:[0,0,1]
	v_pk_fma_f32 v[6:7], v[18:19], v[6:7], v[16:17] op_sel_hi:[1,0,1]
	v_pk_fma_f32 v[34:35], v[20:21], v[8:9], v[38:39] neg_lo:[0,0,1] neg_hi:[0,0,1]
	v_pk_fma_f32 v[8:9], v[20:21], v[8:9], v[38:39] op_sel_hi:[1,0,1]
	v_pk_mul_f32 v[20:21], v[22:23], v[40:41] op_sel:[1,0] op_sel_hi:[0,0]
	v_pk_add_f32 v[16:17], v[48:49], 0 op_sel_hi:[1,0]
	v_mov_b32_e32 v5, v7
	s_waitcnt vmcnt(2) lgkmcnt(1)
	v_pk_mul_f32 v[42:43], v[24:25], v[12:13] op_sel:[1,1] op_sel_hi:[0,1]
	v_mov_b32_e32 v44, v15
	v_mov_b32_e32 v35, v9
	v_pk_fma_f32 v[8:9], v[22:23], v[10:11], v[20:21] neg_lo:[0,0,1] neg_hi:[0,0,1]
	v_pk_fma_f32 v[10:11], v[22:23], v[10:11], v[20:21] op_sel_hi:[1,0,1]
	v_pk_add_f32 v[4:5], v[16:17], v[4:5]
	v_pk_fma_f32 v[36:37], v[24:25], v[12:13], v[42:43] neg_lo:[0,0,1] neg_hi:[0,0,1]
	v_pk_fma_f32 v[12:13], v[24:25], v[12:13], v[42:43] op_sel_hi:[1,0,1]
	v_pk_mul_f32 v[24:25], v[26:27], v[44:45] op_sel:[1,0] op_sel_hi:[0,0]
	v_mov_b32_e32 v9, v11
	v_pk_add_f32 v[4:5], v[4:5], v[34:35]
	s_waitcnt vmcnt(1) lgkmcnt(0)
	v_pk_mul_f32 v[46:47], v[32:33], v[28:29] op_sel:[1,1] op_sel_hi:[0,1]
	v_mov_b32_e32 v37, v13
	v_pk_fma_f32 v[12:13], v[26:27], v[14:15], v[24:25] neg_lo:[0,0,1] neg_hi:[0,0,1]
	v_pk_fma_f32 v[14:15], v[26:27], v[14:15], v[24:25] op_sel_hi:[1,0,1]
	v_pk_add_f32 v[4:5], v[4:5], v[8:9]
	v_pk_fma_f32 v[38:39], v[32:33], v[28:29], v[46:47] neg_lo:[0,0,1] neg_hi:[0,0,1]
	v_pk_fma_f32 v[28:29], v[32:33], v[28:29], v[46:47] op_sel_hi:[1,0,1]
	v_mov_b32_e32 v13, v15
	v_pk_add_f32 v[4:5], v[4:5], v[36:37]
	v_mov_b32_e32 v39, v29
	v_pk_add_f32 v[4:5], v[4:5], v[12:13]
	s_nop 0
	v_pk_add_f32 v[4:5], v[4:5], v[38:39]
	s_waitcnt vmcnt(0)
	v_pk_add_f32 v[4:5], v[30:31], v[4:5] neg_lo:[0,1] neg_hi:[0,1]
	scratch_store_dwordx2 off, v[4:5], off offset:256
	s_and_saveexec_b64 s[0:1], vcc
	s_cbranch_execz .LBB103_191
; %bb.190:
	scratch_load_dwordx2 v[4:5], off, off offset:248
	v_mov_b32_e32 v3, v2
	scratch_store_dwordx2 off, v[2:3], off offset:248
	s_waitcnt vmcnt(1)
	ds_write_b64 v1, v[4:5]
.LBB103_191:
	s_or_b64 exec, exec, s[0:1]
	s_waitcnt lgkmcnt(0)
	; wave barrier
	scratch_load_dwordx4 v[4:7], off, off offset:256
	scratch_load_dwordx4 v[8:11], off, off offset:272
	;; [unrolled: 1-line block ×4, first 2 shown]
	ds_read_b128 v[20:23], v2 offset:576
	ds_read_b128 v[24:27], v2 offset:592
	;; [unrolled: 1-line block ×4, first 2 shown]
	v_cmp_lt_u32_e32 vcc, 30, v0
	s_waitcnt vmcnt(3) lgkmcnt(3)
	v_pk_mul_f32 v[2:3], v[20:21], v[4:5] op_sel:[1,1] op_sel_hi:[0,1]
	v_pk_fma_f32 v[36:37], v[20:21], v[4:5], v[2:3] neg_lo:[0,0,1] neg_hi:[0,0,1]
	v_pk_fma_f32 v[2:3], v[20:21], v[4:5], v[2:3] op_sel_hi:[1,0,1]
	v_mov_b32_e32 v4, v7
	v_pk_mul_f32 v[4:5], v[22:23], v[4:5] op_sel:[1,0] op_sel_hi:[0,0]
	v_pk_fma_f32 v[20:21], v[22:23], v[6:7], v[4:5] neg_lo:[0,0,1] neg_hi:[0,0,1]
	v_pk_fma_f32 v[4:5], v[22:23], v[6:7], v[4:5] op_sel_hi:[1,0,1]
	v_mov_b32_e32 v37, v3
	v_mov_b32_e32 v21, v5
	s_waitcnt vmcnt(2) lgkmcnt(2)
	v_pk_mul_f32 v[4:5], v[24:25], v[8:9] op_sel:[1,1] op_sel_hi:[0,1]
	v_pk_fma_f32 v[6:7], v[24:25], v[8:9], v[4:5] neg_lo:[0,0,1] neg_hi:[0,0,1]
	v_pk_fma_f32 v[4:5], v[24:25], v[8:9], v[4:5] op_sel_hi:[1,0,1]
	v_pk_add_f32 v[2:3], v[36:37], 0 op_sel_hi:[1,0]
	v_mov_b32_e32 v4, v11
	v_pk_add_f32 v[2:3], v[2:3], v[20:21]
	v_mov_b32_e32 v7, v5
	v_pk_mul_f32 v[4:5], v[26:27], v[4:5] op_sel:[1,0] op_sel_hi:[0,0]
	v_pk_add_f32 v[2:3], v[2:3], v[6:7]
	v_pk_fma_f32 v[6:7], v[26:27], v[10:11], v[4:5] neg_lo:[0,0,1] neg_hi:[0,0,1]
	v_pk_fma_f32 v[4:5], v[26:27], v[10:11], v[4:5] op_sel_hi:[1,0,1]
	s_nop 0
	v_mov_b32_e32 v7, v5
	s_waitcnt vmcnt(1) lgkmcnt(1)
	v_pk_mul_f32 v[4:5], v[28:29], v[12:13] op_sel:[1,1] op_sel_hi:[0,1]
	v_pk_add_f32 v[2:3], v[2:3], v[6:7]
	v_pk_fma_f32 v[6:7], v[28:29], v[12:13], v[4:5] neg_lo:[0,0,1] neg_hi:[0,0,1]
	v_pk_fma_f32 v[4:5], v[28:29], v[12:13], v[4:5] op_sel_hi:[1,0,1]
	s_nop 0
	v_mov_b32_e32 v4, v15
	v_mov_b32_e32 v7, v5
	v_pk_mul_f32 v[4:5], v[30:31], v[4:5] op_sel:[1,0] op_sel_hi:[0,0]
	v_pk_add_f32 v[2:3], v[2:3], v[6:7]
	v_pk_fma_f32 v[6:7], v[30:31], v[14:15], v[4:5] neg_lo:[0,0,1] neg_hi:[0,0,1]
	v_pk_fma_f32 v[4:5], v[30:31], v[14:15], v[4:5] op_sel_hi:[1,0,1]
	s_nop 0
	v_mov_b32_e32 v7, v5
	s_waitcnt vmcnt(0) lgkmcnt(0)
	v_pk_mul_f32 v[4:5], v[32:33], v[16:17] op_sel:[1,1] op_sel_hi:[0,1]
	v_pk_add_f32 v[2:3], v[2:3], v[6:7]
	v_pk_fma_f32 v[6:7], v[32:33], v[16:17], v[4:5] neg_lo:[0,0,1] neg_hi:[0,0,1]
	v_pk_fma_f32 v[4:5], v[32:33], v[16:17], v[4:5] op_sel_hi:[1,0,1]
	s_nop 0
	v_mov_b32_e32 v4, v19
	v_mov_b32_e32 v7, v5
	v_pk_mul_f32 v[4:5], v[34:35], v[4:5] op_sel:[1,0] op_sel_hi:[0,0]
	v_pk_add_f32 v[2:3], v[2:3], v[6:7]
	v_pk_fma_f32 v[6:7], v[34:35], v[18:19], v[4:5] neg_lo:[0,0,1] neg_hi:[0,0,1]
	v_pk_fma_f32 v[4:5], v[34:35], v[18:19], v[4:5] op_sel_hi:[1,0,1]
	s_nop 0
	v_mov_b32_e32 v7, v5
	scratch_load_dwordx2 v[4:5], off, off offset:248
	v_pk_add_f32 v[2:3], v[2:3], v[6:7]
	s_waitcnt vmcnt(0)
	v_pk_add_f32 v[2:3], v[4:5], v[2:3] neg_lo:[0,1] neg_hi:[0,1]
	scratch_store_dwordx2 off, v[2:3], off offset:248
	s_and_saveexec_b64 s[0:1], vcc
	s_cbranch_execz .LBB103_193
; %bb.192:
	scratch_load_dwordx2 v[2:3], off, off offset:240
	v_mov_b32_e32 v4, 0
	v_mov_b32_e32 v5, v4
	scratch_store_dwordx2 off, v[4:5], off offset:240
	s_waitcnt vmcnt(1)
	ds_write_b64 v1, v[2:3]
.LBB103_193:
	s_or_b64 exec, exec, s[0:1]
	s_waitcnt lgkmcnt(0)
	; wave barrier
	scratch_load_dwordx4 v[8:11], off, off offset:248
	v_mov_b32_e32 v2, 0
	ds_read2_b64 v[4:7], v2 offset0:71 offset1:72
	scratch_load_dwordx4 v[12:15], off, off offset:264
	scratch_load_dwordx4 v[16:19], off, off offset:280
	;; [unrolled: 1-line block ×3, first 2 shown]
	scratch_load_dwordx2 v[38:39], off, off offset:312
	v_cmp_lt_u32_e32 vcc, 29, v0
	s_waitcnt vmcnt(4) lgkmcnt(0)
	v_mul_f32_e32 v37, v4, v9
	v_mul_f32_e32 v3, v5, v9
	v_fmac_f32_e32 v37, v5, v8
	v_fma_f32 v36, v4, v8, -v3
	v_pk_add_f32 v[8:9], v[36:37], 0 op_sel_hi:[1,0]
	v_mov_b32_e32 v36, v11
	v_pk_mul_f32 v[36:37], v[6:7], v[36:37] op_sel:[1,0] op_sel_hi:[0,0]
	ds_read2_b64 v[24:27], v2 offset0:73 offset1:74
	ds_read2_b64 v[28:31], v2 offset0:75 offset1:76
	;; [unrolled: 1-line block ×3, first 2 shown]
	ds_read_b64 v[4:5], v2 offset:632
	v_pk_fma_f32 v[40:41], v[6:7], v[10:11], v[36:37] neg_lo:[0,0,1] neg_hi:[0,0,1]
	v_pk_fma_f32 v[6:7], v[6:7], v[10:11], v[36:37] op_sel_hi:[1,0,1]
	s_nop 0
	v_mov_b32_e32 v41, v7
	v_pk_add_f32 v[6:7], v[8:9], v[40:41]
	s_waitcnt vmcnt(3) lgkmcnt(3)
	v_pk_mul_f32 v[8:9], v[24:25], v[12:13] op_sel:[1,1] op_sel_hi:[0,1]
	v_pk_fma_f32 v[10:11], v[24:25], v[12:13], v[8:9] neg_lo:[0,0,1] neg_hi:[0,0,1]
	v_pk_fma_f32 v[8:9], v[24:25], v[12:13], v[8:9] op_sel_hi:[1,0,1]
	s_nop 0
	v_mov_b32_e32 v8, v15
	v_mov_b32_e32 v11, v9
	v_pk_mul_f32 v[8:9], v[26:27], v[8:9] op_sel:[1,0] op_sel_hi:[0,0]
	v_pk_add_f32 v[6:7], v[6:7], v[10:11]
	v_pk_fma_f32 v[10:11], v[26:27], v[14:15], v[8:9] neg_lo:[0,0,1] neg_hi:[0,0,1]
	v_pk_fma_f32 v[8:9], v[26:27], v[14:15], v[8:9] op_sel_hi:[1,0,1]
	s_nop 0
	v_mov_b32_e32 v11, v9
	s_waitcnt vmcnt(2) lgkmcnt(2)
	v_pk_mul_f32 v[8:9], v[28:29], v[16:17] op_sel:[1,1] op_sel_hi:[0,1]
	v_pk_add_f32 v[6:7], v[6:7], v[10:11]
	v_pk_fma_f32 v[10:11], v[28:29], v[16:17], v[8:9] neg_lo:[0,0,1] neg_hi:[0,0,1]
	v_pk_fma_f32 v[8:9], v[28:29], v[16:17], v[8:9] op_sel_hi:[1,0,1]
	s_nop 0
	v_mov_b32_e32 v8, v19
	v_mov_b32_e32 v11, v9
	v_pk_mul_f32 v[8:9], v[30:31], v[8:9] op_sel:[1,0] op_sel_hi:[0,0]
	v_pk_add_f32 v[6:7], v[6:7], v[10:11]
	v_pk_fma_f32 v[10:11], v[30:31], v[18:19], v[8:9] neg_lo:[0,0,1] neg_hi:[0,0,1]
	v_pk_fma_f32 v[8:9], v[30:31], v[18:19], v[8:9] op_sel_hi:[1,0,1]
	s_nop 0
	v_mov_b32_e32 v11, v9
	s_waitcnt vmcnt(1) lgkmcnt(1)
	v_pk_mul_f32 v[8:9], v[32:33], v[20:21] op_sel:[1,1] op_sel_hi:[0,1]
	v_pk_add_f32 v[6:7], v[6:7], v[10:11]
	;; [unrolled: 14-line block ×3, first 2 shown]
	v_pk_fma_f32 v[10:11], v[4:5], v[38:39], v[8:9] neg_lo:[0,0,1] neg_hi:[0,0,1]
	v_pk_fma_f32 v[4:5], v[4:5], v[38:39], v[8:9] op_sel_hi:[1,0,1]
	s_nop 0
	v_mov_b32_e32 v11, v5
	v_pk_add_f32 v[4:5], v[6:7], v[10:11]
	scratch_load_dwordx2 v[6:7], off, off offset:240
	s_waitcnt vmcnt(0)
	v_pk_add_f32 v[4:5], v[6:7], v[4:5] neg_lo:[0,1] neg_hi:[0,1]
	scratch_store_dwordx2 off, v[4:5], off offset:240
	s_and_saveexec_b64 s[0:1], vcc
	s_cbranch_execz .LBB103_195
; %bb.194:
	scratch_load_dwordx2 v[4:5], off, off offset:232
	v_mov_b32_e32 v3, v2
	scratch_store_dwordx2 off, v[2:3], off offset:232
	s_waitcnt vmcnt(1)
	ds_write_b64 v1, v[4:5]
.LBB103_195:
	s_or_b64 exec, exec, s[0:1]
	s_waitcnt lgkmcnt(0)
	; wave barrier
	ds_read_b128 v[4:7], v2 offset:560
	ds_read_b128 v[8:11], v2 offset:576
	;; [unrolled: 1-line block ×4, first 2 shown]
	scratch_load_dwordx4 v[20:23], off, off offset:240
	scratch_load_dwordx4 v[24:27], off, off offset:256
	;; [unrolled: 1-line block ×5, first 2 shown]
	v_cmp_lt_u32_e32 vcc, 28, v0
	s_waitcnt vmcnt(4) lgkmcnt(3)
	v_mul_f32_e32 v41, v4, v21
	v_mul_f32_e32 v3, v5, v21
	v_fmac_f32_e32 v41, v5, v20
	v_mul_f32_e32 v43, v6, v23
	v_fma_f32 v40, v4, v20, -v3
	v_mul_f32_e32 v3, v7, v23
	s_waitcnt vmcnt(3) lgkmcnt(2)
	v_pk_mul_f32 v[20:21], v[8:9], v[24:25] op_sel:[1,1] op_sel_hi:[0,1]
	v_fmac_f32_e32 v43, v7, v22
	v_fma_f32 v42, v6, v22, -v3
	v_pk_fma_f32 v[22:23], v[8:9], v[24:25], v[20:21] neg_lo:[0,0,1] neg_hi:[0,0,1]
	v_pk_fma_f32 v[8:9], v[8:9], v[24:25], v[20:21] op_sel_hi:[1,0,1]
	v_pk_add_f32 v[6:7], v[40:41], 0 op_sel_hi:[1,0]
	v_mov_b32_e32 v8, v27
	v_mov_b32_e32 v23, v9
	v_pk_mul_f32 v[8:9], v[10:11], v[8:9] op_sel:[1,0] op_sel_hi:[0,0]
	v_pk_fma_f32 v[20:21], v[10:11], v[26:27], v[8:9] neg_lo:[0,0,1] neg_hi:[0,0,1]
	v_pk_fma_f32 v[8:9], v[10:11], v[26:27], v[8:9] op_sel_hi:[1,0,1]
	v_pk_add_f32 v[6:7], v[6:7], v[42:43]
	v_mov_b32_e32 v21, v9
	s_waitcnt vmcnt(2) lgkmcnt(1)
	v_pk_mul_f32 v[8:9], v[12:13], v[28:29] op_sel:[1,1] op_sel_hi:[0,1]
	v_pk_fma_f32 v[10:11], v[12:13], v[28:29], v[8:9] neg_lo:[0,0,1] neg_hi:[0,0,1]
	v_pk_fma_f32 v[8:9], v[12:13], v[28:29], v[8:9] op_sel_hi:[1,0,1]
	v_pk_add_f32 v[6:7], v[6:7], v[22:23]
	v_mov_b32_e32 v8, v31
	v_pk_add_f32 v[6:7], v[6:7], v[20:21]
	v_mov_b32_e32 v11, v9
	v_pk_mul_f32 v[8:9], v[14:15], v[8:9] op_sel:[1,0] op_sel_hi:[0,0]
	v_pk_add_f32 v[6:7], v[6:7], v[10:11]
	v_pk_fma_f32 v[10:11], v[14:15], v[30:31], v[8:9] neg_lo:[0,0,1] neg_hi:[0,0,1]
	v_pk_fma_f32 v[8:9], v[14:15], v[30:31], v[8:9] op_sel_hi:[1,0,1]
	ds_read_b128 v[2:5], v2 offset:624
	v_mov_b32_e32 v11, v9
	s_waitcnt vmcnt(1) lgkmcnt(1)
	v_pk_mul_f32 v[8:9], v[16:17], v[32:33] op_sel:[1,1] op_sel_hi:[0,1]
	v_pk_add_f32 v[6:7], v[6:7], v[10:11]
	v_pk_fma_f32 v[10:11], v[16:17], v[32:33], v[8:9] neg_lo:[0,0,1] neg_hi:[0,0,1]
	v_pk_fma_f32 v[8:9], v[16:17], v[32:33], v[8:9] op_sel_hi:[1,0,1]
	s_nop 0
	v_mov_b32_e32 v8, v35
	v_mov_b32_e32 v11, v9
	v_pk_mul_f32 v[8:9], v[18:19], v[8:9] op_sel:[1,0] op_sel_hi:[0,0]
	v_pk_add_f32 v[6:7], v[6:7], v[10:11]
	v_pk_fma_f32 v[10:11], v[18:19], v[34:35], v[8:9] neg_lo:[0,0,1] neg_hi:[0,0,1]
	v_pk_fma_f32 v[8:9], v[18:19], v[34:35], v[8:9] op_sel_hi:[1,0,1]
	s_nop 0
	v_mov_b32_e32 v11, v9
	s_waitcnt vmcnt(0) lgkmcnt(0)
	v_pk_mul_f32 v[8:9], v[2:3], v[36:37] op_sel:[1,1] op_sel_hi:[0,1]
	v_pk_add_f32 v[6:7], v[6:7], v[10:11]
	v_pk_fma_f32 v[10:11], v[2:3], v[36:37], v[8:9] neg_lo:[0,0,1] neg_hi:[0,0,1]
	v_pk_fma_f32 v[2:3], v[2:3], v[36:37], v[8:9] op_sel_hi:[1,0,1]
	s_nop 0
	v_mov_b32_e32 v11, v3
	v_pk_add_f32 v[2:3], v[6:7], v[10:11]
	v_mov_b32_e32 v6, v39
	v_pk_mul_f32 v[6:7], v[4:5], v[6:7] op_sel:[1,0] op_sel_hi:[0,0]
	v_pk_fma_f32 v[8:9], v[4:5], v[38:39], v[6:7] neg_lo:[0,0,1] neg_hi:[0,0,1]
	v_pk_fma_f32 v[4:5], v[4:5], v[38:39], v[6:7] op_sel_hi:[1,0,1]
	s_nop 0
	v_mov_b32_e32 v9, v5
	scratch_load_dwordx2 v[4:5], off, off offset:232
	v_pk_add_f32 v[2:3], v[2:3], v[8:9]
	s_waitcnt vmcnt(0)
	v_pk_add_f32 v[2:3], v[4:5], v[2:3] neg_lo:[0,1] neg_hi:[0,1]
	scratch_store_dwordx2 off, v[2:3], off offset:232
	s_and_saveexec_b64 s[0:1], vcc
	s_cbranch_execz .LBB103_197
; %bb.196:
	scratch_load_dwordx2 v[2:3], off, off offset:224
	v_mov_b32_e32 v4, 0
	v_mov_b32_e32 v5, v4
	scratch_store_dwordx2 off, v[4:5], off offset:224
	s_waitcnt vmcnt(1)
	ds_write_b64 v1, v[2:3]
.LBB103_197:
	s_or_b64 exec, exec, s[0:1]
	s_waitcnt lgkmcnt(0)
	; wave barrier
	scratch_load_dwordx4 v[8:11], off, off offset:232
	scratch_load_dwordx4 v[16:19], off, off offset:248
	v_mov_b32_e32 v2, 0
	ds_read2_b64 v[4:7], v2 offset0:69 offset1:70
	ds_read2_b64 v[12:15], v2 offset0:71 offset1:72
	scratch_load_dwordx4 v[20:23], off, off offset:264
	scratch_load_dwordx4 v[24:27], off, off offset:280
	;; [unrolled: 1-line block ×3, first 2 shown]
	scratch_load_dwordx2 v[42:43], off, off offset:312
	v_cmp_lt_u32_e32 vcc, 27, v0
	s_waitcnt vmcnt(5) lgkmcnt(1)
	v_mul_f32_e32 v3, v4, v9
	v_fmac_f32_e32 v3, v5, v8
	v_add_f32_e32 v37, 0, v3
	v_mul_f32_e32 v3, v5, v9
	v_fma_f32 v3, v4, v8, -v3
	v_mul_f32_e32 v39, v6, v11
	v_add_f32_e32 v36, 0, v3
	v_mul_f32_e32 v3, v7, v11
	v_fmac_f32_e32 v39, v7, v10
	s_waitcnt vmcnt(4) lgkmcnt(0)
	v_mul_f32_e32 v41, v12, v17
	v_fma_f32 v38, v6, v10, -v3
	v_mul_f32_e32 v3, v13, v17
	v_fmac_f32_e32 v41, v13, v16
	v_fma_f32 v40, v12, v16, -v3
	v_pk_add_f32 v[16:17], v[36:37], v[38:39]
	v_mov_b32_e32 v36, v19
	v_pk_mul_f32 v[36:37], v[14:15], v[36:37] op_sel:[1,0] op_sel_hi:[0,0]
	ds_read2_b64 v[4:7], v2 offset0:73 offset1:74
	ds_read2_b64 v[8:11], v2 offset0:75 offset1:76
	;; [unrolled: 1-line block ×3, first 2 shown]
	ds_read_b64 v[12:13], v2 offset:632
	v_pk_fma_f32 v[38:39], v[14:15], v[18:19], v[36:37] neg_lo:[0,0,1] neg_hi:[0,0,1]
	v_pk_fma_f32 v[14:15], v[14:15], v[18:19], v[36:37] op_sel_hi:[1,0,1]
	v_pk_add_f32 v[16:17], v[16:17], v[40:41]
	v_mov_b32_e32 v39, v15
	v_pk_add_f32 v[14:15], v[16:17], v[38:39]
	s_waitcnt vmcnt(3) lgkmcnt(3)
	v_pk_mul_f32 v[16:17], v[4:5], v[20:21] op_sel:[1,1] op_sel_hi:[0,1]
	v_pk_fma_f32 v[18:19], v[4:5], v[20:21], v[16:17] neg_lo:[0,0,1] neg_hi:[0,0,1]
	v_pk_fma_f32 v[4:5], v[4:5], v[20:21], v[16:17] op_sel_hi:[1,0,1]
	s_nop 0
	v_mov_b32_e32 v19, v5
	v_pk_add_f32 v[4:5], v[14:15], v[18:19]
	v_mov_b32_e32 v14, v23
	v_pk_mul_f32 v[14:15], v[6:7], v[14:15] op_sel:[1,0] op_sel_hi:[0,0]
	v_pk_fma_f32 v[16:17], v[6:7], v[22:23], v[14:15] neg_lo:[0,0,1] neg_hi:[0,0,1]
	v_pk_fma_f32 v[6:7], v[6:7], v[22:23], v[14:15] op_sel_hi:[1,0,1]
	s_nop 0
	v_mov_b32_e32 v17, v7
	s_waitcnt vmcnt(2) lgkmcnt(2)
	v_pk_mul_f32 v[6:7], v[8:9], v[24:25] op_sel:[1,1] op_sel_hi:[0,1]
	v_pk_fma_f32 v[14:15], v[8:9], v[24:25], v[6:7] neg_lo:[0,0,1] neg_hi:[0,0,1]
	v_pk_fma_f32 v[6:7], v[8:9], v[24:25], v[6:7] op_sel_hi:[1,0,1]
	v_pk_add_f32 v[4:5], v[4:5], v[16:17]
	v_mov_b32_e32 v6, v27
	v_mov_b32_e32 v15, v7
	v_pk_mul_f32 v[6:7], v[10:11], v[6:7] op_sel:[1,0] op_sel_hi:[0,0]
	v_pk_fma_f32 v[8:9], v[10:11], v[26:27], v[6:7] neg_lo:[0,0,1] neg_hi:[0,0,1]
	v_pk_fma_f32 v[6:7], v[10:11], v[26:27], v[6:7] op_sel_hi:[1,0,1]
	v_pk_add_f32 v[4:5], v[4:5], v[14:15]
	v_mov_b32_e32 v9, v7
	s_waitcnt vmcnt(1) lgkmcnt(1)
	v_pk_mul_f32 v[6:7], v[32:33], v[28:29] op_sel:[1,1] op_sel_hi:[0,1]
	v_pk_add_f32 v[4:5], v[4:5], v[8:9]
	v_pk_fma_f32 v[8:9], v[32:33], v[28:29], v[6:7] neg_lo:[0,0,1] neg_hi:[0,0,1]
	v_pk_fma_f32 v[6:7], v[32:33], v[28:29], v[6:7] op_sel_hi:[1,0,1]
	s_nop 0
	v_mov_b32_e32 v6, v31
	v_mov_b32_e32 v9, v7
	v_pk_mul_f32 v[6:7], v[34:35], v[6:7] op_sel:[1,0] op_sel_hi:[0,0]
	v_pk_add_f32 v[4:5], v[4:5], v[8:9]
	v_pk_fma_f32 v[8:9], v[34:35], v[30:31], v[6:7] neg_lo:[0,0,1] neg_hi:[0,0,1]
	v_pk_fma_f32 v[6:7], v[34:35], v[30:31], v[6:7] op_sel_hi:[1,0,1]
	s_nop 0
	v_mov_b32_e32 v9, v7
	s_waitcnt vmcnt(0) lgkmcnt(0)
	v_pk_mul_f32 v[6:7], v[12:13], v[42:43] op_sel:[1,1] op_sel_hi:[0,1]
	v_pk_add_f32 v[4:5], v[4:5], v[8:9]
	v_pk_fma_f32 v[8:9], v[12:13], v[42:43], v[6:7] neg_lo:[0,0,1] neg_hi:[0,0,1]
	v_pk_fma_f32 v[6:7], v[12:13], v[42:43], v[6:7] op_sel_hi:[1,0,1]
	s_nop 0
	v_mov_b32_e32 v9, v7
	scratch_load_dwordx2 v[6:7], off, off offset:224
	v_pk_add_f32 v[4:5], v[4:5], v[8:9]
	s_waitcnt vmcnt(0)
	v_pk_add_f32 v[4:5], v[6:7], v[4:5] neg_lo:[0,1] neg_hi:[0,1]
	scratch_store_dwordx2 off, v[4:5], off offset:224
	s_and_saveexec_b64 s[0:1], vcc
	s_cbranch_execz .LBB103_199
; %bb.198:
	scratch_load_dwordx2 v[4:5], off, off offset:216
	v_mov_b32_e32 v3, v2
	scratch_store_dwordx2 off, v[2:3], off offset:216
	s_waitcnt vmcnt(1)
	ds_write_b64 v1, v[4:5]
.LBB103_199:
	s_or_b64 exec, exec, s[0:1]
	s_waitcnt lgkmcnt(0)
	; wave barrier
	ds_read_b128 v[4:7], v2 offset:544
	ds_read_b128 v[8:11], v2 offset:560
	;; [unrolled: 1-line block ×4, first 2 shown]
	scratch_load_dwordx4 v[20:23], off, off offset:224
	v_cmp_lt_u32_e32 vcc, 26, v0
	s_waitcnt vmcnt(0) lgkmcnt(3)
	v_mul_f32_e32 v3, v4, v21
	v_fmac_f32_e32 v3, v5, v20
	v_mul_f32_e32 v24, v6, v23
	v_add_f32_e32 v3, 0, v3
	v_fmac_f32_e32 v24, v7, v22
	v_add_f32_e32 v45, v3, v24
	scratch_load_dwordx4 v[24:27], off, off offset:240
	scratch_load_dwordx4 v[28:31], off, off offset:256
	;; [unrolled: 1-line block ×5, first 2 shown]
	v_mul_f32_e32 v3, v5, v21
	v_fma_f32 v3, v4, v20, -v3
	v_mul_f32_e32 v4, v7, v23
	v_fma_f32 v4, v6, v22, -v4
	v_add_f32_e32 v3, 0, v3
	v_add_f32_e32 v44, v3, v4
	s_waitcnt vmcnt(3) lgkmcnt(1)
	v_pk_mul_f32 v[20:21], v[12:13], v[28:29] op_sel:[1,1] op_sel_hi:[0,1]
	v_pk_fma_f32 v[22:23], v[12:13], v[28:29], v[20:21] neg_lo:[0,0,1] neg_hi:[0,0,1]
	v_pk_fma_f32 v[12:13], v[12:13], v[28:29], v[20:21] op_sel_hi:[1,0,1]
	v_mul_f32_e32 v47, v8, v25
	v_mov_b32_e32 v12, v31
	v_mul_f32_e32 v3, v9, v25
	v_mov_b32_e32 v23, v13
	v_pk_mul_f32 v[12:13], v[14:15], v[12:13] op_sel:[1,0] op_sel_hi:[0,0]
	v_fmac_f32_e32 v47, v9, v24
	v_mul_f32_e32 v49, v10, v27
	v_fma_f32 v46, v8, v24, -v3
	v_mul_f32_e32 v3, v11, v27
	v_pk_fma_f32 v[20:21], v[14:15], v[30:31], v[12:13] neg_lo:[0,0,1] neg_hi:[0,0,1]
	v_pk_fma_f32 v[12:13], v[14:15], v[30:31], v[12:13] op_sel_hi:[1,0,1]
	v_fmac_f32_e32 v49, v11, v26
	v_fma_f32 v48, v10, v26, -v3
	ds_read_b128 v[4:7], v2 offset:608
	ds_read_b128 v[8:11], v2 offset:624
	v_pk_add_f32 v[2:3], v[44:45], v[46:47]
	v_mov_b32_e32 v21, v13
	s_waitcnt vmcnt(2) lgkmcnt(2)
	v_pk_mul_f32 v[12:13], v[16:17], v[32:33] op_sel:[1,1] op_sel_hi:[0,1]
	v_pk_add_f32 v[2:3], v[2:3], v[48:49]
	v_pk_fma_f32 v[14:15], v[16:17], v[32:33], v[12:13] neg_lo:[0,0,1] neg_hi:[0,0,1]
	v_pk_fma_f32 v[12:13], v[16:17], v[32:33], v[12:13] op_sel_hi:[1,0,1]
	v_pk_add_f32 v[2:3], v[2:3], v[22:23]
	v_mov_b32_e32 v12, v35
	v_pk_add_f32 v[2:3], v[2:3], v[20:21]
	v_mov_b32_e32 v15, v13
	v_pk_mul_f32 v[12:13], v[18:19], v[12:13] op_sel:[1,0] op_sel_hi:[0,0]
	v_pk_add_f32 v[2:3], v[2:3], v[14:15]
	v_pk_fma_f32 v[14:15], v[18:19], v[34:35], v[12:13] neg_lo:[0,0,1] neg_hi:[0,0,1]
	v_pk_fma_f32 v[12:13], v[18:19], v[34:35], v[12:13] op_sel_hi:[1,0,1]
	s_nop 0
	v_mov_b32_e32 v15, v13
	s_waitcnt vmcnt(1) lgkmcnt(1)
	v_pk_mul_f32 v[12:13], v[4:5], v[36:37] op_sel:[1,1] op_sel_hi:[0,1]
	v_pk_add_f32 v[2:3], v[2:3], v[14:15]
	v_pk_fma_f32 v[14:15], v[4:5], v[36:37], v[12:13] neg_lo:[0,0,1] neg_hi:[0,0,1]
	v_pk_fma_f32 v[4:5], v[4:5], v[36:37], v[12:13] op_sel_hi:[1,0,1]
	s_nop 0
	v_mov_b32_e32 v4, v39
	v_mov_b32_e32 v15, v5
	v_pk_mul_f32 v[4:5], v[6:7], v[4:5] op_sel:[1,0] op_sel_hi:[0,0]
	v_pk_fma_f32 v[12:13], v[6:7], v[38:39], v[4:5] neg_lo:[0,0,1] neg_hi:[0,0,1]
	v_pk_fma_f32 v[4:5], v[6:7], v[38:39], v[4:5] op_sel_hi:[1,0,1]
	v_pk_add_f32 v[2:3], v[2:3], v[14:15]
	v_mov_b32_e32 v13, v5
	s_waitcnt vmcnt(0) lgkmcnt(0)
	v_pk_mul_f32 v[4:5], v[8:9], v[40:41] op_sel:[1,1] op_sel_hi:[0,1]
	v_pk_fma_f32 v[6:7], v[8:9], v[40:41], v[4:5] neg_lo:[0,0,1] neg_hi:[0,0,1]
	v_pk_fma_f32 v[4:5], v[8:9], v[40:41], v[4:5] op_sel_hi:[1,0,1]
	v_pk_add_f32 v[2:3], v[2:3], v[12:13]
	v_mov_b32_e32 v4, v43
	v_mov_b32_e32 v7, v5
	v_pk_mul_f32 v[4:5], v[10:11], v[4:5] op_sel:[1,0] op_sel_hi:[0,0]
	v_pk_add_f32 v[2:3], v[2:3], v[6:7]
	v_pk_fma_f32 v[6:7], v[10:11], v[42:43], v[4:5] neg_lo:[0,0,1] neg_hi:[0,0,1]
	v_pk_fma_f32 v[4:5], v[10:11], v[42:43], v[4:5] op_sel_hi:[1,0,1]
	s_nop 0
	v_mov_b32_e32 v7, v5
	scratch_load_dwordx2 v[4:5], off, off offset:216
	v_pk_add_f32 v[2:3], v[2:3], v[6:7]
	s_waitcnt vmcnt(0)
	v_pk_add_f32 v[2:3], v[4:5], v[2:3] neg_lo:[0,1] neg_hi:[0,1]
	scratch_store_dwordx2 off, v[2:3], off offset:216
	s_and_saveexec_b64 s[0:1], vcc
	s_cbranch_execz .LBB103_201
; %bb.200:
	scratch_load_dwordx2 v[2:3], off, off offset:208
	v_mov_b32_e32 v4, 0
	v_mov_b32_e32 v5, v4
	scratch_store_dwordx2 off, v[4:5], off offset:208
	s_waitcnt vmcnt(1)
	ds_write_b64 v1, v[2:3]
.LBB103_201:
	s_or_b64 exec, exec, s[0:1]
	s_waitcnt lgkmcnt(0)
	; wave barrier
	scratch_load_dwordx4 v[8:11], off, off offset:216
	scratch_load_dwordx4 v[16:19], off, off offset:232
	v_mov_b32_e32 v2, 0
	ds_read2_b64 v[4:7], v2 offset0:67 offset1:68
	scratch_load_dwordx4 v[24:27], off, off offset:248
	v_cmp_lt_u32_e32 vcc, 25, v0
	s_waitcnt vmcnt(2) lgkmcnt(0)
	v_mul_f32_e32 v3, v4, v9
	v_fmac_f32_e32 v3, v5, v8
	v_mul_f32_e32 v12, v6, v11
	v_add_f32_e32 v3, 0, v3
	v_fmac_f32_e32 v12, v7, v10
	v_add_f32_e32 v3, v3, v12
	ds_read2_b64 v[12:15], v2 offset0:69 offset1:70
	s_waitcnt vmcnt(1) lgkmcnt(0)
	v_mul_f32_e32 v20, v12, v17
	v_fmac_f32_e32 v20, v13, v16
	v_add_f32_e32 v41, v3, v20
	ds_read2_b64 v[20:23], v2 offset0:71 offset1:72
	scratch_load_dwordx4 v[28:31], off, off offset:264
	scratch_load_dwordx4 v[32:35], off, off offset:280
	;; [unrolled: 1-line block ×3, first 2 shown]
	scratch_load_dwordx2 v[46:47], off, off offset:312
	v_mul_f32_e32 v3, v5, v9
	v_fma_f32 v3, v4, v8, -v3
	v_mul_f32_e32 v4, v7, v11
	v_add_f32_e32 v3, 0, v3
	v_fma_f32 v4, v6, v10, -v4
	v_add_f32_e32 v3, v3, v4
	v_mul_f32_e32 v4, v13, v17
	v_fma_f32 v4, v12, v16, -v4
	v_add_f32_e32 v40, v3, v4
	v_mul_f32_e32 v3, v15, v19
	v_fma_f32 v42, v14, v18, -v3
	s_waitcnt vmcnt(4) lgkmcnt(0)
	v_mul_f32_e32 v3, v21, v25
	v_mul_f32_e32 v43, v14, v19
	;; [unrolled: 1-line block ×3, first 2 shown]
	v_fma_f32 v44, v20, v24, -v3
	v_mov_b32_e32 v20, v27
	v_fmac_f32_e32 v43, v15, v18
	v_fmac_f32_e32 v45, v21, v24
	ds_read2_b64 v[4:7], v2 offset0:73 offset1:74
	ds_read2_b64 v[8:11], v2 offset0:75 offset1:76
	;; [unrolled: 1-line block ×3, first 2 shown]
	ds_read_b64 v[16:17], v2 offset:632
	v_pk_mul_f32 v[20:21], v[22:23], v[20:21] op_sel:[1,0] op_sel_hi:[0,0]
	v_pk_fma_f32 v[24:25], v[22:23], v[26:27], v[20:21] neg_lo:[0,0,1] neg_hi:[0,0,1]
	v_pk_fma_f32 v[20:21], v[22:23], v[26:27], v[20:21] op_sel_hi:[1,0,1]
	v_pk_add_f32 v[18:19], v[40:41], v[42:43]
	v_mov_b32_e32 v25, v21
	v_pk_add_f32 v[18:19], v[18:19], v[44:45]
	s_waitcnt vmcnt(3) lgkmcnt(3)
	v_pk_mul_f32 v[20:21], v[4:5], v[28:29] op_sel:[1,1] op_sel_hi:[0,1]
	v_pk_fma_f32 v[22:23], v[4:5], v[28:29], v[20:21] neg_lo:[0,0,1] neg_hi:[0,0,1]
	v_pk_fma_f32 v[4:5], v[4:5], v[28:29], v[20:21] op_sel_hi:[1,0,1]
	v_pk_add_f32 v[18:19], v[18:19], v[24:25]
	v_mov_b32_e32 v23, v5
	v_pk_add_f32 v[4:5], v[18:19], v[22:23]
	v_mov_b32_e32 v18, v31
	v_pk_mul_f32 v[18:19], v[6:7], v[18:19] op_sel:[1,0] op_sel_hi:[0,0]
	v_pk_fma_f32 v[20:21], v[6:7], v[30:31], v[18:19] neg_lo:[0,0,1] neg_hi:[0,0,1]
	v_pk_fma_f32 v[6:7], v[6:7], v[30:31], v[18:19] op_sel_hi:[1,0,1]
	s_nop 0
	v_mov_b32_e32 v21, v7
	s_waitcnt vmcnt(2) lgkmcnt(2)
	v_pk_mul_f32 v[6:7], v[8:9], v[32:33] op_sel:[1,1] op_sel_hi:[0,1]
	v_pk_fma_f32 v[18:19], v[8:9], v[32:33], v[6:7] neg_lo:[0,0,1] neg_hi:[0,0,1]
	v_pk_fma_f32 v[6:7], v[8:9], v[32:33], v[6:7] op_sel_hi:[1,0,1]
	v_pk_add_f32 v[4:5], v[4:5], v[20:21]
	v_mov_b32_e32 v6, v35
	v_mov_b32_e32 v19, v7
	v_pk_mul_f32 v[6:7], v[10:11], v[6:7] op_sel:[1,0] op_sel_hi:[0,0]
	v_pk_fma_f32 v[8:9], v[10:11], v[34:35], v[6:7] neg_lo:[0,0,1] neg_hi:[0,0,1]
	v_pk_fma_f32 v[6:7], v[10:11], v[34:35], v[6:7] op_sel_hi:[1,0,1]
	v_pk_add_f32 v[4:5], v[4:5], v[18:19]
	v_mov_b32_e32 v9, v7
	s_waitcnt vmcnt(1) lgkmcnt(1)
	v_pk_mul_f32 v[6:7], v[12:13], v[36:37] op_sel:[1,1] op_sel_hi:[0,1]
	v_pk_add_f32 v[4:5], v[4:5], v[8:9]
	v_pk_fma_f32 v[8:9], v[12:13], v[36:37], v[6:7] neg_lo:[0,0,1] neg_hi:[0,0,1]
	v_pk_fma_f32 v[6:7], v[12:13], v[36:37], v[6:7] op_sel_hi:[1,0,1]
	s_nop 0
	v_mov_b32_e32 v6, v39
	v_mov_b32_e32 v9, v7
	v_pk_mul_f32 v[6:7], v[14:15], v[6:7] op_sel:[1,0] op_sel_hi:[0,0]
	v_pk_add_f32 v[4:5], v[4:5], v[8:9]
	v_pk_fma_f32 v[8:9], v[14:15], v[38:39], v[6:7] neg_lo:[0,0,1] neg_hi:[0,0,1]
	v_pk_fma_f32 v[6:7], v[14:15], v[38:39], v[6:7] op_sel_hi:[1,0,1]
	s_nop 0
	v_mov_b32_e32 v9, v7
	s_waitcnt vmcnt(0) lgkmcnt(0)
	v_pk_mul_f32 v[6:7], v[16:17], v[46:47] op_sel:[1,1] op_sel_hi:[0,1]
	v_pk_add_f32 v[4:5], v[4:5], v[8:9]
	v_pk_fma_f32 v[8:9], v[16:17], v[46:47], v[6:7] neg_lo:[0,0,1] neg_hi:[0,0,1]
	v_pk_fma_f32 v[6:7], v[16:17], v[46:47], v[6:7] op_sel_hi:[1,0,1]
	s_nop 0
	v_mov_b32_e32 v9, v7
	scratch_load_dwordx2 v[6:7], off, off offset:208
	v_pk_add_f32 v[4:5], v[4:5], v[8:9]
	s_waitcnt vmcnt(0)
	v_pk_add_f32 v[4:5], v[6:7], v[4:5] neg_lo:[0,1] neg_hi:[0,1]
	scratch_store_dwordx2 off, v[4:5], off offset:208
	s_and_saveexec_b64 s[0:1], vcc
	s_cbranch_execz .LBB103_203
; %bb.202:
	scratch_load_dwordx2 v[4:5], off, off offset:200
	v_mov_b32_e32 v3, v2
	scratch_store_dwordx2 off, v[2:3], off offset:200
	s_waitcnt vmcnt(1)
	ds_write_b64 v1, v[4:5]
.LBB103_203:
	s_or_b64 exec, exec, s[0:1]
	s_waitcnt lgkmcnt(0)
	; wave barrier
	scratch_load_dwordx4 v[4:7], off, off offset:208
	scratch_load_dwordx4 v[8:11], off, off offset:224
	;; [unrolled: 1-line block ×7, first 2 shown]
	ds_read_b128 v[32:35], v2 offset:528
	ds_read_b128 v[36:39], v2 offset:544
	;; [unrolled: 1-line block ×6, first 2 shown]
	scratch_load_dwordx2 v[60:61], off, off offset:200
	ds_read_b128 v[56:59], v2 offset:624
	v_cmp_lt_u32_e32 vcc, 24, v0
	s_waitcnt vmcnt(7) lgkmcnt(6)
	v_mul_f32_e32 v67, v32, v5
	v_mul_f32_e32 v71, v34, v7
	s_waitcnt vmcnt(6) lgkmcnt(5)
	v_mul_f32_e32 v75, v36, v9
	v_mul_f32_e32 v79, v38, v11
	;; [unrolled: 3-line block ×3, first 2 shown]
	v_mul_f32_e32 v2, v33, v5
	v_mul_f32_e32 v5, v35, v7
	;; [unrolled: 1-line block ×6, first 2 shown]
	s_waitcnt vmcnt(4) lgkmcnt(3)
	v_pk_mul_f32 v[64:65], v[44:45], v[16:17] op_sel:[1,1] op_sel_hi:[0,1]
	v_mov_b32_e32 v66, v19
	s_waitcnt vmcnt(3) lgkmcnt(2)
	v_pk_mul_f32 v[68:69], v[48:49], v[20:21] op_sel:[1,1] op_sel_hi:[0,1]
	v_mov_b32_e32 v70, v23
	s_waitcnt vmcnt(1) lgkmcnt(0)
	v_pk_mul_f32 v[76:77], v[56:57], v[28:29] op_sel:[1,1] op_sel_hi:[0,1]
	v_fmac_f32_e32 v67, v33, v4
	v_fmac_f32_e32 v71, v35, v6
	;; [unrolled: 1-line block ×6, first 2 shown]
	v_fma_f32 v37, v32, v4, -v2
	v_fma_f32 v39, v34, v6, -v5
	;; [unrolled: 1-line block ×6, first 2 shown]
	v_pk_fma_f32 v[4:5], v[44:45], v[16:17], v[64:65] neg_lo:[0,0,1] neg_hi:[0,0,1]
	v_pk_fma_f32 v[6:7], v[44:45], v[16:17], v[64:65] op_sel_hi:[1,0,1]
	v_pk_mul_f32 v[8:9], v[46:47], v[66:67] op_sel:[1,0] op_sel_hi:[0,0]
	v_pk_fma_f32 v[10:11], v[48:49], v[20:21], v[68:69] neg_lo:[0,0,1] neg_hi:[0,0,1]
	v_pk_fma_f32 v[12:13], v[48:49], v[20:21], v[68:69] op_sel_hi:[1,0,1]
	v_pk_mul_f32 v[14:15], v[50:51], v[70:71] op_sel:[1,0] op_sel_hi:[0,0]
	v_pk_fma_f32 v[32:33], v[56:57], v[28:29], v[76:77] neg_lo:[0,0,1] neg_hi:[0,0,1]
	v_pk_fma_f32 v[28:29], v[56:57], v[28:29], v[76:77] op_sel_hi:[1,0,1]
	v_add_f32_e32 v37, 0, v37
	v_add_f32_e32 v28, 0, v67
	v_mov_b32_e32 v5, v7
	v_pk_fma_f32 v[6:7], v[46:47], v[18:19], v[8:9] neg_lo:[0,0,1] neg_hi:[0,0,1]
	v_pk_fma_f32 v[8:9], v[46:47], v[18:19], v[8:9] op_sel_hi:[1,0,1]
	v_mov_b32_e32 v11, v13
	v_pk_fma_f32 v[12:13], v[50:51], v[22:23], v[14:15] neg_lo:[0,0,1] neg_hi:[0,0,1]
	v_pk_fma_f32 v[14:15], v[50:51], v[22:23], v[14:15] op_sel_hi:[1,0,1]
	v_add_f32_e32 v8, v28, v71
	v_add_f32_e32 v14, v37, v39
	;; [unrolled: 1-line block ×4, first 2 shown]
	v_mov_b32_e32 v7, v9
	v_add_f32_e32 v9, v8, v79
	v_add_f32_e32 v8, v14, v38
	v_pk_add_f32 v[2:3], v[8:9], v[2:3]
	v_pk_mul_f32 v[72:73], v[52:53], v[24:25] op_sel:[1,1] op_sel_hi:[0,1]
	v_pk_add_f32 v[2:3], v[2:3], v[62:63]
	v_mov_b32_e32 v74, v27
	v_pk_add_f32 v[2:3], v[2:3], v[4:5]
	v_pk_fma_f32 v[16:17], v[52:53], v[24:25], v[72:73] neg_lo:[0,0,1] neg_hi:[0,0,1]
	v_pk_add_f32 v[2:3], v[2:3], v[6:7]
	v_pk_fma_f32 v[20:21], v[52:53], v[24:25], v[72:73] op_sel_hi:[1,0,1]
	v_pk_mul_f32 v[24:25], v[54:55], v[74:75] op_sel:[1,0] op_sel_hi:[0,0]
	v_mov_b32_e32 v13, v15
	v_pk_add_f32 v[2:3], v[2:3], v[10:11]
	v_mov_b32_e32 v78, v31
	v_mov_b32_e32 v17, v21
	v_pk_fma_f32 v[18:19], v[54:55], v[26:27], v[24:25] neg_lo:[0,0,1] neg_hi:[0,0,1]
	v_pk_fma_f32 v[20:21], v[54:55], v[26:27], v[24:25] op_sel_hi:[1,0,1]
	v_pk_add_f32 v[2:3], v[2:3], v[12:13]
	v_pk_mul_f32 v[34:35], v[58:59], v[78:79] op_sel:[1,0] op_sel_hi:[0,0]
	v_mov_b32_e32 v19, v21
	v_pk_add_f32 v[2:3], v[2:3], v[16:17]
	v_mov_b32_e32 v33, v29
	v_pk_fma_f32 v[22:23], v[58:59], v[30:31], v[34:35] neg_lo:[0,0,1] neg_hi:[0,0,1]
	v_pk_fma_f32 v[24:25], v[58:59], v[30:31], v[34:35] op_sel_hi:[1,0,1]
	v_pk_add_f32 v[2:3], v[2:3], v[18:19]
	v_mov_b32_e32 v23, v25
	v_pk_add_f32 v[2:3], v[2:3], v[32:33]
	s_nop 0
	v_pk_add_f32 v[2:3], v[2:3], v[22:23]
	s_waitcnt vmcnt(0)
	v_pk_add_f32 v[2:3], v[60:61], v[2:3] neg_lo:[0,1] neg_hi:[0,1]
	scratch_store_dwordx2 off, v[2:3], off offset:200
	s_and_saveexec_b64 s[0:1], vcc
	s_cbranch_execz .LBB103_205
; %bb.204:
	scratch_load_dwordx2 v[2:3], off, off offset:192
	v_mov_b32_e32 v4, 0
	v_mov_b32_e32 v5, v4
	scratch_store_dwordx2 off, v[4:5], off offset:192
	s_waitcnt vmcnt(1)
	ds_write_b64 v1, v[2:3]
.LBB103_205:
	s_or_b64 exec, exec, s[0:1]
	s_waitcnt lgkmcnt(0)
	; wave barrier
	scratch_load_dwordx4 v[4:7], off, off offset:200
	scratch_load_dwordx4 v[8:11], off, off offset:216
	;; [unrolled: 1-line block ×7, first 2 shown]
	scratch_load_dwordx2 v[60:61], off, off offset:312
	scratch_load_dwordx2 v[62:63], off, off offset:192
	v_mov_b32_e32 v2, 0
	ds_read2_b64 v[32:35], v2 offset0:65 offset1:66
	ds_read2_b64 v[36:39], v2 offset0:67 offset1:68
	;; [unrolled: 1-line block ×7, first 2 shown]
	ds_read_b64 v[64:65], v2 offset:632
	v_cmp_lt_u32_e32 vcc, 23, v0
	s_waitcnt vmcnt(8) lgkmcnt(7)
	v_mul_f32_e32 v71, v34, v7
	v_mul_f32_e32 v3, v32, v5
	s_waitcnt vmcnt(7) lgkmcnt(6)
	v_mul_f32_e32 v75, v36, v9
	s_waitcnt vmcnt(6) lgkmcnt(5)
	v_mul_f32_e32 v83, v40, v13
	v_mul_f32_e32 v67, v42, v15
	;; [unrolled: 1-line block ×5, first 2 shown]
	s_waitcnt vmcnt(5)
	v_mov_b32_e32 v70, v19
	s_waitcnt vmcnt(3) lgkmcnt(2)
	v_pk_mul_f32 v[76:77], v[52:53], v[24:25] op_sel:[1,1] op_sel_hi:[0,1]
	s_waitcnt vmcnt(2) lgkmcnt(1)
	v_pk_mul_f32 v[80:81], v[56:57], v[28:29] op_sel:[1,1] op_sel_hi:[0,1]
	v_fmac_f32_e32 v71, v35, v6
	v_mul_f32_e32 v7, v35, v7
	v_mul_f32_e32 v9, v37, v9
	v_fmac_f32_e32 v3, v33, v4
	v_fmac_f32_e32 v75, v37, v8
	;; [unrolled: 1-line block ×4, first 2 shown]
	v_fma_f32 v32, v32, v4, -v5
	v_fma_f32 v37, v40, v12, -v13
	;; [unrolled: 1-line block ×3, first 2 shown]
	v_pk_mul_f32 v[4:5], v[46:47], v[70:71] op_sel:[1,0] op_sel_hi:[0,0]
	v_pk_fma_f32 v[12:13], v[52:53], v[24:25], v[76:77] neg_lo:[0,0,1] neg_hi:[0,0,1]
	v_pk_fma_f32 v[14:15], v[52:53], v[24:25], v[76:77] op_sel_hi:[1,0,1]
	v_pk_fma_f32 v[24:25], v[56:57], v[28:29], v[80:81] op_sel_hi:[1,0,1]
	v_fma_f32 v34, v34, v6, -v7
	v_add_f32_e32 v3, 0, v3
	v_add_f32_e32 v24, 0, v32
	v_pk_fma_f32 v[32:33], v[46:47], v[18:19], v[4:5] neg_lo:[0,0,1] neg_hi:[0,0,1]
	v_pk_fma_f32 v[4:5], v[46:47], v[18:19], v[4:5] op_sel_hi:[1,0,1]
	v_mul_f32_e32 v79, v38, v11
	v_mul_f32_e32 v11, v39, v11
	v_fma_f32 v35, v36, v8, -v9
	v_add_f32_e32 v3, v3, v71
	v_add_f32_e32 v4, v24, v34
	v_fmac_f32_e32 v79, v39, v10
	v_fma_f32 v36, v38, v10, -v11
	v_add_f32_e32 v3, v3, v75
	v_add_f32_e32 v4, v4, v35
	;; [unrolled: 1-line block ×4, first 2 shown]
	v_mul_f32_e32 v69, v44, v17
	v_mul_f32_e32 v17, v45, v17
	v_mov_b32_e32 v33, v5
	v_add_f32_e32 v5, v3, v83
	v_add_f32_e32 v4, v4, v37
	v_pk_mul_f32 v[72:73], v[48:49], v[20:21] op_sel:[1,1] op_sel_hi:[0,1]
	v_mov_b32_e32 v74, v23
	v_fmac_f32_e32 v69, v45, v16
	v_fma_f32 v68, v44, v16, -v17
	v_pk_add_f32 v[4:5], v[4:5], v[66:67]
	v_pk_fma_f32 v[6:7], v[48:49], v[20:21], v[72:73] neg_lo:[0,0,1] neg_hi:[0,0,1]
	v_pk_fma_f32 v[8:9], v[48:49], v[20:21], v[72:73] op_sel_hi:[1,0,1]
	v_pk_mul_f32 v[10:11], v[50:51], v[74:75] op_sel:[1,0] op_sel_hi:[0,0]
	v_pk_add_f32 v[4:5], v[4:5], v[68:69]
	v_mov_b32_e32 v78, v27
	v_mov_b32_e32 v7, v9
	v_pk_fma_f32 v[8:9], v[50:51], v[22:23], v[10:11] neg_lo:[0,0,1] neg_hi:[0,0,1]
	v_pk_fma_f32 v[10:11], v[50:51], v[22:23], v[10:11] op_sel_hi:[1,0,1]
	v_pk_add_f32 v[4:5], v[4:5], v[32:33]
	v_pk_mul_f32 v[16:17], v[54:55], v[78:79] op_sel:[1,0] op_sel_hi:[0,0]
	v_mov_b32_e32 v9, v11
	v_pk_add_f32 v[4:5], v[4:5], v[6:7]
	v_mov_b32_e32 v82, v31
	v_mov_b32_e32 v13, v15
	v_pk_fma_f32 v[14:15], v[54:55], v[26:27], v[16:17] neg_lo:[0,0,1] neg_hi:[0,0,1]
	v_pk_fma_f32 v[16:17], v[54:55], v[26:27], v[16:17] op_sel_hi:[1,0,1]
	v_pk_add_f32 v[4:5], v[4:5], v[8:9]
	v_pk_fma_f32 v[20:21], v[56:57], v[28:29], v[80:81] neg_lo:[0,0,1] neg_hi:[0,0,1]
	v_pk_mul_f32 v[28:29], v[58:59], v[82:83] op_sel:[1,0] op_sel_hi:[0,0]
	v_mov_b32_e32 v15, v17
	v_pk_add_f32 v[4:5], v[4:5], v[12:13]
	v_mov_b32_e32 v21, v25
	v_pk_add_f32 v[4:5], v[4:5], v[14:15]
	v_pk_fma_f32 v[6:7], v[58:59], v[30:31], v[28:29] neg_lo:[0,0,1] neg_hi:[0,0,1]
	v_pk_fma_f32 v[8:9], v[58:59], v[30:31], v[28:29] op_sel_hi:[1,0,1]
	v_pk_add_f32 v[4:5], v[4:5], v[20:21]
	v_mov_b32_e32 v7, v9
	v_pk_add_f32 v[4:5], v[4:5], v[6:7]
	s_waitcnt vmcnt(1) lgkmcnt(0)
	v_pk_mul_f32 v[6:7], v[64:65], v[60:61] op_sel:[1,1] op_sel_hi:[0,1]
	v_pk_fma_f32 v[8:9], v[64:65], v[60:61], v[6:7] neg_lo:[0,0,1] neg_hi:[0,0,1]
	v_pk_fma_f32 v[6:7], v[64:65], v[60:61], v[6:7] op_sel_hi:[1,0,1]
	s_nop 0
	v_mov_b32_e32 v9, v7
	v_pk_add_f32 v[4:5], v[4:5], v[8:9]
	s_waitcnt vmcnt(0)
	v_pk_add_f32 v[4:5], v[62:63], v[4:5] neg_lo:[0,1] neg_hi:[0,1]
	scratch_store_dwordx2 off, v[4:5], off offset:192
	s_and_saveexec_b64 s[0:1], vcc
	s_cbranch_execz .LBB103_207
; %bb.206:
	scratch_load_dwordx2 v[4:5], off, off offset:184
	v_mov_b32_e32 v3, v2
	scratch_store_dwordx2 off, v[2:3], off offset:184
	s_waitcnt vmcnt(1)
	ds_write_b64 v1, v[4:5]
.LBB103_207:
	s_or_b64 exec, exec, s[0:1]
	s_waitcnt lgkmcnt(0)
	; wave barrier
	scratch_load_dwordx4 v[4:7], off, off offset:192
	scratch_load_dwordx4 v[8:11], off, off offset:208
	scratch_load_dwordx4 v[12:15], off, off offset:224
	scratch_load_dwordx4 v[16:19], off, off offset:240
	scratch_load_dwordx4 v[20:23], off, off offset:256
	scratch_load_dwordx4 v[24:27], off, off offset:272
	scratch_load_dwordx4 v[28:31], off, off offset:288
	ds_read_b128 v[32:35], v2 offset:512
	ds_read_b128 v[36:39], v2 offset:528
	;; [unrolled: 1-line block ×4, first 2 shown]
	scratch_load_dwordx4 v[48:51], off, off offset:304
	ds_read_b128 v[52:55], v2 offset:576
	ds_read_b128 v[56:59], v2 offset:592
	;; [unrolled: 1-line block ×4, first 2 shown]
	scratch_load_dwordx2 v[2:3], off, off offset:184
	v_cmp_lt_u32_e32 vcc, 22, v0
	s_waitcnt vmcnt(8) lgkmcnt(7)
	v_mul_f32_e32 v75, v32, v5
	v_mul_f32_e32 v79, v34, v7
	s_waitcnt vmcnt(7) lgkmcnt(6)
	v_mul_f32_e32 v83, v36, v9
	v_mul_f32_e32 v84, v38, v11
	;; [unrolled: 3-line block ×3, first 2 shown]
	v_mul_f32_e32 v5, v33, v5
	v_mul_f32_e32 v7, v35, v7
	;; [unrolled: 1-line block ×6, first 2 shown]
	s_waitcnt vmcnt(4) lgkmcnt(3)
	v_pk_mul_f32 v[72:73], v[52:53], v[20:21] op_sel:[1,1] op_sel_hi:[0,1]
	v_mov_b32_e32 v74, v23
	s_waitcnt vmcnt(3) lgkmcnt(2)
	v_pk_mul_f32 v[76:77], v[56:57], v[24:25] op_sel:[1,1] op_sel_hi:[0,1]
	v_mov_b32_e32 v78, v27
	v_fmac_f32_e32 v75, v33, v4
	v_fmac_f32_e32 v79, v35, v6
	;; [unrolled: 1-line block ×6, first 2 shown]
	v_fma_f32 v32, v32, v4, -v5
	v_fma_f32 v33, v34, v6, -v7
	;; [unrolled: 1-line block ×6, first 2 shown]
	v_pk_fma_f32 v[4:5], v[52:53], v[20:21], v[72:73] neg_lo:[0,0,1] neg_hi:[0,0,1]
	v_pk_fma_f32 v[6:7], v[52:53], v[20:21], v[72:73] op_sel_hi:[1,0,1]
	v_pk_mul_f32 v[8:9], v[54:55], v[74:75] op_sel:[1,0] op_sel_hi:[0,0]
	v_pk_fma_f32 v[10:11], v[56:57], v[24:25], v[76:77] neg_lo:[0,0,1] neg_hi:[0,0,1]
	v_pk_fma_f32 v[12:13], v[56:57], v[24:25], v[76:77] op_sel_hi:[1,0,1]
	v_pk_mul_f32 v[14:15], v[58:59], v[78:79] op_sel:[1,0] op_sel_hi:[0,0]
	v_add_f32_e32 v24, 0, v75
	v_add_f32_e32 v25, 0, v32
	v_mov_b32_e32 v5, v7
	v_pk_fma_f32 v[6:7], v[54:55], v[22:23], v[8:9] neg_lo:[0,0,1] neg_hi:[0,0,1]
	v_pk_fma_f32 v[8:9], v[54:55], v[22:23], v[8:9] op_sel_hi:[1,0,1]
	v_mov_b32_e32 v11, v13
	v_pk_fma_f32 v[12:13], v[58:59], v[26:27], v[14:15] neg_lo:[0,0,1] neg_hi:[0,0,1]
	v_pk_fma_f32 v[14:15], v[58:59], v[26:27], v[14:15] op_sel_hi:[1,0,1]
	v_add_f32_e32 v8, v24, v79
	v_add_f32_e32 v14, v25, v33
	v_mov_b32_e32 v7, v9
	v_add_f32_e32 v8, v8, v83
	v_add_f32_e32 v9, v14, v34
	;; [unrolled: 1-line block ×4, first 2 shown]
	v_mul_f32_e32 v69, v44, v17
	v_mul_f32_e32 v17, v45, v17
	v_add_f32_e32 v8, v8, v85
	v_add_f32_e32 v14, v9, v36
	v_mul_f32_e32 v71, v46, v19
	v_mul_f32_e32 v19, v47, v19
	v_fmac_f32_e32 v69, v45, v16
	v_fma_f32 v68, v44, v16, -v17
	v_add_f32_e32 v9, v8, v86
	v_add_f32_e32 v8, v14, v37
	v_fmac_f32_e32 v71, v47, v18
	v_fma_f32 v70, v46, v18, -v19
	v_pk_add_f32 v[8:9], v[8:9], v[68:69]
	s_waitcnt vmcnt(2) lgkmcnt(1)
	v_pk_mul_f32 v[80:81], v[60:61], v[28:29] op_sel:[1,1] op_sel_hi:[0,1]
	v_mov_b32_e32 v82, v31
	v_pk_add_f32 v[8:9], v[8:9], v[70:71]
	v_pk_fma_f32 v[16:17], v[60:61], v[28:29], v[80:81] neg_lo:[0,0,1] neg_hi:[0,0,1]
	v_pk_fma_f32 v[18:19], v[60:61], v[28:29], v[80:81] op_sel_hi:[1,0,1]
	v_pk_mul_f32 v[20:21], v[62:63], v[82:83] op_sel:[1,0] op_sel_hi:[0,0]
	v_pk_add_f32 v[4:5], v[8:9], v[4:5]
	v_mov_b32_e32 v17, v19
	v_pk_fma_f32 v[18:19], v[62:63], v[30:31], v[20:21] neg_lo:[0,0,1] neg_hi:[0,0,1]
	v_pk_add_f32 v[4:5], v[4:5], v[6:7]
	v_pk_fma_f32 v[6:7], v[62:63], v[30:31], v[20:21] op_sel_hi:[1,0,1]
	v_mov_b32_e32 v13, v15
	v_pk_add_f32 v[4:5], v[4:5], v[10:11]
	v_mov_b32_e32 v19, v7
	s_waitcnt vmcnt(1) lgkmcnt(0)
	v_pk_mul_f32 v[6:7], v[64:65], v[48:49] op_sel:[1,1] op_sel_hi:[0,1]
	v_pk_add_f32 v[4:5], v[4:5], v[12:13]
	v_pk_fma_f32 v[8:9], v[64:65], v[48:49], v[6:7] neg_lo:[0,0,1] neg_hi:[0,0,1]
	v_pk_fma_f32 v[6:7], v[64:65], v[48:49], v[6:7] op_sel_hi:[1,0,1]
	v_pk_add_f32 v[4:5], v[4:5], v[16:17]
	v_mov_b32_e32 v6, v51
	v_pk_add_f32 v[4:5], v[4:5], v[18:19]
	v_mov_b32_e32 v9, v7
	v_pk_mul_f32 v[6:7], v[66:67], v[6:7] op_sel:[1,0] op_sel_hi:[0,0]
	v_pk_add_f32 v[4:5], v[4:5], v[8:9]
	v_pk_fma_f32 v[8:9], v[66:67], v[50:51], v[6:7] neg_lo:[0,0,1] neg_hi:[0,0,1]
	v_pk_fma_f32 v[6:7], v[66:67], v[50:51], v[6:7] op_sel_hi:[1,0,1]
	s_nop 0
	v_mov_b32_e32 v9, v7
	v_pk_add_f32 v[4:5], v[4:5], v[8:9]
	s_waitcnt vmcnt(0)
	v_pk_add_f32 v[2:3], v[2:3], v[4:5] neg_lo:[0,1] neg_hi:[0,1]
	scratch_store_dwordx2 off, v[2:3], off offset:184
	s_and_saveexec_b64 s[0:1], vcc
	s_cbranch_execz .LBB103_209
; %bb.208:
	scratch_load_dwordx2 v[2:3], off, off offset:176
	v_mov_b32_e32 v4, 0
	v_mov_b32_e32 v5, v4
	scratch_store_dwordx2 off, v[4:5], off offset:176
	s_waitcnt vmcnt(1)
	ds_write_b64 v1, v[2:3]
.LBB103_209:
	s_or_b64 exec, exec, s[0:1]
	s_waitcnt lgkmcnt(0)
	; wave barrier
	scratch_load_dwordx4 v[4:7], off, off offset:184
	scratch_load_dwordx4 v[8:11], off, off offset:200
	;; [unrolled: 1-line block ×8, first 2 shown]
	scratch_load_dwordx2 v[68:69], off, off offset:312
	scratch_load_dwordx2 v[70:71], off, off offset:176
	v_mov_b32_e32 v2, 0
	ds_read2_b64 v[36:39], v2 offset0:63 offset1:64
	ds_read2_b64 v[40:43], v2 offset0:65 offset1:66
	;; [unrolled: 1-line block ×8, first 2 shown]
	ds_read_b64 v[72:73], v2 offset:632
	v_cmp_lt_u32_e32 vcc, 21, v0
	s_waitcnt vmcnt(9) lgkmcnt(8)
	v_mul_f32_e32 v79, v38, v7
	v_mul_f32_e32 v3, v36, v5
	s_waitcnt vmcnt(8) lgkmcnt(7)
	v_mul_f32_e32 v83, v40, v9
	s_waitcnt vmcnt(7) lgkmcnt(6)
	v_mul_f32_e32 v87, v44, v13
	v_mul_f32_e32 v5, v37, v5
	;; [unrolled: 1-line block ×5, first 2 shown]
	s_waitcnt vmcnt(5)
	v_mov_b32_e32 v78, v23
	s_waitcnt vmcnt(3) lgkmcnt(2)
	v_pk_mul_f32 v[84:85], v[60:61], v[28:29] op_sel:[1,1] op_sel_hi:[0,1]
	v_fmac_f32_e32 v79, v39, v6
	v_mul_f32_e32 v86, v42, v11
	v_mul_f32_e32 v89, v48, v17
	;; [unrolled: 1-line block ×4, first 2 shown]
	v_fmac_f32_e32 v3, v37, v4
	v_fmac_f32_e32 v87, v45, v12
	v_fma_f32 v36, v36, v4, -v5
	v_fma_f32 v37, v38, v6, -v7
	;; [unrolled: 1-line block ×4, first 2 shown]
	v_pk_mul_f32 v[4:5], v[54:55], v[78:79] op_sel:[1,0] op_sel_hi:[0,0]
	v_pk_fma_f32 v[12:13], v[60:61], v[28:29], v[84:85] neg_lo:[0,0,1] neg_hi:[0,0,1]
	v_fmac_f32_e32 v89, v49, v16
	v_fma_f32 v39, v42, v10, -v11
	v_fma_f32 v42, v48, v16, -v17
	v_add_f32_e32 v3, 0, v3
	v_add_f32_e32 v13, 0, v36
	v_pk_fma_f32 v[16:17], v[54:55], v[22:23], v[4:5] neg_lo:[0,0,1] neg_hi:[0,0,1]
	v_pk_fma_f32 v[4:5], v[54:55], v[22:23], v[4:5] op_sel_hi:[1,0,1]
	v_fmac_f32_e32 v83, v41, v8
	v_add_f32_e32 v3, v3, v79
	v_add_f32_e32 v4, v13, v37
	v_fmac_f32_e32 v86, v43, v10
	v_add_f32_e32 v3, v3, v83
	v_add_f32_e32 v4, v4, v38
	v_mul_f32_e32 v88, v46, v15
	v_mul_f32_e32 v15, v47, v15
	v_add_f32_e32 v3, v3, v86
	v_add_f32_e32 v4, v4, v39
	v_fmac_f32_e32 v88, v47, v14
	v_fma_f32 v41, v46, v14, -v15
	v_add_f32_e32 v3, v3, v87
	v_add_f32_e32 v4, v4, v40
	v_mul_f32_e32 v75, v50, v19
	v_mul_f32_e32 v19, v51, v19
	v_add_f32_e32 v3, v3, v88
	v_add_f32_e32 v4, v4, v41
	v_mul_f32_e32 v77, v52, v21
	v_mul_f32_e32 v21, v53, v21
	v_fmac_f32_e32 v75, v51, v18
	v_fma_f32 v74, v50, v18, -v19
	v_mov_b32_e32 v17, v5
	v_add_f32_e32 v5, v3, v89
	v_add_f32_e32 v4, v4, v42
	v_pk_mul_f32 v[80:81], v[56:57], v[24:25] op_sel:[1,1] op_sel_hi:[0,1]
	v_fmac_f32_e32 v77, v53, v20
	v_fma_f32 v76, v52, v20, -v21
	v_pk_add_f32 v[4:5], v[4:5], v[74:75]
	v_mov_b32_e32 v82, v27
	v_pk_fma_f32 v[6:7], v[56:57], v[24:25], v[80:81] neg_lo:[0,0,1] neg_hi:[0,0,1]
	v_pk_fma_f32 v[8:9], v[56:57], v[24:25], v[80:81] op_sel_hi:[1,0,1]
	v_pk_add_f32 v[4:5], v[4:5], v[76:77]
	v_pk_mul_f32 v[10:11], v[58:59], v[82:83] op_sel:[1,0] op_sel_hi:[0,0]
	v_mov_b32_e32 v7, v9
	v_pk_add_f32 v[4:5], v[4:5], v[16:17]
	v_pk_fma_f32 v[8:9], v[58:59], v[26:27], v[10:11] neg_lo:[0,0,1] neg_hi:[0,0,1]
	v_pk_fma_f32 v[10:11], v[58:59], v[26:27], v[10:11] op_sel_hi:[1,0,1]
	v_pk_add_f32 v[4:5], v[4:5], v[6:7]
	v_mov_b32_e32 v6, v31
	v_pk_fma_f32 v[14:15], v[60:61], v[28:29], v[84:85] op_sel_hi:[1,0,1]
	v_mov_b32_e32 v9, v11
	v_pk_mul_f32 v[6:7], v[62:63], v[6:7] op_sel:[1,0] op_sel_hi:[0,0]
	v_pk_add_f32 v[4:5], v[4:5], v[8:9]
	v_mov_b32_e32 v13, v15
	v_pk_fma_f32 v[8:9], v[62:63], v[30:31], v[6:7] neg_lo:[0,0,1] neg_hi:[0,0,1]
	v_pk_fma_f32 v[6:7], v[62:63], v[30:31], v[6:7] op_sel_hi:[1,0,1]
	v_pk_add_f32 v[4:5], v[4:5], v[12:13]
	v_mov_b32_e32 v9, v7
	s_waitcnt vmcnt(2) lgkmcnt(1)
	v_pk_mul_f32 v[6:7], v[64:65], v[32:33] op_sel:[1,1] op_sel_hi:[0,1]
	v_pk_add_f32 v[4:5], v[4:5], v[8:9]
	v_pk_fma_f32 v[8:9], v[64:65], v[32:33], v[6:7] neg_lo:[0,0,1] neg_hi:[0,0,1]
	v_pk_fma_f32 v[6:7], v[64:65], v[32:33], v[6:7] op_sel_hi:[1,0,1]
	s_nop 0
	v_mov_b32_e32 v6, v35
	v_mov_b32_e32 v9, v7
	v_pk_mul_f32 v[6:7], v[66:67], v[6:7] op_sel:[1,0] op_sel_hi:[0,0]
	v_pk_add_f32 v[4:5], v[4:5], v[8:9]
	v_pk_fma_f32 v[8:9], v[66:67], v[34:35], v[6:7] neg_lo:[0,0,1] neg_hi:[0,0,1]
	v_pk_fma_f32 v[6:7], v[66:67], v[34:35], v[6:7] op_sel_hi:[1,0,1]
	s_nop 0
	v_mov_b32_e32 v9, v7
	s_waitcnt vmcnt(1) lgkmcnt(0)
	v_pk_mul_f32 v[6:7], v[72:73], v[68:69] op_sel:[1,1] op_sel_hi:[0,1]
	v_pk_add_f32 v[4:5], v[4:5], v[8:9]
	v_pk_fma_f32 v[8:9], v[72:73], v[68:69], v[6:7] neg_lo:[0,0,1] neg_hi:[0,0,1]
	v_pk_fma_f32 v[6:7], v[72:73], v[68:69], v[6:7] op_sel_hi:[1,0,1]
	s_nop 0
	v_mov_b32_e32 v9, v7
	v_pk_add_f32 v[4:5], v[4:5], v[8:9]
	s_waitcnt vmcnt(0)
	v_pk_add_f32 v[4:5], v[70:71], v[4:5] neg_lo:[0,1] neg_hi:[0,1]
	scratch_store_dwordx2 off, v[4:5], off offset:176
	s_and_saveexec_b64 s[0:1], vcc
	s_cbranch_execz .LBB103_211
; %bb.210:
	scratch_load_dwordx2 v[4:5], off, off offset:168
	v_mov_b32_e32 v3, v2
	scratch_store_dwordx2 off, v[2:3], off offset:168
	s_waitcnt vmcnt(1)
	ds_write_b64 v1, v[4:5]
.LBB103_211:
	s_or_b64 exec, exec, s[0:1]
	s_waitcnt lgkmcnt(0)
	; wave barrier
	ds_read_b128 v[4:7], v2 offset:496
	ds_read_b128 v[8:11], v2 offset:512
	;; [unrolled: 1-line block ×4, first 2 shown]
	scratch_load_dwordx4 v[20:23], off, off offset:176
	scratch_load_dwordx4 v[40:43], off, off offset:240
	v_cmp_lt_u32_e32 vcc, 20, v0
	s_waitcnt vmcnt(1) lgkmcnt(3)
	v_mul_f32_e32 v3, v4, v21
	v_fmac_f32_e32 v3, v5, v20
	v_mul_f32_e32 v24, v6, v23
	v_add_f32_e32 v3, 0, v3
	v_fmac_f32_e32 v24, v7, v22
	v_add_f32_e32 v3, v3, v24
	scratch_load_dwordx4 v[24:27], off, off offset:192
	s_waitcnt vmcnt(0) lgkmcnt(2)
	v_mul_f32_e32 v28, v8, v25
	v_fmac_f32_e32 v28, v9, v24
	v_add_f32_e32 v3, v3, v28
	v_mul_f32_e32 v28, v10, v27
	v_fmac_f32_e32 v28, v11, v26
	v_add_f32_e32 v3, v3, v28
	scratch_load_dwordx4 v[28:31], off, off offset:208
	s_waitcnt vmcnt(0) lgkmcnt(1)
	v_mul_f32_e32 v32, v12, v29
	v_fmac_f32_e32 v32, v13, v28
	v_add_f32_e32 v3, v3, v32
	v_mul_f32_e32 v32, v14, v31
	;; [unrolled: 8-line block ×3, first 2 shown]
	v_fmac_f32_e32 v36, v19, v34
	v_add_f32_e32 v61, v3, v36
	ds_read_b128 v[36:39], v2 offset:560
	scratch_load_dwordx4 v[44:47], off, off offset:256
	scratch_load_dwordx4 v[48:51], off, off offset:272
	;; [unrolled: 1-line block ×4, first 2 shown]
	v_mul_f32_e32 v3, v5, v21
	v_fma_f32 v3, v4, v20, -v3
	v_mul_f32_e32 v4, v7, v23
	v_add_f32_e32 v3, 0, v3
	v_fma_f32 v4, v6, v22, -v4
	v_add_f32_e32 v3, v3, v4
	v_mul_f32_e32 v4, v9, v25
	v_fma_f32 v4, v8, v24, -v4
	v_add_f32_e32 v3, v3, v4
	v_mul_f32_e32 v4, v11, v27
	;; [unrolled: 3-line block ×6, first 2 shown]
	v_fma_f32 v4, v18, v34, -v4
	v_add_f32_e32 v60, v3, v4
	ds_read_b128 v[4:7], v2 offset:576
	ds_read_b128 v[8:11], v2 offset:592
	;; [unrolled: 1-line block ×4, first 2 shown]
	s_waitcnt lgkmcnt(4)
	v_mul_f32_e32 v63, v36, v41
	v_mul_f32_e32 v3, v37, v41
	v_fmac_f32_e32 v63, v37, v40
	v_mul_f32_e32 v65, v38, v43
	v_fma_f32 v62, v36, v40, -v3
	v_mul_f32_e32 v3, v39, v43
	v_fmac_f32_e32 v65, v39, v42
	v_fma_f32 v64, v38, v42, -v3
	v_pk_add_f32 v[2:3], v[60:61], v[62:63]
	s_waitcnt vmcnt(3) lgkmcnt(3)
	v_pk_mul_f32 v[20:21], v[4:5], v[44:45] op_sel:[1,1] op_sel_hi:[0,1]
	v_pk_fma_f32 v[22:23], v[4:5], v[44:45], v[20:21] neg_lo:[0,0,1] neg_hi:[0,0,1]
	v_pk_fma_f32 v[4:5], v[4:5], v[44:45], v[20:21] op_sel_hi:[1,0,1]
	v_pk_add_f32 v[2:3], v[2:3], v[64:65]
	v_mov_b32_e32 v4, v47
	v_mov_b32_e32 v23, v5
	v_pk_mul_f32 v[4:5], v[6:7], v[4:5] op_sel:[1,0] op_sel_hi:[0,0]
	v_pk_fma_f32 v[20:21], v[6:7], v[46:47], v[4:5] neg_lo:[0,0,1] neg_hi:[0,0,1]
	v_pk_fma_f32 v[4:5], v[6:7], v[46:47], v[4:5] op_sel_hi:[1,0,1]
	v_pk_add_f32 v[2:3], v[2:3], v[22:23]
	v_mov_b32_e32 v21, v5
	s_waitcnt vmcnt(2) lgkmcnt(2)
	v_pk_mul_f32 v[4:5], v[8:9], v[48:49] op_sel:[1,1] op_sel_hi:[0,1]
	v_pk_fma_f32 v[6:7], v[8:9], v[48:49], v[4:5] neg_lo:[0,0,1] neg_hi:[0,0,1]
	v_pk_fma_f32 v[4:5], v[8:9], v[48:49], v[4:5] op_sel_hi:[1,0,1]
	v_pk_add_f32 v[2:3], v[2:3], v[20:21]
	v_mov_b32_e32 v4, v51
	v_mov_b32_e32 v7, v5
	v_pk_mul_f32 v[4:5], v[10:11], v[4:5] op_sel:[1,0] op_sel_hi:[0,0]
	v_pk_add_f32 v[2:3], v[2:3], v[6:7]
	v_pk_fma_f32 v[6:7], v[10:11], v[50:51], v[4:5] neg_lo:[0,0,1] neg_hi:[0,0,1]
	v_pk_fma_f32 v[4:5], v[10:11], v[50:51], v[4:5] op_sel_hi:[1,0,1]
	s_nop 0
	v_mov_b32_e32 v7, v5
	s_waitcnt vmcnt(1) lgkmcnt(1)
	v_pk_mul_f32 v[4:5], v[12:13], v[52:53] op_sel:[1,1] op_sel_hi:[0,1]
	v_pk_add_f32 v[2:3], v[2:3], v[6:7]
	v_pk_fma_f32 v[6:7], v[12:13], v[52:53], v[4:5] neg_lo:[0,0,1] neg_hi:[0,0,1]
	v_pk_fma_f32 v[4:5], v[12:13], v[52:53], v[4:5] op_sel_hi:[1,0,1]
	s_nop 0
	v_mov_b32_e32 v4, v55
	v_mov_b32_e32 v7, v5
	v_pk_mul_f32 v[4:5], v[14:15], v[4:5] op_sel:[1,0] op_sel_hi:[0,0]
	v_pk_add_f32 v[2:3], v[2:3], v[6:7]
	v_pk_fma_f32 v[6:7], v[14:15], v[54:55], v[4:5] neg_lo:[0,0,1] neg_hi:[0,0,1]
	v_pk_fma_f32 v[4:5], v[14:15], v[54:55], v[4:5] op_sel_hi:[1,0,1]
	s_nop 0
	v_mov_b32_e32 v7, v5
	s_waitcnt vmcnt(0) lgkmcnt(0)
	v_pk_mul_f32 v[4:5], v[16:17], v[56:57] op_sel:[1,1] op_sel_hi:[0,1]
	v_pk_add_f32 v[2:3], v[2:3], v[6:7]
	v_pk_fma_f32 v[6:7], v[16:17], v[56:57], v[4:5] neg_lo:[0,0,1] neg_hi:[0,0,1]
	v_pk_fma_f32 v[4:5], v[16:17], v[56:57], v[4:5] op_sel_hi:[1,0,1]
	s_nop 0
	v_mov_b32_e32 v4, v59
	v_mov_b32_e32 v7, v5
	v_pk_mul_f32 v[4:5], v[18:19], v[4:5] op_sel:[1,0] op_sel_hi:[0,0]
	v_pk_add_f32 v[2:3], v[2:3], v[6:7]
	v_pk_fma_f32 v[6:7], v[18:19], v[58:59], v[4:5] neg_lo:[0,0,1] neg_hi:[0,0,1]
	v_pk_fma_f32 v[4:5], v[18:19], v[58:59], v[4:5] op_sel_hi:[1,0,1]
	s_nop 0
	v_mov_b32_e32 v7, v5
	scratch_load_dwordx2 v[4:5], off, off offset:168
	v_pk_add_f32 v[2:3], v[2:3], v[6:7]
	s_waitcnt vmcnt(0)
	v_pk_add_f32 v[2:3], v[4:5], v[2:3] neg_lo:[0,1] neg_hi:[0,1]
	scratch_store_dwordx2 off, v[2:3], off offset:168
	s_and_saveexec_b64 s[0:1], vcc
	s_cbranch_execz .LBB103_213
; %bb.212:
	scratch_load_dwordx2 v[2:3], off, off offset:160
	v_mov_b32_e32 v4, 0
	v_mov_b32_e32 v5, v4
	scratch_store_dwordx2 off, v[4:5], off offset:160
	s_waitcnt vmcnt(1)
	ds_write_b64 v1, v[2:3]
.LBB103_213:
	s_or_b64 exec, exec, s[0:1]
	s_waitcnt lgkmcnt(0)
	; wave barrier
	scratch_load_dwordx4 v[8:11], off, off offset:168
	scratch_load_dwordx4 v[16:19], off, off offset:184
	;; [unrolled: 1-line block ×6, first 2 shown]
	v_mov_b32_e32 v2, 0
	ds_read2_b64 v[4:7], v2 offset0:61 offset1:62
	v_cmp_lt_u32_e32 vcc, 19, v0
	s_waitcnt vmcnt(5) lgkmcnt(0)
	v_mul_f32_e32 v3, v4, v9
	v_fmac_f32_e32 v3, v5, v8
	v_mul_f32_e32 v12, v6, v11
	v_add_f32_e32 v3, 0, v3
	v_fmac_f32_e32 v12, v7, v10
	v_add_f32_e32 v3, v3, v12
	ds_read2_b64 v[12:15], v2 offset0:63 offset1:64
	s_waitcnt vmcnt(4) lgkmcnt(0)
	v_mul_f32_e32 v20, v12, v17
	v_fmac_f32_e32 v20, v13, v16
	v_add_f32_e32 v3, v3, v20
	v_mul_f32_e32 v20, v14, v19
	v_fmac_f32_e32 v20, v15, v18
	v_add_f32_e32 v3, v3, v20
	ds_read2_b64 v[20:23], v2 offset0:65 offset1:66
	s_waitcnt vmcnt(3) lgkmcnt(0)
	v_mul_f32_e32 v28, v20, v25
	v_fmac_f32_e32 v28, v21, v24
	v_add_f32_e32 v3, v3, v28
	v_mul_f32_e32 v28, v22, v27
	;; [unrolled: 8-line block ×3, first 2 shown]
	v_fmac_f32_e32 v36, v31, v34
	v_add_f32_e32 v3, v3, v36
	ds_read2_b64 v[36:39], v2 offset0:69 offset1:70
	s_waitcnt vmcnt(1) lgkmcnt(0)
	v_mul_f32_e32 v44, v36, v41
	v_fmac_f32_e32 v44, v37, v40
	v_add_f32_e32 v65, v3, v44
	ds_read2_b64 v[44:47], v2 offset0:71 offset1:72
	scratch_load_dwordx4 v[52:55], off, off offset:264
	scratch_load_dwordx4 v[56:59], off, off offset:280
	;; [unrolled: 1-line block ×3, first 2 shown]
	scratch_load_dwordx2 v[70:71], off, off offset:312
	v_mul_f32_e32 v3, v5, v9
	v_fma_f32 v3, v4, v8, -v3
	v_mul_f32_e32 v4, v7, v11
	v_add_f32_e32 v3, 0, v3
	v_fma_f32 v4, v6, v10, -v4
	v_add_f32_e32 v3, v3, v4
	v_mul_f32_e32 v4, v13, v17
	v_fma_f32 v4, v12, v16, -v4
	v_add_f32_e32 v3, v3, v4
	v_mul_f32_e32 v4, v15, v19
	;; [unrolled: 3-line block ×7, first 2 shown]
	v_fma_f32 v4, v36, v40, -v4
	v_mul_f32_e32 v67, v38, v43
	v_add_f32_e32 v64, v3, v4
	v_mul_f32_e32 v3, v39, v43
	s_waitcnt vmcnt(4)
	v_mov_b32_e32 v20, v51
	v_fmac_f32_e32 v67, v39, v42
	s_waitcnt lgkmcnt(0)
	v_mul_f32_e32 v69, v44, v49
	v_fma_f32 v66, v38, v42, -v3
	v_mul_f32_e32 v3, v45, v49
	ds_read2_b64 v[4:7], v2 offset0:73 offset1:74
	ds_read2_b64 v[8:11], v2 offset0:75 offset1:76
	;; [unrolled: 1-line block ×3, first 2 shown]
	ds_read_b64 v[16:17], v2 offset:632
	v_pk_mul_f32 v[20:21], v[46:47], v[20:21] op_sel:[1,0] op_sel_hi:[0,0]
	v_fmac_f32_e32 v69, v45, v48
	v_fma_f32 v68, v44, v48, -v3
	v_pk_add_f32 v[18:19], v[64:65], v[66:67]
	v_pk_fma_f32 v[22:23], v[46:47], v[50:51], v[20:21] neg_lo:[0,0,1] neg_hi:[0,0,1]
	v_pk_fma_f32 v[20:21], v[46:47], v[50:51], v[20:21] op_sel_hi:[1,0,1]
	v_pk_add_f32 v[18:19], v[18:19], v[68:69]
	v_mov_b32_e32 v23, v21
	v_pk_add_f32 v[18:19], v[18:19], v[22:23]
	s_waitcnt vmcnt(3) lgkmcnt(3)
	v_pk_mul_f32 v[20:21], v[4:5], v[52:53] op_sel:[1,1] op_sel_hi:[0,1]
	v_pk_fma_f32 v[22:23], v[4:5], v[52:53], v[20:21] neg_lo:[0,0,1] neg_hi:[0,0,1]
	v_pk_fma_f32 v[4:5], v[4:5], v[52:53], v[20:21] op_sel_hi:[1,0,1]
	s_nop 0
	v_mov_b32_e32 v23, v5
	v_pk_add_f32 v[4:5], v[18:19], v[22:23]
	v_mov_b32_e32 v18, v55
	v_pk_mul_f32 v[18:19], v[6:7], v[18:19] op_sel:[1,0] op_sel_hi:[0,0]
	v_pk_fma_f32 v[20:21], v[6:7], v[54:55], v[18:19] neg_lo:[0,0,1] neg_hi:[0,0,1]
	v_pk_fma_f32 v[6:7], v[6:7], v[54:55], v[18:19] op_sel_hi:[1,0,1]
	s_nop 0
	v_mov_b32_e32 v21, v7
	s_waitcnt vmcnt(2) lgkmcnt(2)
	v_pk_mul_f32 v[6:7], v[8:9], v[56:57] op_sel:[1,1] op_sel_hi:[0,1]
	v_pk_fma_f32 v[18:19], v[8:9], v[56:57], v[6:7] neg_lo:[0,0,1] neg_hi:[0,0,1]
	v_pk_fma_f32 v[6:7], v[8:9], v[56:57], v[6:7] op_sel_hi:[1,0,1]
	v_pk_add_f32 v[4:5], v[4:5], v[20:21]
	v_mov_b32_e32 v6, v59
	v_mov_b32_e32 v19, v7
	v_pk_mul_f32 v[6:7], v[10:11], v[6:7] op_sel:[1,0] op_sel_hi:[0,0]
	v_pk_fma_f32 v[8:9], v[10:11], v[58:59], v[6:7] neg_lo:[0,0,1] neg_hi:[0,0,1]
	v_pk_fma_f32 v[6:7], v[10:11], v[58:59], v[6:7] op_sel_hi:[1,0,1]
	v_pk_add_f32 v[4:5], v[4:5], v[18:19]
	v_mov_b32_e32 v9, v7
	s_waitcnt vmcnt(1) lgkmcnt(1)
	v_pk_mul_f32 v[6:7], v[12:13], v[60:61] op_sel:[1,1] op_sel_hi:[0,1]
	v_pk_add_f32 v[4:5], v[4:5], v[8:9]
	v_pk_fma_f32 v[8:9], v[12:13], v[60:61], v[6:7] neg_lo:[0,0,1] neg_hi:[0,0,1]
	v_pk_fma_f32 v[6:7], v[12:13], v[60:61], v[6:7] op_sel_hi:[1,0,1]
	s_nop 0
	v_mov_b32_e32 v6, v63
	v_mov_b32_e32 v9, v7
	v_pk_mul_f32 v[6:7], v[14:15], v[6:7] op_sel:[1,0] op_sel_hi:[0,0]
	v_pk_add_f32 v[4:5], v[4:5], v[8:9]
	v_pk_fma_f32 v[8:9], v[14:15], v[62:63], v[6:7] neg_lo:[0,0,1] neg_hi:[0,0,1]
	v_pk_fma_f32 v[6:7], v[14:15], v[62:63], v[6:7] op_sel_hi:[1,0,1]
	s_nop 0
	v_mov_b32_e32 v9, v7
	s_waitcnt vmcnt(0) lgkmcnt(0)
	v_pk_mul_f32 v[6:7], v[16:17], v[70:71] op_sel:[1,1] op_sel_hi:[0,1]
	v_pk_add_f32 v[4:5], v[4:5], v[8:9]
	v_pk_fma_f32 v[8:9], v[16:17], v[70:71], v[6:7] neg_lo:[0,0,1] neg_hi:[0,0,1]
	v_pk_fma_f32 v[6:7], v[16:17], v[70:71], v[6:7] op_sel_hi:[1,0,1]
	s_nop 0
	v_mov_b32_e32 v9, v7
	scratch_load_dwordx2 v[6:7], off, off offset:160
	v_pk_add_f32 v[4:5], v[4:5], v[8:9]
	s_waitcnt vmcnt(0)
	v_pk_add_f32 v[4:5], v[6:7], v[4:5] neg_lo:[0,1] neg_hi:[0,1]
	scratch_store_dwordx2 off, v[4:5], off offset:160
	s_and_saveexec_b64 s[0:1], vcc
	s_cbranch_execz .LBB103_215
; %bb.214:
	scratch_load_dwordx2 v[4:5], off, off offset:152
	v_mov_b32_e32 v3, v2
	scratch_store_dwordx2 off, v[2:3], off offset:152
	s_waitcnt vmcnt(1)
	ds_write_b64 v1, v[4:5]
.LBB103_215:
	s_or_b64 exec, exec, s[0:1]
	s_waitcnt lgkmcnt(0)
	; wave barrier
	ds_read_b128 v[4:7], v2 offset:480
	ds_read_b128 v[8:11], v2 offset:496
	;; [unrolled: 1-line block ×4, first 2 shown]
	scratch_load_dwordx4 v[20:23], off, off offset:160
	scratch_load_dwordx4 v[40:43], off, off offset:224
	v_cmp_lt_u32_e32 vcc, 18, v0
	scratch_load_dwordx4 v[48:51], off, off offset:240
	s_waitcnt vmcnt(2) lgkmcnt(3)
	v_mul_f32_e32 v3, v4, v21
	v_fmac_f32_e32 v3, v5, v20
	v_mul_f32_e32 v24, v6, v23
	v_add_f32_e32 v3, 0, v3
	v_fmac_f32_e32 v24, v7, v22
	v_add_f32_e32 v3, v3, v24
	scratch_load_dwordx4 v[24:27], off, off offset:176
	s_waitcnt vmcnt(0) lgkmcnt(2)
	v_mul_f32_e32 v28, v8, v25
	v_fmac_f32_e32 v28, v9, v24
	v_add_f32_e32 v3, v3, v28
	v_mul_f32_e32 v28, v10, v27
	v_fmac_f32_e32 v28, v11, v26
	v_add_f32_e32 v3, v3, v28
	scratch_load_dwordx4 v[28:31], off, off offset:192
	s_waitcnt vmcnt(0) lgkmcnt(1)
	v_mul_f32_e32 v32, v12, v29
	v_fmac_f32_e32 v32, v13, v28
	v_add_f32_e32 v3, v3, v32
	v_mul_f32_e32 v32, v14, v31
	;; [unrolled: 8-line block ×3, first 2 shown]
	v_fmac_f32_e32 v36, v19, v34
	v_add_f32_e32 v3, v3, v36
	ds_read_b128 v[36:39], v2 offset:544
	s_waitcnt lgkmcnt(0)
	v_mul_f32_e32 v44, v36, v41
	v_fmac_f32_e32 v44, v37, v40
	v_add_f32_e32 v3, v3, v44
	v_mul_f32_e32 v44, v38, v43
	v_fmac_f32_e32 v44, v39, v42
	v_add_f32_e32 v69, v3, v44
	ds_read_b128 v[44:47], v2 offset:560
	scratch_load_dwordx4 v[52:55], off, off offset:256
	scratch_load_dwordx4 v[56:59], off, off offset:272
	;; [unrolled: 1-line block ×4, first 2 shown]
	v_mul_f32_e32 v3, v5, v21
	v_fma_f32 v3, v4, v20, -v3
	v_mul_f32_e32 v4, v7, v23
	v_add_f32_e32 v3, 0, v3
	v_fma_f32 v4, v6, v22, -v4
	v_add_f32_e32 v3, v3, v4
	v_mul_f32_e32 v4, v9, v25
	v_fma_f32 v4, v8, v24, -v4
	v_add_f32_e32 v3, v3, v4
	v_mul_f32_e32 v4, v11, v27
	;; [unrolled: 3-line block ×8, first 2 shown]
	v_fma_f32 v4, v38, v42, -v4
	v_add_f32_e32 v68, v3, v4
	ds_read_b128 v[4:7], v2 offset:576
	ds_read_b128 v[8:11], v2 offset:592
	;; [unrolled: 1-line block ×4, first 2 shown]
	s_waitcnt lgkmcnt(4)
	v_mul_f32_e32 v71, v44, v49
	v_mul_f32_e32 v3, v45, v49
	v_fmac_f32_e32 v71, v45, v48
	v_mul_f32_e32 v73, v46, v51
	v_fma_f32 v70, v44, v48, -v3
	v_mul_f32_e32 v3, v47, v51
	v_fmac_f32_e32 v73, v47, v50
	v_fma_f32 v72, v46, v50, -v3
	v_pk_add_f32 v[2:3], v[68:69], v[70:71]
	s_waitcnt vmcnt(3) lgkmcnt(3)
	v_pk_mul_f32 v[20:21], v[4:5], v[52:53] op_sel:[1,1] op_sel_hi:[0,1]
	v_pk_fma_f32 v[22:23], v[4:5], v[52:53], v[20:21] neg_lo:[0,0,1] neg_hi:[0,0,1]
	v_pk_fma_f32 v[4:5], v[4:5], v[52:53], v[20:21] op_sel_hi:[1,0,1]
	v_pk_add_f32 v[2:3], v[2:3], v[72:73]
	v_mov_b32_e32 v4, v55
	v_mov_b32_e32 v23, v5
	v_pk_mul_f32 v[4:5], v[6:7], v[4:5] op_sel:[1,0] op_sel_hi:[0,0]
	v_pk_fma_f32 v[20:21], v[6:7], v[54:55], v[4:5] neg_lo:[0,0,1] neg_hi:[0,0,1]
	v_pk_fma_f32 v[4:5], v[6:7], v[54:55], v[4:5] op_sel_hi:[1,0,1]
	v_pk_add_f32 v[2:3], v[2:3], v[22:23]
	v_mov_b32_e32 v21, v5
	s_waitcnt vmcnt(2) lgkmcnt(2)
	v_pk_mul_f32 v[4:5], v[8:9], v[56:57] op_sel:[1,1] op_sel_hi:[0,1]
	v_pk_fma_f32 v[6:7], v[8:9], v[56:57], v[4:5] neg_lo:[0,0,1] neg_hi:[0,0,1]
	v_pk_fma_f32 v[4:5], v[8:9], v[56:57], v[4:5] op_sel_hi:[1,0,1]
	v_pk_add_f32 v[2:3], v[2:3], v[20:21]
	v_mov_b32_e32 v4, v59
	v_mov_b32_e32 v7, v5
	v_pk_mul_f32 v[4:5], v[10:11], v[4:5] op_sel:[1,0] op_sel_hi:[0,0]
	v_pk_add_f32 v[2:3], v[2:3], v[6:7]
	v_pk_fma_f32 v[6:7], v[10:11], v[58:59], v[4:5] neg_lo:[0,0,1] neg_hi:[0,0,1]
	v_pk_fma_f32 v[4:5], v[10:11], v[58:59], v[4:5] op_sel_hi:[1,0,1]
	s_nop 0
	v_mov_b32_e32 v7, v5
	s_waitcnt vmcnt(1) lgkmcnt(1)
	v_pk_mul_f32 v[4:5], v[12:13], v[60:61] op_sel:[1,1] op_sel_hi:[0,1]
	v_pk_add_f32 v[2:3], v[2:3], v[6:7]
	v_pk_fma_f32 v[6:7], v[12:13], v[60:61], v[4:5] neg_lo:[0,0,1] neg_hi:[0,0,1]
	v_pk_fma_f32 v[4:5], v[12:13], v[60:61], v[4:5] op_sel_hi:[1,0,1]
	s_nop 0
	v_mov_b32_e32 v4, v63
	v_mov_b32_e32 v7, v5
	v_pk_mul_f32 v[4:5], v[14:15], v[4:5] op_sel:[1,0] op_sel_hi:[0,0]
	v_pk_add_f32 v[2:3], v[2:3], v[6:7]
	v_pk_fma_f32 v[6:7], v[14:15], v[62:63], v[4:5] neg_lo:[0,0,1] neg_hi:[0,0,1]
	v_pk_fma_f32 v[4:5], v[14:15], v[62:63], v[4:5] op_sel_hi:[1,0,1]
	s_nop 0
	v_mov_b32_e32 v7, v5
	s_waitcnt vmcnt(0) lgkmcnt(0)
	v_pk_mul_f32 v[4:5], v[16:17], v[64:65] op_sel:[1,1] op_sel_hi:[0,1]
	v_pk_add_f32 v[2:3], v[2:3], v[6:7]
	v_pk_fma_f32 v[6:7], v[16:17], v[64:65], v[4:5] neg_lo:[0,0,1] neg_hi:[0,0,1]
	v_pk_fma_f32 v[4:5], v[16:17], v[64:65], v[4:5] op_sel_hi:[1,0,1]
	s_nop 0
	v_mov_b32_e32 v4, v67
	v_mov_b32_e32 v7, v5
	v_pk_mul_f32 v[4:5], v[18:19], v[4:5] op_sel:[1,0] op_sel_hi:[0,0]
	v_pk_add_f32 v[2:3], v[2:3], v[6:7]
	v_pk_fma_f32 v[6:7], v[18:19], v[66:67], v[4:5] neg_lo:[0,0,1] neg_hi:[0,0,1]
	v_pk_fma_f32 v[4:5], v[18:19], v[66:67], v[4:5] op_sel_hi:[1,0,1]
	s_nop 0
	v_mov_b32_e32 v7, v5
	scratch_load_dwordx2 v[4:5], off, off offset:152
	v_pk_add_f32 v[2:3], v[2:3], v[6:7]
	s_waitcnt vmcnt(0)
	v_pk_add_f32 v[2:3], v[4:5], v[2:3] neg_lo:[0,1] neg_hi:[0,1]
	scratch_store_dwordx2 off, v[2:3], off offset:152
	s_and_saveexec_b64 s[0:1], vcc
	s_cbranch_execz .LBB103_217
; %bb.216:
	scratch_load_dwordx2 v[2:3], off, off offset:144
	v_mov_b32_e32 v4, 0
	v_mov_b32_e32 v5, v4
	scratch_store_dwordx2 off, v[4:5], off offset:144
	s_waitcnt vmcnt(1)
	ds_write_b64 v1, v[2:3]
.LBB103_217:
	s_or_b64 exec, exec, s[0:1]
	s_waitcnt lgkmcnt(0)
	; wave barrier
	scratch_load_dwordx4 v[8:11], off, off offset:152
	scratch_load_dwordx4 v[16:19], off, off offset:168
	;; [unrolled: 1-line block ×6, first 2 shown]
	v_mov_b32_e32 v2, 0
	ds_read2_b64 v[4:7], v2 offset0:59 offset1:60
	scratch_load_dwordx4 v[56:59], off, off offset:248
	v_cmp_lt_u32_e32 vcc, 17, v0
	s_waitcnt vmcnt(6) lgkmcnt(0)
	v_mul_f32_e32 v3, v4, v9
	v_fmac_f32_e32 v3, v5, v8
	v_mul_f32_e32 v12, v6, v11
	v_add_f32_e32 v3, 0, v3
	v_fmac_f32_e32 v12, v7, v10
	v_add_f32_e32 v3, v3, v12
	ds_read2_b64 v[12:15], v2 offset0:61 offset1:62
	s_waitcnt vmcnt(5) lgkmcnt(0)
	v_mul_f32_e32 v20, v12, v17
	v_fmac_f32_e32 v20, v13, v16
	v_add_f32_e32 v3, v3, v20
	v_mul_f32_e32 v20, v14, v19
	v_fmac_f32_e32 v20, v15, v18
	v_add_f32_e32 v3, v3, v20
	ds_read2_b64 v[20:23], v2 offset0:63 offset1:64
	s_waitcnt vmcnt(4) lgkmcnt(0)
	v_mul_f32_e32 v28, v20, v25
	v_fmac_f32_e32 v28, v21, v24
	v_add_f32_e32 v3, v3, v28
	v_mul_f32_e32 v28, v22, v27
	;; [unrolled: 8-line block ×4, first 2 shown]
	v_fmac_f32_e32 v44, v39, v42
	v_add_f32_e32 v3, v3, v44
	ds_read2_b64 v[44:47], v2 offset0:69 offset1:70
	s_waitcnt vmcnt(1) lgkmcnt(0)
	v_mul_f32_e32 v52, v44, v49
	v_fmac_f32_e32 v52, v45, v48
	v_add_f32_e32 v73, v3, v52
	ds_read2_b64 v[52:55], v2 offset0:71 offset1:72
	scratch_load_dwordx4 v[60:63], off, off offset:264
	scratch_load_dwordx4 v[64:67], off, off offset:280
	;; [unrolled: 1-line block ×3, first 2 shown]
	scratch_load_dwordx2 v[78:79], off, off offset:312
	v_mul_f32_e32 v3, v5, v9
	v_fma_f32 v3, v4, v8, -v3
	v_mul_f32_e32 v4, v7, v11
	v_add_f32_e32 v3, 0, v3
	v_fma_f32 v4, v6, v10, -v4
	v_add_f32_e32 v3, v3, v4
	v_mul_f32_e32 v4, v13, v17
	v_fma_f32 v4, v12, v16, -v4
	v_add_f32_e32 v3, v3, v4
	v_mul_f32_e32 v4, v15, v19
	;; [unrolled: 3-line block ×9, first 2 shown]
	v_fma_f32 v4, v44, v48, -v4
	v_mul_f32_e32 v75, v46, v51
	v_add_f32_e32 v72, v3, v4
	v_mul_f32_e32 v3, v47, v51
	s_waitcnt vmcnt(4)
	v_mov_b32_e32 v20, v59
	v_fmac_f32_e32 v75, v47, v50
	s_waitcnt lgkmcnt(0)
	v_mul_f32_e32 v77, v52, v57
	v_fma_f32 v74, v46, v50, -v3
	v_mul_f32_e32 v3, v53, v57
	ds_read2_b64 v[4:7], v2 offset0:73 offset1:74
	ds_read2_b64 v[8:11], v2 offset0:75 offset1:76
	;; [unrolled: 1-line block ×3, first 2 shown]
	ds_read_b64 v[16:17], v2 offset:632
	v_pk_mul_f32 v[20:21], v[54:55], v[20:21] op_sel:[1,0] op_sel_hi:[0,0]
	v_fmac_f32_e32 v77, v53, v56
	v_fma_f32 v76, v52, v56, -v3
	v_pk_add_f32 v[18:19], v[72:73], v[74:75]
	v_pk_fma_f32 v[22:23], v[54:55], v[58:59], v[20:21] neg_lo:[0,0,1] neg_hi:[0,0,1]
	v_pk_fma_f32 v[20:21], v[54:55], v[58:59], v[20:21] op_sel_hi:[1,0,1]
	v_pk_add_f32 v[18:19], v[18:19], v[76:77]
	v_mov_b32_e32 v23, v21
	v_pk_add_f32 v[18:19], v[18:19], v[22:23]
	s_waitcnt vmcnt(3) lgkmcnt(3)
	v_pk_mul_f32 v[20:21], v[4:5], v[60:61] op_sel:[1,1] op_sel_hi:[0,1]
	v_pk_fma_f32 v[22:23], v[4:5], v[60:61], v[20:21] neg_lo:[0,0,1] neg_hi:[0,0,1]
	v_pk_fma_f32 v[4:5], v[4:5], v[60:61], v[20:21] op_sel_hi:[1,0,1]
	s_nop 0
	v_mov_b32_e32 v23, v5
	v_pk_add_f32 v[4:5], v[18:19], v[22:23]
	v_mov_b32_e32 v18, v63
	v_pk_mul_f32 v[18:19], v[6:7], v[18:19] op_sel:[1,0] op_sel_hi:[0,0]
	v_pk_fma_f32 v[20:21], v[6:7], v[62:63], v[18:19] neg_lo:[0,0,1] neg_hi:[0,0,1]
	v_pk_fma_f32 v[6:7], v[6:7], v[62:63], v[18:19] op_sel_hi:[1,0,1]
	s_nop 0
	v_mov_b32_e32 v21, v7
	s_waitcnt vmcnt(2) lgkmcnt(2)
	v_pk_mul_f32 v[6:7], v[8:9], v[64:65] op_sel:[1,1] op_sel_hi:[0,1]
	v_pk_fma_f32 v[18:19], v[8:9], v[64:65], v[6:7] neg_lo:[0,0,1] neg_hi:[0,0,1]
	v_pk_fma_f32 v[6:7], v[8:9], v[64:65], v[6:7] op_sel_hi:[1,0,1]
	v_pk_add_f32 v[4:5], v[4:5], v[20:21]
	v_mov_b32_e32 v6, v67
	v_mov_b32_e32 v19, v7
	v_pk_mul_f32 v[6:7], v[10:11], v[6:7] op_sel:[1,0] op_sel_hi:[0,0]
	v_pk_fma_f32 v[8:9], v[10:11], v[66:67], v[6:7] neg_lo:[0,0,1] neg_hi:[0,0,1]
	v_pk_fma_f32 v[6:7], v[10:11], v[66:67], v[6:7] op_sel_hi:[1,0,1]
	v_pk_add_f32 v[4:5], v[4:5], v[18:19]
	v_mov_b32_e32 v9, v7
	s_waitcnt vmcnt(1) lgkmcnt(1)
	v_pk_mul_f32 v[6:7], v[12:13], v[68:69] op_sel:[1,1] op_sel_hi:[0,1]
	v_pk_add_f32 v[4:5], v[4:5], v[8:9]
	v_pk_fma_f32 v[8:9], v[12:13], v[68:69], v[6:7] neg_lo:[0,0,1] neg_hi:[0,0,1]
	v_pk_fma_f32 v[6:7], v[12:13], v[68:69], v[6:7] op_sel_hi:[1,0,1]
	s_nop 0
	v_mov_b32_e32 v6, v71
	v_mov_b32_e32 v9, v7
	v_pk_mul_f32 v[6:7], v[14:15], v[6:7] op_sel:[1,0] op_sel_hi:[0,0]
	v_pk_add_f32 v[4:5], v[4:5], v[8:9]
	v_pk_fma_f32 v[8:9], v[14:15], v[70:71], v[6:7] neg_lo:[0,0,1] neg_hi:[0,0,1]
	v_pk_fma_f32 v[6:7], v[14:15], v[70:71], v[6:7] op_sel_hi:[1,0,1]
	s_nop 0
	v_mov_b32_e32 v9, v7
	s_waitcnt vmcnt(0) lgkmcnt(0)
	v_pk_mul_f32 v[6:7], v[16:17], v[78:79] op_sel:[1,1] op_sel_hi:[0,1]
	v_pk_add_f32 v[4:5], v[4:5], v[8:9]
	v_pk_fma_f32 v[8:9], v[16:17], v[78:79], v[6:7] neg_lo:[0,0,1] neg_hi:[0,0,1]
	v_pk_fma_f32 v[6:7], v[16:17], v[78:79], v[6:7] op_sel_hi:[1,0,1]
	s_nop 0
	v_mov_b32_e32 v9, v7
	scratch_load_dwordx2 v[6:7], off, off offset:144
	v_pk_add_f32 v[4:5], v[4:5], v[8:9]
	s_waitcnt vmcnt(0)
	v_pk_add_f32 v[4:5], v[6:7], v[4:5] neg_lo:[0,1] neg_hi:[0,1]
	scratch_store_dwordx2 off, v[4:5], off offset:144
	s_and_saveexec_b64 s[0:1], vcc
	s_cbranch_execz .LBB103_219
; %bb.218:
	scratch_load_dwordx2 v[4:5], off, off offset:136
	v_mov_b32_e32 v3, v2
	scratch_store_dwordx2 off, v[2:3], off offset:136
	s_waitcnt vmcnt(1)
	ds_write_b64 v1, v[4:5]
.LBB103_219:
	s_or_b64 exec, exec, s[0:1]
	s_waitcnt lgkmcnt(0)
	; wave barrier
	ds_read_b128 v[4:7], v2 offset:464
	ds_read_b128 v[8:11], v2 offset:480
	;; [unrolled: 1-line block ×4, first 2 shown]
	scratch_load_dwordx4 v[20:23], off, off offset:144
	scratch_load_dwordx4 v[40:43], off, off offset:208
	v_cmp_lt_u32_e32 vcc, 16, v0
	scratch_load_dwordx4 v[48:51], off, off offset:224
	scratch_load_dwordx4 v[56:59], off, off offset:240
	s_waitcnt vmcnt(3) lgkmcnt(3)
	v_mul_f32_e32 v3, v4, v21
	v_fmac_f32_e32 v3, v5, v20
	v_mul_f32_e32 v24, v6, v23
	v_add_f32_e32 v3, 0, v3
	v_fmac_f32_e32 v24, v7, v22
	v_add_f32_e32 v3, v3, v24
	scratch_load_dwordx4 v[24:27], off, off offset:160
	s_waitcnt vmcnt(0) lgkmcnt(2)
	v_mul_f32_e32 v28, v8, v25
	v_fmac_f32_e32 v28, v9, v24
	v_add_f32_e32 v3, v3, v28
	v_mul_f32_e32 v28, v10, v27
	v_fmac_f32_e32 v28, v11, v26
	v_add_f32_e32 v3, v3, v28
	scratch_load_dwordx4 v[28:31], off, off offset:176
	s_waitcnt vmcnt(0) lgkmcnt(1)
	v_mul_f32_e32 v32, v12, v29
	v_fmac_f32_e32 v32, v13, v28
	v_add_f32_e32 v3, v3, v32
	v_mul_f32_e32 v32, v14, v31
	;; [unrolled: 8-line block ×3, first 2 shown]
	v_fmac_f32_e32 v36, v19, v34
	v_add_f32_e32 v3, v3, v36
	ds_read_b128 v[36:39], v2 offset:528
	s_waitcnt lgkmcnt(0)
	v_mul_f32_e32 v44, v36, v41
	v_fmac_f32_e32 v44, v37, v40
	v_add_f32_e32 v3, v3, v44
	v_mul_f32_e32 v44, v38, v43
	v_fmac_f32_e32 v44, v39, v42
	v_add_f32_e32 v3, v3, v44
	ds_read_b128 v[44:47], v2 offset:544
	s_waitcnt lgkmcnt(0)
	v_mul_f32_e32 v52, v44, v49
	v_fmac_f32_e32 v52, v45, v48
	v_add_f32_e32 v3, v3, v52
	v_mul_f32_e32 v52, v46, v51
	v_fmac_f32_e32 v52, v47, v50
	v_add_f32_e32 v77, v3, v52
	ds_read_b128 v[52:55], v2 offset:560
	scratch_load_dwordx4 v[60:63], off, off offset:256
	scratch_load_dwordx4 v[64:67], off, off offset:272
	;; [unrolled: 1-line block ×4, first 2 shown]
	v_mul_f32_e32 v3, v5, v21
	v_fma_f32 v3, v4, v20, -v3
	v_mul_f32_e32 v4, v7, v23
	v_add_f32_e32 v3, 0, v3
	v_fma_f32 v4, v6, v22, -v4
	v_add_f32_e32 v3, v3, v4
	v_mul_f32_e32 v4, v9, v25
	v_fma_f32 v4, v8, v24, -v4
	v_add_f32_e32 v3, v3, v4
	v_mul_f32_e32 v4, v11, v27
	;; [unrolled: 3-line block ×10, first 2 shown]
	v_fma_f32 v4, v46, v50, -v4
	v_add_f32_e32 v76, v3, v4
	ds_read_b128 v[4:7], v2 offset:576
	ds_read_b128 v[8:11], v2 offset:592
	ds_read_b128 v[12:15], v2 offset:608
	ds_read_b128 v[16:19], v2 offset:624
	s_waitcnt lgkmcnt(4)
	v_mul_f32_e32 v79, v52, v57
	v_mul_f32_e32 v3, v53, v57
	v_fmac_f32_e32 v79, v53, v56
	v_mul_f32_e32 v81, v54, v59
	v_fma_f32 v78, v52, v56, -v3
	v_mul_f32_e32 v3, v55, v59
	v_fmac_f32_e32 v81, v55, v58
	v_fma_f32 v80, v54, v58, -v3
	v_pk_add_f32 v[2:3], v[76:77], v[78:79]
	s_waitcnt vmcnt(3) lgkmcnt(3)
	v_pk_mul_f32 v[20:21], v[4:5], v[60:61] op_sel:[1,1] op_sel_hi:[0,1]
	v_pk_fma_f32 v[22:23], v[4:5], v[60:61], v[20:21] neg_lo:[0,0,1] neg_hi:[0,0,1]
	v_pk_fma_f32 v[4:5], v[4:5], v[60:61], v[20:21] op_sel_hi:[1,0,1]
	v_pk_add_f32 v[2:3], v[2:3], v[80:81]
	v_mov_b32_e32 v4, v63
	v_mov_b32_e32 v23, v5
	v_pk_mul_f32 v[4:5], v[6:7], v[4:5] op_sel:[1,0] op_sel_hi:[0,0]
	v_pk_fma_f32 v[20:21], v[6:7], v[62:63], v[4:5] neg_lo:[0,0,1] neg_hi:[0,0,1]
	v_pk_fma_f32 v[4:5], v[6:7], v[62:63], v[4:5] op_sel_hi:[1,0,1]
	v_pk_add_f32 v[2:3], v[2:3], v[22:23]
	v_mov_b32_e32 v21, v5
	s_waitcnt vmcnt(2) lgkmcnt(2)
	v_pk_mul_f32 v[4:5], v[8:9], v[64:65] op_sel:[1,1] op_sel_hi:[0,1]
	v_pk_fma_f32 v[6:7], v[8:9], v[64:65], v[4:5] neg_lo:[0,0,1] neg_hi:[0,0,1]
	v_pk_fma_f32 v[4:5], v[8:9], v[64:65], v[4:5] op_sel_hi:[1,0,1]
	v_pk_add_f32 v[2:3], v[2:3], v[20:21]
	v_mov_b32_e32 v4, v67
	v_mov_b32_e32 v7, v5
	v_pk_mul_f32 v[4:5], v[10:11], v[4:5] op_sel:[1,0] op_sel_hi:[0,0]
	v_pk_add_f32 v[2:3], v[2:3], v[6:7]
	v_pk_fma_f32 v[6:7], v[10:11], v[66:67], v[4:5] neg_lo:[0,0,1] neg_hi:[0,0,1]
	v_pk_fma_f32 v[4:5], v[10:11], v[66:67], v[4:5] op_sel_hi:[1,0,1]
	s_nop 0
	v_mov_b32_e32 v7, v5
	s_waitcnt vmcnt(1) lgkmcnt(1)
	v_pk_mul_f32 v[4:5], v[12:13], v[68:69] op_sel:[1,1] op_sel_hi:[0,1]
	v_pk_add_f32 v[2:3], v[2:3], v[6:7]
	v_pk_fma_f32 v[6:7], v[12:13], v[68:69], v[4:5] neg_lo:[0,0,1] neg_hi:[0,0,1]
	v_pk_fma_f32 v[4:5], v[12:13], v[68:69], v[4:5] op_sel_hi:[1,0,1]
	s_nop 0
	v_mov_b32_e32 v4, v71
	v_mov_b32_e32 v7, v5
	v_pk_mul_f32 v[4:5], v[14:15], v[4:5] op_sel:[1,0] op_sel_hi:[0,0]
	v_pk_add_f32 v[2:3], v[2:3], v[6:7]
	v_pk_fma_f32 v[6:7], v[14:15], v[70:71], v[4:5] neg_lo:[0,0,1] neg_hi:[0,0,1]
	v_pk_fma_f32 v[4:5], v[14:15], v[70:71], v[4:5] op_sel_hi:[1,0,1]
	s_nop 0
	v_mov_b32_e32 v7, v5
	s_waitcnt vmcnt(0) lgkmcnt(0)
	v_pk_mul_f32 v[4:5], v[16:17], v[72:73] op_sel:[1,1] op_sel_hi:[0,1]
	v_pk_add_f32 v[2:3], v[2:3], v[6:7]
	v_pk_fma_f32 v[6:7], v[16:17], v[72:73], v[4:5] neg_lo:[0,0,1] neg_hi:[0,0,1]
	v_pk_fma_f32 v[4:5], v[16:17], v[72:73], v[4:5] op_sel_hi:[1,0,1]
	s_nop 0
	v_mov_b32_e32 v4, v75
	v_mov_b32_e32 v7, v5
	v_pk_mul_f32 v[4:5], v[18:19], v[4:5] op_sel:[1,0] op_sel_hi:[0,0]
	v_pk_add_f32 v[2:3], v[2:3], v[6:7]
	v_pk_fma_f32 v[6:7], v[18:19], v[74:75], v[4:5] neg_lo:[0,0,1] neg_hi:[0,0,1]
	v_pk_fma_f32 v[4:5], v[18:19], v[74:75], v[4:5] op_sel_hi:[1,0,1]
	s_nop 0
	v_mov_b32_e32 v7, v5
	scratch_load_dwordx2 v[4:5], off, off offset:136
	v_pk_add_f32 v[2:3], v[2:3], v[6:7]
	s_waitcnt vmcnt(0)
	v_pk_add_f32 v[2:3], v[4:5], v[2:3] neg_lo:[0,1] neg_hi:[0,1]
	scratch_store_dwordx2 off, v[2:3], off offset:136
	s_and_saveexec_b64 s[0:1], vcc
	s_cbranch_execz .LBB103_221
; %bb.220:
	scratch_load_dwordx2 v[2:3], off, off offset:128
	v_mov_b32_e32 v4, 0
	v_mov_b32_e32 v5, v4
	scratch_store_dwordx2 off, v[4:5], off offset:128
	s_waitcnt vmcnt(1)
	ds_write_b64 v1, v[2:3]
.LBB103_221:
	s_or_b64 exec, exec, s[0:1]
	s_waitcnt lgkmcnt(0)
	; wave barrier
	scratch_load_dwordx4 v[8:11], off, off offset:136
	scratch_load_dwordx4 v[16:19], off, off offset:152
	;; [unrolled: 1-line block ×8, first 2 shown]
	v_mov_b32_e32 v2, 0
	ds_read2_b64 v[4:7], v2 offset0:57 offset1:58
	v_cmp_lt_u32_e32 vcc, 15, v0
	s_waitcnt vmcnt(7) lgkmcnt(0)
	v_mul_f32_e32 v3, v4, v9
	v_fmac_f32_e32 v3, v5, v8
	v_mul_f32_e32 v12, v6, v11
	v_add_f32_e32 v3, 0, v3
	v_fmac_f32_e32 v12, v7, v10
	v_add_f32_e32 v3, v3, v12
	ds_read2_b64 v[12:15], v2 offset0:59 offset1:60
	s_waitcnt vmcnt(6) lgkmcnt(0)
	v_mul_f32_e32 v20, v12, v17
	v_fmac_f32_e32 v20, v13, v16
	v_add_f32_e32 v3, v3, v20
	v_mul_f32_e32 v20, v14, v19
	v_fmac_f32_e32 v20, v15, v18
	v_add_f32_e32 v3, v3, v20
	ds_read2_b64 v[20:23], v2 offset0:61 offset1:62
	s_waitcnt vmcnt(5) lgkmcnt(0)
	v_mul_f32_e32 v28, v20, v25
	v_fmac_f32_e32 v28, v21, v24
	v_add_f32_e32 v3, v3, v28
	v_mul_f32_e32 v28, v22, v27
	;; [unrolled: 8-line block ×5, first 2 shown]
	v_fmac_f32_e32 v52, v47, v50
	v_add_f32_e32 v3, v3, v52
	ds_read2_b64 v[52:55], v2 offset0:69 offset1:70
	s_waitcnt vmcnt(1) lgkmcnt(0)
	v_mul_f32_e32 v60, v52, v57
	v_fmac_f32_e32 v60, v53, v56
	v_add_f32_e32 v81, v3, v60
	ds_read2_b64 v[60:63], v2 offset0:71 offset1:72
	scratch_load_dwordx4 v[68:71], off, off offset:264
	scratch_load_dwordx4 v[72:75], off, off offset:280
	;; [unrolled: 1-line block ×3, first 2 shown]
	scratch_load_dwordx2 v[86:87], off, off offset:312
	v_mul_f32_e32 v3, v5, v9
	v_fma_f32 v3, v4, v8, -v3
	v_mul_f32_e32 v4, v7, v11
	v_add_f32_e32 v3, 0, v3
	v_fma_f32 v4, v6, v10, -v4
	v_add_f32_e32 v3, v3, v4
	v_mul_f32_e32 v4, v13, v17
	v_fma_f32 v4, v12, v16, -v4
	v_add_f32_e32 v3, v3, v4
	v_mul_f32_e32 v4, v15, v19
	;; [unrolled: 3-line block ×11, first 2 shown]
	v_fma_f32 v4, v52, v56, -v4
	v_mul_f32_e32 v83, v54, v59
	v_add_f32_e32 v80, v3, v4
	v_mul_f32_e32 v3, v55, v59
	s_waitcnt vmcnt(4)
	v_mov_b32_e32 v20, v67
	v_fmac_f32_e32 v83, v55, v58
	s_waitcnt lgkmcnt(0)
	v_mul_f32_e32 v85, v60, v65
	v_fma_f32 v82, v54, v58, -v3
	v_mul_f32_e32 v3, v61, v65
	ds_read2_b64 v[4:7], v2 offset0:73 offset1:74
	ds_read2_b64 v[8:11], v2 offset0:75 offset1:76
	;; [unrolled: 1-line block ×3, first 2 shown]
	ds_read_b64 v[16:17], v2 offset:632
	v_pk_mul_f32 v[20:21], v[62:63], v[20:21] op_sel:[1,0] op_sel_hi:[0,0]
	v_fmac_f32_e32 v85, v61, v64
	v_fma_f32 v84, v60, v64, -v3
	v_pk_add_f32 v[18:19], v[80:81], v[82:83]
	v_pk_fma_f32 v[22:23], v[62:63], v[66:67], v[20:21] neg_lo:[0,0,1] neg_hi:[0,0,1]
	v_pk_fma_f32 v[20:21], v[62:63], v[66:67], v[20:21] op_sel_hi:[1,0,1]
	v_pk_add_f32 v[18:19], v[18:19], v[84:85]
	v_mov_b32_e32 v23, v21
	v_pk_add_f32 v[18:19], v[18:19], v[22:23]
	s_waitcnt vmcnt(3) lgkmcnt(3)
	v_pk_mul_f32 v[20:21], v[4:5], v[68:69] op_sel:[1,1] op_sel_hi:[0,1]
	v_pk_fma_f32 v[22:23], v[4:5], v[68:69], v[20:21] neg_lo:[0,0,1] neg_hi:[0,0,1]
	v_pk_fma_f32 v[4:5], v[4:5], v[68:69], v[20:21] op_sel_hi:[1,0,1]
	s_nop 0
	v_mov_b32_e32 v23, v5
	v_pk_add_f32 v[4:5], v[18:19], v[22:23]
	v_mov_b32_e32 v18, v71
	v_pk_mul_f32 v[18:19], v[6:7], v[18:19] op_sel:[1,0] op_sel_hi:[0,0]
	v_pk_fma_f32 v[20:21], v[6:7], v[70:71], v[18:19] neg_lo:[0,0,1] neg_hi:[0,0,1]
	v_pk_fma_f32 v[6:7], v[6:7], v[70:71], v[18:19] op_sel_hi:[1,0,1]
	s_nop 0
	v_mov_b32_e32 v21, v7
	s_waitcnt vmcnt(2) lgkmcnt(2)
	v_pk_mul_f32 v[6:7], v[8:9], v[72:73] op_sel:[1,1] op_sel_hi:[0,1]
	v_pk_fma_f32 v[18:19], v[8:9], v[72:73], v[6:7] neg_lo:[0,0,1] neg_hi:[0,0,1]
	v_pk_fma_f32 v[6:7], v[8:9], v[72:73], v[6:7] op_sel_hi:[1,0,1]
	v_pk_add_f32 v[4:5], v[4:5], v[20:21]
	v_mov_b32_e32 v6, v75
	v_mov_b32_e32 v19, v7
	v_pk_mul_f32 v[6:7], v[10:11], v[6:7] op_sel:[1,0] op_sel_hi:[0,0]
	v_pk_fma_f32 v[8:9], v[10:11], v[74:75], v[6:7] neg_lo:[0,0,1] neg_hi:[0,0,1]
	v_pk_fma_f32 v[6:7], v[10:11], v[74:75], v[6:7] op_sel_hi:[1,0,1]
	v_pk_add_f32 v[4:5], v[4:5], v[18:19]
	v_mov_b32_e32 v9, v7
	s_waitcnt vmcnt(1) lgkmcnt(1)
	v_pk_mul_f32 v[6:7], v[12:13], v[76:77] op_sel:[1,1] op_sel_hi:[0,1]
	v_pk_add_f32 v[4:5], v[4:5], v[8:9]
	v_pk_fma_f32 v[8:9], v[12:13], v[76:77], v[6:7] neg_lo:[0,0,1] neg_hi:[0,0,1]
	v_pk_fma_f32 v[6:7], v[12:13], v[76:77], v[6:7] op_sel_hi:[1,0,1]
	s_nop 0
	v_mov_b32_e32 v6, v79
	v_mov_b32_e32 v9, v7
	v_pk_mul_f32 v[6:7], v[14:15], v[6:7] op_sel:[1,0] op_sel_hi:[0,0]
	v_pk_add_f32 v[4:5], v[4:5], v[8:9]
	v_pk_fma_f32 v[8:9], v[14:15], v[78:79], v[6:7] neg_lo:[0,0,1] neg_hi:[0,0,1]
	v_pk_fma_f32 v[6:7], v[14:15], v[78:79], v[6:7] op_sel_hi:[1,0,1]
	s_nop 0
	v_mov_b32_e32 v9, v7
	s_waitcnt vmcnt(0) lgkmcnt(0)
	v_pk_mul_f32 v[6:7], v[16:17], v[86:87] op_sel:[1,1] op_sel_hi:[0,1]
	v_pk_add_f32 v[4:5], v[4:5], v[8:9]
	v_pk_fma_f32 v[8:9], v[16:17], v[86:87], v[6:7] neg_lo:[0,0,1] neg_hi:[0,0,1]
	v_pk_fma_f32 v[6:7], v[16:17], v[86:87], v[6:7] op_sel_hi:[1,0,1]
	s_nop 0
	v_mov_b32_e32 v9, v7
	scratch_load_dwordx2 v[6:7], off, off offset:128
	v_pk_add_f32 v[4:5], v[4:5], v[8:9]
	s_waitcnt vmcnt(0)
	v_pk_add_f32 v[4:5], v[6:7], v[4:5] neg_lo:[0,1] neg_hi:[0,1]
	scratch_store_dwordx2 off, v[4:5], off offset:128
	s_and_saveexec_b64 s[0:1], vcc
	s_cbranch_execz .LBB103_223
; %bb.222:
	scratch_load_dwordx2 v[4:5], off, off offset:120
	v_mov_b32_e32 v3, v2
	scratch_store_dwordx2 off, v[2:3], off offset:120
	s_waitcnt vmcnt(1)
	ds_write_b64 v1, v[4:5]
.LBB103_223:
	s_or_b64 exec, exec, s[0:1]
	s_waitcnt lgkmcnt(0)
	; wave barrier
	ds_read_b128 v[4:7], v2 offset:448
	ds_read_b128 v[8:11], v2 offset:464
	;; [unrolled: 1-line block ×4, first 2 shown]
	scratch_load_dwordx4 v[20:23], off, off offset:128
	scratch_load_dwordx4 v[40:43], off, off offset:192
	v_cmp_lt_u32_e32 vcc, 14, v0
	scratch_load_dwordx4 v[48:51], off, off offset:208
	scratch_load_dwordx4 v[56:59], off, off offset:224
	;; [unrolled: 1-line block ×3, first 2 shown]
	s_waitcnt vmcnt(4) lgkmcnt(3)
	v_mul_f32_e32 v3, v4, v21
	v_fmac_f32_e32 v3, v5, v20
	v_mul_f32_e32 v24, v6, v23
	v_add_f32_e32 v3, 0, v3
	v_fmac_f32_e32 v24, v7, v22
	v_add_f32_e32 v3, v3, v24
	scratch_load_dwordx4 v[24:27], off, off offset:144
	s_waitcnt vmcnt(0) lgkmcnt(2)
	v_mul_f32_e32 v28, v8, v25
	v_fmac_f32_e32 v28, v9, v24
	v_add_f32_e32 v3, v3, v28
	v_mul_f32_e32 v28, v10, v27
	v_fmac_f32_e32 v28, v11, v26
	v_add_f32_e32 v3, v3, v28
	scratch_load_dwordx4 v[28:31], off, off offset:160
	s_waitcnt vmcnt(0) lgkmcnt(1)
	v_mul_f32_e32 v32, v12, v29
	v_fmac_f32_e32 v32, v13, v28
	v_add_f32_e32 v3, v3, v32
	v_mul_f32_e32 v32, v14, v31
	;; [unrolled: 8-line block ×3, first 2 shown]
	v_fmac_f32_e32 v36, v19, v34
	v_add_f32_e32 v3, v3, v36
	ds_read_b128 v[36:39], v2 offset:512
	s_waitcnt lgkmcnt(0)
	v_mul_f32_e32 v44, v36, v41
	v_fmac_f32_e32 v44, v37, v40
	v_add_f32_e32 v3, v3, v44
	v_mul_f32_e32 v44, v38, v43
	v_fmac_f32_e32 v44, v39, v42
	v_add_f32_e32 v3, v3, v44
	ds_read_b128 v[44:47], v2 offset:528
	s_waitcnt lgkmcnt(0)
	v_mul_f32_e32 v52, v44, v49
	v_fmac_f32_e32 v52, v45, v48
	v_add_f32_e32 v3, v3, v52
	v_mul_f32_e32 v52, v46, v51
	;; [unrolled: 8-line block ×3, first 2 shown]
	v_fmac_f32_e32 v60, v55, v58
	v_add_f32_e32 v85, v3, v60
	ds_read_b128 v[60:63], v2 offset:560
	scratch_load_dwordx4 v[68:71], off, off offset:256
	scratch_load_dwordx4 v[72:75], off, off offset:272
	;; [unrolled: 1-line block ×4, first 2 shown]
	v_mul_f32_e32 v3, v5, v21
	v_fma_f32 v3, v4, v20, -v3
	v_mul_f32_e32 v4, v7, v23
	v_add_f32_e32 v3, 0, v3
	v_fma_f32 v4, v6, v22, -v4
	v_add_f32_e32 v3, v3, v4
	v_mul_f32_e32 v4, v9, v25
	v_fma_f32 v4, v8, v24, -v4
	v_add_f32_e32 v3, v3, v4
	v_mul_f32_e32 v4, v11, v27
	;; [unrolled: 3-line block ×12, first 2 shown]
	v_fma_f32 v4, v54, v58, -v4
	v_add_f32_e32 v84, v3, v4
	ds_read_b128 v[4:7], v2 offset:576
	ds_read_b128 v[8:11], v2 offset:592
	;; [unrolled: 1-line block ×4, first 2 shown]
	s_waitcnt lgkmcnt(4)
	v_mul_f32_e32 v87, v60, v65
	v_mul_f32_e32 v3, v61, v65
	v_fmac_f32_e32 v87, v61, v64
	v_mul_f32_e32 v89, v62, v67
	v_fma_f32 v86, v60, v64, -v3
	v_mul_f32_e32 v3, v63, v67
	v_fmac_f32_e32 v89, v63, v66
	v_fma_f32 v88, v62, v66, -v3
	v_pk_add_f32 v[2:3], v[84:85], v[86:87]
	s_waitcnt vmcnt(3) lgkmcnt(3)
	v_pk_mul_f32 v[20:21], v[4:5], v[68:69] op_sel:[1,1] op_sel_hi:[0,1]
	v_pk_fma_f32 v[22:23], v[4:5], v[68:69], v[20:21] neg_lo:[0,0,1] neg_hi:[0,0,1]
	v_pk_fma_f32 v[4:5], v[4:5], v[68:69], v[20:21] op_sel_hi:[1,0,1]
	v_pk_add_f32 v[2:3], v[2:3], v[88:89]
	v_mov_b32_e32 v4, v71
	v_mov_b32_e32 v23, v5
	v_pk_mul_f32 v[4:5], v[6:7], v[4:5] op_sel:[1,0] op_sel_hi:[0,0]
	v_pk_fma_f32 v[20:21], v[6:7], v[70:71], v[4:5] neg_lo:[0,0,1] neg_hi:[0,0,1]
	v_pk_fma_f32 v[4:5], v[6:7], v[70:71], v[4:5] op_sel_hi:[1,0,1]
	v_pk_add_f32 v[2:3], v[2:3], v[22:23]
	v_mov_b32_e32 v21, v5
	s_waitcnt vmcnt(2) lgkmcnt(2)
	v_pk_mul_f32 v[4:5], v[8:9], v[72:73] op_sel:[1,1] op_sel_hi:[0,1]
	v_pk_fma_f32 v[6:7], v[8:9], v[72:73], v[4:5] neg_lo:[0,0,1] neg_hi:[0,0,1]
	v_pk_fma_f32 v[4:5], v[8:9], v[72:73], v[4:5] op_sel_hi:[1,0,1]
	v_pk_add_f32 v[2:3], v[2:3], v[20:21]
	v_mov_b32_e32 v4, v75
	v_mov_b32_e32 v7, v5
	v_pk_mul_f32 v[4:5], v[10:11], v[4:5] op_sel:[1,0] op_sel_hi:[0,0]
	v_pk_add_f32 v[2:3], v[2:3], v[6:7]
	v_pk_fma_f32 v[6:7], v[10:11], v[74:75], v[4:5] neg_lo:[0,0,1] neg_hi:[0,0,1]
	v_pk_fma_f32 v[4:5], v[10:11], v[74:75], v[4:5] op_sel_hi:[1,0,1]
	s_nop 0
	v_mov_b32_e32 v7, v5
	s_waitcnt vmcnt(1) lgkmcnt(1)
	v_pk_mul_f32 v[4:5], v[12:13], v[76:77] op_sel:[1,1] op_sel_hi:[0,1]
	v_pk_add_f32 v[2:3], v[2:3], v[6:7]
	v_pk_fma_f32 v[6:7], v[12:13], v[76:77], v[4:5] neg_lo:[0,0,1] neg_hi:[0,0,1]
	v_pk_fma_f32 v[4:5], v[12:13], v[76:77], v[4:5] op_sel_hi:[1,0,1]
	s_nop 0
	v_mov_b32_e32 v4, v79
	v_mov_b32_e32 v7, v5
	v_pk_mul_f32 v[4:5], v[14:15], v[4:5] op_sel:[1,0] op_sel_hi:[0,0]
	v_pk_add_f32 v[2:3], v[2:3], v[6:7]
	v_pk_fma_f32 v[6:7], v[14:15], v[78:79], v[4:5] neg_lo:[0,0,1] neg_hi:[0,0,1]
	v_pk_fma_f32 v[4:5], v[14:15], v[78:79], v[4:5] op_sel_hi:[1,0,1]
	s_nop 0
	v_mov_b32_e32 v7, v5
	s_waitcnt vmcnt(0) lgkmcnt(0)
	v_pk_mul_f32 v[4:5], v[16:17], v[80:81] op_sel:[1,1] op_sel_hi:[0,1]
	v_pk_add_f32 v[2:3], v[2:3], v[6:7]
	v_pk_fma_f32 v[6:7], v[16:17], v[80:81], v[4:5] neg_lo:[0,0,1] neg_hi:[0,0,1]
	v_pk_fma_f32 v[4:5], v[16:17], v[80:81], v[4:5] op_sel_hi:[1,0,1]
	s_nop 0
	v_mov_b32_e32 v4, v83
	v_mov_b32_e32 v7, v5
	v_pk_mul_f32 v[4:5], v[18:19], v[4:5] op_sel:[1,0] op_sel_hi:[0,0]
	v_pk_add_f32 v[2:3], v[2:3], v[6:7]
	v_pk_fma_f32 v[6:7], v[18:19], v[82:83], v[4:5] neg_lo:[0,0,1] neg_hi:[0,0,1]
	v_pk_fma_f32 v[4:5], v[18:19], v[82:83], v[4:5] op_sel_hi:[1,0,1]
	s_nop 0
	v_mov_b32_e32 v7, v5
	scratch_load_dwordx2 v[4:5], off, off offset:120
	v_pk_add_f32 v[2:3], v[2:3], v[6:7]
	s_waitcnt vmcnt(0)
	v_pk_add_f32 v[2:3], v[4:5], v[2:3] neg_lo:[0,1] neg_hi:[0,1]
	scratch_store_dwordx2 off, v[2:3], off offset:120
	s_and_saveexec_b64 s[0:1], vcc
	s_cbranch_execz .LBB103_225
; %bb.224:
	scratch_load_dwordx2 v[2:3], off, off offset:112
	v_mov_b32_e32 v4, 0
	v_mov_b32_e32 v5, v4
	scratch_store_dwordx2 off, v[4:5], off offset:112
	s_waitcnt vmcnt(1)
	ds_write_b64 v1, v[2:3]
.LBB103_225:
	s_or_b64 exec, exec, s[0:1]
	s_waitcnt lgkmcnt(0)
	; wave barrier
	scratch_load_dwordx4 v[2:5], off, off offset:120
	scratch_load_dwordx4 v[22:25], off, off offset:136
	;; [unrolled: 1-line block ×12, first 2 shown]
	scratch_load_dwordx2 v[50:51], off, off offset:312
	scratch_load_dwordx2 v[56:57], off, off offset:112
	v_mov_b32_e32 v58, 0
	ds_read2_b64 v[52:55], v58 offset0:55 offset1:56
	ds_read2_b64 v[60:63], v58 offset0:57 offset1:58
	;; [unrolled: 1-line block ×10, first 2 shown]
	v_cmp_lt_u32_e32 vcc, 13, v0
	s_waitcnt vmcnt(13) lgkmcnt(9)
	v_mul_f32_e32 v59, v52, v3
	v_mul_f32_e32 v96, v54, v5
	;; [unrolled: 1-line block ×3, first 2 shown]
	s_waitcnt vmcnt(10) lgkmcnt(6)
	v_mul_f32_e32 v103, v68, v11
	v_mul_f32_e32 v11, v69, v11
	v_fmac_f32_e32 v59, v53, v2
	v_mul_f32_e32 v98, v60, v23
	v_mul_f32_e32 v5, v55, v5
	v_fmac_f32_e32 v96, v55, v4
	v_fmac_f32_e32 v103, v69, v10
	v_fma_f32 v2, v52, v2, -v3
	v_fma_f32 v10, v68, v10, -v11
	v_add_f32_e32 v11, 0, v59
	v_mul_f32_e32 v100, v62, v25
	v_fmac_f32_e32 v98, v61, v22
	v_fma_f32 v3, v54, v4, -v5
	v_add_f32_e32 v2, 0, v2
	v_add_f32_e32 v11, v11, v96
	v_mul_f32_e32 v101, v64, v39
	v_fmac_f32_e32 v100, v63, v24
	v_add_f32_e32 v2, v2, v3
	v_add_f32_e32 v3, v11, v98
	v_mul_f32_e32 v102, v66, v41
	v_fmac_f32_e32 v101, v65, v38
	v_add_f32_e32 v3, v3, v100
	v_fmac_f32_e32 v102, v67, v40
	v_add_f32_e32 v3, v3, v101
	v_mul_f32_e32 v104, v70, v13
	v_add_f32_e32 v3, v3, v102
	s_waitcnt vmcnt(9) lgkmcnt(5)
	v_mul_f32_e32 v105, v72, v15
	v_fmac_f32_e32 v104, v71, v12
	v_add_f32_e32 v3, v3, v103
	v_mul_f32_e32 v106, v74, v17
	v_fmac_f32_e32 v105, v73, v14
	v_add_f32_e32 v3, v3, v104
	s_waitcnt vmcnt(8) lgkmcnt(4)
	v_mul_f32_e32 v107, v76, v27
	v_fmac_f32_e32 v106, v75, v16
	v_add_f32_e32 v3, v3, v105
	v_mul_f32_e32 v108, v78, v29
	v_mul_f32_e32 v23, v61, v23
	v_fmac_f32_e32 v107, v77, v26
	v_add_f32_e32 v3, v3, v106
	s_waitcnt vmcnt(7) lgkmcnt(3)
	v_mul_f32_e32 v109, v80, v31
	v_mul_f32_e32 v25, v63, v25
	v_fmac_f32_e32 v108, v79, v28
	v_fma_f32 v4, v60, v22, -v23
	v_add_f32_e32 v3, v3, v107
	v_mul_f32_e32 v110, v82, v33
	v_mul_f32_e32 v39, v65, v39
	v_fmac_f32_e32 v109, v81, v30
	v_fma_f32 v5, v62, v24, -v25
	v_add_f32_e32 v2, v2, v4
	v_add_f32_e32 v3, v3, v108
	s_waitcnt vmcnt(6) lgkmcnt(2)
	v_mul_f32_e32 v111, v84, v43
	v_mul_f32_e32 v41, v67, v41
	v_fmac_f32_e32 v110, v83, v32
	v_fma_f32 v22, v64, v38, -v39
	v_add_f32_e32 v2, v2, v5
	v_add_f32_e32 v3, v3, v109
	v_fmac_f32_e32 v111, v85, v42
	v_fma_f32 v23, v66, v40, -v41
	v_add_f32_e32 v2, v2, v22
	v_add_f32_e32 v3, v3, v110
	;; [unrolled: 1-line block ×4, first 2 shown]
	v_mul_f32_e32 v3, v71, v13
	v_add_f32_e32 v2, v2, v10
	v_fma_f32 v3, v70, v12, -v3
	v_add_f32_e32 v2, v2, v3
	v_mul_f32_e32 v3, v73, v15
	v_fma_f32 v3, v72, v14, -v3
	v_add_f32_e32 v2, v2, v3
	v_mul_f32_e32 v3, v75, v17
	;; [unrolled: 3-line block ×7, first 2 shown]
	v_fma_f32 v3, v84, v42, -v3
	v_mul_f32_e32 v97, v86, v45
	v_add_f32_e32 v22, v2, v3
	v_mul_f32_e32 v2, v87, v45
	v_fmac_f32_e32 v97, v87, v44
	v_fma_f32 v96, v86, v44, -v2
	v_pk_add_f32 v[16:17], v[22:23], v[96:97]
	s_waitcnt vmcnt(5)
	v_mov_b32_e32 v22, v49
	s_waitcnt lgkmcnt(1)
	v_mul_f32_e32 v99, v88, v47
	v_mul_f32_e32 v2, v89, v47
	v_pk_mul_f32 v[22:23], v[90:91], v[22:23] op_sel:[1,0] op_sel_hi:[0,0]
	v_fmac_f32_e32 v99, v89, v46
	v_fma_f32 v98, v88, v46, -v2
	v_pk_fma_f32 v[24:25], v[90:91], v[48:49], v[22:23] neg_lo:[0,0,1] neg_hi:[0,0,1]
	v_pk_fma_f32 v[22:23], v[90:91], v[48:49], v[22:23] op_sel_hi:[1,0,1]
	v_pk_add_f32 v[16:17], v[16:17], v[98:99]
	v_mov_b32_e32 v25, v23
	s_waitcnt vmcnt(4) lgkmcnt(0)
	v_pk_mul_f32 v[22:23], v[92:93], v[34:35] op_sel:[1,1] op_sel_hi:[0,1]
	v_pk_add_f32 v[16:17], v[16:17], v[24:25]
	v_pk_fma_f32 v[24:25], v[92:93], v[34:35], v[22:23] neg_lo:[0,0,1] neg_hi:[0,0,1]
	v_pk_fma_f32 v[22:23], v[92:93], v[34:35], v[22:23] op_sel_hi:[1,0,1]
	ds_read2_b64 v[2:5], v58 offset0:75 offset1:76
	ds_read2_b64 v[10:13], v58 offset0:77 offset1:78
	ds_read_b64 v[14:15], v58 offset:632
	v_mov_b32_e32 v22, v37
	v_mov_b32_e32 v25, v23
	v_pk_mul_f32 v[22:23], v[94:95], v[22:23] op_sel:[1,0] op_sel_hi:[0,0]
	v_pk_add_f32 v[16:17], v[16:17], v[24:25]
	v_pk_fma_f32 v[24:25], v[94:95], v[36:37], v[22:23] neg_lo:[0,0,1] neg_hi:[0,0,1]
	v_pk_fma_f32 v[22:23], v[94:95], v[36:37], v[22:23] op_sel_hi:[1,0,1]
	s_nop 0
	v_mov_b32_e32 v25, v23
	s_waitcnt vmcnt(3) lgkmcnt(2)
	v_pk_mul_f32 v[22:23], v[2:3], v[18:19] op_sel:[1,1] op_sel_hi:[0,1]
	v_pk_add_f32 v[16:17], v[16:17], v[24:25]
	v_pk_fma_f32 v[24:25], v[2:3], v[18:19], v[22:23] neg_lo:[0,0,1] neg_hi:[0,0,1]
	v_pk_fma_f32 v[2:3], v[2:3], v[18:19], v[22:23] op_sel_hi:[1,0,1]
	s_nop 0
	v_mov_b32_e32 v25, v3
	v_pk_add_f32 v[2:3], v[16:17], v[24:25]
	v_mov_b32_e32 v16, v21
	v_pk_mul_f32 v[16:17], v[4:5], v[16:17] op_sel:[1,0] op_sel_hi:[0,0]
	v_pk_fma_f32 v[18:19], v[4:5], v[20:21], v[16:17] neg_lo:[0,0,1] neg_hi:[0,0,1]
	v_pk_fma_f32 v[4:5], v[4:5], v[20:21], v[16:17] op_sel_hi:[1,0,1]
	s_nop 0
	v_mov_b32_e32 v19, v5
	s_waitcnt vmcnt(2) lgkmcnt(1)
	v_pk_mul_f32 v[4:5], v[10:11], v[6:7] op_sel:[1,1] op_sel_hi:[0,1]
	v_pk_fma_f32 v[16:17], v[10:11], v[6:7], v[4:5] neg_lo:[0,0,1] neg_hi:[0,0,1]
	v_pk_fma_f32 v[4:5], v[10:11], v[6:7], v[4:5] op_sel_hi:[1,0,1]
	v_pk_add_f32 v[2:3], v[2:3], v[18:19]
	v_mov_b32_e32 v4, v9
	v_mov_b32_e32 v17, v5
	v_pk_mul_f32 v[4:5], v[12:13], v[4:5] op_sel:[1,0] op_sel_hi:[0,0]
	v_pk_fma_f32 v[6:7], v[12:13], v[8:9], v[4:5] neg_lo:[0,0,1] neg_hi:[0,0,1]
	v_pk_fma_f32 v[4:5], v[12:13], v[8:9], v[4:5] op_sel_hi:[1,0,1]
	v_pk_add_f32 v[2:3], v[2:3], v[16:17]
	v_mov_b32_e32 v7, v5
	s_waitcnt vmcnt(1) lgkmcnt(0)
	v_pk_mul_f32 v[4:5], v[14:15], v[50:51] op_sel:[1,1] op_sel_hi:[0,1]
	v_pk_add_f32 v[2:3], v[2:3], v[6:7]
	v_pk_fma_f32 v[6:7], v[14:15], v[50:51], v[4:5] neg_lo:[0,0,1] neg_hi:[0,0,1]
	v_pk_fma_f32 v[4:5], v[14:15], v[50:51], v[4:5] op_sel_hi:[1,0,1]
	s_nop 0
	v_mov_b32_e32 v7, v5
	v_pk_add_f32 v[2:3], v[2:3], v[6:7]
	s_waitcnt vmcnt(0)
	v_pk_add_f32 v[2:3], v[56:57], v[2:3] neg_lo:[0,1] neg_hi:[0,1]
	scratch_store_dwordx2 off, v[2:3], off offset:112
	s_and_saveexec_b64 s[0:1], vcc
	s_cbranch_execz .LBB103_227
; %bb.226:
	scratch_load_dwordx2 v[2:3], off, off offset:104
	v_mov_b32_e32 v59, v58
	scratch_store_dwordx2 off, v[58:59], off offset:104
	s_waitcnt vmcnt(1)
	ds_write_b64 v1, v[2:3]
.LBB103_227:
	s_or_b64 exec, exec, s[0:1]
	s_waitcnt lgkmcnt(0)
	; wave barrier
	scratch_load_dwordx4 v[10:13], off, off offset:112
	scratch_load_dwordx4 v[26:29], off, off offset:128
	;; [unrolled: 1-line block ×9, first 2 shown]
	ds_read_b128 v[60:63], v58 offset:432
	ds_read_b128 v[64:67], v58 offset:448
	;; [unrolled: 1-line block ×8, first 2 shown]
	scratch_load_dwordx4 v[50:53], off, off offset:256
	scratch_load_dwordx4 v[34:37], off, off offset:272
	;; [unrolled: 1-line block ×4, first 2 shown]
	ds_read_b128 v[88:91], v58 offset:560
	ds_read_b128 v[92:95], v58 offset:576
	scratch_load_dwordx2 v[96:97], off, off offset:104
	v_cmp_lt_u32_e32 vcc, 12, v0
	s_waitcnt vmcnt(13) lgkmcnt(9)
	v_mul_f32_e32 v59, v60, v11
	v_mul_f32_e32 v98, v62, v13
	v_fmac_f32_e32 v59, v61, v10
	s_waitcnt vmcnt(10) lgkmcnt(6)
	v_mul_f32_e32 v105, v72, v3
	v_mul_f32_e32 v3, v73, v3
	v_mul_f32_e32 v100, v64, v27
	v_fmac_f32_e32 v98, v63, v12
	v_fmac_f32_e32 v105, v73, v2
	v_fma_f32 v2, v72, v2, -v3
	v_add_f32_e32 v3, 0, v59
	v_mul_f32_e32 v102, v66, v29
	v_fmac_f32_e32 v100, v65, v26
	v_add_f32_e32 v3, v3, v98
	v_mul_f32_e32 v103, v68, v43
	v_fmac_f32_e32 v102, v67, v28
	;; [unrolled: 3-line block ×3, first 2 shown]
	v_add_f32_e32 v3, v3, v102
	v_fmac_f32_e32 v104, v71, v44
	v_add_f32_e32 v3, v3, v103
	v_mul_f32_e32 v106, v74, v5
	v_add_f32_e32 v3, v3, v104
	s_waitcnt vmcnt(9) lgkmcnt(5)
	v_mul_f32_e32 v107, v76, v15
	v_fmac_f32_e32 v106, v75, v4
	v_add_f32_e32 v3, v3, v105
	v_mul_f32_e32 v108, v78, v17
	v_fmac_f32_e32 v107, v77, v14
	v_add_f32_e32 v3, v3, v106
	s_waitcnt vmcnt(8) lgkmcnt(4)
	v_mul_f32_e32 v109, v80, v19
	v_mul_f32_e32 v11, v61, v11
	v_fmac_f32_e32 v108, v79, v16
	v_add_f32_e32 v3, v3, v107
	v_mul_f32_e32 v110, v82, v21
	v_mul_f32_e32 v13, v63, v13
	v_fmac_f32_e32 v109, v81, v18
	v_fma_f32 v10, v60, v10, -v11
	v_add_f32_e32 v3, v3, v108
	s_waitcnt vmcnt(7) lgkmcnt(3)
	v_mul_f32_e32 v111, v84, v31
	v_mul_f32_e32 v27, v65, v27
	v_fmac_f32_e32 v110, v83, v20
	v_fma_f32 v11, v62, v12, -v13
	v_add_f32_e32 v10, 0, v10
	v_add_f32_e32 v3, v3, v109
	v_mul_f32_e32 v112, v86, v33
	v_mul_f32_e32 v29, v67, v29
	v_fmac_f32_e32 v111, v85, v30
	v_fma_f32 v12, v64, v26, -v27
	v_add_f32_e32 v10, v10, v11
	v_add_f32_e32 v3, v3, v110
	s_waitcnt vmcnt(6) lgkmcnt(2)
	v_mul_f32_e32 v113, v54, v39
	v_mul_f32_e32 v43, v69, v43
	v_fmac_f32_e32 v112, v87, v32
	v_fma_f32 v13, v66, v28, -v29
	v_add_f32_e32 v10, v10, v12
	v_add_f32_e32 v3, v3, v111
	v_mul_f32_e32 v114, v56, v41
	v_mul_f32_e32 v45, v71, v45
	v_fmac_f32_e32 v113, v55, v38
	v_fma_f32 v26, v68, v42, -v43
	v_add_f32_e32 v10, v10, v13
	v_add_f32_e32 v3, v3, v112
	v_fmac_f32_e32 v114, v57, v40
	v_fma_f32 v27, v70, v44, -v45
	v_add_f32_e32 v10, v10, v26
	v_add_f32_e32 v3, v3, v113
	;; [unrolled: 1-line block ×4, first 2 shown]
	v_mul_f32_e32 v3, v75, v5
	v_add_f32_e32 v2, v10, v2
	v_fma_f32 v3, v74, v4, -v3
	v_add_f32_e32 v2, v2, v3
	v_mul_f32_e32 v3, v77, v15
	v_fma_f32 v3, v76, v14, -v3
	v_add_f32_e32 v2, v2, v3
	v_mul_f32_e32 v3, v79, v17
	;; [unrolled: 3-line block ×8, first 2 shown]
	v_fma_f32 v3, v56, v40, -v3
	s_waitcnt vmcnt(5) lgkmcnt(1)
	v_mul_f32_e32 v99, v88, v47
	v_add_f32_e32 v26, v2, v3
	v_mul_f32_e32 v2, v89, v47
	v_fmac_f32_e32 v99, v89, v46
	v_fma_f32 v98, v88, v46, -v2
	s_waitcnt vmcnt(4) lgkmcnt(0)
	v_pk_mul_f32 v[20:21], v[92:93], v[50:51] op_sel:[1,1] op_sel_hi:[0,1]
	v_mul_f32_e32 v101, v90, v49
	v_mul_f32_e32 v2, v91, v49
	v_pk_add_f32 v[18:19], v[26:27], v[98:99]
	v_pk_fma_f32 v[26:27], v[92:93], v[50:51], v[20:21] neg_lo:[0,0,1] neg_hi:[0,0,1]
	v_pk_fma_f32 v[20:21], v[92:93], v[50:51], v[20:21] op_sel_hi:[1,0,1]
	v_fmac_f32_e32 v101, v91, v48
	v_fma_f32 v100, v90, v48, -v2
	ds_read_b128 v[2:5], v58 offset:592
	ds_read_b128 v[10:13], v58 offset:608
	ds_read_b128 v[14:17], v58 offset:624
	v_mov_b32_e32 v20, v53
	v_pk_add_f32 v[18:19], v[18:19], v[100:101]
	v_mov_b32_e32 v27, v21
	v_pk_mul_f32 v[20:21], v[94:95], v[20:21] op_sel:[1,0] op_sel_hi:[0,0]
	v_pk_add_f32 v[18:19], v[18:19], v[26:27]
	v_pk_fma_f32 v[26:27], v[94:95], v[52:53], v[20:21] neg_lo:[0,0,1] neg_hi:[0,0,1]
	v_pk_fma_f32 v[20:21], v[94:95], v[52:53], v[20:21] op_sel_hi:[1,0,1]
	s_nop 0
	v_mov_b32_e32 v27, v21
	s_waitcnt vmcnt(3) lgkmcnt(2)
	v_pk_mul_f32 v[20:21], v[2:3], v[34:35] op_sel:[1,1] op_sel_hi:[0,1]
	v_pk_add_f32 v[18:19], v[18:19], v[26:27]
	v_pk_fma_f32 v[26:27], v[2:3], v[34:35], v[20:21] neg_lo:[0,0,1] neg_hi:[0,0,1]
	v_pk_fma_f32 v[2:3], v[2:3], v[34:35], v[20:21] op_sel_hi:[1,0,1]
	s_nop 0
	v_mov_b32_e32 v27, v3
	v_pk_add_f32 v[2:3], v[18:19], v[26:27]
	v_mov_b32_e32 v18, v37
	v_pk_mul_f32 v[18:19], v[4:5], v[18:19] op_sel:[1,0] op_sel_hi:[0,0]
	v_pk_fma_f32 v[20:21], v[4:5], v[36:37], v[18:19] neg_lo:[0,0,1] neg_hi:[0,0,1]
	v_pk_fma_f32 v[4:5], v[4:5], v[36:37], v[18:19] op_sel_hi:[1,0,1]
	s_nop 0
	v_mov_b32_e32 v21, v5
	s_waitcnt vmcnt(2) lgkmcnt(1)
	v_pk_mul_f32 v[4:5], v[10:11], v[22:23] op_sel:[1,1] op_sel_hi:[0,1]
	v_pk_fma_f32 v[18:19], v[10:11], v[22:23], v[4:5] neg_lo:[0,0,1] neg_hi:[0,0,1]
	v_pk_fma_f32 v[4:5], v[10:11], v[22:23], v[4:5] op_sel_hi:[1,0,1]
	v_pk_add_f32 v[2:3], v[2:3], v[20:21]
	v_mov_b32_e32 v4, v25
	v_mov_b32_e32 v19, v5
	v_pk_mul_f32 v[4:5], v[12:13], v[4:5] op_sel:[1,0] op_sel_hi:[0,0]
	v_pk_fma_f32 v[10:11], v[12:13], v[24:25], v[4:5] neg_lo:[0,0,1] neg_hi:[0,0,1]
	v_pk_fma_f32 v[4:5], v[12:13], v[24:25], v[4:5] op_sel_hi:[1,0,1]
	v_pk_add_f32 v[2:3], v[2:3], v[18:19]
	v_mov_b32_e32 v11, v5
	s_waitcnt vmcnt(1) lgkmcnt(0)
	v_pk_mul_f32 v[4:5], v[14:15], v[6:7] op_sel:[1,1] op_sel_hi:[0,1]
	v_pk_add_f32 v[2:3], v[2:3], v[10:11]
	v_pk_fma_f32 v[10:11], v[14:15], v[6:7], v[4:5] neg_lo:[0,0,1] neg_hi:[0,0,1]
	v_pk_fma_f32 v[4:5], v[14:15], v[6:7], v[4:5] op_sel_hi:[1,0,1]
	s_nop 0
	v_mov_b32_e32 v4, v9
	v_mov_b32_e32 v11, v5
	v_pk_mul_f32 v[4:5], v[16:17], v[4:5] op_sel:[1,0] op_sel_hi:[0,0]
	v_pk_fma_f32 v[6:7], v[16:17], v[8:9], v[4:5] neg_lo:[0,0,1] neg_hi:[0,0,1]
	v_pk_fma_f32 v[4:5], v[16:17], v[8:9], v[4:5] op_sel_hi:[1,0,1]
	v_pk_add_f32 v[2:3], v[2:3], v[10:11]
	v_mov_b32_e32 v7, v5
	v_pk_add_f32 v[2:3], v[2:3], v[6:7]
	s_waitcnt vmcnt(0)
	v_pk_add_f32 v[2:3], v[96:97], v[2:3] neg_lo:[0,1] neg_hi:[0,1]
	scratch_store_dwordx2 off, v[2:3], off offset:104
	s_and_saveexec_b64 s[0:1], vcc
	s_cbranch_execz .LBB103_229
; %bb.228:
	scratch_load_dwordx2 v[2:3], off, off offset:96
	v_mov_b32_e32 v4, 0
	v_mov_b32_e32 v5, v4
	scratch_store_dwordx2 off, v[4:5], off offset:96
	s_waitcnt vmcnt(1)
	ds_write_b64 v1, v[2:3]
.LBB103_229:
	s_or_b64 exec, exec, s[0:1]
	s_waitcnt lgkmcnt(0)
	; wave barrier
	scratch_load_dwordx4 v[10:13], off, off offset:104
	scratch_load_dwordx4 v[30:33], off, off offset:120
	;; [unrolled: 1-line block ×13, first 2 shown]
	scratch_load_dwordx2 v[54:55], off, off offset:312
	scratch_load_dwordx2 v[80:81], off, off offset:96
	v_mov_b32_e32 v82, 0
	ds_read2_b64 v[56:59], v82 offset0:53 offset1:54
	ds_read2_b64 v[60:63], v82 offset0:55 offset1:56
	;; [unrolled: 1-line block ×10, first 2 shown]
	v_cmp_lt_u32_e32 vcc, 11, v0
	s_waitcnt vmcnt(14) lgkmcnt(9)
	v_mul_f32_e32 v83, v56, v11
	v_mul_f32_e32 v100, v58, v13
	s_waitcnt vmcnt(12) lgkmcnt(7)
	v_mul_f32_e32 v105, v64, v3
	v_mul_f32_e32 v3, v65, v3
	v_fmac_f32_e32 v83, v57, v10
	v_mul_f32_e32 v102, v60, v31
	v_fmac_f32_e32 v100, v59, v12
	v_fmac_f32_e32 v105, v65, v2
	v_fma_f32 v2, v64, v2, -v3
	v_add_f32_e32 v3, 0, v83
	v_mul_f32_e32 v104, v62, v33
	v_fmac_f32_e32 v102, v61, v30
	v_add_f32_e32 v3, v3, v100
	v_fmac_f32_e32 v104, v63, v32
	v_add_f32_e32 v3, v3, v102
	v_mul_f32_e32 v106, v66, v5
	v_add_f32_e32 v3, v3, v104
	s_waitcnt vmcnt(11) lgkmcnt(6)
	v_mul_f32_e32 v107, v68, v7
	v_fmac_f32_e32 v106, v67, v4
	v_add_f32_e32 v3, v3, v105
	v_mul_f32_e32 v108, v70, v9
	v_fmac_f32_e32 v107, v69, v6
	v_add_f32_e32 v3, v3, v106
	s_waitcnt vmcnt(10) lgkmcnt(5)
	v_mul_f32_e32 v109, v72, v19
	v_fmac_f32_e32 v108, v71, v8
	v_add_f32_e32 v3, v3, v107
	v_mul_f32_e32 v110, v74, v21
	v_fmac_f32_e32 v109, v73, v18
	;; [unrolled: 7-line block ×3, first 2 shown]
	v_add_f32_e32 v3, v3, v110
	s_waitcnt vmcnt(8) lgkmcnt(3)
	v_mul_f32_e32 v113, v84, v35
	v_mul_f32_e32 v11, v57, v11
	v_fmac_f32_e32 v112, v79, v24
	v_add_f32_e32 v3, v3, v111
	v_mul_f32_e32 v114, v86, v37
	v_mul_f32_e32 v13, v59, v13
	v_fmac_f32_e32 v113, v85, v34
	v_fma_f32 v10, v56, v10, -v11
	v_add_f32_e32 v3, v3, v112
	s_waitcnt vmcnt(7) lgkmcnt(2)
	v_mul_f32_e32 v115, v88, v39
	v_mul_f32_e32 v31, v61, v31
	v_fmac_f32_e32 v114, v87, v36
	v_fma_f32 v11, v58, v12, -v13
	v_add_f32_e32 v10, 0, v10
	v_add_f32_e32 v3, v3, v113
	v_mul_f32_e32 v116, v90, v41
	v_mul_f32_e32 v33, v63, v33
	v_fmac_f32_e32 v115, v89, v38
	v_fma_f32 v12, v60, v30, -v31
	v_add_f32_e32 v10, v10, v11
	v_add_f32_e32 v3, v3, v114
	s_waitcnt vmcnt(6) lgkmcnt(1)
	v_mul_f32_e32 v117, v92, v51
	v_fmac_f32_e32 v116, v91, v40
	v_fma_f32 v13, v62, v32, -v33
	v_add_f32_e32 v10, v10, v12
	v_add_f32_e32 v3, v3, v115
	v_mul_f32_e32 v5, v67, v5
	v_fmac_f32_e32 v117, v93, v50
	v_add_f32_e32 v10, v10, v13
	v_add_f32_e32 v3, v3, v116
	;; [unrolled: 1-line block ×4, first 2 shown]
	v_fma_f32 v3, v66, v4, -v5
	v_add_f32_e32 v2, v2, v3
	v_mul_f32_e32 v3, v69, v7
	v_fma_f32 v3, v68, v6, -v3
	v_add_f32_e32 v2, v2, v3
	v_mul_f32_e32 v3, v71, v9
	;; [unrolled: 3-line block ×12, first 2 shown]
	v_mul_f32_e32 v101, v94, v53
	v_fma_f32 v100, v94, v52, -v2
	s_waitcnt vmcnt(5) lgkmcnt(0)
	v_mul_f32_e32 v2, v97, v47
	v_mov_b32_e32 v22, v49
	v_mul_f32_e32 v103, v96, v47
	v_fmac_f32_e32 v101, v95, v52
	v_fma_f32 v102, v96, v46, -v2
	ds_read2_b64 v[2:5], v82 offset0:73 offset1:74
	ds_read2_b64 v[6:9], v82 offset0:75 offset1:76
	;; [unrolled: 1-line block ×3, first 2 shown]
	ds_read_b64 v[18:19], v82 offset:632
	v_pk_mul_f32 v[22:23], v[98:99], v[22:23] op_sel:[1,0] op_sel_hi:[0,0]
	v_fmac_f32_e32 v103, v97, v46
	v_pk_add_f32 v[20:21], v[30:31], v[100:101]
	v_pk_fma_f32 v[24:25], v[98:99], v[48:49], v[22:23] neg_lo:[0,0,1] neg_hi:[0,0,1]
	v_pk_fma_f32 v[22:23], v[98:99], v[48:49], v[22:23] op_sel_hi:[1,0,1]
	v_pk_add_f32 v[20:21], v[20:21], v[102:103]
	v_mov_b32_e32 v25, v23
	s_waitcnt vmcnt(4) lgkmcnt(3)
	v_pk_mul_f32 v[22:23], v[2:3], v[42:43] op_sel:[1,1] op_sel_hi:[0,1]
	v_pk_add_f32 v[20:21], v[20:21], v[24:25]
	v_pk_fma_f32 v[24:25], v[2:3], v[42:43], v[22:23] neg_lo:[0,0,1] neg_hi:[0,0,1]
	v_pk_fma_f32 v[2:3], v[2:3], v[42:43], v[22:23] op_sel_hi:[1,0,1]
	s_nop 0
	v_mov_b32_e32 v25, v3
	v_pk_add_f32 v[2:3], v[20:21], v[24:25]
	v_mov_b32_e32 v20, v45
	v_pk_mul_f32 v[20:21], v[4:5], v[20:21] op_sel:[1,0] op_sel_hi:[0,0]
	v_pk_fma_f32 v[22:23], v[4:5], v[44:45], v[20:21] neg_lo:[0,0,1] neg_hi:[0,0,1]
	v_pk_fma_f32 v[4:5], v[4:5], v[44:45], v[20:21] op_sel_hi:[1,0,1]
	s_nop 0
	v_mov_b32_e32 v23, v5
	s_waitcnt vmcnt(3) lgkmcnt(2)
	v_pk_mul_f32 v[4:5], v[6:7], v[26:27] op_sel:[1,1] op_sel_hi:[0,1]
	v_pk_fma_f32 v[20:21], v[6:7], v[26:27], v[4:5] neg_lo:[0,0,1] neg_hi:[0,0,1]
	v_pk_fma_f32 v[4:5], v[6:7], v[26:27], v[4:5] op_sel_hi:[1,0,1]
	v_pk_add_f32 v[2:3], v[2:3], v[22:23]
	v_mov_b32_e32 v4, v29
	v_mov_b32_e32 v21, v5
	v_pk_mul_f32 v[4:5], v[8:9], v[4:5] op_sel:[1,0] op_sel_hi:[0,0]
	v_pk_fma_f32 v[6:7], v[8:9], v[28:29], v[4:5] neg_lo:[0,0,1] neg_hi:[0,0,1]
	v_pk_fma_f32 v[4:5], v[8:9], v[28:29], v[4:5] op_sel_hi:[1,0,1]
	v_pk_add_f32 v[2:3], v[2:3], v[20:21]
	v_mov_b32_e32 v7, v5
	s_waitcnt vmcnt(2) lgkmcnt(1)
	v_pk_mul_f32 v[4:5], v[10:11], v[14:15] op_sel:[1,1] op_sel_hi:[0,1]
	v_pk_add_f32 v[2:3], v[2:3], v[6:7]
	v_pk_fma_f32 v[6:7], v[10:11], v[14:15], v[4:5] neg_lo:[0,0,1] neg_hi:[0,0,1]
	v_pk_fma_f32 v[4:5], v[10:11], v[14:15], v[4:5] op_sel_hi:[1,0,1]
	s_nop 0
	v_mov_b32_e32 v4, v17
	v_mov_b32_e32 v7, v5
	v_pk_mul_f32 v[4:5], v[12:13], v[4:5] op_sel:[1,0] op_sel_hi:[0,0]
	v_pk_add_f32 v[2:3], v[2:3], v[6:7]
	v_pk_fma_f32 v[6:7], v[12:13], v[16:17], v[4:5] neg_lo:[0,0,1] neg_hi:[0,0,1]
	v_pk_fma_f32 v[4:5], v[12:13], v[16:17], v[4:5] op_sel_hi:[1,0,1]
	s_nop 0
	v_mov_b32_e32 v7, v5
	s_waitcnt vmcnt(1) lgkmcnt(0)
	v_pk_mul_f32 v[4:5], v[18:19], v[54:55] op_sel:[1,1] op_sel_hi:[0,1]
	v_pk_add_f32 v[2:3], v[2:3], v[6:7]
	v_pk_fma_f32 v[6:7], v[18:19], v[54:55], v[4:5] neg_lo:[0,0,1] neg_hi:[0,0,1]
	v_pk_fma_f32 v[4:5], v[18:19], v[54:55], v[4:5] op_sel_hi:[1,0,1]
	s_nop 0
	v_mov_b32_e32 v7, v5
	v_pk_add_f32 v[2:3], v[2:3], v[6:7]
	s_waitcnt vmcnt(0)
	v_pk_add_f32 v[2:3], v[80:81], v[2:3] neg_lo:[0,1] neg_hi:[0,1]
	scratch_store_dwordx2 off, v[2:3], off offset:96
	s_and_saveexec_b64 s[0:1], vcc
	s_cbranch_execz .LBB103_231
; %bb.230:
	scratch_load_dwordx2 v[2:3], off, off offset:88
	v_mov_b32_e32 v83, v82
	scratch_store_dwordx2 off, v[82:83], off offset:88
	s_waitcnt vmcnt(1)
	ds_write_b64 v1, v[2:3]
.LBB103_231:
	s_or_b64 exec, exec, s[0:1]
	s_waitcnt lgkmcnt(0)
	; wave barrier
	scratch_load_dwordx4 v[18:21], off, off offset:96
	scratch_load_dwordx4 v[34:37], off, off offset:112
	;; [unrolled: 1-line block ×10, first 2 shown]
	ds_read_b128 v[84:87], v82 offset:416
	ds_read_b128 v[88:91], v82 offset:432
	;; [unrolled: 1-line block ×10, first 2 shown]
	scratch_load_dwordx4 v[54:57], off, off offset:256
	scratch_load_dwordx4 v[46:49], off, off offset:272
	;; [unrolled: 1-line block ×4, first 2 shown]
	scratch_load_dwordx2 v[100:101], off, off offset:88
	v_cmp_lt_u32_e32 vcc, 10, v0
	s_waitcnt vmcnt(14) lgkmcnt(9)
	v_mul_f32_e32 v83, v84, v19
	v_mul_f32_e32 v102, v86, v21
	s_waitcnt vmcnt(12) lgkmcnt(7)
	v_mul_f32_e32 v107, v92, v3
	v_mul_f32_e32 v3, v93, v3
	v_fmac_f32_e32 v83, v85, v18
	v_mul_f32_e32 v104, v88, v35
	v_fmac_f32_e32 v102, v87, v20
	v_fmac_f32_e32 v107, v93, v2
	v_fma_f32 v2, v92, v2, -v3
	v_add_f32_e32 v3, 0, v83
	v_mul_f32_e32 v106, v90, v37
	v_fmac_f32_e32 v104, v89, v34
	v_add_f32_e32 v3, v3, v102
	v_fmac_f32_e32 v106, v91, v36
	v_add_f32_e32 v3, v3, v104
	v_mul_f32_e32 v108, v94, v5
	v_add_f32_e32 v3, v3, v106
	s_waitcnt vmcnt(11) lgkmcnt(6)
	v_mul_f32_e32 v109, v96, v7
	v_fmac_f32_e32 v108, v95, v4
	v_add_f32_e32 v3, v3, v107
	v_mul_f32_e32 v110, v98, v9
	v_fmac_f32_e32 v109, v97, v6
	v_add_f32_e32 v3, v3, v108
	s_waitcnt vmcnt(10) lgkmcnt(5)
	v_mul_f32_e32 v111, v78, v11
	v_fmac_f32_e32 v110, v99, v8
	v_add_f32_e32 v3, v3, v109
	v_mul_f32_e32 v112, v80, v13
	v_fmac_f32_e32 v111, v79, v10
	;; [unrolled: 7-line block ×4, first 2 shown]
	v_add_f32_e32 v3, v3, v114
	s_waitcnt vmcnt(7) lgkmcnt(2)
	v_mul_f32_e32 v117, v66, v39
	v_mul_f32_e32 v19, v85, v19
	v_fmac_f32_e32 v116, v73, v28
	v_add_f32_e32 v3, v3, v115
	v_mul_f32_e32 v198, v68, v41
	v_mul_f32_e32 v21, v87, v21
	v_fmac_f32_e32 v117, v67, v38
	v_fma_f32 v18, v84, v18, -v19
	v_add_f32_e32 v3, v3, v116
	s_waitcnt vmcnt(6) lgkmcnt(1)
	v_mul_f32_e32 v199, v62, v43
	v_mul_f32_e32 v35, v89, v35
	v_fmac_f32_e32 v198, v69, v40
	v_fma_f32 v19, v86, v20, -v21
	v_add_f32_e32 v18, 0, v18
	v_add_f32_e32 v3, v3, v117
	v_mul_f32_e32 v200, v64, v45
	v_mul_f32_e32 v37, v91, v37
	v_fmac_f32_e32 v199, v63, v42
	v_fma_f32 v20, v88, v34, -v35
	v_add_f32_e32 v18, v18, v19
	v_add_f32_e32 v3, v3, v198
	v_fmac_f32_e32 v200, v65, v44
	v_fma_f32 v21, v90, v36, -v37
	v_add_f32_e32 v18, v18, v20
	v_add_f32_e32 v3, v3, v199
	;; [unrolled: 1-line block ×4, first 2 shown]
	v_mul_f32_e32 v3, v95, v5
	v_add_f32_e32 v2, v18, v2
	v_fma_f32 v3, v94, v4, -v3
	v_add_f32_e32 v2, v2, v3
	v_mul_f32_e32 v3, v97, v7
	v_fma_f32 v3, v96, v6, -v3
	v_add_f32_e32 v2, v2, v3
	v_mul_f32_e32 v3, v99, v9
	v_fma_f32 v3, v98, v8, -v3
	v_add_f32_e32 v2, v2, v3
	v_mul_f32_e32 v3, v79, v11
	v_fma_f32 v3, v78, v10, -v3
	v_add_f32_e32 v2, v2, v3
	v_mul_f32_e32 v3, v81, v13
	v_fma_f32 v3, v80, v12, -v3
	v_add_f32_e32 v2, v2, v3
	v_mul_f32_e32 v3, v75, v23
	v_fma_f32 v3, v74, v22, -v3
	v_add_f32_e32 v2, v2, v3
	v_mul_f32_e32 v3, v77, v25
	v_fma_f32 v3, v76, v24, -v3
	v_add_f32_e32 v2, v2, v3
	v_mul_f32_e32 v3, v71, v27
	v_fma_f32 v3, v70, v26, -v3
	v_add_f32_e32 v2, v2, v3
	v_mul_f32_e32 v3, v73, v29
	v_fma_f32 v3, v72, v28, -v3
	v_add_f32_e32 v2, v2, v3
	v_mul_f32_e32 v3, v67, v39
	v_fma_f32 v3, v66, v38, -v3
	v_add_f32_e32 v2, v2, v3
	v_mul_f32_e32 v3, v69, v41
	v_fma_f32 v3, v68, v40, -v3
	v_add_f32_e32 v2, v2, v3
	v_mul_f32_e32 v3, v63, v43
	v_fma_f32 v3, v62, v42, -v3
	v_add_f32_e32 v2, v2, v3
	v_mul_f32_e32 v3, v65, v45
	v_fma_f32 v3, v64, v44, -v3
	v_add_f32_e32 v34, v2, v3
	s_waitcnt vmcnt(5) lgkmcnt(0)
	v_mul_f32_e32 v2, v59, v51
	v_fma_f32 v102, v58, v50, -v2
	v_mul_f32_e32 v2, v61, v53
	v_fma_f32 v104, v60, v52, -v2
	ds_read_b128 v[2:5], v82 offset:576
	ds_read_b128 v[6:9], v82 offset:592
	;; [unrolled: 1-line block ×4, first 2 shown]
	v_mul_f32_e32 v103, v58, v51
	v_mul_f32_e32 v105, v60, v53
	v_fmac_f32_e32 v103, v59, v50
	s_waitcnt vmcnt(4) lgkmcnt(3)
	v_pk_mul_f32 v[24:25], v[2:3], v[54:55] op_sel:[1,1] op_sel_hi:[0,1]
	v_fmac_f32_e32 v105, v61, v52
	v_pk_add_f32 v[22:23], v[34:35], v[102:103]
	v_pk_fma_f32 v[26:27], v[2:3], v[54:55], v[24:25] neg_lo:[0,0,1] neg_hi:[0,0,1]
	v_pk_fma_f32 v[2:3], v[2:3], v[54:55], v[24:25] op_sel_hi:[1,0,1]
	v_pk_add_f32 v[22:23], v[22:23], v[104:105]
	v_mov_b32_e32 v27, v3
	v_pk_add_f32 v[2:3], v[22:23], v[26:27]
	v_mov_b32_e32 v22, v57
	v_pk_mul_f32 v[22:23], v[4:5], v[22:23] op_sel:[1,0] op_sel_hi:[0,0]
	v_pk_fma_f32 v[24:25], v[4:5], v[56:57], v[22:23] neg_lo:[0,0,1] neg_hi:[0,0,1]
	v_pk_fma_f32 v[4:5], v[4:5], v[56:57], v[22:23] op_sel_hi:[1,0,1]
	s_nop 0
	v_mov_b32_e32 v25, v5
	s_waitcnt vmcnt(3) lgkmcnt(2)
	v_pk_mul_f32 v[4:5], v[6:7], v[46:47] op_sel:[1,1] op_sel_hi:[0,1]
	v_pk_fma_f32 v[22:23], v[6:7], v[46:47], v[4:5] neg_lo:[0,0,1] neg_hi:[0,0,1]
	v_pk_fma_f32 v[4:5], v[6:7], v[46:47], v[4:5] op_sel_hi:[1,0,1]
	v_pk_add_f32 v[2:3], v[2:3], v[24:25]
	v_mov_b32_e32 v4, v49
	v_mov_b32_e32 v23, v5
	v_pk_mul_f32 v[4:5], v[8:9], v[4:5] op_sel:[1,0] op_sel_hi:[0,0]
	v_pk_fma_f32 v[6:7], v[8:9], v[48:49], v[4:5] neg_lo:[0,0,1] neg_hi:[0,0,1]
	v_pk_fma_f32 v[4:5], v[8:9], v[48:49], v[4:5] op_sel_hi:[1,0,1]
	v_pk_add_f32 v[2:3], v[2:3], v[22:23]
	v_mov_b32_e32 v7, v5
	s_waitcnt vmcnt(2) lgkmcnt(1)
	v_pk_mul_f32 v[4:5], v[10:11], v[30:31] op_sel:[1,1] op_sel_hi:[0,1]
	v_pk_add_f32 v[2:3], v[2:3], v[6:7]
	v_pk_fma_f32 v[6:7], v[10:11], v[30:31], v[4:5] neg_lo:[0,0,1] neg_hi:[0,0,1]
	v_pk_fma_f32 v[4:5], v[10:11], v[30:31], v[4:5] op_sel_hi:[1,0,1]
	s_nop 0
	v_mov_b32_e32 v4, v33
	v_mov_b32_e32 v7, v5
	v_pk_mul_f32 v[4:5], v[12:13], v[4:5] op_sel:[1,0] op_sel_hi:[0,0]
	v_pk_add_f32 v[2:3], v[2:3], v[6:7]
	v_pk_fma_f32 v[6:7], v[12:13], v[32:33], v[4:5] neg_lo:[0,0,1] neg_hi:[0,0,1]
	v_pk_fma_f32 v[4:5], v[12:13], v[32:33], v[4:5] op_sel_hi:[1,0,1]
	s_nop 0
	v_mov_b32_e32 v7, v5
	s_waitcnt vmcnt(1) lgkmcnt(0)
	v_pk_mul_f32 v[4:5], v[18:19], v[14:15] op_sel:[1,1] op_sel_hi:[0,1]
	v_pk_add_f32 v[2:3], v[2:3], v[6:7]
	v_pk_fma_f32 v[6:7], v[18:19], v[14:15], v[4:5] neg_lo:[0,0,1] neg_hi:[0,0,1]
	v_pk_fma_f32 v[4:5], v[18:19], v[14:15], v[4:5] op_sel_hi:[1,0,1]
	s_nop 0
	v_mov_b32_e32 v4, v17
	v_mov_b32_e32 v7, v5
	v_pk_mul_f32 v[4:5], v[20:21], v[4:5] op_sel:[1,0] op_sel_hi:[0,0]
	v_pk_add_f32 v[2:3], v[2:3], v[6:7]
	v_pk_fma_f32 v[6:7], v[20:21], v[16:17], v[4:5] neg_lo:[0,0,1] neg_hi:[0,0,1]
	v_pk_fma_f32 v[4:5], v[20:21], v[16:17], v[4:5] op_sel_hi:[1,0,1]
	s_nop 0
	v_mov_b32_e32 v7, v5
	v_pk_add_f32 v[2:3], v[2:3], v[6:7]
	s_waitcnt vmcnt(0)
	v_pk_add_f32 v[2:3], v[100:101], v[2:3] neg_lo:[0,1] neg_hi:[0,1]
	scratch_store_dwordx2 off, v[2:3], off offset:88
	s_and_saveexec_b64 s[0:1], vcc
	s_cbranch_execz .LBB103_233
; %bb.232:
	scratch_load_dwordx2 v[2:3], off, off offset:80
	v_mov_b32_e32 v4, 0
	v_mov_b32_e32 v5, v4
	scratch_store_dwordx2 off, v[4:5], off offset:80
	s_waitcnt vmcnt(1)
	ds_write_b64 v1, v[2:3]
.LBB103_233:
	s_or_b64 exec, exec, s[0:1]
	s_waitcnt lgkmcnt(0)
	; wave barrier
	scratch_load_dwordx4 v[18:21], off, off offset:88
	scratch_load_dwordx4 v[2:5], off, off offset:104
	;; [unrolled: 1-line block ×14, first 2 shown]
	scratch_load_dwordx2 v[58:59], off, off offset:312
	scratch_load_dwordx2 v[100:101], off, off offset:80
	v_mov_b32_e32 v102, 0
	ds_read2_b64 v[60:63], v102 offset0:51 offset1:52
	ds_read2_b64 v[64:67], v102 offset0:53 offset1:54
	;; [unrolled: 1-line block ×12, first 2 shown]
	v_cmp_lt_u32_e32 vcc, 9, v0
	s_waitcnt vmcnt(15) lgkmcnt(11)
	v_mul_f32_e32 v103, v60, v19
	v_mul_f32_e32 v112, v62, v21
	s_waitcnt vmcnt(14) lgkmcnt(10)
	v_mul_f32_e32 v114, v64, v3
	v_mul_f32_e32 v3, v65, v3
	v_fmac_f32_e32 v103, v61, v18
	v_fmac_f32_e32 v112, v63, v20
	;; [unrolled: 1-line block ×3, first 2 shown]
	v_fma_f32 v2, v64, v2, -v3
	v_add_f32_e32 v3, 0, v103
	v_mul_f32_e32 v116, v66, v5
	v_add_f32_e32 v3, v3, v112
	s_waitcnt vmcnt(13) lgkmcnt(9)
	v_mul_f32_e32 v117, v68, v7
	v_fmac_f32_e32 v116, v67, v4
	v_add_f32_e32 v3, v3, v114
	v_mul_f32_e32 v198, v70, v9
	v_fmac_f32_e32 v117, v69, v6
	v_add_f32_e32 v3, v3, v116
	s_waitcnt vmcnt(12) lgkmcnt(8)
	v_mul_f32_e32 v199, v72, v11
	v_fmac_f32_e32 v198, v71, v8
	v_add_f32_e32 v3, v3, v117
	v_mul_f32_e32 v200, v74, v13
	v_fmac_f32_e32 v199, v73, v10
	;; [unrolled: 7-line block ×6, first 2 shown]
	v_add_f32_e32 v3, v3, v206
	s_waitcnt vmcnt(7) lgkmcnt(3)
	v_mul_f32_e32 v209, v92, v43
	v_fmac_f32_e32 v208, v91, v40
	v_add_f32_e32 v3, v3, v207
	v_mul_f32_e32 v210, v94, v45
	v_mul_f32_e32 v19, v61, v19
	v_fmac_f32_e32 v209, v93, v42
	v_add_f32_e32 v3, v3, v208
	s_waitcnt vmcnt(6) lgkmcnt(2)
	v_mul_f32_e32 v211, v96, v51
	v_mul_f32_e32 v21, v63, v21
	v_fmac_f32_e32 v210, v95, v44
	v_fma_f32 v18, v60, v18, -v19
	v_add_f32_e32 v3, v3, v209
	v_fmac_f32_e32 v211, v97, v50
	v_fma_f32 v19, v62, v20, -v21
	v_add_f32_e32 v18, 0, v18
	v_add_f32_e32 v3, v3, v210
	;; [unrolled: 1-line block ×4, first 2 shown]
	v_mul_f32_e32 v3, v67, v5
	v_add_f32_e32 v2, v18, v2
	v_fma_f32 v3, v66, v4, -v3
	v_add_f32_e32 v2, v2, v3
	v_mul_f32_e32 v3, v69, v7
	v_fma_f32 v3, v68, v6, -v3
	v_add_f32_e32 v2, v2, v3
	v_mul_f32_e32 v3, v71, v9
	;; [unrolled: 3-line block ×15, first 2 shown]
	v_fma_f32 v3, v96, v50, -v3
	v_mul_f32_e32 v113, v98, v53
	v_add_f32_e32 v18, v2, v3
	v_mul_f32_e32 v2, v99, v53
	s_waitcnt vmcnt(5)
	v_mov_b32_e32 v14, v57
	s_waitcnt lgkmcnt(1)
	v_mul_f32_e32 v115, v104, v55
	v_fmac_f32_e32 v113, v99, v52
	v_fma_f32 v112, v98, v52, -v2
	v_mul_f32_e32 v2, v105, v55
	v_pk_mul_f32 v[14:15], v[106:107], v[14:15] op_sel:[1,0] op_sel_hi:[0,0]
	v_fmac_f32_e32 v115, v105, v54
	v_fma_f32 v114, v104, v54, -v2
	v_pk_add_f32 v[12:13], v[18:19], v[112:113]
	v_pk_fma_f32 v[16:17], v[106:107], v[56:57], v[14:15] neg_lo:[0,0,1] neg_hi:[0,0,1]
	v_pk_fma_f32 v[14:15], v[106:107], v[56:57], v[14:15] op_sel_hi:[1,0,1]
	v_pk_add_f32 v[12:13], v[12:13], v[114:115]
	v_mov_b32_e32 v17, v15
	s_waitcnt vmcnt(4) lgkmcnt(0)
	v_pk_mul_f32 v[14:15], v[108:109], v[46:47] op_sel:[1,1] op_sel_hi:[0,1]
	v_pk_add_f32 v[12:13], v[12:13], v[16:17]
	v_pk_fma_f32 v[16:17], v[108:109], v[46:47], v[14:15] neg_lo:[0,0,1] neg_hi:[0,0,1]
	v_pk_fma_f32 v[14:15], v[108:109], v[46:47], v[14:15] op_sel_hi:[1,0,1]
	ds_read2_b64 v[2:5], v102 offset0:75 offset1:76
	ds_read2_b64 v[6:9], v102 offset0:77 offset1:78
	ds_read_b64 v[10:11], v102 offset:632
	v_mov_b32_e32 v14, v49
	v_mov_b32_e32 v17, v15
	v_pk_mul_f32 v[14:15], v[110:111], v[14:15] op_sel:[1,0] op_sel_hi:[0,0]
	v_pk_add_f32 v[12:13], v[12:13], v[16:17]
	v_pk_fma_f32 v[16:17], v[110:111], v[48:49], v[14:15] neg_lo:[0,0,1] neg_hi:[0,0,1]
	v_pk_fma_f32 v[14:15], v[110:111], v[48:49], v[14:15] op_sel_hi:[1,0,1]
	s_nop 0
	v_mov_b32_e32 v17, v15
	s_waitcnt vmcnt(3) lgkmcnt(2)
	v_pk_mul_f32 v[14:15], v[2:3], v[34:35] op_sel:[1,1] op_sel_hi:[0,1]
	v_pk_add_f32 v[12:13], v[12:13], v[16:17]
	v_pk_fma_f32 v[16:17], v[2:3], v[34:35], v[14:15] neg_lo:[0,0,1] neg_hi:[0,0,1]
	v_pk_fma_f32 v[2:3], v[2:3], v[34:35], v[14:15] op_sel_hi:[1,0,1]
	s_nop 0
	v_mov_b32_e32 v17, v3
	v_pk_add_f32 v[2:3], v[12:13], v[16:17]
	v_mov_b32_e32 v12, v37
	v_pk_mul_f32 v[12:13], v[4:5], v[12:13] op_sel:[1,0] op_sel_hi:[0,0]
	v_pk_fma_f32 v[14:15], v[4:5], v[36:37], v[12:13] neg_lo:[0,0,1] neg_hi:[0,0,1]
	v_pk_fma_f32 v[4:5], v[4:5], v[36:37], v[12:13] op_sel_hi:[1,0,1]
	s_nop 0
	v_mov_b32_e32 v15, v5
	s_waitcnt vmcnt(2) lgkmcnt(1)
	v_pk_mul_f32 v[4:5], v[6:7], v[22:23] op_sel:[1,1] op_sel_hi:[0,1]
	v_pk_fma_f32 v[12:13], v[6:7], v[22:23], v[4:5] neg_lo:[0,0,1] neg_hi:[0,0,1]
	v_pk_fma_f32 v[4:5], v[6:7], v[22:23], v[4:5] op_sel_hi:[1,0,1]
	v_pk_add_f32 v[2:3], v[2:3], v[14:15]
	v_mov_b32_e32 v4, v25
	v_mov_b32_e32 v13, v5
	v_pk_mul_f32 v[4:5], v[8:9], v[4:5] op_sel:[1,0] op_sel_hi:[0,0]
	v_pk_fma_f32 v[6:7], v[8:9], v[24:25], v[4:5] neg_lo:[0,0,1] neg_hi:[0,0,1]
	v_pk_fma_f32 v[4:5], v[8:9], v[24:25], v[4:5] op_sel_hi:[1,0,1]
	v_pk_add_f32 v[2:3], v[2:3], v[12:13]
	v_mov_b32_e32 v7, v5
	s_waitcnt vmcnt(1) lgkmcnt(0)
	v_pk_mul_f32 v[4:5], v[10:11], v[58:59] op_sel:[1,1] op_sel_hi:[0,1]
	v_pk_add_f32 v[2:3], v[2:3], v[6:7]
	v_pk_fma_f32 v[6:7], v[10:11], v[58:59], v[4:5] neg_lo:[0,0,1] neg_hi:[0,0,1]
	v_pk_fma_f32 v[4:5], v[10:11], v[58:59], v[4:5] op_sel_hi:[1,0,1]
	s_nop 0
	v_mov_b32_e32 v7, v5
	v_pk_add_f32 v[2:3], v[2:3], v[6:7]
	s_waitcnt vmcnt(0)
	v_pk_add_f32 v[2:3], v[100:101], v[2:3] neg_lo:[0,1] neg_hi:[0,1]
	scratch_store_dwordx2 off, v[2:3], off offset:80
	s_and_saveexec_b64 s[0:1], vcc
	s_cbranch_execz .LBB103_235
; %bb.234:
	scratch_load_dwordx2 v[2:3], off, off offset:72
	v_mov_b32_e32 v103, v102
	scratch_store_dwordx2 off, v[102:103], off offset:72
	s_waitcnt vmcnt(1)
	ds_write_b64 v1, v[2:3]
.LBB103_235:
	s_or_b64 exec, exec, s[0:1]
	s_waitcnt lgkmcnt(0)
	; wave barrier
	scratch_load_dwordx4 v[22:25], off, off offset:80
	scratch_load_dwordx4 v[2:5], off, off offset:96
	;; [unrolled: 1-line block ×11, first 2 shown]
	ds_read_b128 v[104:107], v102 offset:400
	ds_read_b128 v[98:101], v102 offset:416
	;; [unrolled: 1-line block ×10, first 2 shown]
	scratch_load_dwordx4 v[58:61], off, off offset:256
	scratch_load_dwordx4 v[50:53], off, off offset:272
	;; [unrolled: 1-line block ×4, first 2 shown]
	ds_read_b128 v[78:81], v102 offset:560
	ds_read_b128 v[108:111], v102 offset:576
	scratch_load_dwordx2 v[112:113], off, off offset:72
	v_cmp_lt_u32_e32 vcc, 8, v0
	s_waitcnt vmcnt(15) lgkmcnt(11)
	v_mul_f32_e32 v103, v104, v23
	v_mul_f32_e32 v114, v106, v25
	s_waitcnt vmcnt(14) lgkmcnt(10)
	v_mul_f32_e32 v116, v98, v3
	v_mul_f32_e32 v3, v99, v3
	v_fmac_f32_e32 v103, v105, v22
	v_fmac_f32_e32 v114, v107, v24
	;; [unrolled: 1-line block ×3, first 2 shown]
	v_fma_f32 v2, v98, v2, -v3
	v_add_f32_e32 v3, 0, v103
	v_mul_f32_e32 v198, v100, v5
	v_add_f32_e32 v3, v3, v114
	s_waitcnt vmcnt(13) lgkmcnt(9)
	v_mul_f32_e32 v199, v94, v7
	v_fmac_f32_e32 v198, v101, v4
	v_add_f32_e32 v3, v3, v116
	v_mul_f32_e32 v200, v96, v9
	v_fmac_f32_e32 v199, v95, v6
	v_add_f32_e32 v3, v3, v198
	s_waitcnt vmcnt(12) lgkmcnt(8)
	v_mul_f32_e32 v201, v90, v11
	v_fmac_f32_e32 v200, v97, v8
	v_add_f32_e32 v3, v3, v199
	v_mul_f32_e32 v202, v92, v13
	v_fmac_f32_e32 v201, v91, v10
	;; [unrolled: 7-line block ×7, first 2 shown]
	v_add_f32_e32 v3, v3, v210
	s_waitcnt vmcnt(6) lgkmcnt(2)
	v_mul_f32_e32 v213, v62, v47
	v_mul_f32_e32 v23, v105, v23
	v_fmac_f32_e32 v212, v69, v44
	v_add_f32_e32 v3, v3, v211
	v_mul_f32_e32 v214, v64, v49
	v_mul_f32_e32 v25, v107, v25
	v_fmac_f32_e32 v213, v63, v46
	v_fma_f32 v22, v104, v22, -v23
	v_add_f32_e32 v3, v3, v212
	v_fmac_f32_e32 v214, v65, v48
	v_fma_f32 v23, v106, v24, -v25
	v_add_f32_e32 v22, 0, v22
	v_add_f32_e32 v3, v3, v213
	;; [unrolled: 1-line block ×4, first 2 shown]
	v_mul_f32_e32 v3, v101, v5
	v_add_f32_e32 v2, v22, v2
	v_fma_f32 v3, v100, v4, -v3
	v_add_f32_e32 v2, v2, v3
	v_mul_f32_e32 v3, v95, v7
	v_fma_f32 v3, v94, v6, -v3
	v_add_f32_e32 v2, v2, v3
	v_mul_f32_e32 v3, v97, v9
	;; [unrolled: 3-line block ×16, first 2 shown]
	v_fma_f32 v3, v64, v48, -v3
	s_waitcnt vmcnt(5) lgkmcnt(1)
	v_mul_f32_e32 v115, v78, v55
	v_add_f32_e32 v22, v2, v3
	v_mul_f32_e32 v2, v79, v55
	s_waitcnt vmcnt(4) lgkmcnt(0)
	v_pk_mul_f32 v[16:17], v[108:109], v[58:59] op_sel:[1,1] op_sel_hi:[0,1]
	v_mul_f32_e32 v117, v80, v57
	v_fmac_f32_e32 v115, v79, v54
	v_fma_f32 v114, v78, v54, -v2
	v_mul_f32_e32 v2, v81, v57
	v_pk_fma_f32 v[18:19], v[108:109], v[58:59], v[16:17] neg_lo:[0,0,1] neg_hi:[0,0,1]
	v_pk_fma_f32 v[16:17], v[108:109], v[58:59], v[16:17] op_sel_hi:[1,0,1]
	v_fmac_f32_e32 v117, v81, v56
	v_fma_f32 v116, v80, v56, -v2
	ds_read_b128 v[2:5], v102 offset:592
	ds_read_b128 v[6:9], v102 offset:608
	;; [unrolled: 1-line block ×3, first 2 shown]
	v_pk_add_f32 v[14:15], v[22:23], v[114:115]
	v_mov_b32_e32 v16, v61
	v_pk_add_f32 v[14:15], v[14:15], v[116:117]
	v_mov_b32_e32 v19, v17
	v_pk_mul_f32 v[16:17], v[110:111], v[16:17] op_sel:[1,0] op_sel_hi:[0,0]
	v_pk_add_f32 v[14:15], v[14:15], v[18:19]
	v_pk_fma_f32 v[18:19], v[110:111], v[60:61], v[16:17] neg_lo:[0,0,1] neg_hi:[0,0,1]
	v_pk_fma_f32 v[16:17], v[110:111], v[60:61], v[16:17] op_sel_hi:[1,0,1]
	s_nop 0
	v_mov_b32_e32 v19, v17
	s_waitcnt vmcnt(3) lgkmcnt(2)
	v_pk_mul_f32 v[16:17], v[2:3], v[50:51] op_sel:[1,1] op_sel_hi:[0,1]
	v_pk_add_f32 v[14:15], v[14:15], v[18:19]
	v_pk_fma_f32 v[18:19], v[2:3], v[50:51], v[16:17] neg_lo:[0,0,1] neg_hi:[0,0,1]
	v_pk_fma_f32 v[2:3], v[2:3], v[50:51], v[16:17] op_sel_hi:[1,0,1]
	s_nop 0
	v_mov_b32_e32 v19, v3
	v_pk_add_f32 v[2:3], v[14:15], v[18:19]
	v_mov_b32_e32 v14, v53
	v_pk_mul_f32 v[14:15], v[4:5], v[14:15] op_sel:[1,0] op_sel_hi:[0,0]
	v_pk_fma_f32 v[16:17], v[4:5], v[52:53], v[14:15] neg_lo:[0,0,1] neg_hi:[0,0,1]
	v_pk_fma_f32 v[4:5], v[4:5], v[52:53], v[14:15] op_sel_hi:[1,0,1]
	s_nop 0
	v_mov_b32_e32 v17, v5
	s_waitcnt vmcnt(2) lgkmcnt(1)
	v_pk_mul_f32 v[4:5], v[6:7], v[38:39] op_sel:[1,1] op_sel_hi:[0,1]
	v_pk_fma_f32 v[14:15], v[6:7], v[38:39], v[4:5] neg_lo:[0,0,1] neg_hi:[0,0,1]
	v_pk_fma_f32 v[4:5], v[6:7], v[38:39], v[4:5] op_sel_hi:[1,0,1]
	v_pk_add_f32 v[2:3], v[2:3], v[16:17]
	v_mov_b32_e32 v4, v41
	v_mov_b32_e32 v15, v5
	v_pk_mul_f32 v[4:5], v[8:9], v[4:5] op_sel:[1,0] op_sel_hi:[0,0]
	v_pk_fma_f32 v[6:7], v[8:9], v[40:41], v[4:5] neg_lo:[0,0,1] neg_hi:[0,0,1]
	v_pk_fma_f32 v[4:5], v[8:9], v[40:41], v[4:5] op_sel_hi:[1,0,1]
	v_pk_add_f32 v[2:3], v[2:3], v[14:15]
	v_mov_b32_e32 v7, v5
	s_waitcnt vmcnt(1) lgkmcnt(0)
	v_pk_mul_f32 v[4:5], v[10:11], v[26:27] op_sel:[1,1] op_sel_hi:[0,1]
	v_pk_add_f32 v[2:3], v[2:3], v[6:7]
	v_pk_fma_f32 v[6:7], v[10:11], v[26:27], v[4:5] neg_lo:[0,0,1] neg_hi:[0,0,1]
	v_pk_fma_f32 v[4:5], v[10:11], v[26:27], v[4:5] op_sel_hi:[1,0,1]
	s_nop 0
	v_mov_b32_e32 v4, v29
	v_mov_b32_e32 v7, v5
	v_pk_mul_f32 v[4:5], v[12:13], v[4:5] op_sel:[1,0] op_sel_hi:[0,0]
	v_pk_add_f32 v[2:3], v[2:3], v[6:7]
	v_pk_fma_f32 v[6:7], v[12:13], v[28:29], v[4:5] neg_lo:[0,0,1] neg_hi:[0,0,1]
	v_pk_fma_f32 v[4:5], v[12:13], v[28:29], v[4:5] op_sel_hi:[1,0,1]
	s_nop 0
	v_mov_b32_e32 v7, v5
	v_pk_add_f32 v[2:3], v[2:3], v[6:7]
	s_waitcnt vmcnt(0)
	v_pk_add_f32 v[2:3], v[112:113], v[2:3] neg_lo:[0,1] neg_hi:[0,1]
	scratch_store_dwordx2 off, v[2:3], off offset:72
	s_and_saveexec_b64 s[0:1], vcc
	s_cbranch_execz .LBB103_237
; %bb.236:
	scratch_load_dwordx2 v[2:3], off, off offset:64
	v_mov_b32_e32 v4, 0
	v_mov_b32_e32 v5, v4
	scratch_store_dwordx2 off, v[4:5], off offset:64
	s_waitcnt vmcnt(1)
	ds_write_b64 v1, v[2:3]
.LBB103_237:
	s_or_b64 exec, exec, s[0:1]
	s_waitcnt lgkmcnt(0)
	; wave barrier
	scratch_load_dwordx4 v[2:5], off, off offset:72
	scratch_load_dwordx4 v[6:9], off, off offset:88
	;; [unrolled: 1-line block ×15, first 2 shown]
	scratch_load_dwordx2 v[62:63], off, off offset:312
	scratch_load_dwordx2 v[112:113], off, off offset:64
	v_mov_b32_e32 v114, 0
	ds_read2_b64 v[64:67], v114 offset0:49 offset1:50
	ds_read2_b64 v[68:71], v114 offset0:51 offset1:52
	;; [unrolled: 1-line block ×12, first 2 shown]
	v_cmp_lt_u32_e32 vcc, 7, v0
	s_waitcnt vmcnt(16) lgkmcnt(11)
	v_mul_f32_e32 v115, v64, v3
	v_mul_f32_e32 v116, v66, v5
	;; [unrolled: 1-line block ×3, first 2 shown]
	v_fmac_f32_e32 v115, v65, v2
	s_waitcnt vmcnt(15) lgkmcnt(10)
	v_mul_f32_e32 v198, v68, v7
	v_fmac_f32_e32 v116, v67, v4
	v_fma_f32 v2, v64, v2, -v3
	v_add_f32_e32 v3, 0, v115
	v_mul_f32_e32 v200, v70, v9
	v_fmac_f32_e32 v198, v69, v6
	v_add_f32_e32 v3, v3, v116
	s_waitcnt vmcnt(14) lgkmcnt(9)
	v_mul_f32_e32 v201, v72, v11
	v_fmac_f32_e32 v200, v71, v8
	v_add_f32_e32 v3, v3, v198
	v_mul_f32_e32 v202, v74, v13
	v_fmac_f32_e32 v201, v73, v10
	v_add_f32_e32 v3, v3, v200
	s_waitcnt vmcnt(13) lgkmcnt(8)
	v_mul_f32_e32 v203, v76, v15
	v_fmac_f32_e32 v202, v75, v12
	v_add_f32_e32 v3, v3, v201
	v_mul_f32_e32 v204, v78, v17
	v_fmac_f32_e32 v203, v77, v14
	v_add_f32_e32 v3, v3, v202
	s_waitcnt vmcnt(12) lgkmcnt(7)
	v_mul_f32_e32 v205, v80, v19
	v_fmac_f32_e32 v204, v79, v16
	v_add_f32_e32 v3, v3, v203
	v_mul_f32_e32 v206, v82, v21
	v_fmac_f32_e32 v205, v81, v18
	v_add_f32_e32 v3, v3, v204
	s_waitcnt vmcnt(11) lgkmcnt(6)
	v_mul_f32_e32 v207, v84, v23
	v_fmac_f32_e32 v206, v83, v20
	v_add_f32_e32 v3, v3, v205
	v_mul_f32_e32 v208, v86, v25
	v_fmac_f32_e32 v207, v85, v22
	v_add_f32_e32 v3, v3, v206
	s_waitcnt vmcnt(10) lgkmcnt(5)
	v_mul_f32_e32 v209, v88, v31
	v_fmac_f32_e32 v208, v87, v24
	v_add_f32_e32 v3, v3, v207
	v_mul_f32_e32 v210, v90, v33
	v_fmac_f32_e32 v209, v89, v30
	v_add_f32_e32 v3, v3, v208
	s_waitcnt vmcnt(9) lgkmcnt(4)
	v_mul_f32_e32 v211, v92, v35
	v_fmac_f32_e32 v210, v91, v32
	v_add_f32_e32 v3, v3, v209
	v_mul_f32_e32 v212, v94, v37
	v_fmac_f32_e32 v211, v93, v34
	v_add_f32_e32 v3, v3, v210
	s_waitcnt vmcnt(8) lgkmcnt(3)
	v_mul_f32_e32 v213, v96, v43
	v_fmac_f32_e32 v212, v95, v36
	v_add_f32_e32 v3, v3, v211
	v_mul_f32_e32 v214, v98, v45
	v_fmac_f32_e32 v213, v97, v42
	v_add_f32_e32 v3, v3, v212
	s_waitcnt vmcnt(7) lgkmcnt(2)
	v_mul_f32_e32 v215, v100, v47
	v_fmac_f32_e32 v214, v99, v44
	v_add_f32_e32 v3, v3, v213
	v_mul_f32_e32 v216, v102, v49
	v_fmac_f32_e32 v215, v101, v46
	v_add_f32_e32 v3, v3, v214
	s_waitcnt vmcnt(6) lgkmcnt(1)
	v_mul_f32_e32 v217, v104, v59
	v_fmac_f32_e32 v216, v103, v48
	v_add_f32_e32 v3, v3, v215
	v_mul_f32_e32 v5, v67, v5
	v_fmac_f32_e32 v217, v105, v58
	v_add_f32_e32 v3, v3, v216
	v_add_f32_e32 v2, 0, v2
	;; [unrolled: 1-line block ×3, first 2 shown]
	v_fma_f32 v3, v66, v4, -v5
	v_add_f32_e32 v2, v2, v3
	v_mul_f32_e32 v3, v69, v7
	v_fma_f32 v3, v68, v6, -v3
	v_add_f32_e32 v2, v2, v3
	v_mul_f32_e32 v3, v71, v9
	;; [unrolled: 3-line block ×20, first 2 shown]
	v_mul_f32_e32 v117, v106, v61
	v_fma_f32 v116, v106, v60, -v2
	s_waitcnt vmcnt(5) lgkmcnt(0)
	v_mul_f32_e32 v2, v109, v55
	v_mov_b32_e32 v18, v57
	v_mul_f32_e32 v199, v108, v55
	v_fmac_f32_e32 v117, v107, v60
	v_fma_f32 v198, v108, v54, -v2
	ds_read2_b64 v[2:5], v114 offset0:73 offset1:74
	ds_read2_b64 v[6:9], v114 offset0:75 offset1:76
	;; [unrolled: 1-line block ×3, first 2 shown]
	ds_read_b64 v[14:15], v114 offset:632
	v_pk_mul_f32 v[18:19], v[110:111], v[18:19] op_sel:[1,0] op_sel_hi:[0,0]
	v_fmac_f32_e32 v199, v109, v54
	v_pk_add_f32 v[16:17], v[64:65], v[116:117]
	v_pk_fma_f32 v[20:21], v[110:111], v[56:57], v[18:19] neg_lo:[0,0,1] neg_hi:[0,0,1]
	v_pk_fma_f32 v[18:19], v[110:111], v[56:57], v[18:19] op_sel_hi:[1,0,1]
	v_pk_add_f32 v[16:17], v[16:17], v[198:199]
	v_mov_b32_e32 v21, v19
	s_waitcnt vmcnt(4) lgkmcnt(3)
	v_pk_mul_f32 v[18:19], v[2:3], v[50:51] op_sel:[1,1] op_sel_hi:[0,1]
	v_pk_add_f32 v[16:17], v[16:17], v[20:21]
	v_pk_fma_f32 v[20:21], v[2:3], v[50:51], v[18:19] neg_lo:[0,0,1] neg_hi:[0,0,1]
	v_pk_fma_f32 v[2:3], v[2:3], v[50:51], v[18:19] op_sel_hi:[1,0,1]
	s_nop 0
	v_mov_b32_e32 v21, v3
	v_pk_add_f32 v[2:3], v[16:17], v[20:21]
	v_mov_b32_e32 v16, v53
	v_pk_mul_f32 v[16:17], v[4:5], v[16:17] op_sel:[1,0] op_sel_hi:[0,0]
	v_pk_fma_f32 v[18:19], v[4:5], v[52:53], v[16:17] neg_lo:[0,0,1] neg_hi:[0,0,1]
	v_pk_fma_f32 v[4:5], v[4:5], v[52:53], v[16:17] op_sel_hi:[1,0,1]
	s_nop 0
	v_mov_b32_e32 v19, v5
	s_waitcnt vmcnt(3) lgkmcnt(2)
	v_pk_mul_f32 v[4:5], v[6:7], v[38:39] op_sel:[1,1] op_sel_hi:[0,1]
	v_pk_fma_f32 v[16:17], v[6:7], v[38:39], v[4:5] neg_lo:[0,0,1] neg_hi:[0,0,1]
	v_pk_fma_f32 v[4:5], v[6:7], v[38:39], v[4:5] op_sel_hi:[1,0,1]
	v_pk_add_f32 v[2:3], v[2:3], v[18:19]
	v_mov_b32_e32 v4, v41
	v_mov_b32_e32 v17, v5
	v_pk_mul_f32 v[4:5], v[8:9], v[4:5] op_sel:[1,0] op_sel_hi:[0,0]
	v_pk_fma_f32 v[6:7], v[8:9], v[40:41], v[4:5] neg_lo:[0,0,1] neg_hi:[0,0,1]
	v_pk_fma_f32 v[4:5], v[8:9], v[40:41], v[4:5] op_sel_hi:[1,0,1]
	v_pk_add_f32 v[2:3], v[2:3], v[16:17]
	v_mov_b32_e32 v7, v5
	s_waitcnt vmcnt(2) lgkmcnt(1)
	v_pk_mul_f32 v[4:5], v[10:11], v[26:27] op_sel:[1,1] op_sel_hi:[0,1]
	v_pk_add_f32 v[2:3], v[2:3], v[6:7]
	v_pk_fma_f32 v[6:7], v[10:11], v[26:27], v[4:5] neg_lo:[0,0,1] neg_hi:[0,0,1]
	v_pk_fma_f32 v[4:5], v[10:11], v[26:27], v[4:5] op_sel_hi:[1,0,1]
	s_nop 0
	v_mov_b32_e32 v4, v29
	v_mov_b32_e32 v7, v5
	v_pk_mul_f32 v[4:5], v[12:13], v[4:5] op_sel:[1,0] op_sel_hi:[0,0]
	v_pk_add_f32 v[2:3], v[2:3], v[6:7]
	v_pk_fma_f32 v[6:7], v[12:13], v[28:29], v[4:5] neg_lo:[0,0,1] neg_hi:[0,0,1]
	v_pk_fma_f32 v[4:5], v[12:13], v[28:29], v[4:5] op_sel_hi:[1,0,1]
	s_nop 0
	v_mov_b32_e32 v7, v5
	s_waitcnt vmcnt(1) lgkmcnt(0)
	v_pk_mul_f32 v[4:5], v[14:15], v[62:63] op_sel:[1,1] op_sel_hi:[0,1]
	v_pk_add_f32 v[2:3], v[2:3], v[6:7]
	v_pk_fma_f32 v[6:7], v[14:15], v[62:63], v[4:5] neg_lo:[0,0,1] neg_hi:[0,0,1]
	v_pk_fma_f32 v[4:5], v[14:15], v[62:63], v[4:5] op_sel_hi:[1,0,1]
	s_nop 0
	v_mov_b32_e32 v7, v5
	v_pk_add_f32 v[2:3], v[2:3], v[6:7]
	s_waitcnt vmcnt(0)
	v_pk_add_f32 v[2:3], v[112:113], v[2:3] neg_lo:[0,1] neg_hi:[0,1]
	scratch_store_dwordx2 off, v[2:3], off offset:64
	s_and_saveexec_b64 s[0:1], vcc
	s_cbranch_execz .LBB103_239
; %bb.238:
	scratch_load_dwordx2 v[2:3], off, off offset:56
	v_mov_b32_e32 v115, v114
	scratch_store_dwordx2 off, v[114:115], off offset:56
	s_waitcnt vmcnt(1)
	ds_write_b64 v1, v[2:3]
.LBB103_239:
	s_or_b64 exec, exec, s[0:1]
	s_waitcnt lgkmcnt(0)
	; wave barrier
	scratch_load_dwordx4 v[2:5], off, off offset:64
	scratch_load_dwordx4 v[6:9], off, off offset:80
	;; [unrolled: 1-line block ×12, first 2 shown]
	ds_read_b128 v[110:113], v114 offset:384
	ds_read_b128 v[106:109], v114 offset:400
	;; [unrolled: 1-line block ×12, first 2 shown]
	scratch_load_dwordx4 v[62:65], off, off offset:256
	scratch_load_dwordx4 v[54:57], off, off offset:272
	;; [unrolled: 1-line block ×4, first 2 shown]
	scratch_load_dwordx2 v[116:117], off, off offset:56
	v_cmp_lt_u32_e32 vcc, 6, v0
	s_waitcnt vmcnt(16) lgkmcnt(11)
	v_mul_f32_e32 v115, v110, v3
	v_mul_f32_e32 v198, v112, v5
	;; [unrolled: 1-line block ×3, first 2 shown]
	v_fmac_f32_e32 v115, v111, v2
	s_waitcnt vmcnt(15) lgkmcnt(10)
	v_mul_f32_e32 v200, v106, v7
	v_fmac_f32_e32 v198, v113, v4
	v_fma_f32 v2, v110, v2, -v3
	v_add_f32_e32 v3, 0, v115
	v_mul_f32_e32 v202, v108, v9
	v_fmac_f32_e32 v200, v107, v6
	v_add_f32_e32 v3, v3, v198
	s_waitcnt vmcnt(14) lgkmcnt(9)
	v_mul_f32_e32 v203, v102, v11
	v_fmac_f32_e32 v202, v109, v8
	v_add_f32_e32 v3, v3, v200
	v_mul_f32_e32 v204, v104, v13
	v_fmac_f32_e32 v203, v103, v10
	v_add_f32_e32 v3, v3, v202
	s_waitcnt vmcnt(13) lgkmcnt(8)
	v_mul_f32_e32 v205, v98, v15
	v_fmac_f32_e32 v204, v105, v12
	;; [unrolled: 7-line block ×9, first 2 shown]
	v_add_f32_e32 v3, v3, v217
	v_mul_f32_e32 v220, v72, v53
	v_fmac_f32_e32 v219, v71, v50
	v_add_f32_e32 v3, v3, v218
	v_fmac_f32_e32 v220, v73, v52
	v_add_f32_e32 v3, v3, v219
	v_add_f32_e32 v111, v3, v220
	v_mul_f32_e32 v3, v113, v5
	v_add_f32_e32 v2, 0, v2
	v_fma_f32 v3, v112, v4, -v3
	v_add_f32_e32 v2, v2, v3
	v_mul_f32_e32 v3, v107, v7
	v_fma_f32 v3, v106, v6, -v3
	v_add_f32_e32 v2, v2, v3
	v_mul_f32_e32 v3, v109, v9
	;; [unrolled: 3-line block ×20, first 2 shown]
	v_fma_f32 v3, v72, v52, -v3
	v_add_f32_e32 v110, v2, v3
	s_waitcnt vmcnt(5) lgkmcnt(0)
	v_mul_f32_e32 v2, v67, v59
	v_fma_f32 v198, v66, v58, -v2
	v_mul_f32_e32 v2, v69, v61
	v_fma_f32 v200, v68, v60, -v2
	ds_read_b128 v[2:5], v114 offset:576
	ds_read_b128 v[6:9], v114 offset:592
	;; [unrolled: 1-line block ×4, first 2 shown]
	v_mul_f32_e32 v199, v66, v59
	v_mul_f32_e32 v201, v68, v61
	v_fmac_f32_e32 v199, v67, v58
	s_waitcnt vmcnt(4) lgkmcnt(3)
	v_pk_mul_f32 v[20:21], v[2:3], v[62:63] op_sel:[1,1] op_sel_hi:[0,1]
	v_fmac_f32_e32 v201, v69, v60
	v_pk_add_f32 v[18:19], v[110:111], v[198:199]
	v_pk_fma_f32 v[22:23], v[2:3], v[62:63], v[20:21] neg_lo:[0,0,1] neg_hi:[0,0,1]
	v_pk_fma_f32 v[2:3], v[2:3], v[62:63], v[20:21] op_sel_hi:[1,0,1]
	v_pk_add_f32 v[18:19], v[18:19], v[200:201]
	v_mov_b32_e32 v23, v3
	v_pk_add_f32 v[2:3], v[18:19], v[22:23]
	v_mov_b32_e32 v18, v65
	v_pk_mul_f32 v[18:19], v[4:5], v[18:19] op_sel:[1,0] op_sel_hi:[0,0]
	v_pk_fma_f32 v[20:21], v[4:5], v[64:65], v[18:19] neg_lo:[0,0,1] neg_hi:[0,0,1]
	v_pk_fma_f32 v[4:5], v[4:5], v[64:65], v[18:19] op_sel_hi:[1,0,1]
	s_nop 0
	v_mov_b32_e32 v21, v5
	s_waitcnt vmcnt(3) lgkmcnt(2)
	v_pk_mul_f32 v[4:5], v[6:7], v[54:55] op_sel:[1,1] op_sel_hi:[0,1]
	v_pk_fma_f32 v[18:19], v[6:7], v[54:55], v[4:5] neg_lo:[0,0,1] neg_hi:[0,0,1]
	v_pk_fma_f32 v[4:5], v[6:7], v[54:55], v[4:5] op_sel_hi:[1,0,1]
	v_pk_add_f32 v[2:3], v[2:3], v[20:21]
	v_mov_b32_e32 v4, v57
	v_mov_b32_e32 v19, v5
	v_pk_mul_f32 v[4:5], v[8:9], v[4:5] op_sel:[1,0] op_sel_hi:[0,0]
	v_pk_fma_f32 v[6:7], v[8:9], v[56:57], v[4:5] neg_lo:[0,0,1] neg_hi:[0,0,1]
	v_pk_fma_f32 v[4:5], v[8:9], v[56:57], v[4:5] op_sel_hi:[1,0,1]
	v_pk_add_f32 v[2:3], v[2:3], v[18:19]
	v_mov_b32_e32 v7, v5
	s_waitcnt vmcnt(2) lgkmcnt(1)
	v_pk_mul_f32 v[4:5], v[10:11], v[42:43] op_sel:[1,1] op_sel_hi:[0,1]
	v_pk_add_f32 v[2:3], v[2:3], v[6:7]
	v_pk_fma_f32 v[6:7], v[10:11], v[42:43], v[4:5] neg_lo:[0,0,1] neg_hi:[0,0,1]
	v_pk_fma_f32 v[4:5], v[10:11], v[42:43], v[4:5] op_sel_hi:[1,0,1]
	s_nop 0
	v_mov_b32_e32 v4, v45
	v_mov_b32_e32 v7, v5
	v_pk_mul_f32 v[4:5], v[12:13], v[4:5] op_sel:[1,0] op_sel_hi:[0,0]
	v_pk_add_f32 v[2:3], v[2:3], v[6:7]
	v_pk_fma_f32 v[6:7], v[12:13], v[44:45], v[4:5] neg_lo:[0,0,1] neg_hi:[0,0,1]
	v_pk_fma_f32 v[4:5], v[12:13], v[44:45], v[4:5] op_sel_hi:[1,0,1]
	s_nop 0
	v_mov_b32_e32 v7, v5
	s_waitcnt vmcnt(1) lgkmcnt(0)
	v_pk_mul_f32 v[4:5], v[14:15], v[34:35] op_sel:[1,1] op_sel_hi:[0,1]
	v_pk_add_f32 v[2:3], v[2:3], v[6:7]
	v_pk_fma_f32 v[6:7], v[14:15], v[34:35], v[4:5] neg_lo:[0,0,1] neg_hi:[0,0,1]
	v_pk_fma_f32 v[4:5], v[14:15], v[34:35], v[4:5] op_sel_hi:[1,0,1]
	s_nop 0
	v_mov_b32_e32 v4, v37
	v_mov_b32_e32 v7, v5
	v_pk_mul_f32 v[4:5], v[16:17], v[4:5] op_sel:[1,0] op_sel_hi:[0,0]
	v_pk_add_f32 v[2:3], v[2:3], v[6:7]
	v_pk_fma_f32 v[6:7], v[16:17], v[36:37], v[4:5] neg_lo:[0,0,1] neg_hi:[0,0,1]
	v_pk_fma_f32 v[4:5], v[16:17], v[36:37], v[4:5] op_sel_hi:[1,0,1]
	s_nop 0
	v_mov_b32_e32 v7, v5
	v_pk_add_f32 v[2:3], v[2:3], v[6:7]
	s_waitcnt vmcnt(0)
	v_pk_add_f32 v[2:3], v[116:117], v[2:3] neg_lo:[0,1] neg_hi:[0,1]
	scratch_store_dwordx2 off, v[2:3], off offset:56
	s_and_saveexec_b64 s[0:1], vcc
	s_cbranch_execz .LBB103_241
; %bb.240:
	scratch_load_dwordx2 v[2:3], off, off offset:48
	v_mov_b32_e32 v4, 0
	v_mov_b32_e32 v5, v4
	scratch_store_dwordx2 off, v[4:5], off offset:48
	s_waitcnt vmcnt(1)
	ds_write_b64 v1, v[2:3]
.LBB103_241:
	s_or_b64 exec, exec, s[0:1]
	s_waitcnt lgkmcnt(0)
	; wave barrier
	scratch_load_dwordx4 v[2:5], off, off offset:56
	scratch_load_dwordx4 v[6:9], off, off offset:72
	;; [unrolled: 1-line block ×13, first 2 shown]
	v_mov_b32_e32 v106, 0
	scratch_load_dwordx2 v[116:117], off, off offset:48
	ds_read2_b64 v[54:57], v106 offset0:47 offset1:48
	ds_read2_b64 v[58:61], v106 offset0:49 offset1:50
	;; [unrolled: 1-line block ×14, first 2 shown]
	v_cmp_lt_u32_e32 vcc, 5, v0
	s_waitcnt vmcnt(13) lgkmcnt(13)
	v_mul_f32_e32 v107, v54, v3
	v_mul_f32_e32 v112, v56, v5
	v_fmac_f32_e32 v107, v55, v2
	s_waitcnt vmcnt(12) lgkmcnt(12)
	v_mul_f32_e32 v113, v58, v7
	v_fmac_f32_e32 v112, v57, v4
	v_add_f32_e32 v107, 0, v107
	v_mul_f32_e32 v114, v60, v9
	v_fmac_f32_e32 v113, v59, v6
	v_add_f32_e32 v107, v107, v112
	s_waitcnt vmcnt(11) lgkmcnt(11)
	v_mul_f32_e32 v115, v62, v11
	v_fmac_f32_e32 v114, v61, v8
	v_add_f32_e32 v107, v107, v113
	v_mul_f32_e32 v198, v64, v13
	v_fmac_f32_e32 v115, v63, v10
	v_add_f32_e32 v107, v107, v114
	;; [unrolled: 7-line block ×8, first 2 shown]
	s_waitcnt vmcnt(4) lgkmcnt(4)
	v_mul_f32_e32 v213, v90, v39
	v_fmac_f32_e32 v212, v89, v36
	v_add_f32_e32 v107, v107, v211
	v_fmac_f32_e32 v213, v91, v38
	v_add_f32_e32 v107, v107, v212
	v_add_f32_e32 v107, v107, v213
	scratch_load_dwordx4 v[112:115], off, off offset:264
	scratch_load_dwordx4 v[198:201], off, off offset:280
	;; [unrolled: 1-line block ×3, first 2 shown]
	scratch_load_dwordx2 v[212:213], off, off offset:312
	v_mul_f32_e32 v3, v55, v3
	v_fma_f32 v2, v54, v2, -v3
	v_mul_f32_e32 v3, v57, v5
	v_add_f32_e32 v2, 0, v2
	v_fma_f32 v3, v56, v4, -v3
	v_add_f32_e32 v2, v2, v3
	v_mul_f32_e32 v3, v59, v7
	v_fma_f32 v3, v58, v6, -v3
	v_add_f32_e32 v2, v2, v3
	v_mul_f32_e32 v3, v61, v9
	;; [unrolled: 3-line block ×18, first 2 shown]
	v_fma_f32 v3, v92, v40, -v3
	v_add_f32_e32 v2, v2, v3
	s_waitcnt vmcnt(7) lgkmcnt(3)
	v_mul_f32_e32 v3, v95, v43
	v_fma_f32 v3, v94, v42, -v3
	v_mul_f32_e32 v214, v92, v41
	v_add_f32_e32 v2, v2, v3
	v_mul_f32_e32 v3, v97, v45
	v_mul_f32_e32 v215, v94, v43
	v_fmac_f32_e32 v214, v93, v40
	v_fma_f32 v3, v96, v44, -v3
	v_mul_f32_e32 v216, v96, v45
	v_fmac_f32_e32 v215, v95, v42
	v_add_f32_e32 v107, v107, v214
	v_add_f32_e32 v2, v2, v3
	s_waitcnt vmcnt(6) lgkmcnt(2)
	v_mul_f32_e32 v3, v99, v47
	v_mul_f32_e32 v217, v98, v47
	v_fmac_f32_e32 v216, v97, v44
	v_add_f32_e32 v107, v107, v215
	v_fma_f32 v3, v98, v46, -v3
	v_mul_f32_e32 v207, v100, v49
	v_fmac_f32_e32 v217, v99, v46
	v_add_f32_e32 v107, v107, v216
	v_add_f32_e32 v210, v2, v3
	v_mul_f32_e32 v2, v101, v49
	s_waitcnt vmcnt(5)
	v_mov_b32_e32 v14, v53
	s_waitcnt lgkmcnt(1)
	v_mul_f32_e32 v209, v102, v51
	v_fmac_f32_e32 v207, v101, v48
	v_add_f32_e32 v211, v107, v217
	v_fma_f32 v206, v100, v48, -v2
	v_mul_f32_e32 v2, v103, v51
	v_pk_mul_f32 v[14:15], v[104:105], v[14:15] op_sel:[1,0] op_sel_hi:[0,0]
	v_fmac_f32_e32 v209, v103, v50
	v_fma_f32 v208, v102, v50, -v2
	v_pk_add_f32 v[12:13], v[210:211], v[206:207]
	v_pk_fma_f32 v[16:17], v[104:105], v[52:53], v[14:15] neg_lo:[0,0,1] neg_hi:[0,0,1]
	v_pk_fma_f32 v[14:15], v[104:105], v[52:53], v[14:15] op_sel_hi:[1,0,1]
	v_pk_add_f32 v[12:13], v[12:13], v[208:209]
	v_mov_b32_e32 v17, v15
	s_waitcnt vmcnt(3) lgkmcnt(0)
	v_pk_mul_f32 v[14:15], v[108:109], v[112:113] op_sel:[1,1] op_sel_hi:[0,1]
	v_pk_add_f32 v[12:13], v[12:13], v[16:17]
	v_pk_fma_f32 v[16:17], v[108:109], v[112:113], v[14:15] neg_lo:[0,0,1] neg_hi:[0,0,1]
	v_pk_fma_f32 v[14:15], v[108:109], v[112:113], v[14:15] op_sel_hi:[1,0,1]
	ds_read2_b64 v[2:5], v106 offset0:75 offset1:76
	ds_read2_b64 v[6:9], v106 offset0:77 offset1:78
	ds_read_b64 v[10:11], v106 offset:632
	v_mov_b32_e32 v14, v115
	v_mov_b32_e32 v17, v15
	v_pk_mul_f32 v[14:15], v[110:111], v[14:15] op_sel:[1,0] op_sel_hi:[0,0]
	v_pk_add_f32 v[12:13], v[12:13], v[16:17]
	v_pk_fma_f32 v[16:17], v[110:111], v[114:115], v[14:15] neg_lo:[0,0,1] neg_hi:[0,0,1]
	v_pk_fma_f32 v[14:15], v[110:111], v[114:115], v[14:15] op_sel_hi:[1,0,1]
	s_nop 0
	v_mov_b32_e32 v17, v15
	s_waitcnt vmcnt(2) lgkmcnt(2)
	v_pk_mul_f32 v[14:15], v[2:3], v[198:199] op_sel:[1,1] op_sel_hi:[0,1]
	v_pk_add_f32 v[12:13], v[12:13], v[16:17]
	v_pk_fma_f32 v[16:17], v[2:3], v[198:199], v[14:15] neg_lo:[0,0,1] neg_hi:[0,0,1]
	v_pk_fma_f32 v[2:3], v[2:3], v[198:199], v[14:15] op_sel_hi:[1,0,1]
	s_nop 0
	v_mov_b32_e32 v17, v3
	v_pk_add_f32 v[2:3], v[12:13], v[16:17]
	v_mov_b32_e32 v12, v201
	v_pk_mul_f32 v[12:13], v[4:5], v[12:13] op_sel:[1,0] op_sel_hi:[0,0]
	v_pk_fma_f32 v[14:15], v[4:5], v[200:201], v[12:13] neg_lo:[0,0,1] neg_hi:[0,0,1]
	v_pk_fma_f32 v[4:5], v[4:5], v[200:201], v[12:13] op_sel_hi:[1,0,1]
	s_nop 0
	v_mov_b32_e32 v15, v5
	s_waitcnt vmcnt(1) lgkmcnt(1)
	v_pk_mul_f32 v[4:5], v[6:7], v[202:203] op_sel:[1,1] op_sel_hi:[0,1]
	v_pk_fma_f32 v[12:13], v[6:7], v[202:203], v[4:5] neg_lo:[0,0,1] neg_hi:[0,0,1]
	v_pk_fma_f32 v[4:5], v[6:7], v[202:203], v[4:5] op_sel_hi:[1,0,1]
	v_pk_add_f32 v[2:3], v[2:3], v[14:15]
	v_mov_b32_e32 v4, v205
	v_mov_b32_e32 v13, v5
	v_pk_mul_f32 v[4:5], v[8:9], v[4:5] op_sel:[1,0] op_sel_hi:[0,0]
	v_pk_fma_f32 v[6:7], v[8:9], v[204:205], v[4:5] neg_lo:[0,0,1] neg_hi:[0,0,1]
	v_pk_fma_f32 v[4:5], v[8:9], v[204:205], v[4:5] op_sel_hi:[1,0,1]
	v_pk_add_f32 v[2:3], v[2:3], v[12:13]
	v_mov_b32_e32 v7, v5
	s_waitcnt vmcnt(0) lgkmcnt(0)
	v_pk_mul_f32 v[4:5], v[10:11], v[212:213] op_sel:[1,1] op_sel_hi:[0,1]
	v_pk_add_f32 v[2:3], v[2:3], v[6:7]
	v_pk_fma_f32 v[6:7], v[10:11], v[212:213], v[4:5] neg_lo:[0,0,1] neg_hi:[0,0,1]
	v_pk_fma_f32 v[4:5], v[10:11], v[212:213], v[4:5] op_sel_hi:[1,0,1]
	s_nop 0
	v_mov_b32_e32 v7, v5
	v_pk_add_f32 v[2:3], v[2:3], v[6:7]
	s_nop 0
	v_pk_add_f32 v[2:3], v[116:117], v[2:3] neg_lo:[0,1] neg_hi:[0,1]
	scratch_store_dwordx2 off, v[2:3], off offset:48
	s_and_saveexec_b64 s[0:1], vcc
	s_cbranch_execz .LBB103_243
; %bb.242:
	scratch_load_dwordx2 v[2:3], off, off offset:40
	v_mov_b32_e32 v107, v106
	scratch_store_dwordx2 off, v[106:107], off offset:40
	s_waitcnt vmcnt(1)
	ds_write_b64 v1, v[2:3]
.LBB103_243:
	s_or_b64 exec, exec, s[0:1]
	s_waitcnt lgkmcnt(0)
	; wave barrier
	scratch_load_dwordx4 v[2:5], off, off offset:48
	scratch_load_dwordx4 v[6:9], off, off offset:64
	;; [unrolled: 1-line block ×13, first 2 shown]
	ds_read_b128 v[102:105], v106 offset:368
	ds_read_b128 v[98:101], v106 offset:384
	;; [unrolled: 1-line block ×14, first 2 shown]
	scratch_load_dwordx2 v[116:117], off, off offset:40
	v_cmp_lt_u32_e32 vcc, 4, v0
	s_waitcnt vmcnt(13) lgkmcnt(13)
	v_mul_f32_e32 v107, v102, v3
	v_mul_f32_e32 v112, v104, v5
	v_fmac_f32_e32 v107, v103, v2
	s_waitcnt vmcnt(12) lgkmcnt(12)
	v_mul_f32_e32 v113, v98, v7
	v_fmac_f32_e32 v112, v105, v4
	v_add_f32_e32 v107, 0, v107
	v_mul_f32_e32 v114, v100, v9
	v_fmac_f32_e32 v113, v99, v6
	v_add_f32_e32 v107, v107, v112
	s_waitcnt vmcnt(11) lgkmcnt(11)
	v_mul_f32_e32 v115, v94, v11
	v_fmac_f32_e32 v114, v101, v8
	v_add_f32_e32 v107, v107, v113
	v_mul_f32_e32 v198, v96, v13
	v_fmac_f32_e32 v115, v95, v10
	v_add_f32_e32 v107, v107, v114
	s_waitcnt vmcnt(10) lgkmcnt(10)
	v_mul_f32_e32 v199, v90, v15
	v_fmac_f32_e32 v198, v97, v12
	v_add_f32_e32 v107, v107, v115
	v_mul_f32_e32 v200, v92, v17
	v_fmac_f32_e32 v199, v91, v14
	v_add_f32_e32 v107, v107, v198
	s_waitcnt vmcnt(9) lgkmcnt(9)
	v_mul_f32_e32 v201, v86, v19
	v_fmac_f32_e32 v200, v93, v16
	v_add_f32_e32 v107, v107, v199
	v_mul_f32_e32 v202, v88, v21
	v_fmac_f32_e32 v201, v87, v18
	v_add_f32_e32 v107, v107, v200
	s_waitcnt vmcnt(8) lgkmcnt(8)
	v_mul_f32_e32 v203, v82, v23
	v_fmac_f32_e32 v202, v89, v20
	v_add_f32_e32 v107, v107, v201
	v_mul_f32_e32 v204, v84, v25
	v_fmac_f32_e32 v203, v83, v22
	v_add_f32_e32 v107, v107, v202
	s_waitcnt vmcnt(7) lgkmcnt(7)
	v_mul_f32_e32 v205, v78, v27
	v_fmac_f32_e32 v204, v85, v24
	v_add_f32_e32 v107, v107, v203
	v_mul_f32_e32 v206, v80, v29
	v_fmac_f32_e32 v205, v79, v26
	v_add_f32_e32 v107, v107, v204
	s_waitcnt vmcnt(6) lgkmcnt(6)
	v_mul_f32_e32 v207, v74, v31
	v_fmac_f32_e32 v206, v81, v28
	v_add_f32_e32 v107, v107, v205
	v_mul_f32_e32 v208, v76, v33
	v_fmac_f32_e32 v207, v75, v30
	v_add_f32_e32 v107, v107, v206
	s_waitcnt vmcnt(5) lgkmcnt(5)
	v_mul_f32_e32 v209, v70, v35
	v_fmac_f32_e32 v208, v77, v32
	v_add_f32_e32 v107, v107, v207
	v_fmac_f32_e32 v209, v71, v34
	v_add_f32_e32 v107, v107, v208
	v_add_f32_e32 v107, v107, v209
	scratch_load_dwordx4 v[112:115], off, off offset:256
	scratch_load_dwordx4 v[198:201], off, off offset:272
	;; [unrolled: 1-line block ×4, first 2 shown]
	v_mul_f32_e32 v3, v103, v3
	v_fma_f32 v2, v102, v2, -v3
	v_mul_f32_e32 v3, v105, v5
	v_add_f32_e32 v2, 0, v2
	v_fma_f32 v3, v104, v4, -v3
	v_add_f32_e32 v2, v2, v3
	v_mul_f32_e32 v3, v99, v7
	v_fma_f32 v3, v98, v6, -v3
	v_add_f32_e32 v2, v2, v3
	v_mul_f32_e32 v3, v101, v9
	;; [unrolled: 3-line block ×16, first 2 shown]
	v_fma_f32 v3, v72, v36, -v3
	v_add_f32_e32 v2, v2, v3
	s_waitcnt vmcnt(8) lgkmcnt(4)
	v_mul_f32_e32 v3, v67, v39
	v_fma_f32 v3, v66, v38, -v3
	v_add_f32_e32 v2, v2, v3
	v_mul_f32_e32 v3, v69, v41
	v_fma_f32 v3, v68, v40, -v3
	v_add_f32_e32 v2, v2, v3
	s_waitcnt vmcnt(7) lgkmcnt(3)
	v_mul_f32_e32 v3, v63, v43
	v_mul_f32_e32 v210, v72, v37
	v_fma_f32 v3, v62, v42, -v3
	v_mul_f32_e32 v212, v66, v39
	v_fmac_f32_e32 v210, v73, v36
	v_add_f32_e32 v2, v2, v3
	v_mul_f32_e32 v3, v65, v45
	v_mul_f32_e32 v214, v68, v41
	v_fmac_f32_e32 v212, v67, v38
	v_add_f32_e32 v107, v107, v210
	v_fma_f32 v3, v64, v44, -v3
	v_mul_f32_e32 v215, v62, v43
	v_fmac_f32_e32 v214, v69, v40
	v_add_f32_e32 v107, v107, v212
	v_add_f32_e32 v2, v2, v3
	s_waitcnt vmcnt(6) lgkmcnt(2)
	v_mul_f32_e32 v3, v59, v47
	v_mul_f32_e32 v216, v64, v45
	v_fmac_f32_e32 v215, v63, v42
	v_add_f32_e32 v107, v107, v214
	v_fma_f32 v3, v58, v46, -v3
	v_mul_f32_e32 v217, v58, v47
	v_fmac_f32_e32 v216, v65, v44
	v_add_f32_e32 v107, v107, v215
	v_add_f32_e32 v2, v2, v3
	v_mul_f32_e32 v3, v61, v49
	v_mul_f32_e32 v218, v60, v49
	v_fmac_f32_e32 v217, v59, v46
	v_add_f32_e32 v107, v107, v216
	v_fma_f32 v3, v60, v48, -v3
	s_waitcnt vmcnt(5) lgkmcnt(1)
	v_mul_f32_e32 v211, v54, v51
	v_fmac_f32_e32 v218, v61, v48
	v_add_f32_e32 v107, v107, v217
	v_add_f32_e32 v214, v2, v3
	v_mul_f32_e32 v2, v55, v51
	s_waitcnt vmcnt(3) lgkmcnt(0)
	v_pk_mul_f32 v[16:17], v[108:109], v[112:113] op_sel:[1,1] op_sel_hi:[0,1]
	v_mul_f32_e32 v213, v56, v53
	v_fmac_f32_e32 v211, v55, v50
	v_add_f32_e32 v215, v107, v218
	v_fma_f32 v210, v54, v50, -v2
	v_mul_f32_e32 v2, v57, v53
	v_pk_fma_f32 v[18:19], v[108:109], v[112:113], v[16:17] neg_lo:[0,0,1] neg_hi:[0,0,1]
	v_pk_fma_f32 v[16:17], v[108:109], v[112:113], v[16:17] op_sel_hi:[1,0,1]
	v_fmac_f32_e32 v213, v57, v52
	v_fma_f32 v212, v56, v52, -v2
	ds_read_b128 v[2:5], v106 offset:592
	ds_read_b128 v[6:9], v106 offset:608
	;; [unrolled: 1-line block ×3, first 2 shown]
	v_pk_add_f32 v[14:15], v[214:215], v[210:211]
	v_mov_b32_e32 v16, v115
	v_pk_add_f32 v[14:15], v[14:15], v[212:213]
	v_mov_b32_e32 v19, v17
	v_pk_mul_f32 v[16:17], v[110:111], v[16:17] op_sel:[1,0] op_sel_hi:[0,0]
	v_pk_add_f32 v[14:15], v[14:15], v[18:19]
	v_pk_fma_f32 v[18:19], v[110:111], v[114:115], v[16:17] neg_lo:[0,0,1] neg_hi:[0,0,1]
	v_pk_fma_f32 v[16:17], v[110:111], v[114:115], v[16:17] op_sel_hi:[1,0,1]
	s_nop 0
	v_mov_b32_e32 v19, v17
	s_waitcnt vmcnt(2) lgkmcnt(2)
	v_pk_mul_f32 v[16:17], v[2:3], v[198:199] op_sel:[1,1] op_sel_hi:[0,1]
	v_pk_add_f32 v[14:15], v[14:15], v[18:19]
	v_pk_fma_f32 v[18:19], v[2:3], v[198:199], v[16:17] neg_lo:[0,0,1] neg_hi:[0,0,1]
	v_pk_fma_f32 v[2:3], v[2:3], v[198:199], v[16:17] op_sel_hi:[1,0,1]
	s_nop 0
	v_mov_b32_e32 v19, v3
	v_pk_add_f32 v[2:3], v[14:15], v[18:19]
	v_mov_b32_e32 v14, v201
	v_pk_mul_f32 v[14:15], v[4:5], v[14:15] op_sel:[1,0] op_sel_hi:[0,0]
	v_pk_fma_f32 v[16:17], v[4:5], v[200:201], v[14:15] neg_lo:[0,0,1] neg_hi:[0,0,1]
	v_pk_fma_f32 v[4:5], v[4:5], v[200:201], v[14:15] op_sel_hi:[1,0,1]
	s_nop 0
	v_mov_b32_e32 v17, v5
	s_waitcnt vmcnt(1) lgkmcnt(1)
	v_pk_mul_f32 v[4:5], v[6:7], v[202:203] op_sel:[1,1] op_sel_hi:[0,1]
	v_pk_fma_f32 v[14:15], v[6:7], v[202:203], v[4:5] neg_lo:[0,0,1] neg_hi:[0,0,1]
	v_pk_fma_f32 v[4:5], v[6:7], v[202:203], v[4:5] op_sel_hi:[1,0,1]
	v_pk_add_f32 v[2:3], v[2:3], v[16:17]
	v_mov_b32_e32 v4, v205
	v_mov_b32_e32 v15, v5
	v_pk_mul_f32 v[4:5], v[8:9], v[4:5] op_sel:[1,0] op_sel_hi:[0,0]
	v_pk_fma_f32 v[6:7], v[8:9], v[204:205], v[4:5] neg_lo:[0,0,1] neg_hi:[0,0,1]
	v_pk_fma_f32 v[4:5], v[8:9], v[204:205], v[4:5] op_sel_hi:[1,0,1]
	v_pk_add_f32 v[2:3], v[2:3], v[14:15]
	v_mov_b32_e32 v7, v5
	s_waitcnt vmcnt(0) lgkmcnt(0)
	v_pk_mul_f32 v[4:5], v[10:11], v[206:207] op_sel:[1,1] op_sel_hi:[0,1]
	v_pk_add_f32 v[2:3], v[2:3], v[6:7]
	v_pk_fma_f32 v[6:7], v[10:11], v[206:207], v[4:5] neg_lo:[0,0,1] neg_hi:[0,0,1]
	v_pk_fma_f32 v[4:5], v[10:11], v[206:207], v[4:5] op_sel_hi:[1,0,1]
	s_nop 0
	v_mov_b32_e32 v4, v209
	v_mov_b32_e32 v7, v5
	v_pk_mul_f32 v[4:5], v[12:13], v[4:5] op_sel:[1,0] op_sel_hi:[0,0]
	v_pk_add_f32 v[2:3], v[2:3], v[6:7]
	v_pk_fma_f32 v[6:7], v[12:13], v[208:209], v[4:5] neg_lo:[0,0,1] neg_hi:[0,0,1]
	v_pk_fma_f32 v[4:5], v[12:13], v[208:209], v[4:5] op_sel_hi:[1,0,1]
	s_nop 0
	v_mov_b32_e32 v7, v5
	v_pk_add_f32 v[2:3], v[2:3], v[6:7]
	s_nop 0
	v_pk_add_f32 v[2:3], v[116:117], v[2:3] neg_lo:[0,1] neg_hi:[0,1]
	scratch_store_dwordx2 off, v[2:3], off offset:40
	s_and_saveexec_b64 s[0:1], vcc
	s_cbranch_execz .LBB103_245
; %bb.244:
	scratch_load_dwordx2 v[2:3], off, off offset:32
	v_mov_b32_e32 v4, 0
	v_mov_b32_e32 v5, v4
	scratch_store_dwordx2 off, v[4:5], off offset:32
	s_waitcnt vmcnt(1)
	ds_write_b64 v1, v[2:3]
.LBB103_245:
	s_or_b64 exec, exec, s[0:1]
	s_waitcnt lgkmcnt(0)
	; wave barrier
	scratch_load_dwordx4 v[2:5], off, off offset:40
	scratch_load_dwordx4 v[6:9], off, off offset:56
	;; [unrolled: 1-line block ×13, first 2 shown]
	v_mov_b32_e32 v114, 0
	scratch_load_dwordx4 v[54:57], off, off offset:248
	scratch_load_dwordx2 v[116:117], off, off offset:32
	ds_read2_b64 v[58:61], v114 offset0:45 offset1:46
	ds_read2_b64 v[62:65], v114 offset0:47 offset1:48
	;; [unrolled: 1-line block ×14, first 2 shown]
	v_cmp_lt_u32_e32 vcc, 3, v0
	s_waitcnt vmcnt(14) lgkmcnt(13)
	v_mul_f32_e32 v115, v58, v3
	v_mul_f32_e32 v198, v60, v5
	v_fmac_f32_e32 v115, v59, v2
	s_waitcnt vmcnt(13) lgkmcnt(12)
	v_mul_f32_e32 v199, v62, v7
	v_fmac_f32_e32 v198, v61, v4
	v_add_f32_e32 v115, 0, v115
	v_mul_f32_e32 v200, v64, v9
	v_fmac_f32_e32 v199, v63, v6
	v_add_f32_e32 v115, v115, v198
	s_waitcnt vmcnt(12) lgkmcnt(11)
	v_mul_f32_e32 v201, v66, v11
	v_fmac_f32_e32 v200, v65, v8
	v_add_f32_e32 v115, v115, v199
	v_mul_f32_e32 v202, v68, v13
	v_fmac_f32_e32 v201, v67, v10
	v_add_f32_e32 v115, v115, v200
	;; [unrolled: 7-line block ×6, first 2 shown]
	s_waitcnt vmcnt(7) lgkmcnt(6)
	v_mul_f32_e32 v211, v86, v31
	v_fmac_f32_e32 v210, v85, v28
	v_add_f32_e32 v115, v115, v209
	scratch_load_dwordx4 v[198:201], off, off offset:264
	v_mul_f32_e32 v212, v88, v33
	v_fmac_f32_e32 v211, v87, v30
	v_add_f32_e32 v115, v115, v210
	s_waitcnt vmcnt(7) lgkmcnt(5)
	v_mul_f32_e32 v213, v90, v35
	v_fmac_f32_e32 v212, v89, v32
	v_add_f32_e32 v115, v115, v211
	v_mul_f32_e32 v214, v92, v37
	v_fmac_f32_e32 v213, v91, v34
	v_add_f32_e32 v115, v115, v212
	s_waitcnt vmcnt(6) lgkmcnt(4)
	v_mul_f32_e32 v215, v94, v39
	v_fmac_f32_e32 v214, v93, v36
	v_add_f32_e32 v115, v115, v213
	;; [unrolled: 7-line block ×3, first 2 shown]
	v_fmac_f32_e32 v217, v99, v42
	v_add_f32_e32 v115, v115, v216
	v_add_f32_e32 v115, v115, v217
	scratch_load_dwordx4 v[202:205], off, off offset:280
	scratch_load_dwordx4 v[206:209], off, off offset:296
	scratch_load_dwordx2 v[216:217], off, off offset:312
	v_mul_f32_e32 v3, v59, v3
	v_fma_f32 v2, v58, v2, -v3
	v_mul_f32_e32 v3, v61, v5
	v_add_f32_e32 v2, 0, v2
	v_fma_f32 v3, v60, v4, -v3
	v_add_f32_e32 v2, v2, v3
	v_mul_f32_e32 v3, v63, v7
	v_fma_f32 v3, v62, v6, -v3
	v_add_f32_e32 v2, v2, v3
	v_mul_f32_e32 v3, v65, v9
	;; [unrolled: 3-line block ×20, first 2 shown]
	v_fma_f32 v3, v100, v44, -v3
	v_add_f32_e32 v2, v2, v3
	s_waitcnt vmcnt(7) lgkmcnt(2)
	v_mul_f32_e32 v3, v103, v47
	v_fma_f32 v3, v102, v46, -v3
	v_add_f32_e32 v2, v2, v3
	v_mul_f32_e32 v3, v105, v49
	v_mul_f32_e32 v218, v100, v45
	v_fma_f32 v3, v104, v48, -v3
	v_mul_f32_e32 v219, v102, v47
	v_fmac_f32_e32 v218, v101, v44
	v_add_f32_e32 v2, v2, v3
	s_waitcnt vmcnt(6) lgkmcnt(1)
	v_mul_f32_e32 v3, v107, v51
	v_mul_f32_e32 v220, v104, v49
	v_fmac_f32_e32 v219, v103, v46
	v_add_f32_e32 v115, v115, v218
	v_fma_f32 v3, v106, v50, -v3
	v_mul_f32_e32 v221, v106, v51
	v_fmac_f32_e32 v220, v105, v48
	v_add_f32_e32 v115, v115, v219
	v_add_f32_e32 v210, v2, v3
	v_mul_f32_e32 v2, v109, v53
	v_fmac_f32_e32 v221, v107, v50
	v_add_f32_e32 v115, v115, v220
	v_mul_f32_e32 v213, v108, v53
	v_fma_f32 v212, v108, v52, -v2
	s_waitcnt vmcnt(5) lgkmcnt(0)
	v_mul_f32_e32 v2, v111, v55
	v_mov_b32_e32 v18, v57
	v_add_f32_e32 v211, v115, v221
	v_fmac_f32_e32 v213, v109, v52
	v_mul_f32_e32 v215, v110, v55
	v_fma_f32 v214, v110, v54, -v2
	ds_read2_b64 v[2:5], v114 offset0:73 offset1:74
	ds_read2_b64 v[6:9], v114 offset0:75 offset1:76
	;; [unrolled: 1-line block ×3, first 2 shown]
	ds_read_b64 v[14:15], v114 offset:632
	v_pk_mul_f32 v[18:19], v[112:113], v[18:19] op_sel:[1,0] op_sel_hi:[0,0]
	v_fmac_f32_e32 v215, v111, v54
	v_pk_add_f32 v[16:17], v[210:211], v[212:213]
	v_pk_fma_f32 v[20:21], v[112:113], v[56:57], v[18:19] neg_lo:[0,0,1] neg_hi:[0,0,1]
	v_pk_fma_f32 v[18:19], v[112:113], v[56:57], v[18:19] op_sel_hi:[1,0,1]
	v_pk_add_f32 v[16:17], v[16:17], v[214:215]
	v_mov_b32_e32 v21, v19
	s_waitcnt vmcnt(3) lgkmcnt(3)
	v_pk_mul_f32 v[18:19], v[2:3], v[198:199] op_sel:[1,1] op_sel_hi:[0,1]
	v_pk_add_f32 v[16:17], v[16:17], v[20:21]
	v_pk_fma_f32 v[20:21], v[2:3], v[198:199], v[18:19] neg_lo:[0,0,1] neg_hi:[0,0,1]
	v_pk_fma_f32 v[2:3], v[2:3], v[198:199], v[18:19] op_sel_hi:[1,0,1]
	s_nop 0
	v_mov_b32_e32 v21, v3
	v_pk_add_f32 v[2:3], v[16:17], v[20:21]
	v_mov_b32_e32 v16, v201
	v_pk_mul_f32 v[16:17], v[4:5], v[16:17] op_sel:[1,0] op_sel_hi:[0,0]
	v_pk_fma_f32 v[18:19], v[4:5], v[200:201], v[16:17] neg_lo:[0,0,1] neg_hi:[0,0,1]
	v_pk_fma_f32 v[4:5], v[4:5], v[200:201], v[16:17] op_sel_hi:[1,0,1]
	s_nop 0
	v_mov_b32_e32 v19, v5
	s_waitcnt vmcnt(2) lgkmcnt(2)
	v_pk_mul_f32 v[4:5], v[6:7], v[202:203] op_sel:[1,1] op_sel_hi:[0,1]
	v_pk_fma_f32 v[16:17], v[6:7], v[202:203], v[4:5] neg_lo:[0,0,1] neg_hi:[0,0,1]
	v_pk_fma_f32 v[4:5], v[6:7], v[202:203], v[4:5] op_sel_hi:[1,0,1]
	v_pk_add_f32 v[2:3], v[2:3], v[18:19]
	v_mov_b32_e32 v4, v205
	v_mov_b32_e32 v17, v5
	v_pk_mul_f32 v[4:5], v[8:9], v[4:5] op_sel:[1,0] op_sel_hi:[0,0]
	v_pk_fma_f32 v[6:7], v[8:9], v[204:205], v[4:5] neg_lo:[0,0,1] neg_hi:[0,0,1]
	v_pk_fma_f32 v[4:5], v[8:9], v[204:205], v[4:5] op_sel_hi:[1,0,1]
	v_pk_add_f32 v[2:3], v[2:3], v[16:17]
	v_mov_b32_e32 v7, v5
	s_waitcnt vmcnt(1) lgkmcnt(1)
	v_pk_mul_f32 v[4:5], v[10:11], v[206:207] op_sel:[1,1] op_sel_hi:[0,1]
	v_pk_add_f32 v[2:3], v[2:3], v[6:7]
	v_pk_fma_f32 v[6:7], v[10:11], v[206:207], v[4:5] neg_lo:[0,0,1] neg_hi:[0,0,1]
	v_pk_fma_f32 v[4:5], v[10:11], v[206:207], v[4:5] op_sel_hi:[1,0,1]
	s_nop 0
	v_mov_b32_e32 v4, v209
	v_mov_b32_e32 v7, v5
	v_pk_mul_f32 v[4:5], v[12:13], v[4:5] op_sel:[1,0] op_sel_hi:[0,0]
	v_pk_add_f32 v[2:3], v[2:3], v[6:7]
	v_pk_fma_f32 v[6:7], v[12:13], v[208:209], v[4:5] neg_lo:[0,0,1] neg_hi:[0,0,1]
	v_pk_fma_f32 v[4:5], v[12:13], v[208:209], v[4:5] op_sel_hi:[1,0,1]
	s_nop 0
	v_mov_b32_e32 v7, v5
	s_waitcnt vmcnt(0) lgkmcnt(0)
	v_pk_mul_f32 v[4:5], v[14:15], v[216:217] op_sel:[1,1] op_sel_hi:[0,1]
	v_pk_add_f32 v[2:3], v[2:3], v[6:7]
	v_pk_fma_f32 v[6:7], v[14:15], v[216:217], v[4:5] neg_lo:[0,0,1] neg_hi:[0,0,1]
	v_pk_fma_f32 v[4:5], v[14:15], v[216:217], v[4:5] op_sel_hi:[1,0,1]
	s_nop 0
	v_mov_b32_e32 v7, v5
	v_pk_add_f32 v[2:3], v[2:3], v[6:7]
	s_nop 0
	v_pk_add_f32 v[2:3], v[116:117], v[2:3] neg_lo:[0,1] neg_hi:[0,1]
	scratch_store_dwordx2 off, v[2:3], off offset:32
	s_and_saveexec_b64 s[0:1], vcc
	s_cbranch_execz .LBB103_247
; %bb.246:
	scratch_load_dwordx2 v[2:3], off, off offset:24
	v_mov_b32_e32 v115, v114
	scratch_store_dwordx2 off, v[114:115], off offset:24
	s_waitcnt vmcnt(1)
	ds_write_b64 v1, v[2:3]
.LBB103_247:
	s_or_b64 exec, exec, s[0:1]
	s_waitcnt lgkmcnt(0)
	; wave barrier
	scratch_load_dwordx4 v[2:5], off, off offset:32
	scratch_load_dwordx4 v[6:9], off, off offset:48
	;; [unrolled: 1-line block ×13, first 2 shown]
	ds_read_b128 v[110:113], v114 offset:352
	ds_read_b128 v[106:109], v114 offset:368
	;; [unrolled: 1-line block ×14, first 2 shown]
	scratch_load_dwordx4 v[66:69], off, off offset:240
	scratch_load_dwordx2 v[116:117], off, off offset:24
	v_cmp_lt_u32_e32 vcc, 2, v0
	s_waitcnt vmcnt(14) lgkmcnt(13)
	v_mul_f32_e32 v115, v110, v3
	v_mul_f32_e32 v198, v112, v5
	v_fmac_f32_e32 v115, v111, v2
	s_waitcnt vmcnt(13) lgkmcnt(12)
	v_mul_f32_e32 v199, v106, v7
	v_fmac_f32_e32 v198, v113, v4
	v_add_f32_e32 v115, 0, v115
	v_mul_f32_e32 v200, v108, v9
	v_fmac_f32_e32 v199, v107, v6
	v_add_f32_e32 v115, v115, v198
	s_waitcnt vmcnt(12) lgkmcnt(11)
	v_mul_f32_e32 v201, v102, v11
	v_fmac_f32_e32 v200, v109, v8
	v_add_f32_e32 v115, v115, v199
	v_mul_f32_e32 v202, v104, v13
	v_fmac_f32_e32 v201, v103, v10
	v_add_f32_e32 v115, v115, v200
	;; [unrolled: 7-line block ×4, first 2 shown]
	s_waitcnt vmcnt(9) lgkmcnt(8)
	v_mul_f32_e32 v207, v90, v23
	v_fmac_f32_e32 v206, v97, v20
	v_add_f32_e32 v115, v115, v205
	scratch_load_dwordx4 v[198:201], off, off offset:256
	v_mul_f32_e32 v208, v92, v25
	v_fmac_f32_e32 v207, v91, v22
	v_add_f32_e32 v115, v115, v206
	s_waitcnt vmcnt(9) lgkmcnt(7)
	v_mul_f32_e32 v209, v86, v27
	v_fmac_f32_e32 v208, v93, v24
	v_add_f32_e32 v115, v115, v207
	v_mul_f32_e32 v210, v88, v29
	v_fmac_f32_e32 v209, v87, v26
	v_add_f32_e32 v115, v115, v208
	s_waitcnt vmcnt(8) lgkmcnt(6)
	v_mul_f32_e32 v211, v82, v31
	v_fmac_f32_e32 v210, v89, v28
	v_add_f32_e32 v115, v115, v209
	;; [unrolled: 7-line block ×3, first 2 shown]
	v_fmac_f32_e32 v213, v79, v34
	v_add_f32_e32 v115, v115, v212
	v_add_f32_e32 v115, v115, v213
	scratch_load_dwordx4 v[202:205], off, off offset:272
	scratch_load_dwordx4 v[206:209], off, off offset:288
	;; [unrolled: 1-line block ×3, first 2 shown]
	v_mul_f32_e32 v3, v111, v3
	v_fma_f32 v2, v110, v2, -v3
	v_mul_f32_e32 v3, v113, v5
	v_add_f32_e32 v2, 0, v2
	v_fma_f32 v3, v112, v4, -v3
	v_add_f32_e32 v2, v2, v3
	v_mul_f32_e32 v3, v107, v7
	v_fma_f32 v3, v106, v6, -v3
	v_add_f32_e32 v2, v2, v3
	v_mul_f32_e32 v3, v109, v9
	;; [unrolled: 3-line block ×16, first 2 shown]
	v_fma_f32 v3, v80, v36, -v3
	v_add_f32_e32 v2, v2, v3
	s_waitcnt vmcnt(9) lgkmcnt(4)
	v_mul_f32_e32 v3, v75, v39
	v_fma_f32 v3, v74, v38, -v3
	v_add_f32_e32 v2, v2, v3
	v_mul_f32_e32 v3, v77, v41
	v_fma_f32 v3, v76, v40, -v3
	v_add_f32_e32 v2, v2, v3
	s_waitcnt vmcnt(8) lgkmcnt(3)
	v_mul_f32_e32 v3, v71, v43
	v_fma_f32 v3, v70, v42, -v3
	v_add_f32_e32 v2, v2, v3
	v_mul_f32_e32 v3, v73, v45
	v_fma_f32 v3, v72, v44, -v3
	v_add_f32_e32 v2, v2, v3
	s_waitcnt vmcnt(7) lgkmcnt(2)
	v_mul_f32_e32 v3, v63, v47
	v_fma_f32 v3, v62, v46, -v3
	v_mul_f32_e32 v214, v80, v37
	v_add_f32_e32 v2, v2, v3
	v_mul_f32_e32 v3, v65, v49
	v_mul_f32_e32 v215, v74, v39
	v_fmac_f32_e32 v214, v81, v36
	v_fma_f32 v3, v64, v48, -v3
	v_mul_f32_e32 v216, v76, v41
	v_fmac_f32_e32 v215, v75, v38
	v_add_f32_e32 v115, v115, v214
	v_add_f32_e32 v2, v2, v3
	s_waitcnt vmcnt(6) lgkmcnt(1)
	v_mul_f32_e32 v3, v55, v51
	v_mul_f32_e32 v217, v70, v43
	v_fmac_f32_e32 v216, v77, v40
	v_add_f32_e32 v115, v115, v215
	v_fma_f32 v3, v54, v50, -v3
	v_mul_f32_e32 v218, v72, v45
	v_fmac_f32_e32 v217, v71, v42
	v_add_f32_e32 v115, v115, v216
	v_add_f32_e32 v2, v2, v3
	v_mul_f32_e32 v3, v57, v53
	v_mul_f32_e32 v219, v62, v47
	v_fmac_f32_e32 v218, v73, v44
	v_add_f32_e32 v115, v115, v217
	v_fma_f32 v3, v56, v52, -v3
	v_mul_f32_e32 v220, v64, v49
	v_fmac_f32_e32 v219, v63, v46
	v_add_f32_e32 v115, v115, v218
	v_add_f32_e32 v214, v2, v3
	s_waitcnt vmcnt(5) lgkmcnt(0)
	v_mul_f32_e32 v2, v59, v67
	v_mul_f32_e32 v221, v54, v51
	v_fmac_f32_e32 v220, v65, v48
	v_add_f32_e32 v115, v115, v219
	v_fma_f32 v216, v58, v66, -v2
	v_mul_f32_e32 v2, v61, v69
	v_mul_f32_e32 v222, v56, v53
	v_fmac_f32_e32 v221, v55, v50
	v_add_f32_e32 v115, v115, v220
	v_fma_f32 v218, v60, v68, -v2
	ds_read_b128 v[2:5], v114 offset:576
	ds_read_b128 v[6:9], v114 offset:592
	;; [unrolled: 1-line block ×4, first 2 shown]
	v_add_f32_e32 v115, v115, v221
	v_fmac_f32_e32 v222, v57, v52
	v_mul_f32_e32 v217, v58, v67
	v_add_f32_e32 v215, v115, v222
	v_fmac_f32_e32 v217, v59, v66
	v_mul_f32_e32 v219, v60, v69
	s_waitcnt vmcnt(3) lgkmcnt(3)
	v_pk_mul_f32 v[20:21], v[2:3], v[198:199] op_sel:[1,1] op_sel_hi:[0,1]
	v_fmac_f32_e32 v219, v61, v68
	v_pk_add_f32 v[18:19], v[214:215], v[216:217]
	v_pk_fma_f32 v[22:23], v[2:3], v[198:199], v[20:21] neg_lo:[0,0,1] neg_hi:[0,0,1]
	v_pk_fma_f32 v[2:3], v[2:3], v[198:199], v[20:21] op_sel_hi:[1,0,1]
	v_pk_add_f32 v[18:19], v[18:19], v[218:219]
	v_mov_b32_e32 v23, v3
	v_pk_add_f32 v[2:3], v[18:19], v[22:23]
	v_mov_b32_e32 v18, v201
	v_pk_mul_f32 v[18:19], v[4:5], v[18:19] op_sel:[1,0] op_sel_hi:[0,0]
	v_pk_fma_f32 v[20:21], v[4:5], v[200:201], v[18:19] neg_lo:[0,0,1] neg_hi:[0,0,1]
	v_pk_fma_f32 v[4:5], v[4:5], v[200:201], v[18:19] op_sel_hi:[1,0,1]
	s_nop 0
	v_mov_b32_e32 v21, v5
	s_waitcnt vmcnt(2) lgkmcnt(2)
	v_pk_mul_f32 v[4:5], v[6:7], v[202:203] op_sel:[1,1] op_sel_hi:[0,1]
	v_pk_fma_f32 v[18:19], v[6:7], v[202:203], v[4:5] neg_lo:[0,0,1] neg_hi:[0,0,1]
	v_pk_fma_f32 v[4:5], v[6:7], v[202:203], v[4:5] op_sel_hi:[1,0,1]
	v_pk_add_f32 v[2:3], v[2:3], v[20:21]
	v_mov_b32_e32 v4, v205
	v_mov_b32_e32 v19, v5
	v_pk_mul_f32 v[4:5], v[8:9], v[4:5] op_sel:[1,0] op_sel_hi:[0,0]
	v_pk_fma_f32 v[6:7], v[8:9], v[204:205], v[4:5] neg_lo:[0,0,1] neg_hi:[0,0,1]
	v_pk_fma_f32 v[4:5], v[8:9], v[204:205], v[4:5] op_sel_hi:[1,0,1]
	v_pk_add_f32 v[2:3], v[2:3], v[18:19]
	v_mov_b32_e32 v7, v5
	s_waitcnt vmcnt(1) lgkmcnt(1)
	v_pk_mul_f32 v[4:5], v[10:11], v[206:207] op_sel:[1,1] op_sel_hi:[0,1]
	v_pk_add_f32 v[2:3], v[2:3], v[6:7]
	v_pk_fma_f32 v[6:7], v[10:11], v[206:207], v[4:5] neg_lo:[0,0,1] neg_hi:[0,0,1]
	v_pk_fma_f32 v[4:5], v[10:11], v[206:207], v[4:5] op_sel_hi:[1,0,1]
	s_nop 0
	v_mov_b32_e32 v4, v209
	v_mov_b32_e32 v7, v5
	v_pk_mul_f32 v[4:5], v[12:13], v[4:5] op_sel:[1,0] op_sel_hi:[0,0]
	v_pk_add_f32 v[2:3], v[2:3], v[6:7]
	v_pk_fma_f32 v[6:7], v[12:13], v[208:209], v[4:5] neg_lo:[0,0,1] neg_hi:[0,0,1]
	v_pk_fma_f32 v[4:5], v[12:13], v[208:209], v[4:5] op_sel_hi:[1,0,1]
	s_nop 0
	v_mov_b32_e32 v7, v5
	s_waitcnt vmcnt(0) lgkmcnt(0)
	v_pk_mul_f32 v[4:5], v[14:15], v[210:211] op_sel:[1,1] op_sel_hi:[0,1]
	v_pk_add_f32 v[2:3], v[2:3], v[6:7]
	v_pk_fma_f32 v[6:7], v[14:15], v[210:211], v[4:5] neg_lo:[0,0,1] neg_hi:[0,0,1]
	v_pk_fma_f32 v[4:5], v[14:15], v[210:211], v[4:5] op_sel_hi:[1,0,1]
	s_nop 0
	v_mov_b32_e32 v4, v213
	v_mov_b32_e32 v7, v5
	v_pk_mul_f32 v[4:5], v[16:17], v[4:5] op_sel:[1,0] op_sel_hi:[0,0]
	v_pk_add_f32 v[2:3], v[2:3], v[6:7]
	v_pk_fma_f32 v[6:7], v[16:17], v[212:213], v[4:5] neg_lo:[0,0,1] neg_hi:[0,0,1]
	v_pk_fma_f32 v[4:5], v[16:17], v[212:213], v[4:5] op_sel_hi:[1,0,1]
	s_nop 0
	v_mov_b32_e32 v7, v5
	v_pk_add_f32 v[2:3], v[2:3], v[6:7]
	s_nop 0
	v_pk_add_f32 v[2:3], v[116:117], v[2:3] neg_lo:[0,1] neg_hi:[0,1]
	scratch_store_dwordx2 off, v[2:3], off offset:24
	s_and_saveexec_b64 s[0:1], vcc
	s_cbranch_execz .LBB103_249
; %bb.248:
	scratch_load_dwordx2 v[2:3], off, off offset:16
	v_mov_b32_e32 v4, 0
	v_mov_b32_e32 v5, v4
	scratch_store_dwordx2 off, v[4:5], off offset:16
	s_waitcnt vmcnt(1)
	ds_write_b64 v1, v[2:3]
.LBB103_249:
	s_or_b64 exec, exec, s[0:1]
	s_waitcnt lgkmcnt(0)
	; wave barrier
	scratch_load_dwordx4 v[2:5], off, off offset:24
	scratch_load_dwordx4 v[6:9], off, off offset:40
	;; [unrolled: 1-line block ×15, first 2 shown]
	scratch_load_dwordx2 v[220:221], off, off offset:16
	v_mov_b32_e32 v198, 0
	ds_read2_b64 v[62:65], v198 offset0:43 offset1:44
	ds_read2_b64 v[66:69], v198 offset0:45 offset1:46
	;; [unrolled: 1-line block ×14, first 2 shown]
	v_cmp_lt_u32_e32 vcc, 1, v0
	s_waitcnt vmcnt(15) lgkmcnt(13)
	v_mul_f32_e32 v199, v62, v3
	v_mul_f32_e32 v200, v64, v5
	v_fmac_f32_e32 v199, v63, v2
	s_waitcnt vmcnt(14) lgkmcnt(12)
	v_mul_f32_e32 v201, v66, v7
	v_fmac_f32_e32 v200, v65, v4
	v_add_f32_e32 v199, 0, v199
	v_mul_f32_e32 v202, v68, v9
	v_fmac_f32_e32 v201, v67, v6
	v_add_f32_e32 v199, v199, v200
	s_waitcnt vmcnt(13) lgkmcnt(11)
	v_mul_f32_e32 v203, v70, v11
	v_fmac_f32_e32 v202, v69, v8
	v_add_f32_e32 v199, v199, v201
	v_mul_f32_e32 v204, v72, v13
	v_fmac_f32_e32 v203, v71, v10
	v_add_f32_e32 v199, v199, v202
	;; [unrolled: 7-line block ×11, first 2 shown]
	s_waitcnt vmcnt(3) lgkmcnt(1)
	v_mul_f32_e32 v225, v110, v51
	v_fmac_f32_e32 v224, v109, v48
	v_add_f32_e32 v199, v199, v223
	v_add_f32_e32 v199, v199, v224
	v_fmac_f32_e32 v225, v111, v50
	v_mul_f32_e32 v200, v112, v53
	v_add_f32_e32 v199, v199, v225
	v_fmac_f32_e32 v200, v113, v52
	s_waitcnt vmcnt(2) lgkmcnt(0)
	v_mul_f32_e32 v204, v114, v55
	v_add_f32_e32 v199, v199, v200
	v_fmac_f32_e32 v204, v115, v54
	ds_read2_b64 v[200:203], v198 offset0:71 offset1:72
	v_add_f32_e32 v223, v199, v204
	ds_read2_b64 v[204:207], v198 offset0:73 offset1:74
	scratch_load_dwordx4 v[208:211], off, off offset:264
	scratch_load_dwordx4 v[212:215], off, off offset:280
	;; [unrolled: 1-line block ×3, first 2 shown]
	scratch_load_dwordx2 v[228:229], off, off offset:312
	v_mul_f32_e32 v3, v63, v3
	v_fma_f32 v2, v62, v2, -v3
	v_mul_f32_e32 v3, v65, v5
	v_add_f32_e32 v2, 0, v2
	v_fma_f32 v3, v64, v4, -v3
	v_add_f32_e32 v2, v2, v3
	v_mul_f32_e32 v3, v67, v7
	v_fma_f32 v3, v66, v6, -v3
	v_add_f32_e32 v2, v2, v3
	v_mul_f32_e32 v3, v69, v9
	v_fma_f32 v3, v68, v8, -v3
	v_add_f32_e32 v2, v2, v3
	v_mul_f32_e32 v3, v71, v11
	v_fma_f32 v3, v70, v10, -v3
	v_add_f32_e32 v2, v2, v3
	v_mul_f32_e32 v3, v73, v13
	v_fma_f32 v3, v72, v12, -v3
	v_add_f32_e32 v2, v2, v3
	v_mul_f32_e32 v3, v75, v15
	v_fma_f32 v3, v74, v14, -v3
	v_add_f32_e32 v2, v2, v3
	v_mul_f32_e32 v3, v77, v17
	v_fma_f32 v3, v76, v16, -v3
	v_add_f32_e32 v2, v2, v3
	v_mul_f32_e32 v3, v79, v19
	v_fma_f32 v3, v78, v18, -v3
	v_add_f32_e32 v2, v2, v3
	v_mul_f32_e32 v3, v81, v21
	v_fma_f32 v3, v80, v20, -v3
	v_add_f32_e32 v2, v2, v3
	v_mul_f32_e32 v3, v83, v23
	v_fma_f32 v3, v82, v22, -v3
	v_add_f32_e32 v2, v2, v3
	v_mul_f32_e32 v3, v85, v25
	v_fma_f32 v3, v84, v24, -v3
	v_add_f32_e32 v2, v2, v3
	v_mul_f32_e32 v3, v87, v27
	v_fma_f32 v3, v86, v26, -v3
	v_add_f32_e32 v2, v2, v3
	v_mul_f32_e32 v3, v89, v29
	v_fma_f32 v3, v88, v28, -v3
	v_add_f32_e32 v2, v2, v3
	v_mul_f32_e32 v3, v91, v31
	v_fma_f32 v3, v90, v30, -v3
	v_add_f32_e32 v2, v2, v3
	v_mul_f32_e32 v3, v93, v33
	v_fma_f32 v3, v92, v32, -v3
	v_add_f32_e32 v2, v2, v3
	v_mul_f32_e32 v3, v95, v35
	v_fma_f32 v3, v94, v34, -v3
	v_add_f32_e32 v2, v2, v3
	v_mul_f32_e32 v3, v97, v37
	v_fma_f32 v3, v96, v36, -v3
	v_add_f32_e32 v2, v2, v3
	v_mul_f32_e32 v3, v99, v39
	v_fma_f32 v3, v98, v38, -v3
	v_add_f32_e32 v2, v2, v3
	v_mul_f32_e32 v3, v101, v41
	v_fma_f32 v3, v100, v40, -v3
	v_add_f32_e32 v2, v2, v3
	v_mul_f32_e32 v3, v103, v43
	v_fma_f32 v3, v102, v42, -v3
	v_add_f32_e32 v2, v2, v3
	v_mul_f32_e32 v3, v105, v45
	v_fma_f32 v3, v104, v44, -v3
	v_add_f32_e32 v2, v2, v3
	v_mul_f32_e32 v3, v107, v47
	v_fma_f32 v3, v106, v46, -v3
	v_add_f32_e32 v2, v2, v3
	v_mul_f32_e32 v3, v109, v49
	v_fma_f32 v3, v108, v48, -v3
	v_add_f32_e32 v2, v2, v3
	v_mul_f32_e32 v3, v111, v51
	v_fma_f32 v3, v110, v50, -v3
	v_add_f32_e32 v2, v2, v3
	v_mul_f32_e32 v3, v113, v53
	v_fma_f32 v3, v112, v52, -v3
	v_add_f32_e32 v2, v2, v3
	v_mul_f32_e32 v3, v115, v55
	v_fma_f32 v3, v114, v54, -v3
	v_mul_f32_e32 v225, v116, v57
	v_add_f32_e32 v222, v2, v3
	v_mul_f32_e32 v2, v117, v57
	s_waitcnt vmcnt(5)
	v_mov_b32_e32 v14, v61
	v_fmac_f32_e32 v225, v117, v56
	s_waitcnt lgkmcnt(1)
	v_mul_f32_e32 v227, v200, v59
	v_fma_f32 v224, v116, v56, -v2
	v_mul_f32_e32 v2, v201, v59
	v_pk_mul_f32 v[14:15], v[202:203], v[14:15] op_sel:[1,0] op_sel_hi:[0,0]
	v_fmac_f32_e32 v227, v201, v58
	v_fma_f32 v226, v200, v58, -v2
	v_pk_add_f32 v[12:13], v[222:223], v[224:225]
	v_pk_fma_f32 v[16:17], v[202:203], v[60:61], v[14:15] neg_lo:[0,0,1] neg_hi:[0,0,1]
	v_pk_fma_f32 v[14:15], v[202:203], v[60:61], v[14:15] op_sel_hi:[1,0,1]
	v_pk_add_f32 v[12:13], v[12:13], v[226:227]
	v_mov_b32_e32 v17, v15
	s_waitcnt vmcnt(3) lgkmcnt(0)
	v_pk_mul_f32 v[14:15], v[204:205], v[208:209] op_sel:[1,1] op_sel_hi:[0,1]
	v_pk_add_f32 v[12:13], v[12:13], v[16:17]
	v_pk_fma_f32 v[16:17], v[204:205], v[208:209], v[14:15] neg_lo:[0,0,1] neg_hi:[0,0,1]
	v_pk_fma_f32 v[14:15], v[204:205], v[208:209], v[14:15] op_sel_hi:[1,0,1]
	ds_read2_b64 v[2:5], v198 offset0:75 offset1:76
	ds_read2_b64 v[6:9], v198 offset0:77 offset1:78
	ds_read_b64 v[10:11], v198 offset:632
	v_mov_b32_e32 v14, v211
	v_mov_b32_e32 v17, v15
	v_pk_mul_f32 v[14:15], v[206:207], v[14:15] op_sel:[1,0] op_sel_hi:[0,0]
	v_pk_add_f32 v[12:13], v[12:13], v[16:17]
	v_pk_fma_f32 v[16:17], v[206:207], v[210:211], v[14:15] neg_lo:[0,0,1] neg_hi:[0,0,1]
	v_pk_fma_f32 v[14:15], v[206:207], v[210:211], v[14:15] op_sel_hi:[1,0,1]
	s_nop 0
	v_mov_b32_e32 v17, v15
	s_waitcnt vmcnt(2) lgkmcnt(2)
	v_pk_mul_f32 v[14:15], v[2:3], v[212:213] op_sel:[1,1] op_sel_hi:[0,1]
	v_pk_add_f32 v[12:13], v[12:13], v[16:17]
	v_pk_fma_f32 v[16:17], v[2:3], v[212:213], v[14:15] neg_lo:[0,0,1] neg_hi:[0,0,1]
	v_pk_fma_f32 v[2:3], v[2:3], v[212:213], v[14:15] op_sel_hi:[1,0,1]
	s_nop 0
	v_mov_b32_e32 v17, v3
	v_pk_add_f32 v[2:3], v[12:13], v[16:17]
	v_mov_b32_e32 v12, v215
	v_pk_mul_f32 v[12:13], v[4:5], v[12:13] op_sel:[1,0] op_sel_hi:[0,0]
	v_pk_fma_f32 v[14:15], v[4:5], v[214:215], v[12:13] neg_lo:[0,0,1] neg_hi:[0,0,1]
	v_pk_fma_f32 v[4:5], v[4:5], v[214:215], v[12:13] op_sel_hi:[1,0,1]
	s_nop 0
	v_mov_b32_e32 v15, v5
	s_waitcnt vmcnt(1) lgkmcnt(1)
	v_pk_mul_f32 v[4:5], v[6:7], v[216:217] op_sel:[1,1] op_sel_hi:[0,1]
	v_pk_fma_f32 v[12:13], v[6:7], v[216:217], v[4:5] neg_lo:[0,0,1] neg_hi:[0,0,1]
	v_pk_fma_f32 v[4:5], v[6:7], v[216:217], v[4:5] op_sel_hi:[1,0,1]
	v_pk_add_f32 v[2:3], v[2:3], v[14:15]
	v_mov_b32_e32 v4, v219
	v_mov_b32_e32 v13, v5
	v_pk_mul_f32 v[4:5], v[8:9], v[4:5] op_sel:[1,0] op_sel_hi:[0,0]
	v_pk_fma_f32 v[6:7], v[8:9], v[218:219], v[4:5] neg_lo:[0,0,1] neg_hi:[0,0,1]
	v_pk_fma_f32 v[4:5], v[8:9], v[218:219], v[4:5] op_sel_hi:[1,0,1]
	v_pk_add_f32 v[2:3], v[2:3], v[12:13]
	v_mov_b32_e32 v7, v5
	s_waitcnt vmcnt(0) lgkmcnt(0)
	v_pk_mul_f32 v[4:5], v[10:11], v[228:229] op_sel:[1,1] op_sel_hi:[0,1]
	v_pk_add_f32 v[2:3], v[2:3], v[6:7]
	v_pk_fma_f32 v[6:7], v[10:11], v[228:229], v[4:5] neg_lo:[0,0,1] neg_hi:[0,0,1]
	v_pk_fma_f32 v[4:5], v[10:11], v[228:229], v[4:5] op_sel_hi:[1,0,1]
	s_nop 0
	v_mov_b32_e32 v7, v5
	v_pk_add_f32 v[2:3], v[2:3], v[6:7]
	s_nop 0
	v_pk_add_f32 v[2:3], v[220:221], v[2:3] neg_lo:[0,1] neg_hi:[0,1]
	scratch_store_dwordx2 off, v[2:3], off offset:16
	s_and_saveexec_b64 s[0:1], vcc
	s_cbranch_execz .LBB103_251
; %bb.250:
	scratch_load_dwordx2 v[2:3], off, off offset:8
	v_mov_b32_e32 v199, v198
	scratch_store_dwordx2 off, v[198:199], off offset:8
	s_waitcnt vmcnt(1)
	ds_write_b64 v1, v[2:3]
.LBB103_251:
	s_or_b64 exec, exec, s[0:1]
	s_waitcnt lgkmcnt(0)
	; wave barrier
	scratch_load_dwordx4 v[2:5], off, off offset:16
	scratch_load_dwordx4 v[6:9], off, off offset:32
	;; [unrolled: 1-line block ×13, first 2 shown]
	ds_read_b128 v[114:117], v198 offset:336
	ds_read_b128 v[110:113], v198 offset:352
	;; [unrolled: 1-line block ×14, first 2 shown]
	scratch_load_dwordx4 v[62:65], off, off offset:224
	scratch_load_dwordx4 v[70:73], off, off offset:240
	scratch_load_dwordx2 v[224:225], off, off offset:8
	v_cmp_ne_u32_e32 vcc, 0, v0
	s_waitcnt vmcnt(15) lgkmcnt(13)
	v_mul_f32_e32 v199, v114, v3
	v_mul_f32_e32 v200, v116, v5
	v_fmac_f32_e32 v199, v115, v2
	s_waitcnt vmcnt(14) lgkmcnt(12)
	v_mul_f32_e32 v201, v110, v7
	v_fmac_f32_e32 v200, v117, v4
	v_add_f32_e32 v199, 0, v199
	v_mul_f32_e32 v202, v112, v9
	v_fmac_f32_e32 v201, v111, v6
	v_add_f32_e32 v199, v199, v200
	s_waitcnt vmcnt(13) lgkmcnt(11)
	v_mul_f32_e32 v203, v106, v11
	v_fmac_f32_e32 v202, v113, v8
	v_add_f32_e32 v199, v199, v201
	v_mul_f32_e32 v204, v108, v13
	v_fmac_f32_e32 v203, v107, v10
	v_add_f32_e32 v199, v199, v202
	;; [unrolled: 7-line block ×11, first 2 shown]
	s_waitcnt vmcnt(3) lgkmcnt(1)
	v_mul_f32_e32 v223, v54, v51
	v_fmac_f32_e32 v222, v69, v48
	v_add_f32_e32 v199, v199, v221
	v_fmac_f32_e32 v223, v55, v50
	v_add_f32_e32 v199, v199, v222
	v_mul_f32_e32 v200, v56, v53
	v_add_f32_e32 v199, v199, v223
	v_fmac_f32_e32 v200, v57, v52
	v_add_f32_e32 v199, v199, v200
	s_waitcnt vmcnt(2) lgkmcnt(0)
	v_mul_f32_e32 v200, v58, v63
	v_fmac_f32_e32 v200, v59, v62
	v_mul_f32_e32 v204, v60, v65
	v_add_f32_e32 v199, v199, v200
	v_fmac_f32_e32 v204, v61, v64
	ds_read_b128 v[200:203], v198 offset:560
	v_add_f32_e32 v227, v199, v204
	ds_read_b128 v[204:207], v198 offset:576
	scratch_load_dwordx4 v[208:211], off, off offset:256
	scratch_load_dwordx4 v[212:215], off, off offset:272
	;; [unrolled: 1-line block ×4, first 2 shown]
	v_mul_f32_e32 v3, v115, v3
	v_fma_f32 v2, v114, v2, -v3
	v_mul_f32_e32 v3, v117, v5
	v_add_f32_e32 v2, 0, v2
	v_fma_f32 v3, v116, v4, -v3
	v_add_f32_e32 v2, v2, v3
	v_mul_f32_e32 v3, v111, v7
	v_fma_f32 v3, v110, v6, -v3
	v_add_f32_e32 v2, v2, v3
	v_mul_f32_e32 v3, v113, v9
	v_fma_f32 v3, v112, v8, -v3
	v_add_f32_e32 v2, v2, v3
	v_mul_f32_e32 v3, v107, v11
	v_fma_f32 v3, v106, v10, -v3
	v_add_f32_e32 v2, v2, v3
	v_mul_f32_e32 v3, v109, v13
	v_fma_f32 v3, v108, v12, -v3
	v_add_f32_e32 v2, v2, v3
	v_mul_f32_e32 v3, v103, v15
	v_fma_f32 v3, v102, v14, -v3
	v_add_f32_e32 v2, v2, v3
	v_mul_f32_e32 v3, v105, v17
	v_fma_f32 v3, v104, v16, -v3
	v_add_f32_e32 v2, v2, v3
	v_mul_f32_e32 v3, v99, v19
	v_fma_f32 v3, v98, v18, -v3
	v_add_f32_e32 v2, v2, v3
	v_mul_f32_e32 v3, v101, v21
	v_fma_f32 v3, v100, v20, -v3
	v_add_f32_e32 v2, v2, v3
	v_mul_f32_e32 v3, v95, v23
	v_fma_f32 v3, v94, v22, -v3
	v_add_f32_e32 v2, v2, v3
	v_mul_f32_e32 v3, v97, v25
	v_fma_f32 v3, v96, v24, -v3
	v_add_f32_e32 v2, v2, v3
	v_mul_f32_e32 v3, v91, v27
	v_fma_f32 v3, v90, v26, -v3
	v_add_f32_e32 v2, v2, v3
	v_mul_f32_e32 v3, v93, v29
	v_fma_f32 v3, v92, v28, -v3
	v_add_f32_e32 v2, v2, v3
	v_mul_f32_e32 v3, v87, v31
	v_fma_f32 v3, v86, v30, -v3
	v_add_f32_e32 v2, v2, v3
	v_mul_f32_e32 v3, v89, v33
	v_fma_f32 v3, v88, v32, -v3
	v_add_f32_e32 v2, v2, v3
	v_mul_f32_e32 v3, v83, v35
	v_fma_f32 v3, v82, v34, -v3
	v_add_f32_e32 v2, v2, v3
	v_mul_f32_e32 v3, v85, v37
	v_fma_f32 v3, v84, v36, -v3
	v_add_f32_e32 v2, v2, v3
	v_mul_f32_e32 v3, v79, v39
	v_fma_f32 v3, v78, v38, -v3
	v_add_f32_e32 v2, v2, v3
	v_mul_f32_e32 v3, v81, v41
	v_fma_f32 v3, v80, v40, -v3
	v_add_f32_e32 v2, v2, v3
	v_mul_f32_e32 v3, v75, v43
	v_fma_f32 v3, v74, v42, -v3
	v_add_f32_e32 v2, v2, v3
	v_mul_f32_e32 v3, v77, v45
	v_fma_f32 v3, v76, v44, -v3
	v_add_f32_e32 v2, v2, v3
	v_mul_f32_e32 v3, v67, v47
	v_fma_f32 v3, v66, v46, -v3
	v_add_f32_e32 v2, v2, v3
	v_mul_f32_e32 v3, v69, v49
	v_fma_f32 v3, v68, v48, -v3
	v_add_f32_e32 v2, v2, v3
	v_mul_f32_e32 v3, v55, v51
	v_fma_f32 v3, v54, v50, -v3
	v_add_f32_e32 v2, v2, v3
	v_mul_f32_e32 v3, v57, v53
	v_fma_f32 v3, v56, v52, -v3
	v_add_f32_e32 v2, v2, v3
	v_mul_f32_e32 v3, v59, v63
	v_fma_f32 v3, v58, v62, -v3
	v_add_f32_e32 v2, v2, v3
	v_mul_f32_e32 v3, v61, v65
	v_fma_f32 v3, v60, v64, -v3
	s_waitcnt vmcnt(5) lgkmcnt(1)
	v_mul_f32_e32 v229, v200, v71
	v_add_f32_e32 v226, v2, v3
	v_mul_f32_e32 v2, v201, v71
	s_waitcnt vmcnt(3) lgkmcnt(0)
	v_pk_mul_f32 v[16:17], v[204:205], v[208:209] op_sel:[1,1] op_sel_hi:[0,1]
	v_fmac_f32_e32 v229, v201, v70
	v_mul_f32_e32 v231, v202, v73
	v_fma_f32 v228, v200, v70, -v2
	v_mul_f32_e32 v2, v203, v73
	v_pk_fma_f32 v[18:19], v[204:205], v[208:209], v[16:17] neg_lo:[0,0,1] neg_hi:[0,0,1]
	v_pk_fma_f32 v[16:17], v[204:205], v[208:209], v[16:17] op_sel_hi:[1,0,1]
	v_fmac_f32_e32 v231, v203, v72
	v_fma_f32 v230, v202, v72, -v2
	ds_read_b128 v[2:5], v198 offset:592
	ds_read_b128 v[6:9], v198 offset:608
	;; [unrolled: 1-line block ×3, first 2 shown]
	v_pk_add_f32 v[14:15], v[226:227], v[228:229]
	v_mov_b32_e32 v16, v211
	v_pk_add_f32 v[14:15], v[14:15], v[230:231]
	v_mov_b32_e32 v19, v17
	v_pk_mul_f32 v[16:17], v[206:207], v[16:17] op_sel:[1,0] op_sel_hi:[0,0]
	v_pk_add_f32 v[14:15], v[14:15], v[18:19]
	v_pk_fma_f32 v[18:19], v[206:207], v[210:211], v[16:17] neg_lo:[0,0,1] neg_hi:[0,0,1]
	v_pk_fma_f32 v[16:17], v[206:207], v[210:211], v[16:17] op_sel_hi:[1,0,1]
	s_nop 0
	v_mov_b32_e32 v19, v17
	s_waitcnt vmcnt(2) lgkmcnt(2)
	v_pk_mul_f32 v[16:17], v[2:3], v[212:213] op_sel:[1,1] op_sel_hi:[0,1]
	v_pk_add_f32 v[14:15], v[14:15], v[18:19]
	v_pk_fma_f32 v[18:19], v[2:3], v[212:213], v[16:17] neg_lo:[0,0,1] neg_hi:[0,0,1]
	v_pk_fma_f32 v[2:3], v[2:3], v[212:213], v[16:17] op_sel_hi:[1,0,1]
	s_nop 0
	v_mov_b32_e32 v19, v3
	v_pk_add_f32 v[2:3], v[14:15], v[18:19]
	v_mov_b32_e32 v14, v215
	v_pk_mul_f32 v[14:15], v[4:5], v[14:15] op_sel:[1,0] op_sel_hi:[0,0]
	v_pk_fma_f32 v[16:17], v[4:5], v[214:215], v[14:15] neg_lo:[0,0,1] neg_hi:[0,0,1]
	v_pk_fma_f32 v[4:5], v[4:5], v[214:215], v[14:15] op_sel_hi:[1,0,1]
	s_nop 0
	v_mov_b32_e32 v17, v5
	s_waitcnt vmcnt(1) lgkmcnt(1)
	v_pk_mul_f32 v[4:5], v[6:7], v[216:217] op_sel:[1,1] op_sel_hi:[0,1]
	v_pk_fma_f32 v[14:15], v[6:7], v[216:217], v[4:5] neg_lo:[0,0,1] neg_hi:[0,0,1]
	v_pk_fma_f32 v[4:5], v[6:7], v[216:217], v[4:5] op_sel_hi:[1,0,1]
	v_pk_add_f32 v[2:3], v[2:3], v[16:17]
	v_mov_b32_e32 v4, v219
	v_mov_b32_e32 v15, v5
	v_pk_mul_f32 v[4:5], v[8:9], v[4:5] op_sel:[1,0] op_sel_hi:[0,0]
	v_pk_fma_f32 v[6:7], v[8:9], v[218:219], v[4:5] neg_lo:[0,0,1] neg_hi:[0,0,1]
	v_pk_fma_f32 v[4:5], v[8:9], v[218:219], v[4:5] op_sel_hi:[1,0,1]
	v_pk_add_f32 v[2:3], v[2:3], v[14:15]
	v_mov_b32_e32 v7, v5
	s_waitcnt vmcnt(0) lgkmcnt(0)
	v_pk_mul_f32 v[4:5], v[10:11], v[220:221] op_sel:[1,1] op_sel_hi:[0,1]
	v_pk_add_f32 v[2:3], v[2:3], v[6:7]
	v_pk_fma_f32 v[6:7], v[10:11], v[220:221], v[4:5] neg_lo:[0,0,1] neg_hi:[0,0,1]
	v_pk_fma_f32 v[4:5], v[10:11], v[220:221], v[4:5] op_sel_hi:[1,0,1]
	s_nop 0
	v_mov_b32_e32 v4, v223
	v_mov_b32_e32 v7, v5
	v_pk_mul_f32 v[4:5], v[12:13], v[4:5] op_sel:[1,0] op_sel_hi:[0,0]
	v_pk_add_f32 v[2:3], v[2:3], v[6:7]
	v_pk_fma_f32 v[6:7], v[12:13], v[222:223], v[4:5] neg_lo:[0,0,1] neg_hi:[0,0,1]
	v_pk_fma_f32 v[4:5], v[12:13], v[222:223], v[4:5] op_sel_hi:[1,0,1]
	s_nop 0
	v_mov_b32_e32 v7, v5
	v_pk_add_f32 v[2:3], v[2:3], v[6:7]
	s_nop 0
	v_pk_add_f32 v[2:3], v[224:225], v[2:3] neg_lo:[0,1] neg_hi:[0,1]
	scratch_store_dwordx2 off, v[2:3], off offset:8
	s_and_saveexec_b64 s[0:1], vcc
	s_cbranch_execz .LBB103_253
; %bb.252:
	scratch_load_dwordx2 v[2:3], off, off
	v_mov_b32_e32 v4, 0
	v_mov_b32_e32 v5, v4
	scratch_store_dwordx2 off, v[4:5], off
	s_waitcnt vmcnt(1)
	ds_write_b64 v1, v[2:3]
.LBB103_253:
	s_or_b64 exec, exec, s[0:1]
	s_waitcnt lgkmcnt(0)
	; wave barrier
	scratch_load_dwordx4 v[0:3], off, off offset:8
	scratch_load_dwordx4 v[4:7], off, off offset:24
	;; [unrolled: 1-line block ×16, first 2 shown]
	scratch_load_dwordx2 v[222:223], off, off
	v_mov_b32_e32 v64, 0
	ds_read2_b64 v[66:69], v64 offset0:41 offset1:42
	ds_read2_b64 v[70:73], v64 offset0:43 offset1:44
	;; [unrolled: 1-line block ×14, first 2 shown]
	s_and_b64 vcc, exec, s[10:11]
	s_waitcnt vmcnt(16) lgkmcnt(13)
	v_mul_f32_e32 v65, v66, v1
	v_mul_f32_e32 v202, v68, v3
	v_fmac_f32_e32 v65, v67, v0
	s_waitcnt vmcnt(15) lgkmcnt(12)
	v_mul_f32_e32 v203, v70, v5
	v_fmac_f32_e32 v202, v69, v2
	v_add_f32_e32 v65, 0, v65
	v_mul_f32_e32 v204, v72, v7
	v_fmac_f32_e32 v203, v71, v4
	v_add_f32_e32 v65, v65, v202
	s_waitcnt vmcnt(14) lgkmcnt(11)
	v_mul_f32_e32 v205, v74, v9
	v_fmac_f32_e32 v204, v73, v6
	v_add_f32_e32 v65, v65, v203
	v_mul_f32_e32 v206, v76, v11
	v_fmac_f32_e32 v205, v75, v8
	v_add_f32_e32 v65, v65, v204
	;; [unrolled: 7-line block ×11, first 2 shown]
	v_fmac_f32_e32 v226, v113, v46
	v_add_f32_e32 v65, v65, v225
	s_waitcnt vmcnt(4) lgkmcnt(1)
	v_mul_f32_e32 v202, v114, v49
	v_add_f32_e32 v65, v65, v226
	v_fmac_f32_e32 v202, v115, v48
	v_add_f32_e32 v65, v65, v202
	v_mul_f32_e32 v202, v116, v51
	v_fmac_f32_e32 v202, v117, v50
	v_add_f32_e32 v65, v65, v202
	s_waitcnt vmcnt(3) lgkmcnt(0)
	v_mul_f32_e32 v202, v198, v53
	v_fmac_f32_e32 v202, v199, v52
	v_add_f32_e32 v65, v65, v202
	ds_read2_b64 v[202:205], v64 offset0:69 offset1:70
	v_mul_f32_e32 v206, v200, v55
	v_fmac_f32_e32 v206, v201, v54
	v_add_f32_e32 v65, v65, v206
	ds_read2_b64 v[206:209], v64 offset0:71 offset1:72
	s_waitcnt vmcnt(2) lgkmcnt(1)
	v_mul_f32_e32 v210, v202, v61
	v_fmac_f32_e32 v210, v203, v60
	v_add_f32_e32 v225, v65, v210
	scratch_load_dwordx4 v[210:213], off, off offset:264
	scratch_load_dwordx4 v[214:217], off, off offset:280
	;; [unrolled: 1-line block ×3, first 2 shown]
	scratch_load_dwordx2 v[230:231], off, off offset:312
	v_mul_f32_e32 v1, v67, v1
	v_fma_f32 v0, v66, v0, -v1
	v_mul_f32_e32 v1, v69, v3
	v_add_f32_e32 v0, 0, v0
	v_fma_f32 v1, v68, v2, -v1
	v_add_f32_e32 v0, v0, v1
	v_mul_f32_e32 v1, v71, v5
	v_fma_f32 v1, v70, v4, -v1
	v_add_f32_e32 v0, v0, v1
	v_mul_f32_e32 v1, v73, v7
	;; [unrolled: 3-line block ×28, first 2 shown]
	v_mul_f32_e32 v227, v204, v63
	v_fma_f32 v226, v204, v62, -v0
	s_waitcnt vmcnt(5) lgkmcnt(0)
	v_mul_f32_e32 v0, v207, v57
	v_mov_b32_e32 v16, v59
	v_fmac_f32_e32 v227, v205, v62
	v_mul_f32_e32 v229, v206, v57
	v_fma_f32 v228, v206, v56, -v0
	ds_read2_b64 v[0:3], v64 offset0:73 offset1:74
	ds_read2_b64 v[4:7], v64 offset0:75 offset1:76
	;; [unrolled: 1-line block ×3, first 2 shown]
	ds_read_b64 v[12:13], v64 offset:632
	v_pk_mul_f32 v[16:17], v[208:209], v[16:17] op_sel:[1,0] op_sel_hi:[0,0]
	v_fmac_f32_e32 v229, v207, v56
	v_pk_add_f32 v[14:15], v[224:225], v[226:227]
	v_pk_fma_f32 v[18:19], v[208:209], v[58:59], v[16:17] neg_lo:[0,0,1] neg_hi:[0,0,1]
	v_pk_fma_f32 v[16:17], v[208:209], v[58:59], v[16:17] op_sel_hi:[1,0,1]
	v_pk_add_f32 v[14:15], v[14:15], v[228:229]
	v_mov_b32_e32 v19, v17
	s_waitcnt vmcnt(3) lgkmcnt(3)
	v_pk_mul_f32 v[16:17], v[0:1], v[210:211] op_sel:[1,1] op_sel_hi:[0,1]
	v_pk_add_f32 v[14:15], v[14:15], v[18:19]
	v_pk_fma_f32 v[18:19], v[0:1], v[210:211], v[16:17] neg_lo:[0,0,1] neg_hi:[0,0,1]
	v_pk_fma_f32 v[0:1], v[0:1], v[210:211], v[16:17] op_sel_hi:[1,0,1]
	s_nop 0
	v_mov_b32_e32 v19, v1
	v_pk_add_f32 v[0:1], v[14:15], v[18:19]
	v_mov_b32_e32 v14, v213
	v_pk_mul_f32 v[14:15], v[2:3], v[14:15] op_sel:[1,0] op_sel_hi:[0,0]
	v_pk_fma_f32 v[16:17], v[2:3], v[212:213], v[14:15] neg_lo:[0,0,1] neg_hi:[0,0,1]
	v_pk_fma_f32 v[2:3], v[2:3], v[212:213], v[14:15] op_sel_hi:[1,0,1]
	s_nop 0
	v_mov_b32_e32 v17, v3
	s_waitcnt vmcnt(2) lgkmcnt(2)
	v_pk_mul_f32 v[2:3], v[4:5], v[214:215] op_sel:[1,1] op_sel_hi:[0,1]
	v_pk_fma_f32 v[14:15], v[4:5], v[214:215], v[2:3] neg_lo:[0,0,1] neg_hi:[0,0,1]
	v_pk_fma_f32 v[2:3], v[4:5], v[214:215], v[2:3] op_sel_hi:[1,0,1]
	v_pk_add_f32 v[0:1], v[0:1], v[16:17]
	v_mov_b32_e32 v2, v217
	v_mov_b32_e32 v15, v3
	v_pk_mul_f32 v[2:3], v[6:7], v[2:3] op_sel:[1,0] op_sel_hi:[0,0]
	v_pk_fma_f32 v[4:5], v[6:7], v[216:217], v[2:3] neg_lo:[0,0,1] neg_hi:[0,0,1]
	v_pk_fma_f32 v[2:3], v[6:7], v[216:217], v[2:3] op_sel_hi:[1,0,1]
	v_pk_add_f32 v[0:1], v[0:1], v[14:15]
	v_mov_b32_e32 v5, v3
	s_waitcnt vmcnt(1) lgkmcnt(1)
	v_pk_mul_f32 v[2:3], v[8:9], v[218:219] op_sel:[1,1] op_sel_hi:[0,1]
	v_pk_add_f32 v[0:1], v[0:1], v[4:5]
	v_pk_fma_f32 v[4:5], v[8:9], v[218:219], v[2:3] neg_lo:[0,0,1] neg_hi:[0,0,1]
	v_pk_fma_f32 v[2:3], v[8:9], v[218:219], v[2:3] op_sel_hi:[1,0,1]
	s_nop 0
	v_mov_b32_e32 v2, v221
	v_mov_b32_e32 v5, v3
	v_pk_mul_f32 v[2:3], v[10:11], v[2:3] op_sel:[1,0] op_sel_hi:[0,0]
	v_pk_add_f32 v[0:1], v[0:1], v[4:5]
	v_pk_fma_f32 v[4:5], v[10:11], v[220:221], v[2:3] neg_lo:[0,0,1] neg_hi:[0,0,1]
	v_pk_fma_f32 v[2:3], v[10:11], v[220:221], v[2:3] op_sel_hi:[1,0,1]
	s_nop 0
	v_mov_b32_e32 v5, v3
	s_waitcnt vmcnt(0) lgkmcnt(0)
	v_pk_mul_f32 v[2:3], v[12:13], v[230:231] op_sel:[1,1] op_sel_hi:[0,1]
	v_pk_add_f32 v[0:1], v[0:1], v[4:5]
	v_pk_fma_f32 v[4:5], v[12:13], v[230:231], v[2:3] neg_lo:[0,0,1] neg_hi:[0,0,1]
	v_pk_fma_f32 v[2:3], v[12:13], v[230:231], v[2:3] op_sel_hi:[1,0,1]
	s_nop 0
	v_mov_b32_e32 v5, v3
	v_pk_add_f32 v[0:1], v[0:1], v[4:5]
	s_nop 0
	v_pk_add_f32 v[0:1], v[222:223], v[0:1] neg_lo:[0,1] neg_hi:[0,1]
	scratch_store_dwordx2 off, v[0:1], off
	s_cbranch_vccz .LBB103_332
; %bb.254:
	global_load_dword v0, v64, s[8:9] offset:152
	s_waitcnt vmcnt(0)
	v_readfirstlane_b32 s0, v0
	s_add_i32 s0, s0, -1
	s_cmp_lg_u32 s0, 38
	s_cbranch_scc0 .LBB103_256
; %bb.255:
	s_lshl_b32 s0, s0, 3
	s_nop 0
	scratch_load_dwordx2 v[0:1], off, s0
	scratch_load_dwordx2 v[2:3], off, off offset:304
	s_waitcnt vmcnt(1)
	scratch_store_dwordx2 off, v[0:1], off offset:304
	s_waitcnt vmcnt(1)
	scratch_store_dwordx2 off, v[2:3], s0
.LBB103_256:
	v_mov_b32_e32 v0, 0
	global_load_dword v1, v0, s[8:9] offset:148
	s_waitcnt vmcnt(0)
	v_readfirstlane_b32 s0, v1
	s_add_i32 s0, s0, -1
	s_cmp_eq_u32 s0, 37
	s_cbranch_scc1 .LBB103_258
; %bb.257:
	s_lshl_b32 s0, s0, 3
	s_nop 0
	scratch_load_dwordx2 v[2:3], off, s0
	scratch_load_dwordx2 v[4:5], off, off offset:296
	s_waitcnt vmcnt(1)
	scratch_store_dwordx2 off, v[2:3], off offset:296
	s_waitcnt vmcnt(1)
	scratch_store_dwordx2 off, v[4:5], s0
.LBB103_258:
	global_load_dword v0, v0, s[8:9] offset:144
	s_waitcnt vmcnt(0)
	v_readfirstlane_b32 s0, v0
	s_add_i32 s0, s0, -1
	s_cmp_eq_u32 s0, 36
	s_cbranch_scc1 .LBB103_260
; %bb.259:
	s_lshl_b32 s0, s0, 3
	s_nop 0
	scratch_load_dwordx2 v[0:1], off, s0
	scratch_load_dwordx2 v[2:3], off, off offset:288
	s_waitcnt vmcnt(1)
	scratch_store_dwordx2 off, v[0:1], off offset:288
	s_waitcnt vmcnt(1)
	scratch_store_dwordx2 off, v[2:3], s0
.LBB103_260:
	v_mov_b32_e32 v0, 0
	global_load_dword v1, v0, s[8:9] offset:140
	s_waitcnt vmcnt(0)
	v_readfirstlane_b32 s0, v1
	s_add_i32 s0, s0, -1
	s_cmp_eq_u32 s0, 35
	s_cbranch_scc1 .LBB103_262
; %bb.261:
	s_lshl_b32 s0, s0, 3
	s_nop 0
	scratch_load_dwordx2 v[2:3], off, s0
	scratch_load_dwordx2 v[4:5], off, off offset:280
	s_waitcnt vmcnt(1)
	scratch_store_dwordx2 off, v[2:3], off offset:280
	s_waitcnt vmcnt(1)
	scratch_store_dwordx2 off, v[4:5], s0
.LBB103_262:
	global_load_dword v0, v0, s[8:9] offset:136
	s_waitcnt vmcnt(0)
	v_readfirstlane_b32 s0, v0
	s_add_i32 s0, s0, -1
	s_cmp_eq_u32 s0, 34
	s_cbranch_scc1 .LBB103_264
; %bb.263:
	s_lshl_b32 s0, s0, 3
	s_nop 0
	scratch_load_dwordx2 v[0:1], off, s0
	scratch_load_dwordx2 v[2:3], off, off offset:272
	s_waitcnt vmcnt(1)
	scratch_store_dwordx2 off, v[0:1], off offset:272
	s_waitcnt vmcnt(1)
	scratch_store_dwordx2 off, v[2:3], s0
.LBB103_264:
	;; [unrolled: 33-line block ×18, first 2 shown]
	v_mov_b32_e32 v0, 0
	global_load_dword v1, v0, s[8:9] offset:4
	s_waitcnt vmcnt(0)
	v_readfirstlane_b32 s0, v1
	s_add_i32 s0, s0, -1
	s_cmp_eq_u32 s0, 1
	s_cbranch_scc1 .LBB103_330
; %bb.329:
	s_lshl_b32 s0, s0, 3
	s_nop 0
	scratch_load_dwordx2 v[2:3], off, s0
	scratch_load_dwordx2 v[4:5], off, off offset:8
	s_waitcnt vmcnt(1)
	scratch_store_dwordx2 off, v[2:3], off offset:8
	s_waitcnt vmcnt(1)
	scratch_store_dwordx2 off, v[4:5], s0
.LBB103_330:
	global_load_dword v2, v0, s[8:9]
	s_nop 0
	scratch_load_dwordx2 v[0:1], off, off
	s_waitcnt vmcnt(1)
	v_readfirstlane_b32 s0, v2
	s_add_i32 s0, s0, -1
	s_cmp_eq_u32 s0, 0
	s_cbranch_scc1 .LBB103_332
; %bb.331:
	s_lshl_b32 s0, s0, 3
	s_nop 0
	scratch_load_dwordx2 v[2:3], off, s0
	s_waitcnt vmcnt(0)
	scratch_store_dwordx2 off, v[2:3], off
	scratch_store_dwordx2 off, v[0:1], s0
	scratch_load_dwordx2 v[0:1], off, off
.LBB103_332:
	s_waitcnt vmcnt(0)
	flat_store_dwordx2 v[118:119], v[0:1]
	scratch_load_dwordx2 v[0:1], off, off offset:8
	s_waitcnt vmcnt(0)
	flat_store_dwordx2 v[120:121], v[0:1]
	scratch_load_dwordx2 v[0:1], off, off offset:16
	;; [unrolled: 3-line block ×39, first 2 shown]
	s_waitcnt vmcnt(0)
	flat_store_dwordx2 v[196:197], v[0:1]
	s_endpgm
	.section	.rodata,"a",@progbits
	.p2align	6, 0x0
	.amdhsa_kernel _ZN9rocsolver6v33100L18getri_kernel_smallILi40E19rocblas_complex_numIfEPKPS3_EEvT1_iilPiilS8_bb
		.amdhsa_group_segment_fixed_size 644
		.amdhsa_private_segment_fixed_size 336
		.amdhsa_kernarg_size 60
		.amdhsa_user_sgpr_count 2
		.amdhsa_user_sgpr_dispatch_ptr 0
		.amdhsa_user_sgpr_queue_ptr 0
		.amdhsa_user_sgpr_kernarg_segment_ptr 1
		.amdhsa_user_sgpr_dispatch_id 0
		.amdhsa_user_sgpr_kernarg_preload_length 0
		.amdhsa_user_sgpr_kernarg_preload_offset 0
		.amdhsa_user_sgpr_private_segment_size 0
		.amdhsa_uses_dynamic_stack 0
		.amdhsa_enable_private_segment 1
		.amdhsa_system_sgpr_workgroup_id_x 1
		.amdhsa_system_sgpr_workgroup_id_y 0
		.amdhsa_system_sgpr_workgroup_id_z 0
		.amdhsa_system_sgpr_workgroup_info 0
		.amdhsa_system_vgpr_workitem_id 0
		.amdhsa_next_free_vgpr 232
		.amdhsa_next_free_sgpr 17
		.amdhsa_accum_offset 232
		.amdhsa_reserve_vcc 1
		.amdhsa_float_round_mode_32 0
		.amdhsa_float_round_mode_16_64 0
		.amdhsa_float_denorm_mode_32 3
		.amdhsa_float_denorm_mode_16_64 3
		.amdhsa_dx10_clamp 1
		.amdhsa_ieee_mode 1
		.amdhsa_fp16_overflow 0
		.amdhsa_tg_split 0
		.amdhsa_exception_fp_ieee_invalid_op 0
		.amdhsa_exception_fp_denorm_src 0
		.amdhsa_exception_fp_ieee_div_zero 0
		.amdhsa_exception_fp_ieee_overflow 0
		.amdhsa_exception_fp_ieee_underflow 0
		.amdhsa_exception_fp_ieee_inexact 0
		.amdhsa_exception_int_div_zero 0
	.end_amdhsa_kernel
	.section	.text._ZN9rocsolver6v33100L18getri_kernel_smallILi40E19rocblas_complex_numIfEPKPS3_EEvT1_iilPiilS8_bb,"axG",@progbits,_ZN9rocsolver6v33100L18getri_kernel_smallILi40E19rocblas_complex_numIfEPKPS3_EEvT1_iilPiilS8_bb,comdat
.Lfunc_end103:
	.size	_ZN9rocsolver6v33100L18getri_kernel_smallILi40E19rocblas_complex_numIfEPKPS3_EEvT1_iilPiilS8_bb, .Lfunc_end103-_ZN9rocsolver6v33100L18getri_kernel_smallILi40E19rocblas_complex_numIfEPKPS3_EEvT1_iilPiilS8_bb
                                        ; -- End function
	.set _ZN9rocsolver6v33100L18getri_kernel_smallILi40E19rocblas_complex_numIfEPKPS3_EEvT1_iilPiilS8_bb.num_vgpr, 232
	.set _ZN9rocsolver6v33100L18getri_kernel_smallILi40E19rocblas_complex_numIfEPKPS3_EEvT1_iilPiilS8_bb.num_agpr, 0
	.set _ZN9rocsolver6v33100L18getri_kernel_smallILi40E19rocblas_complex_numIfEPKPS3_EEvT1_iilPiilS8_bb.numbered_sgpr, 17
	.set _ZN9rocsolver6v33100L18getri_kernel_smallILi40E19rocblas_complex_numIfEPKPS3_EEvT1_iilPiilS8_bb.num_named_barrier, 0
	.set _ZN9rocsolver6v33100L18getri_kernel_smallILi40E19rocblas_complex_numIfEPKPS3_EEvT1_iilPiilS8_bb.private_seg_size, 336
	.set _ZN9rocsolver6v33100L18getri_kernel_smallILi40E19rocblas_complex_numIfEPKPS3_EEvT1_iilPiilS8_bb.uses_vcc, 1
	.set _ZN9rocsolver6v33100L18getri_kernel_smallILi40E19rocblas_complex_numIfEPKPS3_EEvT1_iilPiilS8_bb.uses_flat_scratch, 0
	.set _ZN9rocsolver6v33100L18getri_kernel_smallILi40E19rocblas_complex_numIfEPKPS3_EEvT1_iilPiilS8_bb.has_dyn_sized_stack, 0
	.set _ZN9rocsolver6v33100L18getri_kernel_smallILi40E19rocblas_complex_numIfEPKPS3_EEvT1_iilPiilS8_bb.has_recursion, 0
	.set _ZN9rocsolver6v33100L18getri_kernel_smallILi40E19rocblas_complex_numIfEPKPS3_EEvT1_iilPiilS8_bb.has_indirect_call, 0
	.section	.AMDGPU.csdata,"",@progbits
; Kernel info:
; codeLenInByte = 51112
; TotalNumSgprs: 23
; NumVgprs: 232
; NumAgprs: 0
; TotalNumVgprs: 232
; ScratchSize: 336
; MemoryBound: 0
; FloatMode: 240
; IeeeMode: 1
; LDSByteSize: 644 bytes/workgroup (compile time only)
; SGPRBlocks: 2
; VGPRBlocks: 28
; NumSGPRsForWavesPerEU: 23
; NumVGPRsForWavesPerEU: 232
; AccumOffset: 232
; Occupancy: 2
; WaveLimiterHint : 1
; COMPUTE_PGM_RSRC2:SCRATCH_EN: 1
; COMPUTE_PGM_RSRC2:USER_SGPR: 2
; COMPUTE_PGM_RSRC2:TRAP_HANDLER: 0
; COMPUTE_PGM_RSRC2:TGID_X_EN: 1
; COMPUTE_PGM_RSRC2:TGID_Y_EN: 0
; COMPUTE_PGM_RSRC2:TGID_Z_EN: 0
; COMPUTE_PGM_RSRC2:TIDIG_COMP_CNT: 0
; COMPUTE_PGM_RSRC3_GFX90A:ACCUM_OFFSET: 57
; COMPUTE_PGM_RSRC3_GFX90A:TG_SPLIT: 0
	.section	.text._ZN9rocsolver6v33100L18getri_kernel_smallILi41E19rocblas_complex_numIfEPKPS3_EEvT1_iilPiilS8_bb,"axG",@progbits,_ZN9rocsolver6v33100L18getri_kernel_smallILi41E19rocblas_complex_numIfEPKPS3_EEvT1_iilPiilS8_bb,comdat
	.globl	_ZN9rocsolver6v33100L18getri_kernel_smallILi41E19rocblas_complex_numIfEPKPS3_EEvT1_iilPiilS8_bb ; -- Begin function _ZN9rocsolver6v33100L18getri_kernel_smallILi41E19rocblas_complex_numIfEPKPS3_EEvT1_iilPiilS8_bb
	.p2align	8
	.type	_ZN9rocsolver6v33100L18getri_kernel_smallILi41E19rocblas_complex_numIfEPKPS3_EEvT1_iilPiilS8_bb,@function
_ZN9rocsolver6v33100L18getri_kernel_smallILi41E19rocblas_complex_numIfEPKPS3_EEvT1_iilPiilS8_bb: ; @_ZN9rocsolver6v33100L18getri_kernel_smallILi41E19rocblas_complex_numIfEPKPS3_EEvT1_iilPiilS8_bb
; %bb.0:
	v_cmp_gt_u32_e32 vcc, 41, v0
	s_and_saveexec_b64 s[4:5], vcc
	s_cbranch_execz .LBB104_178
; %bb.1:
	s_load_dword s14, s[0:1], 0x38
	s_load_dwordx2 s[8:9], s[0:1], 0x0
	s_load_dwordx4 s[4:7], s[0:1], 0x28
	s_waitcnt lgkmcnt(0)
	s_bitcmp1_b32 s14, 8
	s_cselect_b64 s[10:11], -1, 0
	s_ashr_i32 s3, s2, 31
	s_lshl_b64 s[12:13], s[2:3], 3
	s_add_u32 s8, s8, s12
	s_addc_u32 s9, s9, s13
	s_load_dwordx2 s[12:13], s[8:9], 0x0
	s_bfe_u32 s8, s14, 0x10008
	s_cmp_eq_u32 s8, 0
                                        ; implicit-def: $sgpr8_sgpr9
	s_cbranch_scc1 .LBB104_3
; %bb.2:
	s_load_dword s8, s[0:1], 0x20
	s_load_dwordx2 s[14:15], s[0:1], 0x18
	s_mul_i32 s9, s4, s3
	s_mul_hi_u32 s16, s4, s2
	s_add_i32 s16, s16, s9
	s_mul_i32 s5, s5, s2
	s_add_i32 s5, s16, s5
	s_mul_i32 s4, s4, s2
	s_waitcnt lgkmcnt(0)
	s_ashr_i32 s9, s8, 31
	s_lshl_b64 s[4:5], s[4:5], 2
	s_add_u32 s14, s14, s4
	s_addc_u32 s15, s15, s5
	s_lshl_b64 s[4:5], s[8:9], 2
	s_add_u32 s8, s14, s4
	s_addc_u32 s9, s15, s5
.LBB104_3:
	s_load_dwordx2 s[4:5], s[0:1], 0x8
	s_load_dword s14, s[0:1], 0x38
	v_lshlrev_b32_e32 v2, 3, v0
	v_mov_b32_e32 v3, 0
	s_waitcnt lgkmcnt(0)
	s_ashr_i32 s1, s4, 31
	s_mov_b32 s0, s4
	s_lshl_b64 s[0:1], s[0:1], 3
	s_add_u32 s0, s12, s0
	s_addc_u32 s1, s13, s1
	v_lshl_add_u64 v[120:121], s[0:1], 0, v[2:3]
	flat_load_dwordx2 v[4:5], v[120:121]
	s_mov_b32 s12, s5
	s_ashr_i32 s13, s5, 31
	v_lshl_add_u64 v[122:123], s[12:13], 3, v[120:121]
	s_add_i32 s4, s5, s5
	v_add_u32_e32 v6, s4, v0
	v_ashrrev_i32_e32 v7, 31, v6
	v_lshl_add_u64 v[124:125], v[6:7], 3, s[0:1]
	v_add_u32_e32 v6, s5, v6
	v_ashrrev_i32_e32 v7, 31, v6
	v_lshl_add_u64 v[126:127], v[6:7], 3, s[0:1]
	;; [unrolled: 3-line block ×25, first 2 shown]
	s_waitcnt vmcnt(0) lgkmcnt(0)
	scratch_store_dwordx2 off, v[4:5], off
	flat_load_dwordx2 v[4:5], v[122:123]
	v_add_u32_e32 v6, s5, v6
	v_ashrrev_i32_e32 v7, 31, v6
	v_lshl_add_u64 v[174:175], v[6:7], 3, s[0:1]
	v_add_u32_e32 v6, s5, v6
	v_ashrrev_i32_e32 v7, 31, v6
	v_lshl_add_u64 v[176:177], v[6:7], 3, s[0:1]
	;; [unrolled: 3-line block ×14, first 2 shown]
	s_bitcmp0_b32 s14, 0
	s_mov_b64 s[4:5], -1
	s_waitcnt vmcnt(0) lgkmcnt(0)
	scratch_store_dwordx2 off, v[4:5], off offset:8
	flat_load_dwordx2 v[4:5], v[124:125]
	s_waitcnt vmcnt(0) lgkmcnt(0)
	scratch_store_dwordx2 off, v[4:5], off offset:16
	flat_load_dwordx2 v[4:5], v[126:127]
	s_waitcnt vmcnt(0) lgkmcnt(0)
	scratch_store_dwordx2 off, v[4:5], off offset:24
	flat_load_dwordx2 v[4:5], v[128:129]
	s_waitcnt vmcnt(0) lgkmcnt(0)
	scratch_store_dwordx2 off, v[4:5], off offset:32
	flat_load_dwordx2 v[4:5], v[130:131]
	s_waitcnt vmcnt(0) lgkmcnt(0)
	scratch_store_dwordx2 off, v[4:5], off offset:40
	flat_load_dwordx2 v[4:5], v[132:133]
	s_waitcnt vmcnt(0) lgkmcnt(0)
	scratch_store_dwordx2 off, v[4:5], off offset:48
	flat_load_dwordx2 v[4:5], v[134:135]
	s_waitcnt vmcnt(0) lgkmcnt(0)
	scratch_store_dwordx2 off, v[4:5], off offset:56
	flat_load_dwordx2 v[4:5], v[136:137]
	s_waitcnt vmcnt(0) lgkmcnt(0)
	scratch_store_dwordx2 off, v[4:5], off offset:64
	flat_load_dwordx2 v[4:5], v[138:139]
	s_waitcnt vmcnt(0) lgkmcnt(0)
	scratch_store_dwordx2 off, v[4:5], off offset:72
	flat_load_dwordx2 v[4:5], v[140:141]
	s_waitcnt vmcnt(0) lgkmcnt(0)
	scratch_store_dwordx2 off, v[4:5], off offset:80
	flat_load_dwordx2 v[4:5], v[142:143]
	s_waitcnt vmcnt(0) lgkmcnt(0)
	scratch_store_dwordx2 off, v[4:5], off offset:88
	flat_load_dwordx2 v[4:5], v[144:145]
	s_waitcnt vmcnt(0) lgkmcnt(0)
	scratch_store_dwordx2 off, v[4:5], off offset:96
	flat_load_dwordx2 v[4:5], v[146:147]
	s_waitcnt vmcnt(0) lgkmcnt(0)
	scratch_store_dwordx2 off, v[4:5], off offset:104
	flat_load_dwordx2 v[4:5], v[148:149]
	s_waitcnt vmcnt(0) lgkmcnt(0)
	scratch_store_dwordx2 off, v[4:5], off offset:112
	flat_load_dwordx2 v[4:5], v[150:151]
	s_waitcnt vmcnt(0) lgkmcnt(0)
	scratch_store_dwordx2 off, v[4:5], off offset:120
	flat_load_dwordx2 v[4:5], v[152:153]
	s_waitcnt vmcnt(0) lgkmcnt(0)
	scratch_store_dwordx2 off, v[4:5], off offset:128
	flat_load_dwordx2 v[4:5], v[154:155]
	s_waitcnt vmcnt(0) lgkmcnt(0)
	scratch_store_dwordx2 off, v[4:5], off offset:136
	flat_load_dwordx2 v[4:5], v[156:157]
	s_waitcnt vmcnt(0) lgkmcnt(0)
	scratch_store_dwordx2 off, v[4:5], off offset:144
	flat_load_dwordx2 v[4:5], v[158:159]
	s_waitcnt vmcnt(0) lgkmcnt(0)
	scratch_store_dwordx2 off, v[4:5], off offset:152
	flat_load_dwordx2 v[4:5], v[160:161]
	s_waitcnt vmcnt(0) lgkmcnt(0)
	scratch_store_dwordx2 off, v[4:5], off offset:160
	flat_load_dwordx2 v[4:5], v[162:163]
	s_waitcnt vmcnt(0) lgkmcnt(0)
	scratch_store_dwordx2 off, v[4:5], off offset:168
	flat_load_dwordx2 v[4:5], v[164:165]
	s_waitcnt vmcnt(0) lgkmcnt(0)
	scratch_store_dwordx2 off, v[4:5], off offset:176
	flat_load_dwordx2 v[4:5], v[166:167]
	s_waitcnt vmcnt(0) lgkmcnt(0)
	scratch_store_dwordx2 off, v[4:5], off offset:184
	flat_load_dwordx2 v[4:5], v[168:169]
	s_waitcnt vmcnt(0) lgkmcnt(0)
	scratch_store_dwordx2 off, v[4:5], off offset:192
	flat_load_dwordx2 v[4:5], v[170:171]
	s_waitcnt vmcnt(0) lgkmcnt(0)
	scratch_store_dwordx2 off, v[4:5], off offset:200
	flat_load_dwordx2 v[4:5], v[172:173]
	s_waitcnt vmcnt(0) lgkmcnt(0)
	scratch_store_dwordx2 off, v[4:5], off offset:208
	flat_load_dwordx2 v[4:5], v[174:175]
	s_waitcnt vmcnt(0) lgkmcnt(0)
	scratch_store_dwordx2 off, v[4:5], off offset:216
	flat_load_dwordx2 v[4:5], v[176:177]
	s_waitcnt vmcnt(0) lgkmcnt(0)
	scratch_store_dwordx2 off, v[4:5], off offset:224
	flat_load_dwordx2 v[4:5], v[178:179]
	s_waitcnt vmcnt(0) lgkmcnt(0)
	scratch_store_dwordx2 off, v[4:5], off offset:232
	flat_load_dwordx2 v[4:5], v[180:181]
	s_waitcnt vmcnt(0) lgkmcnt(0)
	scratch_store_dwordx2 off, v[4:5], off offset:240
	flat_load_dwordx2 v[4:5], v[182:183]
	s_waitcnt vmcnt(0) lgkmcnt(0)
	scratch_store_dwordx2 off, v[4:5], off offset:248
	flat_load_dwordx2 v[4:5], v[184:185]
	s_waitcnt vmcnt(0) lgkmcnt(0)
	scratch_store_dwordx2 off, v[4:5], off offset:256
	flat_load_dwordx2 v[4:5], v[186:187]
	s_waitcnt vmcnt(0) lgkmcnt(0)
	scratch_store_dwordx2 off, v[4:5], off offset:264
	flat_load_dwordx2 v[4:5], v[188:189]
	s_waitcnt vmcnt(0) lgkmcnt(0)
	scratch_store_dwordx2 off, v[4:5], off offset:272
	flat_load_dwordx2 v[4:5], v[190:191]
	s_waitcnt vmcnt(0) lgkmcnt(0)
	scratch_store_dwordx2 off, v[4:5], off offset:280
	flat_load_dwordx2 v[4:5], v[192:193]
	s_waitcnt vmcnt(0) lgkmcnt(0)
	scratch_store_dwordx2 off, v[4:5], off offset:288
	flat_load_dwordx2 v[4:5], v[194:195]
	s_waitcnt vmcnt(0) lgkmcnt(0)
	scratch_store_dwordx2 off, v[4:5], off offset:296
	flat_load_dwordx2 v[4:5], v[196:197]
	s_waitcnt vmcnt(0) lgkmcnt(0)
	scratch_store_dwordx2 off, v[4:5], off offset:304
	flat_load_dwordx2 v[4:5], v[198:199]
	s_waitcnt vmcnt(0) lgkmcnt(0)
	scratch_store_dwordx2 off, v[4:5], off offset:312
	flat_load_dwordx2 v[4:5], v[200:201]
	s_waitcnt vmcnt(0) lgkmcnt(0)
	scratch_store_dwordx2 off, v[4:5], off offset:320
	s_cbranch_scc1 .LBB104_176
; %bb.4:
	v_cmp_eq_u32_e64 s[0:1], 0, v0
	s_and_saveexec_b64 s[4:5], s[0:1]
; %bb.5:
	v_mov_b32_e32 v1, 0
	ds_write_b32 v1, v1 offset:328
; %bb.6:
	s_or_b64 exec, exec, s[4:5]
	s_waitcnt lgkmcnt(0)
	; wave barrier
	scratch_load_dwordx2 v[4:5], v2, off
	s_waitcnt vmcnt(0)
	v_cmp_eq_f32_e32 vcc, 0, v4
	v_cmp_eq_f32_e64 s[4:5], 0, v5
	s_and_b64 s[4:5], vcc, s[4:5]
	s_and_saveexec_b64 s[12:13], s[4:5]
	s_cbranch_execz .LBB104_10
; %bb.7:
	v_mov_b32_e32 v1, 0
	ds_read_b32 v4, v1 offset:328
	v_add_u32_e32 v3, 1, v0
	s_waitcnt lgkmcnt(0)
	v_readfirstlane_b32 s4, v4
	s_cmp_eq_u32 s4, 0
	s_cselect_b64 s[14:15], -1, 0
	v_cmp_gt_i32_e32 vcc, s4, v3
	s_or_b64 s[14:15], s[14:15], vcc
	s_and_b64 exec, exec, s[14:15]
	s_cbranch_execz .LBB104_10
; %bb.8:
	s_mov_b64 s[14:15], 0
	v_mov_b32_e32 v4, s4
.LBB104_9:                              ; =>This Inner Loop Header: Depth=1
	ds_cmpst_rtn_b32 v4, v1, v4, v3 offset:328
	s_waitcnt lgkmcnt(0)
	v_cmp_ne_u32_e32 vcc, 0, v4
	v_cmp_le_i32_e64 s[4:5], v4, v3
	s_and_b64 s[4:5], vcc, s[4:5]
	s_and_b64 s[4:5], exec, s[4:5]
	s_or_b64 s[14:15], s[4:5], s[14:15]
	s_andn2_b64 exec, exec, s[14:15]
	s_cbranch_execnz .LBB104_9
.LBB104_10:
	s_or_b64 exec, exec, s[12:13]
	v_mov_b32_e32 v3, 0
	; wave barrier
	ds_read_b32 v1, v3 offset:328
	s_and_saveexec_b64 s[4:5], s[0:1]
	s_cbranch_execz .LBB104_12
; %bb.11:
	s_lshl_b64 s[12:13], s[2:3], 2
	s_add_u32 s12, s6, s12
	s_addc_u32 s13, s7, s13
	s_waitcnt lgkmcnt(0)
	global_store_dword v3, v1, s[12:13]
.LBB104_12:
	s_or_b64 exec, exec, s[4:5]
	s_waitcnt lgkmcnt(0)
	v_cmp_ne_u32_e32 vcc, 0, v1
	s_mov_b64 s[4:5], 0
	s_cbranch_vccnz .LBB104_176
; %bb.13:
	v_mov_b32_e32 v3, v2
	scratch_load_dwordx2 v[4:5], v3, off
                                        ; implicit-def: $vgpr7
                                        ; implicit-def: $vgpr8
	s_waitcnt vmcnt(0)
	v_cmp_ngt_f32_e64 s[4:5], |v4|, |v5|
	s_and_saveexec_b64 s[12:13], s[4:5]
	s_xor_b64 s[4:5], exec, s[12:13]
	s_cbranch_execz .LBB104_15
; %bb.14:
	v_div_scale_f32 v1, s[12:13], v5, v5, v4
	v_rcp_f32_e32 v6, v1
	v_div_scale_f32 v7, vcc, v4, v5, v4
	v_fma_f32 v8, -v1, v6, 1.0
	v_fmac_f32_e32 v6, v8, v6
	v_mul_f32_e32 v8, v7, v6
	v_fma_f32 v9, -v1, v8, v7
	v_fmac_f32_e32 v8, v9, v6
	v_fma_f32 v1, -v1, v8, v7
	v_div_fmas_f32 v1, v1, v6, v8
	v_div_fixup_f32 v1, v1, v5, v4
	v_fmac_f32_e32 v5, v4, v1
	v_div_scale_f32 v4, s[12:13], v5, v5, -1.0
	v_rcp_f32_e32 v6, v4
	s_nop 0
	v_fma_f32 v7, -v4, v6, 1.0
	v_fmac_f32_e32 v6, v7, v6
	v_div_scale_f32 v7, vcc, -1.0, v5, -1.0
	v_mul_f32_e32 v8, v7, v6
	v_fma_f32 v9, -v4, v8, v7
	v_fmac_f32_e32 v8, v9, v6
	v_fma_f32 v4, -v4, v8, v7
	v_div_fmas_f32 v4, v4, v6, v8
	v_div_fixup_f32 v7, v4, v5, -1.0
	v_mul_f32_e32 v8, v1, v7
	v_xor_b32_e32 v6, 0x80000000, v8
                                        ; implicit-def: $vgpr4_vgpr5
.LBB104_15:
	s_andn2_saveexec_b64 s[4:5], s[4:5]
	s_cbranch_execz .LBB104_17
; %bb.16:
	v_div_scale_f32 v1, s[12:13], v4, v4, v5
	v_rcp_f32_e32 v6, v1
	v_div_scale_f32 v7, vcc, v5, v4, v5
	v_fma_f32 v8, -v1, v6, 1.0
	v_fmac_f32_e32 v6, v8, v6
	v_mul_f32_e32 v8, v7, v6
	v_fma_f32 v9, -v1, v8, v7
	v_fmac_f32_e32 v8, v9, v6
	v_fma_f32 v1, -v1, v8, v7
	v_div_fmas_f32 v1, v1, v6, v8
	v_div_fixup_f32 v1, v1, v4, v5
	v_fmac_f32_e32 v4, v5, v1
	v_div_scale_f32 v5, s[12:13], v4, v4, 1.0
	v_rcp_f32_e32 v6, v5
	s_nop 0
	v_fma_f32 v7, -v5, v6, 1.0
	v_fmac_f32_e32 v6, v7, v6
	v_div_scale_f32 v7, vcc, 1.0, v4, 1.0
	v_mul_f32_e32 v8, v7, v6
	v_fma_f32 v9, -v5, v8, v7
	v_fmac_f32_e32 v8, v9, v6
	v_fma_f32 v5, -v5, v8, v7
	v_div_fmas_f32 v5, v5, v6, v8
	v_div_fixup_f32 v6, v5, v4, 1.0
	v_xor_b32_e32 v8, 0x80000000, v6
	v_mul_f32_e64 v7, v1, -v6
.LBB104_17:
	s_or_b64 exec, exec, s[4:5]
	scratch_store_dwordx2 v3, v[6:7], off
	scratch_load_dwordx2 v[4:5], off, off offset:8
	v_xor_b32_e32 v9, 0x80000000, v7
	v_add_u32_e32 v1, 0x150, v2
	s_waitcnt vmcnt(0)
	ds_write2_b64 v2, v[8:9], v[4:5] offset1:42
	s_waitcnt lgkmcnt(0)
	; wave barrier
	s_and_saveexec_b64 s[4:5], s[0:1]
	s_cbranch_execz .LBB104_19
; %bb.18:
	scratch_load_dwordx2 v[4:5], v3, off
	ds_read_b64 v[6:7], v1
	v_mov_b32_e32 v8, 0
	ds_read_b64 v[8:9], v8 offset:8
	s_waitcnt vmcnt(0) lgkmcnt(1)
	v_pk_mul_f32 v[10:11], v[6:7], v[4:5] op_sel:[1,1] op_sel_hi:[0,1]
	v_pk_fma_f32 v[12:13], v[6:7], v[4:5], v[10:11] neg_lo:[0,0,1] neg_hi:[0,0,1]
	v_pk_fma_f32 v[4:5], v[6:7], v[4:5], v[10:11] op_sel_hi:[1,0,1]
	s_nop 0
	v_mov_b32_e32 v13, v5
	v_pk_add_f32 v[4:5], v[12:13], 0 op_sel_hi:[1,0]
	s_waitcnt lgkmcnt(0)
	v_pk_mul_f32 v[6:7], v[4:5], v[8:9] op_sel:[1,1] op_sel_hi:[0,1]
	v_pk_fma_f32 v[10:11], v[4:5], v[8:9], v[6:7] neg_lo:[0,0,1] neg_hi:[0,0,1]
	v_pk_fma_f32 v[4:5], v[4:5], v[8:9], v[6:7] op_sel_hi:[1,0,1]
	s_nop 0
	v_mov_b32_e32 v11, v5
	scratch_store_dwordx2 off, v[10:11], off offset:8
.LBB104_19:
	s_or_b64 exec, exec, s[4:5]
	; wave barrier
	scratch_load_dwordx2 v[4:5], off, off offset:16
	v_cmp_gt_u32_e32 vcc, 2, v0
	s_waitcnt vmcnt(0)
	ds_write_b64 v1, v[4:5]
	s_waitcnt lgkmcnt(0)
	; wave barrier
	s_and_saveexec_b64 s[4:5], vcc
	s_cbranch_execz .LBB104_23
; %bb.20:
	scratch_load_dwordx2 v[4:5], v3, off
	ds_read_b64 v[6:7], v1
	s_waitcnt vmcnt(0) lgkmcnt(0)
	v_pk_mul_f32 v[8:9], v[6:7], v[4:5] op_sel:[1,1] op_sel_hi:[0,1]
	v_pk_fma_f32 v[10:11], v[6:7], v[4:5], v[8:9] neg_lo:[0,0,1] neg_hi:[0,0,1]
	v_pk_fma_f32 v[4:5], v[6:7], v[4:5], v[8:9] op_sel_hi:[1,0,1]
	s_nop 0
	v_mov_b32_e32 v11, v5
	v_pk_add_f32 v[4:5], v[10:11], 0 op_sel_hi:[1,0]
	s_and_saveexec_b64 s[12:13], s[0:1]
	s_cbranch_execz .LBB104_22
; %bb.21:
	scratch_load_dwordx2 v[6:7], off, off offset:8
	v_mov_b32_e32 v3, 0
	ds_read_b64 v[8:9], v3 offset:344
	s_waitcnt vmcnt(0) lgkmcnt(0)
	v_pk_mul_f32 v[10:11], v[8:9], v[6:7] op_sel:[1,1] op_sel_hi:[0,1]
	v_pk_fma_f32 v[12:13], v[8:9], v[6:7], v[10:11] neg_lo:[0,0,1] neg_hi:[0,0,1]
	v_pk_fma_f32 v[6:7], v[8:9], v[6:7], v[10:11] op_sel_hi:[1,0,1]
	s_nop 0
	v_mov_b32_e32 v13, v7
	v_pk_add_f32 v[4:5], v[4:5], v[12:13]
.LBB104_22:
	s_or_b64 exec, exec, s[12:13]
	v_mov_b32_e32 v3, 0
	ds_read_b64 v[6:7], v3 offset:16
	s_waitcnt lgkmcnt(0)
	v_pk_mul_f32 v[8:9], v[4:5], v[6:7] op_sel:[1,1] op_sel_hi:[0,1]
	v_pk_fma_f32 v[10:11], v[4:5], v[6:7], v[8:9] neg_lo:[0,0,1] neg_hi:[0,0,1]
	v_pk_fma_f32 v[4:5], v[4:5], v[6:7], v[8:9] op_sel_hi:[1,0,1]
	s_nop 0
	v_mov_b32_e32 v11, v5
	scratch_store_dwordx2 off, v[10:11], off offset:16
.LBB104_23:
	s_or_b64 exec, exec, s[4:5]
	; wave barrier
	scratch_load_dwordx2 v[4:5], off, off offset:24
	v_cmp_gt_u32_e32 vcc, 3, v0
	v_add_u32_e32 v6, -1, v0
	s_waitcnt vmcnt(0)
	ds_write_b64 v1, v[4:5]
	s_waitcnt lgkmcnt(0)
	; wave barrier
	s_and_saveexec_b64 s[0:1], vcc
	s_cbranch_execz .LBB104_27
; %bb.24:
	v_mov_b32_e32 v4, 0
	v_add_u32_e32 v3, -1, v0
	v_add_u32_e32 v7, 0x150, v2
	v_mov_b32_e32 v8, v2
	s_mov_b64 s[4:5], 0
	v_mov_b32_e32 v5, v4
.LBB104_25:                             ; =>This Inner Loop Header: Depth=1
	scratch_load_dwordx2 v[10:11], v8, off
	ds_read_b64 v[12:13], v7
	v_add_u32_e32 v3, 1, v3
	v_cmp_lt_u32_e32 vcc, 1, v3
	v_add_u32_e32 v7, 8, v7
	v_add_u32_e32 v8, 8, v8
	s_or_b64 s[4:5], vcc, s[4:5]
	s_waitcnt vmcnt(0) lgkmcnt(0)
	v_pk_mul_f32 v[14:15], v[12:13], v[10:11] op_sel:[1,1] op_sel_hi:[0,1]
	v_pk_fma_f32 v[16:17], v[12:13], v[10:11], v[14:15] neg_lo:[0,0,1] neg_hi:[0,0,1]
	v_pk_fma_f32 v[10:11], v[12:13], v[10:11], v[14:15] op_sel_hi:[1,0,1]
	s_nop 0
	v_mov_b32_e32 v17, v11
	v_pk_add_f32 v[4:5], v[4:5], v[16:17]
	s_andn2_b64 exec, exec, s[4:5]
	s_cbranch_execnz .LBB104_25
; %bb.26:
	s_or_b64 exec, exec, s[4:5]
	v_mov_b32_e32 v3, 0
	ds_read_b64 v[8:9], v3 offset:24
	s_waitcnt lgkmcnt(0)
	v_pk_mul_f32 v[10:11], v[4:5], v[8:9] op_sel:[1,1] op_sel_hi:[0,1]
	v_pk_fma_f32 v[12:13], v[4:5], v[8:9], v[10:11] neg_lo:[0,0,1] neg_hi:[0,0,1]
	v_pk_fma_f32 v[4:5], v[4:5], v[8:9], v[10:11] op_sel_hi:[1,0,1]
	s_nop 0
	v_mov_b32_e32 v13, v5
	scratch_store_dwordx2 off, v[12:13], off offset:24
.LBB104_27:
	s_or_b64 exec, exec, s[0:1]
	; wave barrier
	scratch_load_dwordx2 v[4:5], off, off offset:32
	v_cmp_gt_u32_e32 vcc, 4, v0
	s_waitcnt vmcnt(0)
	ds_write_b64 v1, v[4:5]
	s_waitcnt lgkmcnt(0)
	; wave barrier
	s_and_saveexec_b64 s[0:1], vcc
	s_cbranch_execz .LBB104_31
; %bb.28:
	v_mov_b32_e32 v4, 0
	v_add_u32_e32 v3, -1, v0
	v_add_u32_e32 v7, 0x150, v2
	v_mov_b32_e32 v8, v2
	s_mov_b64 s[4:5], 0
	v_mov_b32_e32 v5, v4
.LBB104_29:                             ; =>This Inner Loop Header: Depth=1
	scratch_load_dwordx2 v[10:11], v8, off
	ds_read_b64 v[12:13], v7
	v_add_u32_e32 v3, 1, v3
	v_cmp_lt_u32_e32 vcc, 2, v3
	v_add_u32_e32 v7, 8, v7
	v_add_u32_e32 v8, 8, v8
	s_or_b64 s[4:5], vcc, s[4:5]
	s_waitcnt vmcnt(0) lgkmcnt(0)
	v_pk_mul_f32 v[14:15], v[12:13], v[10:11] op_sel:[1,1] op_sel_hi:[0,1]
	v_pk_fma_f32 v[16:17], v[12:13], v[10:11], v[14:15] neg_lo:[0,0,1] neg_hi:[0,0,1]
	v_pk_fma_f32 v[10:11], v[12:13], v[10:11], v[14:15] op_sel_hi:[1,0,1]
	s_nop 0
	v_mov_b32_e32 v17, v11
	v_pk_add_f32 v[4:5], v[4:5], v[16:17]
	s_andn2_b64 exec, exec, s[4:5]
	s_cbranch_execnz .LBB104_29
; %bb.30:
	s_or_b64 exec, exec, s[4:5]
	v_mov_b32_e32 v3, 0
	ds_read_b64 v[8:9], v3 offset:32
	s_waitcnt lgkmcnt(0)
	v_pk_mul_f32 v[10:11], v[4:5], v[8:9] op_sel:[1,1] op_sel_hi:[0,1]
	v_pk_fma_f32 v[12:13], v[4:5], v[8:9], v[10:11] neg_lo:[0,0,1] neg_hi:[0,0,1]
	v_pk_fma_f32 v[4:5], v[4:5], v[8:9], v[10:11] op_sel_hi:[1,0,1]
	s_nop 0
	v_mov_b32_e32 v13, v5
	scratch_store_dwordx2 off, v[12:13], off offset:32
.LBB104_31:
	s_or_b64 exec, exec, s[0:1]
	; wave barrier
	scratch_load_dwordx2 v[4:5], off, off offset:40
	v_cmp_gt_u32_e32 vcc, 5, v0
	;; [unrolled: 46-line block ×19, first 2 shown]
	s_waitcnt vmcnt(0)
	ds_write_b64 v1, v[4:5]
	s_waitcnt lgkmcnt(0)
	; wave barrier
	s_and_saveexec_b64 s[0:1], vcc
	s_cbranch_execz .LBB104_103
; %bb.100:
	v_mov_b32_e32 v4, 0
	v_add_u32_e32 v3, -1, v0
	v_add_u32_e32 v7, 0x150, v2
	v_mov_b32_e32 v8, v2
	s_mov_b64 s[4:5], 0
	v_mov_b32_e32 v5, v4
.LBB104_101:                            ; =>This Inner Loop Header: Depth=1
	scratch_load_dwordx2 v[10:11], v8, off
	ds_read_b64 v[12:13], v7
	v_add_u32_e32 v3, 1, v3
	v_cmp_lt_u32_e32 vcc, 20, v3
	v_add_u32_e32 v7, 8, v7
	v_add_u32_e32 v8, 8, v8
	s_or_b64 s[4:5], vcc, s[4:5]
	s_waitcnt vmcnt(0) lgkmcnt(0)
	v_pk_mul_f32 v[14:15], v[12:13], v[10:11] op_sel:[1,1] op_sel_hi:[0,1]
	v_pk_fma_f32 v[16:17], v[12:13], v[10:11], v[14:15] neg_lo:[0,0,1] neg_hi:[0,0,1]
	v_pk_fma_f32 v[10:11], v[12:13], v[10:11], v[14:15] op_sel_hi:[1,0,1]
	s_nop 0
	v_mov_b32_e32 v17, v11
	v_pk_add_f32 v[4:5], v[4:5], v[16:17]
	s_andn2_b64 exec, exec, s[4:5]
	s_cbranch_execnz .LBB104_101
; %bb.102:
	s_or_b64 exec, exec, s[4:5]
	v_mov_b32_e32 v3, 0
	ds_read_b64 v[8:9], v3 offset:176
	s_waitcnt lgkmcnt(0)
	v_pk_mul_f32 v[10:11], v[4:5], v[8:9] op_sel:[1,1] op_sel_hi:[0,1]
	v_pk_fma_f32 v[12:13], v[4:5], v[8:9], v[10:11] neg_lo:[0,0,1] neg_hi:[0,0,1]
	v_pk_fma_f32 v[4:5], v[4:5], v[8:9], v[10:11] op_sel_hi:[1,0,1]
	s_nop 0
	v_mov_b32_e32 v13, v5
	scratch_store_dwordx2 off, v[12:13], off offset:176
.LBB104_103:
	s_or_b64 exec, exec, s[0:1]
	; wave barrier
	scratch_load_dwordx2 v[4:5], off, off offset:184
	v_cmp_gt_u32_e32 vcc, 23, v0
	s_waitcnt vmcnt(0)
	ds_write_b64 v1, v[4:5]
	s_waitcnt lgkmcnt(0)
	; wave barrier
	s_and_saveexec_b64 s[0:1], vcc
	s_cbranch_execz .LBB104_107
; %bb.104:
	v_mov_b32_e32 v4, 0
	v_add_u32_e32 v3, -1, v0
	v_add_u32_e32 v7, 0x150, v2
	v_mov_b32_e32 v8, v2
	s_mov_b64 s[4:5], 0
	v_mov_b32_e32 v5, v4
.LBB104_105:                            ; =>This Inner Loop Header: Depth=1
	scratch_load_dwordx2 v[10:11], v8, off
	ds_read_b64 v[12:13], v7
	v_add_u32_e32 v3, 1, v3
	v_cmp_lt_u32_e32 vcc, 21, v3
	v_add_u32_e32 v7, 8, v7
	v_add_u32_e32 v8, 8, v8
	s_or_b64 s[4:5], vcc, s[4:5]
	s_waitcnt vmcnt(0) lgkmcnt(0)
	v_pk_mul_f32 v[14:15], v[12:13], v[10:11] op_sel:[1,1] op_sel_hi:[0,1]
	v_pk_fma_f32 v[16:17], v[12:13], v[10:11], v[14:15] neg_lo:[0,0,1] neg_hi:[0,0,1]
	v_pk_fma_f32 v[10:11], v[12:13], v[10:11], v[14:15] op_sel_hi:[1,0,1]
	s_nop 0
	v_mov_b32_e32 v17, v11
	v_pk_add_f32 v[4:5], v[4:5], v[16:17]
	s_andn2_b64 exec, exec, s[4:5]
	s_cbranch_execnz .LBB104_105
; %bb.106:
	s_or_b64 exec, exec, s[4:5]
	v_mov_b32_e32 v3, 0
	ds_read_b64 v[8:9], v3 offset:184
	s_waitcnt lgkmcnt(0)
	v_pk_mul_f32 v[10:11], v[4:5], v[8:9] op_sel:[1,1] op_sel_hi:[0,1]
	v_pk_fma_f32 v[12:13], v[4:5], v[8:9], v[10:11] neg_lo:[0,0,1] neg_hi:[0,0,1]
	v_pk_fma_f32 v[4:5], v[4:5], v[8:9], v[10:11] op_sel_hi:[1,0,1]
	s_nop 0
	v_mov_b32_e32 v13, v5
	scratch_store_dwordx2 off, v[12:13], off offset:184
.LBB104_107:
	s_or_b64 exec, exec, s[0:1]
	; wave barrier
	scratch_load_dwordx2 v[4:5], off, off offset:192
	v_cmp_gt_u32_e32 vcc, 24, v0
	;; [unrolled: 46-line block ×17, first 2 shown]
	s_waitcnt vmcnt(0)
	ds_write_b64 v1, v[4:5]
	s_waitcnt lgkmcnt(0)
	; wave barrier
	s_and_saveexec_b64 s[0:1], vcc
	s_cbranch_execz .LBB104_171
; %bb.168:
	v_mov_b32_e32 v4, 0
	v_add_u32_e32 v3, -1, v0
	v_add_u32_e32 v7, 0x150, v2
	v_mov_b32_e32 v8, v2
	s_mov_b64 s[4:5], 0
	v_mov_b32_e32 v5, v4
.LBB104_169:                            ; =>This Inner Loop Header: Depth=1
	scratch_load_dwordx2 v[10:11], v8, off
	ds_read_b64 v[12:13], v7
	v_add_u32_e32 v3, 1, v3
	v_cmp_lt_u32_e32 vcc, 37, v3
	v_add_u32_e32 v7, 8, v7
	v_add_u32_e32 v8, 8, v8
	s_or_b64 s[4:5], vcc, s[4:5]
	s_waitcnt vmcnt(0) lgkmcnt(0)
	v_pk_mul_f32 v[14:15], v[12:13], v[10:11] op_sel:[1,1] op_sel_hi:[0,1]
	v_pk_fma_f32 v[16:17], v[12:13], v[10:11], v[14:15] neg_lo:[0,0,1] neg_hi:[0,0,1]
	v_pk_fma_f32 v[10:11], v[12:13], v[10:11], v[14:15] op_sel_hi:[1,0,1]
	s_nop 0
	v_mov_b32_e32 v17, v11
	v_pk_add_f32 v[4:5], v[4:5], v[16:17]
	s_andn2_b64 exec, exec, s[4:5]
	s_cbranch_execnz .LBB104_169
; %bb.170:
	s_or_b64 exec, exec, s[4:5]
	v_mov_b32_e32 v3, 0
	ds_read_b64 v[8:9], v3 offset:312
	s_waitcnt lgkmcnt(0)
	v_pk_mul_f32 v[10:11], v[4:5], v[8:9] op_sel:[1,1] op_sel_hi:[0,1]
	v_pk_fma_f32 v[12:13], v[4:5], v[8:9], v[10:11] neg_lo:[0,0,1] neg_hi:[0,0,1]
	v_pk_fma_f32 v[4:5], v[4:5], v[8:9], v[10:11] op_sel_hi:[1,0,1]
	s_nop 0
	v_mov_b32_e32 v13, v5
	scratch_store_dwordx2 off, v[12:13], off offset:312
.LBB104_171:
	s_or_b64 exec, exec, s[0:1]
	; wave barrier
	scratch_load_dwordx2 v[4:5], off, off offset:320
	v_cmp_ne_u32_e32 vcc, 40, v0
	s_waitcnt vmcnt(0)
	ds_write_b64 v1, v[4:5]
	s_waitcnt lgkmcnt(0)
	; wave barrier
	s_and_saveexec_b64 s[0:1], vcc
	s_cbranch_execz .LBB104_175
; %bb.172:
	v_add_u32_e32 v1, 0x150, v2
	v_mov_b32_e32 v4, v2
	v_mov_b32_e32 v2, 0
	s_mov_b64 s[4:5], 0
	v_mov_b32_e32 v3, v2
.LBB104_173:                            ; =>This Inner Loop Header: Depth=1
	scratch_load_dwordx2 v[8:9], v4, off
	ds_read_b64 v[10:11], v1
	v_add_u32_e32 v6, 1, v6
	v_cmp_lt_u32_e32 vcc, 38, v6
	v_add_u32_e32 v1, 8, v1
	v_add_u32_e32 v4, 8, v4
	s_or_b64 s[4:5], vcc, s[4:5]
	s_waitcnt vmcnt(0) lgkmcnt(0)
	v_pk_mul_f32 v[12:13], v[10:11], v[8:9] op_sel:[1,1] op_sel_hi:[0,1]
	v_pk_fma_f32 v[14:15], v[10:11], v[8:9], v[12:13] neg_lo:[0,0,1] neg_hi:[0,0,1]
	v_pk_fma_f32 v[8:9], v[10:11], v[8:9], v[12:13] op_sel_hi:[1,0,1]
	s_nop 0
	v_mov_b32_e32 v15, v9
	v_pk_add_f32 v[2:3], v[2:3], v[14:15]
	s_andn2_b64 exec, exec, s[4:5]
	s_cbranch_execnz .LBB104_173
; %bb.174:
	s_or_b64 exec, exec, s[4:5]
	v_mov_b32_e32 v1, 0
	ds_read_b64 v[4:5], v1 offset:320
	s_waitcnt lgkmcnt(0)
	v_pk_mul_f32 v[6:7], v[2:3], v[4:5] op_sel:[1,1] op_sel_hi:[0,1]
	v_pk_fma_f32 v[8:9], v[2:3], v[4:5], v[6:7] neg_lo:[0,0,1] neg_hi:[0,0,1]
	v_pk_fma_f32 v[2:3], v[2:3], v[4:5], v[6:7] op_sel_hi:[1,0,1]
	s_nop 0
	v_mov_b32_e32 v9, v3
	scratch_store_dwordx2 off, v[8:9], off offset:320
.LBB104_175:
	s_or_b64 exec, exec, s[0:1]
	s_mov_b64 s[4:5], -1
	; wave barrier
.LBB104_176:
	s_and_b64 vcc, exec, s[4:5]
	s_cbranch_vccz .LBB104_178
; %bb.177:
	s_lshl_b64 s[0:1], s[2:3], 2
	s_add_u32 s0, s6, s0
	s_addc_u32 s1, s7, s1
	v_mov_b32_e32 v1, 0
	global_load_dword v1, v1, s[0:1]
	s_waitcnt vmcnt(0)
	v_cmp_ne_u32_e32 vcc, 0, v1
	s_cbranch_vccz .LBB104_179
.LBB104_178:
	s_endpgm
.LBB104_179:
	v_mov_b32_e32 v1, 0x150
	v_lshl_add_u32 v1, v0, 3, v1
	v_cmp_eq_u32_e32 vcc, 40, v0
	s_and_saveexec_b64 s[0:1], vcc
	s_cbranch_execz .LBB104_181
; %bb.180:
	scratch_load_dwordx2 v[2:3], off, off offset:312
	v_mov_b32_e32 v4, 0
	v_mov_b32_e32 v5, v4
	scratch_store_dwordx2 off, v[4:5], off offset:312
	s_waitcnt vmcnt(1)
	ds_write_b64 v1, v[2:3]
.LBB104_181:
	s_or_b64 exec, exec, s[0:1]
	s_waitcnt lgkmcnt(0)
	; wave barrier
	scratch_load_dwordx2 v[4:5], off, off offset:320
	scratch_load_dwordx2 v[6:7], off, off offset:312
	v_mov_b32_e32 v2, 0
	ds_read_b64 v[8:9], v2 offset:656
	v_cmp_lt_u32_e32 vcc, 38, v0
	s_waitcnt vmcnt(1) lgkmcnt(0)
	v_pk_mul_f32 v[10:11], v[8:9], v[4:5] op_sel:[1,1] op_sel_hi:[0,1]
	v_pk_fma_f32 v[12:13], v[8:9], v[4:5], v[10:11] neg_lo:[0,0,1] neg_hi:[0,0,1]
	v_pk_fma_f32 v[4:5], v[8:9], v[4:5], v[10:11] op_sel_hi:[1,0,1]
	s_nop 0
	v_mov_b32_e32 v13, v5
	v_pk_add_f32 v[4:5], v[12:13], 0 op_sel_hi:[1,0]
	s_waitcnt vmcnt(0)
	v_pk_add_f32 v[4:5], v[6:7], v[4:5] neg_lo:[0,1] neg_hi:[0,1]
	scratch_store_dwordx2 off, v[4:5], off offset:312
	s_and_saveexec_b64 s[0:1], vcc
	s_cbranch_execz .LBB104_183
; %bb.182:
	scratch_load_dwordx2 v[4:5], off, off offset:304
	v_mov_b32_e32 v3, v2
	scratch_store_dwordx2 off, v[2:3], off offset:304
	s_waitcnt vmcnt(1)
	ds_write_b64 v1, v[4:5]
.LBB104_183:
	s_or_b64 exec, exec, s[0:1]
	s_waitcnt lgkmcnt(0)
	; wave barrier
	scratch_load_dwordx4 v[4:7], off, off offset:312
	scratch_load_dwordx2 v[12:13], off, off offset:304
	ds_read2_b64 v[8:11], v2 offset0:81 offset1:82
	v_cmp_lt_u32_e32 vcc, 37, v0
	s_waitcnt vmcnt(1) lgkmcnt(0)
	v_pk_mul_f32 v[2:3], v[8:9], v[4:5] op_sel:[1,1] op_sel_hi:[0,1]
	v_mov_b32_e32 v14, v7
	v_pk_fma_f32 v[16:17], v[8:9], v[4:5], v[2:3] neg_lo:[0,0,1] neg_hi:[0,0,1]
	v_pk_fma_f32 v[2:3], v[8:9], v[4:5], v[2:3] op_sel_hi:[1,0,1]
	v_pk_mul_f32 v[4:5], v[10:11], v[14:15] op_sel:[1,0] op_sel_hi:[0,0]
	v_mov_b32_e32 v17, v3
	v_pk_fma_f32 v[2:3], v[10:11], v[6:7], v[4:5] neg_lo:[0,0,1] neg_hi:[0,0,1]
	v_pk_fma_f32 v[4:5], v[10:11], v[6:7], v[4:5] op_sel_hi:[1,0,1]
	v_pk_add_f32 v[6:7], v[16:17], 0 op_sel_hi:[1,0]
	v_mov_b32_e32 v3, v5
	v_pk_add_f32 v[2:3], v[6:7], v[2:3]
	s_waitcnt vmcnt(0)
	v_pk_add_f32 v[2:3], v[12:13], v[2:3] neg_lo:[0,1] neg_hi:[0,1]
	scratch_store_dwordx2 off, v[2:3], off offset:304
	s_and_saveexec_b64 s[0:1], vcc
	s_cbranch_execz .LBB104_185
; %bb.184:
	scratch_load_dwordx2 v[2:3], off, off offset:296
	v_mov_b32_e32 v4, 0
	v_mov_b32_e32 v5, v4
	scratch_store_dwordx2 off, v[4:5], off offset:296
	s_waitcnt vmcnt(1)
	ds_write_b64 v1, v[2:3]
.LBB104_185:
	s_or_b64 exec, exec, s[0:1]
	s_waitcnt lgkmcnt(0)
	; wave barrier
	scratch_load_dwordx4 v[4:7], off, off offset:304
	scratch_load_dwordx2 v[12:13], off, off offset:320
	scratch_load_dwordx2 v[14:15], off, off offset:296
	v_mov_b32_e32 v2, 0
	ds_read_b128 v[8:11], v2 offset:640
	ds_read_b64 v[16:17], v2 offset:656
	v_cmp_lt_u32_e32 vcc, 36, v0
	s_waitcnt vmcnt(2) lgkmcnt(1)
	v_pk_mul_f32 v[18:19], v[8:9], v[4:5] op_sel:[1,1] op_sel_hi:[0,1]
	v_mov_b32_e32 v20, v7
	v_pk_fma_f32 v[24:25], v[8:9], v[4:5], v[18:19] neg_lo:[0,0,1] neg_hi:[0,0,1]
	v_pk_fma_f32 v[4:5], v[8:9], v[4:5], v[18:19] op_sel_hi:[1,0,1]
	v_pk_mul_f32 v[8:9], v[10:11], v[20:21] op_sel:[1,0] op_sel_hi:[0,0]
	s_waitcnt vmcnt(1) lgkmcnt(0)
	v_pk_mul_f32 v[22:23], v[16:17], v[12:13] op_sel:[1,1] op_sel_hi:[0,1]
	v_mov_b32_e32 v25, v5
	v_pk_fma_f32 v[4:5], v[10:11], v[6:7], v[8:9] neg_lo:[0,0,1] neg_hi:[0,0,1]
	v_pk_fma_f32 v[6:7], v[10:11], v[6:7], v[8:9] op_sel_hi:[1,0,1]
	v_pk_fma_f32 v[18:19], v[16:17], v[12:13], v[22:23] neg_lo:[0,0,1] neg_hi:[0,0,1]
	v_pk_fma_f32 v[12:13], v[16:17], v[12:13], v[22:23] op_sel_hi:[1,0,1]
	v_pk_add_f32 v[8:9], v[24:25], 0 op_sel_hi:[1,0]
	v_mov_b32_e32 v5, v7
	v_mov_b32_e32 v19, v13
	v_pk_add_f32 v[4:5], v[8:9], v[4:5]
	s_nop 0
	v_pk_add_f32 v[4:5], v[4:5], v[18:19]
	s_waitcnt vmcnt(0)
	v_pk_add_f32 v[4:5], v[14:15], v[4:5] neg_lo:[0,1] neg_hi:[0,1]
	scratch_store_dwordx2 off, v[4:5], off offset:296
	s_and_saveexec_b64 s[0:1], vcc
	s_cbranch_execz .LBB104_187
; %bb.186:
	scratch_load_dwordx2 v[4:5], off, off offset:288
	v_mov_b32_e32 v3, v2
	scratch_store_dwordx2 off, v[2:3], off offset:288
	s_waitcnt vmcnt(1)
	ds_write_b64 v1, v[4:5]
.LBB104_187:
	s_or_b64 exec, exec, s[0:1]
	s_waitcnt lgkmcnt(0)
	; wave barrier
	scratch_load_dwordx4 v[4:7], off, off offset:296
	scratch_load_dwordx4 v[8:11], off, off offset:312
	scratch_load_dwordx2 v[20:21], off, off offset:288
	ds_read2_b64 v[12:15], v2 offset0:79 offset1:80
	ds_read2_b64 v[16:19], v2 offset0:81 offset1:82
	v_cmp_lt_u32_e32 vcc, 35, v0
	s_waitcnt vmcnt(2) lgkmcnt(1)
	v_pk_mul_f32 v[2:3], v[12:13], v[4:5] op_sel:[1,1] op_sel_hi:[0,1]
	v_mov_b32_e32 v22, v7
	s_waitcnt vmcnt(1) lgkmcnt(0)
	v_pk_mul_f32 v[24:25], v[16:17], v[8:9] op_sel:[1,1] op_sel_hi:[0,1]
	v_mov_b32_e32 v26, v11
	v_pk_fma_f32 v[28:29], v[12:13], v[4:5], v[2:3] neg_lo:[0,0,1] neg_hi:[0,0,1]
	v_pk_fma_f32 v[2:3], v[12:13], v[4:5], v[2:3] op_sel_hi:[1,0,1]
	v_pk_mul_f32 v[4:5], v[14:15], v[22:23] op_sel:[1,0] op_sel_hi:[0,0]
	v_pk_fma_f32 v[12:13], v[16:17], v[8:9], v[24:25] neg_lo:[0,0,1] neg_hi:[0,0,1]
	v_pk_fma_f32 v[8:9], v[16:17], v[8:9], v[24:25] op_sel_hi:[1,0,1]
	v_pk_mul_f32 v[16:17], v[18:19], v[26:27] op_sel:[1,0] op_sel_hi:[0,0]
	v_mov_b32_e32 v29, v3
	v_pk_fma_f32 v[2:3], v[14:15], v[6:7], v[4:5] neg_lo:[0,0,1] neg_hi:[0,0,1]
	v_pk_fma_f32 v[4:5], v[14:15], v[6:7], v[4:5] op_sel_hi:[1,0,1]
	v_mov_b32_e32 v13, v9
	v_pk_fma_f32 v[6:7], v[18:19], v[10:11], v[16:17] neg_lo:[0,0,1] neg_hi:[0,0,1]
	v_pk_fma_f32 v[8:9], v[18:19], v[10:11], v[16:17] op_sel_hi:[1,0,1]
	v_pk_add_f32 v[10:11], v[28:29], 0 op_sel_hi:[1,0]
	v_mov_b32_e32 v3, v5
	v_pk_add_f32 v[2:3], v[10:11], v[2:3]
	v_mov_b32_e32 v7, v9
	v_pk_add_f32 v[2:3], v[2:3], v[12:13]
	s_nop 0
	v_pk_add_f32 v[2:3], v[2:3], v[6:7]
	s_waitcnt vmcnt(0)
	v_pk_add_f32 v[2:3], v[20:21], v[2:3] neg_lo:[0,1] neg_hi:[0,1]
	scratch_store_dwordx2 off, v[2:3], off offset:288
	s_and_saveexec_b64 s[0:1], vcc
	s_cbranch_execz .LBB104_189
; %bb.188:
	scratch_load_dwordx2 v[2:3], off, off offset:280
	v_mov_b32_e32 v4, 0
	v_mov_b32_e32 v5, v4
	scratch_store_dwordx2 off, v[4:5], off offset:280
	s_waitcnt vmcnt(1)
	ds_write_b64 v1, v[2:3]
.LBB104_189:
	s_or_b64 exec, exec, s[0:1]
	s_waitcnt lgkmcnt(0)
	; wave barrier
	scratch_load_dwordx4 v[4:7], off, off offset:288
	scratch_load_dwordx4 v[8:11], off, off offset:304
	scratch_load_dwordx2 v[20:21], off, off offset:320
	scratch_load_dwordx2 v[22:23], off, off offset:280
	v_mov_b32_e32 v2, 0
	ds_read_b128 v[12:15], v2 offset:624
	ds_read_b128 v[16:19], v2 offset:640
	ds_read_b64 v[24:25], v2 offset:656
	v_cmp_lt_u32_e32 vcc, 34, v0
	s_waitcnt vmcnt(3) lgkmcnt(2)
	v_pk_mul_f32 v[26:27], v[12:13], v[4:5] op_sel:[1,1] op_sel_hi:[0,1]
	v_mov_b32_e32 v28, v7
	v_pk_fma_f32 v[36:37], v[12:13], v[4:5], v[26:27] neg_lo:[0,0,1] neg_hi:[0,0,1]
	v_pk_fma_f32 v[4:5], v[12:13], v[4:5], v[26:27] op_sel_hi:[1,0,1]
	v_pk_mul_f32 v[12:13], v[14:15], v[28:29] op_sel:[1,0] op_sel_hi:[0,0]
	s_waitcnt vmcnt(2) lgkmcnt(1)
	v_pk_mul_f32 v[30:31], v[16:17], v[8:9] op_sel:[1,1] op_sel_hi:[0,1]
	v_mov_b32_e32 v32, v11
	v_mov_b32_e32 v37, v5
	v_pk_fma_f32 v[4:5], v[14:15], v[6:7], v[12:13] neg_lo:[0,0,1] neg_hi:[0,0,1]
	v_pk_fma_f32 v[6:7], v[14:15], v[6:7], v[12:13] op_sel_hi:[1,0,1]
	v_pk_fma_f32 v[26:27], v[16:17], v[8:9], v[30:31] neg_lo:[0,0,1] neg_hi:[0,0,1]
	v_pk_fma_f32 v[8:9], v[16:17], v[8:9], v[30:31] op_sel_hi:[1,0,1]
	v_pk_mul_f32 v[16:17], v[18:19], v[32:33] op_sel:[1,0] op_sel_hi:[0,0]
	v_pk_add_f32 v[12:13], v[36:37], 0 op_sel_hi:[1,0]
	v_mov_b32_e32 v5, v7
	s_waitcnt vmcnt(1) lgkmcnt(0)
	v_pk_mul_f32 v[34:35], v[24:25], v[20:21] op_sel:[1,1] op_sel_hi:[0,1]
	v_mov_b32_e32 v27, v9
	v_pk_fma_f32 v[8:9], v[18:19], v[10:11], v[16:17] neg_lo:[0,0,1] neg_hi:[0,0,1]
	v_pk_fma_f32 v[10:11], v[18:19], v[10:11], v[16:17] op_sel_hi:[1,0,1]
	v_pk_add_f32 v[4:5], v[12:13], v[4:5]
	v_pk_fma_f32 v[28:29], v[24:25], v[20:21], v[34:35] neg_lo:[0,0,1] neg_hi:[0,0,1]
	v_pk_fma_f32 v[20:21], v[24:25], v[20:21], v[34:35] op_sel_hi:[1,0,1]
	v_mov_b32_e32 v9, v11
	v_pk_add_f32 v[4:5], v[4:5], v[26:27]
	v_mov_b32_e32 v29, v21
	v_pk_add_f32 v[4:5], v[4:5], v[8:9]
	s_nop 0
	v_pk_add_f32 v[4:5], v[4:5], v[28:29]
	s_waitcnt vmcnt(0)
	v_pk_add_f32 v[4:5], v[22:23], v[4:5] neg_lo:[0,1] neg_hi:[0,1]
	scratch_store_dwordx2 off, v[4:5], off offset:280
	s_and_saveexec_b64 s[0:1], vcc
	s_cbranch_execz .LBB104_191
; %bb.190:
	scratch_load_dwordx2 v[4:5], off, off offset:272
	v_mov_b32_e32 v3, v2
	scratch_store_dwordx2 off, v[2:3], off offset:272
	s_waitcnt vmcnt(1)
	ds_write_b64 v1, v[4:5]
.LBB104_191:
	s_or_b64 exec, exec, s[0:1]
	s_waitcnt lgkmcnt(0)
	; wave barrier
	scratch_load_dwordx4 v[4:7], off, off offset:280
	scratch_load_dwordx4 v[8:11], off, off offset:296
	;; [unrolled: 1-line block ×3, first 2 shown]
	scratch_load_dwordx2 v[28:29], off, off offset:272
	ds_read2_b64 v[16:19], v2 offset0:77 offset1:78
	ds_read2_b64 v[20:23], v2 offset0:79 offset1:80
	;; [unrolled: 1-line block ×3, first 2 shown]
	v_cmp_lt_u32_e32 vcc, 33, v0
	s_waitcnt vmcnt(3) lgkmcnt(2)
	v_pk_mul_f32 v[2:3], v[16:17], v[4:5] op_sel:[1,1] op_sel_hi:[0,1]
	v_mov_b32_e32 v30, v7
	s_waitcnt vmcnt(2) lgkmcnt(1)
	v_pk_mul_f32 v[32:33], v[20:21], v[8:9] op_sel:[1,1] op_sel_hi:[0,1]
	v_mov_b32_e32 v34, v11
	s_waitcnt vmcnt(1) lgkmcnt(0)
	v_pk_mul_f32 v[36:37], v[24:25], v[12:13] op_sel:[1,1] op_sel_hi:[0,1]
	v_mov_b32_e32 v38, v15
	v_pk_fma_f32 v[40:41], v[16:17], v[4:5], v[2:3] neg_lo:[0,0,1] neg_hi:[0,0,1]
	v_pk_fma_f32 v[2:3], v[16:17], v[4:5], v[2:3] op_sel_hi:[1,0,1]
	v_pk_mul_f32 v[4:5], v[18:19], v[30:31] op_sel:[1,0] op_sel_hi:[0,0]
	v_pk_fma_f32 v[16:17], v[20:21], v[8:9], v[32:33] neg_lo:[0,0,1] neg_hi:[0,0,1]
	v_pk_fma_f32 v[8:9], v[20:21], v[8:9], v[32:33] op_sel_hi:[1,0,1]
	v_pk_mul_f32 v[20:21], v[22:23], v[34:35] op_sel:[1,0] op_sel_hi:[0,0]
	;; [unrolled: 3-line block ×3, first 2 shown]
	v_mov_b32_e32 v41, v3
	v_pk_fma_f32 v[2:3], v[18:19], v[6:7], v[4:5] neg_lo:[0,0,1] neg_hi:[0,0,1]
	v_pk_fma_f32 v[4:5], v[18:19], v[6:7], v[4:5] op_sel_hi:[1,0,1]
	v_mov_b32_e32 v17, v9
	v_pk_fma_f32 v[6:7], v[22:23], v[10:11], v[20:21] neg_lo:[0,0,1] neg_hi:[0,0,1]
	v_pk_fma_f32 v[8:9], v[22:23], v[10:11], v[20:21] op_sel_hi:[1,0,1]
	;; [unrolled: 3-line block ×3, first 2 shown]
	v_pk_add_f32 v[14:15], v[40:41], 0 op_sel_hi:[1,0]
	v_mov_b32_e32 v3, v5
	v_pk_add_f32 v[2:3], v[14:15], v[2:3]
	v_mov_b32_e32 v7, v9
	v_pk_add_f32 v[2:3], v[2:3], v[16:17]
	;; [unrolled: 2-line block ×3, first 2 shown]
	s_nop 0
	v_pk_add_f32 v[2:3], v[2:3], v[30:31]
	s_nop 0
	v_pk_add_f32 v[2:3], v[2:3], v[10:11]
	s_waitcnt vmcnt(0)
	v_pk_add_f32 v[2:3], v[28:29], v[2:3] neg_lo:[0,1] neg_hi:[0,1]
	scratch_store_dwordx2 off, v[2:3], off offset:272
	s_and_saveexec_b64 s[0:1], vcc
	s_cbranch_execz .LBB104_193
; %bb.192:
	scratch_load_dwordx2 v[2:3], off, off offset:264
	v_mov_b32_e32 v4, 0
	v_mov_b32_e32 v5, v4
	scratch_store_dwordx2 off, v[4:5], off offset:264
	s_waitcnt vmcnt(1)
	ds_write_b64 v1, v[2:3]
.LBB104_193:
	s_or_b64 exec, exec, s[0:1]
	s_waitcnt lgkmcnt(0)
	; wave barrier
	scratch_load_dwordx4 v[4:7], off, off offset:272
	scratch_load_dwordx4 v[8:11], off, off offset:288
	;; [unrolled: 1-line block ×3, first 2 shown]
	scratch_load_dwordx2 v[28:29], off, off offset:320
	v_mov_b32_e32 v2, 0
	ds_read_b128 v[16:19], v2 offset:608
	ds_read_b128 v[20:23], v2 offset:624
	ds_read_b128 v[24:27], v2 offset:640
	ds_read_b64 v[30:31], v2 offset:656
	v_cmp_lt_u32_e32 vcc, 32, v0
	s_waitcnt vmcnt(3) lgkmcnt(3)
	v_pk_mul_f32 v[32:33], v[16:17], v[4:5] op_sel:[1,1] op_sel_hi:[0,1]
	v_pk_fma_f32 v[34:35], v[16:17], v[4:5], v[32:33] neg_lo:[0,0,1] neg_hi:[0,0,1]
	v_pk_fma_f32 v[4:5], v[16:17], v[4:5], v[32:33] op_sel_hi:[1,0,1]
	v_mov_b32_e32 v16, v7
	v_pk_mul_f32 v[16:17], v[18:19], v[16:17] op_sel:[1,0] op_sel_hi:[0,0]
	v_pk_fma_f32 v[32:33], v[18:19], v[6:7], v[16:17] neg_lo:[0,0,1] neg_hi:[0,0,1]
	v_pk_fma_f32 v[6:7], v[18:19], v[6:7], v[16:17] op_sel_hi:[1,0,1]
	v_mov_b32_e32 v35, v5
	v_mov_b32_e32 v33, v7
	s_waitcnt vmcnt(2) lgkmcnt(2)
	v_pk_mul_f32 v[6:7], v[20:21], v[8:9] op_sel:[1,1] op_sel_hi:[0,1]
	v_pk_fma_f32 v[16:17], v[20:21], v[8:9], v[6:7] neg_lo:[0,0,1] neg_hi:[0,0,1]
	v_pk_fma_f32 v[6:7], v[20:21], v[8:9], v[6:7] op_sel_hi:[1,0,1]
	v_pk_add_f32 v[4:5], v[34:35], 0 op_sel_hi:[1,0]
	v_mov_b32_e32 v6, v11
	v_mov_b32_e32 v17, v7
	v_pk_mul_f32 v[6:7], v[22:23], v[6:7] op_sel:[1,0] op_sel_hi:[0,0]
	v_pk_add_f32 v[4:5], v[4:5], v[32:33]
	v_pk_fma_f32 v[8:9], v[22:23], v[10:11], v[6:7] neg_lo:[0,0,1] neg_hi:[0,0,1]
	v_pk_fma_f32 v[6:7], v[22:23], v[10:11], v[6:7] op_sel_hi:[1,0,1]
	v_pk_add_f32 v[4:5], v[4:5], v[16:17]
	v_mov_b32_e32 v9, v7
	s_waitcnt vmcnt(1) lgkmcnt(1)
	v_pk_mul_f32 v[6:7], v[24:25], v[12:13] op_sel:[1,1] op_sel_hi:[0,1]
	v_pk_add_f32 v[4:5], v[4:5], v[8:9]
	v_pk_fma_f32 v[8:9], v[24:25], v[12:13], v[6:7] neg_lo:[0,0,1] neg_hi:[0,0,1]
	v_pk_fma_f32 v[6:7], v[24:25], v[12:13], v[6:7] op_sel_hi:[1,0,1]
	s_nop 0
	v_mov_b32_e32 v6, v15
	v_mov_b32_e32 v9, v7
	v_pk_mul_f32 v[6:7], v[26:27], v[6:7] op_sel:[1,0] op_sel_hi:[0,0]
	v_pk_add_f32 v[4:5], v[4:5], v[8:9]
	v_pk_fma_f32 v[8:9], v[26:27], v[14:15], v[6:7] neg_lo:[0,0,1] neg_hi:[0,0,1]
	v_pk_fma_f32 v[6:7], v[26:27], v[14:15], v[6:7] op_sel_hi:[1,0,1]
	s_nop 0
	v_mov_b32_e32 v9, v7
	s_waitcnt vmcnt(0) lgkmcnt(0)
	v_pk_mul_f32 v[6:7], v[30:31], v[28:29] op_sel:[1,1] op_sel_hi:[0,1]
	v_pk_add_f32 v[4:5], v[4:5], v[8:9]
	v_pk_fma_f32 v[8:9], v[30:31], v[28:29], v[6:7] neg_lo:[0,0,1] neg_hi:[0,0,1]
	v_pk_fma_f32 v[6:7], v[30:31], v[28:29], v[6:7] op_sel_hi:[1,0,1]
	s_nop 0
	v_mov_b32_e32 v9, v7
	scratch_load_dwordx2 v[6:7], off, off offset:264
	v_pk_add_f32 v[4:5], v[4:5], v[8:9]
	s_waitcnt vmcnt(0)
	v_pk_add_f32 v[4:5], v[6:7], v[4:5] neg_lo:[0,1] neg_hi:[0,1]
	scratch_store_dwordx2 off, v[4:5], off offset:264
	s_and_saveexec_b64 s[0:1], vcc
	s_cbranch_execz .LBB104_195
; %bb.194:
	scratch_load_dwordx2 v[4:5], off, off offset:256
	v_mov_b32_e32 v3, v2
	scratch_store_dwordx2 off, v[2:3], off offset:256
	s_waitcnt vmcnt(1)
	ds_write_b64 v1, v[4:5]
.LBB104_195:
	s_or_b64 exec, exec, s[0:1]
	s_waitcnt lgkmcnt(0)
	; wave barrier
	scratch_load_dwordx4 v[4:7], off, off offset:264
	scratch_load_dwordx4 v[8:11], off, off offset:280
	;; [unrolled: 1-line block ×4, first 2 shown]
	ds_read2_b64 v[20:23], v2 offset0:75 offset1:76
	ds_read2_b64 v[24:27], v2 offset0:77 offset1:78
	;; [unrolled: 1-line block ×4, first 2 shown]
	v_cmp_lt_u32_e32 vcc, 31, v0
	s_waitcnt vmcnt(3) lgkmcnt(3)
	v_pk_mul_f32 v[2:3], v[20:21], v[4:5] op_sel:[1,1] op_sel_hi:[0,1]
	v_pk_fma_f32 v[36:37], v[20:21], v[4:5], v[2:3] neg_lo:[0,0,1] neg_hi:[0,0,1]
	v_pk_fma_f32 v[2:3], v[20:21], v[4:5], v[2:3] op_sel_hi:[1,0,1]
	v_mov_b32_e32 v4, v7
	v_pk_mul_f32 v[4:5], v[22:23], v[4:5] op_sel:[1,0] op_sel_hi:[0,0]
	v_pk_fma_f32 v[20:21], v[22:23], v[6:7], v[4:5] neg_lo:[0,0,1] neg_hi:[0,0,1]
	v_pk_fma_f32 v[4:5], v[22:23], v[6:7], v[4:5] op_sel_hi:[1,0,1]
	v_mov_b32_e32 v37, v3
	v_mov_b32_e32 v21, v5
	s_waitcnt vmcnt(2) lgkmcnt(2)
	v_pk_mul_f32 v[4:5], v[24:25], v[8:9] op_sel:[1,1] op_sel_hi:[0,1]
	v_pk_fma_f32 v[6:7], v[24:25], v[8:9], v[4:5] neg_lo:[0,0,1] neg_hi:[0,0,1]
	v_pk_fma_f32 v[4:5], v[24:25], v[8:9], v[4:5] op_sel_hi:[1,0,1]
	v_pk_add_f32 v[2:3], v[36:37], 0 op_sel_hi:[1,0]
	v_mov_b32_e32 v4, v11
	v_pk_add_f32 v[2:3], v[2:3], v[20:21]
	v_mov_b32_e32 v7, v5
	v_pk_mul_f32 v[4:5], v[26:27], v[4:5] op_sel:[1,0] op_sel_hi:[0,0]
	v_pk_add_f32 v[2:3], v[2:3], v[6:7]
	v_pk_fma_f32 v[6:7], v[26:27], v[10:11], v[4:5] neg_lo:[0,0,1] neg_hi:[0,0,1]
	v_pk_fma_f32 v[4:5], v[26:27], v[10:11], v[4:5] op_sel_hi:[1,0,1]
	s_nop 0
	v_mov_b32_e32 v7, v5
	s_waitcnt vmcnt(1) lgkmcnt(1)
	v_pk_mul_f32 v[4:5], v[28:29], v[12:13] op_sel:[1,1] op_sel_hi:[0,1]
	v_pk_add_f32 v[2:3], v[2:3], v[6:7]
	v_pk_fma_f32 v[6:7], v[28:29], v[12:13], v[4:5] neg_lo:[0,0,1] neg_hi:[0,0,1]
	v_pk_fma_f32 v[4:5], v[28:29], v[12:13], v[4:5] op_sel_hi:[1,0,1]
	s_nop 0
	v_mov_b32_e32 v4, v15
	v_mov_b32_e32 v7, v5
	v_pk_mul_f32 v[4:5], v[30:31], v[4:5] op_sel:[1,0] op_sel_hi:[0,0]
	v_pk_add_f32 v[2:3], v[2:3], v[6:7]
	v_pk_fma_f32 v[6:7], v[30:31], v[14:15], v[4:5] neg_lo:[0,0,1] neg_hi:[0,0,1]
	v_pk_fma_f32 v[4:5], v[30:31], v[14:15], v[4:5] op_sel_hi:[1,0,1]
	s_nop 0
	v_mov_b32_e32 v7, v5
	s_waitcnt vmcnt(0) lgkmcnt(0)
	v_pk_mul_f32 v[4:5], v[32:33], v[16:17] op_sel:[1,1] op_sel_hi:[0,1]
	v_pk_add_f32 v[2:3], v[2:3], v[6:7]
	v_pk_fma_f32 v[6:7], v[32:33], v[16:17], v[4:5] neg_lo:[0,0,1] neg_hi:[0,0,1]
	v_pk_fma_f32 v[4:5], v[32:33], v[16:17], v[4:5] op_sel_hi:[1,0,1]
	s_nop 0
	v_mov_b32_e32 v4, v19
	v_mov_b32_e32 v7, v5
	v_pk_mul_f32 v[4:5], v[34:35], v[4:5] op_sel:[1,0] op_sel_hi:[0,0]
	v_pk_add_f32 v[2:3], v[2:3], v[6:7]
	v_pk_fma_f32 v[6:7], v[34:35], v[18:19], v[4:5] neg_lo:[0,0,1] neg_hi:[0,0,1]
	v_pk_fma_f32 v[4:5], v[34:35], v[18:19], v[4:5] op_sel_hi:[1,0,1]
	s_nop 0
	v_mov_b32_e32 v7, v5
	scratch_load_dwordx2 v[4:5], off, off offset:256
	v_pk_add_f32 v[2:3], v[2:3], v[6:7]
	s_waitcnt vmcnt(0)
	v_pk_add_f32 v[2:3], v[4:5], v[2:3] neg_lo:[0,1] neg_hi:[0,1]
	scratch_store_dwordx2 off, v[2:3], off offset:256
	s_and_saveexec_b64 s[0:1], vcc
	s_cbranch_execz .LBB104_197
; %bb.196:
	scratch_load_dwordx2 v[2:3], off, off offset:248
	v_mov_b32_e32 v4, 0
	v_mov_b32_e32 v5, v4
	scratch_store_dwordx2 off, v[4:5], off offset:248
	s_waitcnt vmcnt(1)
	ds_write_b64 v1, v[2:3]
.LBB104_197:
	s_or_b64 exec, exec, s[0:1]
	v_mov_b32_e32 v2, 0
	s_waitcnt lgkmcnt(0)
	; wave barrier
	ds_read_b128 v[4:7], v2 offset:592
	ds_read_b128 v[8:11], v2 offset:608
	;; [unrolled: 1-line block ×4, first 2 shown]
	scratch_load_dwordx4 v[20:23], off, off offset:256
	scratch_load_dwordx4 v[24:27], off, off offset:272
	;; [unrolled: 1-line block ×4, first 2 shown]
	scratch_load_dwordx2 v[38:39], off, off offset:320
	v_cmp_lt_u32_e32 vcc, 30, v0
	s_waitcnt vmcnt(4) lgkmcnt(3)
	v_mul_f32_e32 v37, v4, v21
	v_mul_f32_e32 v3, v5, v21
	v_fmac_f32_e32 v37, v5, v20
	v_fma_f32 v36, v4, v20, -v3
	v_pk_add_f32 v[20:21], v[36:37], 0 op_sel_hi:[1,0]
	v_mov_b32_e32 v36, v23
	v_pk_mul_f32 v[36:37], v[6:7], v[36:37] op_sel:[1,0] op_sel_hi:[0,0]
	v_pk_fma_f32 v[40:41], v[6:7], v[22:23], v[36:37] neg_lo:[0,0,1] neg_hi:[0,0,1]
	v_pk_fma_f32 v[6:7], v[6:7], v[22:23], v[36:37] op_sel_hi:[1,0,1]
	ds_read_b64 v[4:5], v2 offset:656
	v_mov_b32_e32 v41, v7
	v_pk_add_f32 v[6:7], v[20:21], v[40:41]
	s_waitcnt vmcnt(3) lgkmcnt(3)
	v_pk_mul_f32 v[20:21], v[8:9], v[24:25] op_sel:[1,1] op_sel_hi:[0,1]
	v_pk_fma_f32 v[22:23], v[8:9], v[24:25], v[20:21] neg_lo:[0,0,1] neg_hi:[0,0,1]
	v_pk_fma_f32 v[8:9], v[8:9], v[24:25], v[20:21] op_sel_hi:[1,0,1]
	s_nop 0
	v_mov_b32_e32 v8, v27
	v_mov_b32_e32 v23, v9
	v_pk_mul_f32 v[8:9], v[10:11], v[8:9] op_sel:[1,0] op_sel_hi:[0,0]
	v_pk_fma_f32 v[20:21], v[10:11], v[26:27], v[8:9] neg_lo:[0,0,1] neg_hi:[0,0,1]
	v_pk_fma_f32 v[8:9], v[10:11], v[26:27], v[8:9] op_sel_hi:[1,0,1]
	v_pk_add_f32 v[6:7], v[6:7], v[22:23]
	v_mov_b32_e32 v21, v9
	s_waitcnt vmcnt(2) lgkmcnt(2)
	v_pk_mul_f32 v[8:9], v[12:13], v[28:29] op_sel:[1,1] op_sel_hi:[0,1]
	v_pk_fma_f32 v[10:11], v[12:13], v[28:29], v[8:9] neg_lo:[0,0,1] neg_hi:[0,0,1]
	v_pk_fma_f32 v[8:9], v[12:13], v[28:29], v[8:9] op_sel_hi:[1,0,1]
	v_pk_add_f32 v[6:7], v[6:7], v[20:21]
	v_mov_b32_e32 v8, v31
	v_mov_b32_e32 v11, v9
	v_pk_mul_f32 v[8:9], v[14:15], v[8:9] op_sel:[1,0] op_sel_hi:[0,0]
	v_pk_add_f32 v[6:7], v[6:7], v[10:11]
	v_pk_fma_f32 v[10:11], v[14:15], v[30:31], v[8:9] neg_lo:[0,0,1] neg_hi:[0,0,1]
	v_pk_fma_f32 v[8:9], v[14:15], v[30:31], v[8:9] op_sel_hi:[1,0,1]
	s_nop 0
	v_mov_b32_e32 v11, v9
	s_waitcnt vmcnt(1) lgkmcnt(1)
	v_pk_mul_f32 v[8:9], v[16:17], v[32:33] op_sel:[1,1] op_sel_hi:[0,1]
	v_pk_add_f32 v[6:7], v[6:7], v[10:11]
	v_pk_fma_f32 v[10:11], v[16:17], v[32:33], v[8:9] neg_lo:[0,0,1] neg_hi:[0,0,1]
	v_pk_fma_f32 v[8:9], v[16:17], v[32:33], v[8:9] op_sel_hi:[1,0,1]
	s_nop 0
	v_mov_b32_e32 v8, v35
	v_mov_b32_e32 v11, v9
	v_pk_mul_f32 v[8:9], v[18:19], v[8:9] op_sel:[1,0] op_sel_hi:[0,0]
	v_pk_add_f32 v[6:7], v[6:7], v[10:11]
	v_pk_fma_f32 v[10:11], v[18:19], v[34:35], v[8:9] neg_lo:[0,0,1] neg_hi:[0,0,1]
	v_pk_fma_f32 v[8:9], v[18:19], v[34:35], v[8:9] op_sel_hi:[1,0,1]
	s_nop 0
	v_mov_b32_e32 v11, v9
	s_waitcnt vmcnt(0) lgkmcnt(0)
	v_pk_mul_f32 v[8:9], v[4:5], v[38:39] op_sel:[1,1] op_sel_hi:[0,1]
	v_pk_add_f32 v[6:7], v[6:7], v[10:11]
	v_pk_fma_f32 v[10:11], v[4:5], v[38:39], v[8:9] neg_lo:[0,0,1] neg_hi:[0,0,1]
	v_pk_fma_f32 v[4:5], v[4:5], v[38:39], v[8:9] op_sel_hi:[1,0,1]
	s_nop 0
	v_mov_b32_e32 v11, v5
	v_pk_add_f32 v[4:5], v[6:7], v[10:11]
	scratch_load_dwordx2 v[6:7], off, off offset:248
	s_waitcnt vmcnt(0)
	v_pk_add_f32 v[4:5], v[6:7], v[4:5] neg_lo:[0,1] neg_hi:[0,1]
	scratch_store_dwordx2 off, v[4:5], off offset:248
	s_and_saveexec_b64 s[0:1], vcc
	s_cbranch_execz .LBB104_199
; %bb.198:
	scratch_load_dwordx2 v[4:5], off, off offset:240
	v_mov_b32_e32 v3, v2
	scratch_store_dwordx2 off, v[2:3], off offset:240
	s_waitcnt vmcnt(1)
	ds_write_b64 v1, v[4:5]
.LBB104_199:
	s_or_b64 exec, exec, s[0:1]
	s_waitcnt lgkmcnt(0)
	; wave barrier
	scratch_load_dwordx4 v[8:11], off, off offset:248
	ds_read2_b64 v[4:7], v2 offset0:73 offset1:74
	scratch_load_dwordx4 v[12:15], off, off offset:264
	scratch_load_dwordx4 v[16:19], off, off offset:280
	;; [unrolled: 1-line block ×4, first 2 shown]
	v_cmp_lt_u32_e32 vcc, 29, v0
	s_waitcnt vmcnt(4) lgkmcnt(0)
	v_mul_f32_e32 v3, v5, v9
	v_mul_f32_e32 v37, v4, v9
	;; [unrolled: 1-line block ×3, first 2 shown]
	v_fma_f32 v36, v4, v8, -v3
	v_mul_f32_e32 v3, v7, v11
	v_fmac_f32_e32 v37, v5, v8
	v_fmac_f32_e32 v39, v7, v10
	v_fma_f32 v38, v6, v10, -v3
	ds_read2_b64 v[4:7], v2 offset0:75 offset1:76
	ds_read2_b64 v[8:11], v2 offset0:77 offset1:78
	;; [unrolled: 1-line block ×4, first 2 shown]
	v_pk_add_f32 v[2:3], v[36:37], 0 op_sel_hi:[1,0]
	s_waitcnt vmcnt(3) lgkmcnt(3)
	v_pk_mul_f32 v[36:37], v[4:5], v[12:13] op_sel:[1,1] op_sel_hi:[0,1]
	v_pk_add_f32 v[2:3], v[2:3], v[38:39]
	v_pk_fma_f32 v[38:39], v[4:5], v[12:13], v[36:37] neg_lo:[0,0,1] neg_hi:[0,0,1]
	v_pk_fma_f32 v[4:5], v[4:5], v[12:13], v[36:37] op_sel_hi:[1,0,1]
	s_nop 0
	v_mov_b32_e32 v4, v15
	v_mov_b32_e32 v39, v5
	v_pk_mul_f32 v[4:5], v[6:7], v[4:5] op_sel:[1,0] op_sel_hi:[0,0]
	v_pk_fma_f32 v[12:13], v[6:7], v[14:15], v[4:5] neg_lo:[0,0,1] neg_hi:[0,0,1]
	v_pk_fma_f32 v[4:5], v[6:7], v[14:15], v[4:5] op_sel_hi:[1,0,1]
	v_pk_add_f32 v[2:3], v[2:3], v[38:39]
	v_mov_b32_e32 v13, v5
	s_waitcnt vmcnt(2) lgkmcnt(2)
	v_pk_mul_f32 v[4:5], v[8:9], v[16:17] op_sel:[1,1] op_sel_hi:[0,1]
	v_pk_fma_f32 v[6:7], v[8:9], v[16:17], v[4:5] neg_lo:[0,0,1] neg_hi:[0,0,1]
	v_pk_fma_f32 v[4:5], v[8:9], v[16:17], v[4:5] op_sel_hi:[1,0,1]
	v_pk_add_f32 v[2:3], v[2:3], v[12:13]
	v_mov_b32_e32 v4, v19
	v_mov_b32_e32 v7, v5
	v_pk_mul_f32 v[4:5], v[10:11], v[4:5] op_sel:[1,0] op_sel_hi:[0,0]
	v_pk_add_f32 v[2:3], v[2:3], v[6:7]
	v_pk_fma_f32 v[6:7], v[10:11], v[18:19], v[4:5] neg_lo:[0,0,1] neg_hi:[0,0,1]
	v_pk_fma_f32 v[4:5], v[10:11], v[18:19], v[4:5] op_sel_hi:[1,0,1]
	s_nop 0
	v_mov_b32_e32 v7, v5
	s_waitcnt vmcnt(1) lgkmcnt(1)
	v_pk_mul_f32 v[4:5], v[28:29], v[20:21] op_sel:[1,1] op_sel_hi:[0,1]
	v_pk_add_f32 v[2:3], v[2:3], v[6:7]
	v_pk_fma_f32 v[6:7], v[28:29], v[20:21], v[4:5] neg_lo:[0,0,1] neg_hi:[0,0,1]
	v_pk_fma_f32 v[4:5], v[28:29], v[20:21], v[4:5] op_sel_hi:[1,0,1]
	s_nop 0
	v_mov_b32_e32 v4, v23
	v_mov_b32_e32 v7, v5
	v_pk_mul_f32 v[4:5], v[30:31], v[4:5] op_sel:[1,0] op_sel_hi:[0,0]
	v_pk_add_f32 v[2:3], v[2:3], v[6:7]
	v_pk_fma_f32 v[6:7], v[30:31], v[22:23], v[4:5] neg_lo:[0,0,1] neg_hi:[0,0,1]
	v_pk_fma_f32 v[4:5], v[30:31], v[22:23], v[4:5] op_sel_hi:[1,0,1]
	s_nop 0
	v_mov_b32_e32 v7, v5
	s_waitcnt vmcnt(0) lgkmcnt(0)
	v_pk_mul_f32 v[4:5], v[32:33], v[24:25] op_sel:[1,1] op_sel_hi:[0,1]
	v_pk_add_f32 v[2:3], v[2:3], v[6:7]
	v_pk_fma_f32 v[6:7], v[32:33], v[24:25], v[4:5] neg_lo:[0,0,1] neg_hi:[0,0,1]
	v_pk_fma_f32 v[4:5], v[32:33], v[24:25], v[4:5] op_sel_hi:[1,0,1]
	s_nop 0
	v_mov_b32_e32 v4, v27
	v_mov_b32_e32 v7, v5
	v_pk_mul_f32 v[4:5], v[34:35], v[4:5] op_sel:[1,0] op_sel_hi:[0,0]
	v_pk_add_f32 v[2:3], v[2:3], v[6:7]
	v_pk_fma_f32 v[6:7], v[34:35], v[26:27], v[4:5] neg_lo:[0,0,1] neg_hi:[0,0,1]
	v_pk_fma_f32 v[4:5], v[34:35], v[26:27], v[4:5] op_sel_hi:[1,0,1]
	s_nop 0
	v_mov_b32_e32 v7, v5
	scratch_load_dwordx2 v[4:5], off, off offset:240
	v_pk_add_f32 v[2:3], v[2:3], v[6:7]
	s_waitcnt vmcnt(0)
	v_pk_add_f32 v[2:3], v[4:5], v[2:3] neg_lo:[0,1] neg_hi:[0,1]
	scratch_store_dwordx2 off, v[2:3], off offset:240
	s_and_saveexec_b64 s[0:1], vcc
	s_cbranch_execz .LBB104_201
; %bb.200:
	scratch_load_dwordx2 v[2:3], off, off offset:232
	v_mov_b32_e32 v4, 0
	v_mov_b32_e32 v5, v4
	scratch_store_dwordx2 off, v[4:5], off offset:232
	s_waitcnt vmcnt(1)
	ds_write_b64 v1, v[2:3]
.LBB104_201:
	s_or_b64 exec, exec, s[0:1]
	v_mov_b32_e32 v2, 0
	s_waitcnt lgkmcnt(0)
	; wave barrier
	ds_read_b128 v[4:7], v2 offset:576
	ds_read_b128 v[8:11], v2 offset:592
	;; [unrolled: 1-line block ×4, first 2 shown]
	scratch_load_dwordx4 v[20:23], off, off offset:240
	scratch_load_dwordx4 v[24:27], off, off offset:256
	;; [unrolled: 1-line block ×5, first 2 shown]
	scratch_load_dwordx2 v[46:47], off, off offset:320
	v_cmp_lt_u32_e32 vcc, 28, v0
	s_waitcnt vmcnt(5) lgkmcnt(3)
	v_mul_f32_e32 v3, v4, v21
	v_fmac_f32_e32 v3, v5, v20
	v_add_f32_e32 v41, 0, v3
	v_mul_f32_e32 v3, v5, v21
	v_fma_f32 v3, v4, v20, -v3
	v_mul_f32_e32 v43, v6, v23
	v_add_f32_e32 v40, 0, v3
	v_mul_f32_e32 v3, v7, v23
	v_fmac_f32_e32 v43, v7, v22
	v_fma_f32 v42, v6, v22, -v3
	s_waitcnt vmcnt(4)
	v_mov_b32_e32 v22, v27
	s_waitcnt lgkmcnt(2)
	v_mul_f32_e32 v45, v8, v25
	v_mul_f32_e32 v3, v9, v25
	v_pk_mul_f32 v[22:23], v[10:11], v[22:23] op_sel:[1,0] op_sel_hi:[0,0]
	v_fmac_f32_e32 v45, v9, v24
	v_fma_f32 v44, v8, v24, -v3
	v_pk_add_f32 v[20:21], v[40:41], v[42:43]
	v_pk_fma_f32 v[24:25], v[10:11], v[26:27], v[22:23] neg_lo:[0,0,1] neg_hi:[0,0,1]
	v_pk_fma_f32 v[10:11], v[10:11], v[26:27], v[22:23] op_sel_hi:[1,0,1]
	v_pk_add_f32 v[20:21], v[20:21], v[44:45]
	v_mov_b32_e32 v25, v11
	v_pk_add_f32 v[10:11], v[20:21], v[24:25]
	s_waitcnt vmcnt(3) lgkmcnt(1)
	v_pk_mul_f32 v[20:21], v[12:13], v[28:29] op_sel:[1,1] op_sel_hi:[0,1]
	v_pk_fma_f32 v[22:23], v[12:13], v[28:29], v[20:21] neg_lo:[0,0,1] neg_hi:[0,0,1]
	v_pk_fma_f32 v[12:13], v[12:13], v[28:29], v[20:21] op_sel_hi:[1,0,1]
	ds_read_b128 v[4:7], v2 offset:640
	ds_read_b64 v[8:9], v2 offset:656
	v_mov_b32_e32 v12, v31
	v_mov_b32_e32 v23, v13
	v_pk_mul_f32 v[12:13], v[14:15], v[12:13] op_sel:[1,0] op_sel_hi:[0,0]
	v_pk_fma_f32 v[20:21], v[14:15], v[30:31], v[12:13] neg_lo:[0,0,1] neg_hi:[0,0,1]
	v_pk_fma_f32 v[12:13], v[14:15], v[30:31], v[12:13] op_sel_hi:[1,0,1]
	v_pk_add_f32 v[10:11], v[10:11], v[22:23]
	v_mov_b32_e32 v21, v13
	s_waitcnt vmcnt(2) lgkmcnt(2)
	v_pk_mul_f32 v[12:13], v[16:17], v[32:33] op_sel:[1,1] op_sel_hi:[0,1]
	v_pk_fma_f32 v[14:15], v[16:17], v[32:33], v[12:13] neg_lo:[0,0,1] neg_hi:[0,0,1]
	v_pk_fma_f32 v[12:13], v[16:17], v[32:33], v[12:13] op_sel_hi:[1,0,1]
	v_pk_add_f32 v[10:11], v[10:11], v[20:21]
	v_mov_b32_e32 v12, v35
	v_mov_b32_e32 v15, v13
	v_pk_mul_f32 v[12:13], v[18:19], v[12:13] op_sel:[1,0] op_sel_hi:[0,0]
	v_pk_add_f32 v[10:11], v[10:11], v[14:15]
	v_pk_fma_f32 v[14:15], v[18:19], v[34:35], v[12:13] neg_lo:[0,0,1] neg_hi:[0,0,1]
	v_pk_fma_f32 v[12:13], v[18:19], v[34:35], v[12:13] op_sel_hi:[1,0,1]
	s_nop 0
	v_mov_b32_e32 v15, v13
	s_waitcnt vmcnt(1) lgkmcnt(1)
	v_pk_mul_f32 v[12:13], v[4:5], v[36:37] op_sel:[1,1] op_sel_hi:[0,1]
	v_pk_add_f32 v[10:11], v[10:11], v[14:15]
	v_pk_fma_f32 v[14:15], v[4:5], v[36:37], v[12:13] neg_lo:[0,0,1] neg_hi:[0,0,1]
	v_pk_fma_f32 v[4:5], v[4:5], v[36:37], v[12:13] op_sel_hi:[1,0,1]
	s_nop 0
	v_mov_b32_e32 v15, v5
	v_pk_add_f32 v[4:5], v[10:11], v[14:15]
	v_mov_b32_e32 v10, v39
	v_pk_mul_f32 v[10:11], v[6:7], v[10:11] op_sel:[1,0] op_sel_hi:[0,0]
	v_pk_fma_f32 v[12:13], v[6:7], v[38:39], v[10:11] neg_lo:[0,0,1] neg_hi:[0,0,1]
	v_pk_fma_f32 v[6:7], v[6:7], v[38:39], v[10:11] op_sel_hi:[1,0,1]
	s_nop 0
	v_mov_b32_e32 v13, v7
	s_waitcnt vmcnt(0) lgkmcnt(0)
	v_pk_mul_f32 v[6:7], v[8:9], v[46:47] op_sel:[1,1] op_sel_hi:[0,1]
	v_pk_fma_f32 v[10:11], v[8:9], v[46:47], v[6:7] neg_lo:[0,0,1] neg_hi:[0,0,1]
	v_pk_fma_f32 v[6:7], v[8:9], v[46:47], v[6:7] op_sel_hi:[1,0,1]
	v_pk_add_f32 v[4:5], v[4:5], v[12:13]
	v_mov_b32_e32 v11, v7
	scratch_load_dwordx2 v[6:7], off, off offset:232
	v_pk_add_f32 v[4:5], v[4:5], v[10:11]
	s_waitcnt vmcnt(0)
	v_pk_add_f32 v[4:5], v[6:7], v[4:5] neg_lo:[0,1] neg_hi:[0,1]
	scratch_store_dwordx2 off, v[4:5], off offset:232
	s_and_saveexec_b64 s[0:1], vcc
	s_cbranch_execz .LBB104_203
; %bb.202:
	scratch_load_dwordx2 v[4:5], off, off offset:224
	v_mov_b32_e32 v3, v2
	scratch_store_dwordx2 off, v[2:3], off offset:224
	s_waitcnt vmcnt(1)
	ds_write_b64 v1, v[4:5]
.LBB104_203:
	s_or_b64 exec, exec, s[0:1]
	s_waitcnt lgkmcnt(0)
	; wave barrier
	scratch_load_dwordx4 v[8:11], off, off offset:232
	scratch_load_dwordx4 v[16:19], off, off offset:248
	ds_read2_b64 v[4:7], v2 offset0:71 offset1:72
	v_cmp_lt_u32_e32 vcc, 27, v0
	s_waitcnt vmcnt(1) lgkmcnt(0)
	v_mul_f32_e32 v3, v4, v9
	v_fmac_f32_e32 v3, v5, v8
	v_mul_f32_e32 v12, v6, v11
	v_add_f32_e32 v3, 0, v3
	v_fmac_f32_e32 v12, v7, v10
	v_add_f32_e32 v37, v3, v12
	ds_read2_b64 v[12:15], v2 offset0:73 offset1:74
	scratch_load_dwordx4 v[20:23], off, off offset:264
	scratch_load_dwordx4 v[24:27], off, off offset:280
	;; [unrolled: 1-line block ×4, first 2 shown]
	v_mul_f32_e32 v3, v5, v9
	v_fma_f32 v3, v4, v8, -v3
	v_mul_f32_e32 v4, v7, v11
	v_add_f32_e32 v3, 0, v3
	v_fma_f32 v4, v6, v10, -v4
	v_add_f32_e32 v36, v3, v4
	s_waitcnt vmcnt(4) lgkmcnt(0)
	v_mul_f32_e32 v3, v13, v17
	v_mul_f32_e32 v39, v12, v17
	;; [unrolled: 1-line block ×3, first 2 shown]
	v_fma_f32 v38, v12, v16, -v3
	v_mul_f32_e32 v3, v15, v19
	v_fmac_f32_e32 v39, v13, v16
	v_fmac_f32_e32 v41, v15, v18
	v_fma_f32 v40, v14, v18, -v3
	ds_read2_b64 v[4:7], v2 offset0:75 offset1:76
	ds_read2_b64 v[8:11], v2 offset0:77 offset1:78
	;; [unrolled: 1-line block ×4, first 2 shown]
	v_pk_add_f32 v[2:3], v[36:37], v[38:39]
	s_waitcnt vmcnt(3) lgkmcnt(3)
	v_pk_mul_f32 v[36:37], v[4:5], v[20:21] op_sel:[1,1] op_sel_hi:[0,1]
	v_pk_fma_f32 v[38:39], v[4:5], v[20:21], v[36:37] neg_lo:[0,0,1] neg_hi:[0,0,1]
	v_pk_fma_f32 v[4:5], v[4:5], v[20:21], v[36:37] op_sel_hi:[1,0,1]
	v_pk_add_f32 v[2:3], v[2:3], v[40:41]
	v_mov_b32_e32 v4, v23
	v_mov_b32_e32 v39, v5
	v_pk_mul_f32 v[4:5], v[6:7], v[4:5] op_sel:[1,0] op_sel_hi:[0,0]
	v_pk_fma_f32 v[20:21], v[6:7], v[22:23], v[4:5] neg_lo:[0,0,1] neg_hi:[0,0,1]
	v_pk_fma_f32 v[4:5], v[6:7], v[22:23], v[4:5] op_sel_hi:[1,0,1]
	v_pk_add_f32 v[2:3], v[2:3], v[38:39]
	v_mov_b32_e32 v21, v5
	s_waitcnt vmcnt(2) lgkmcnt(2)
	v_pk_mul_f32 v[4:5], v[8:9], v[24:25] op_sel:[1,1] op_sel_hi:[0,1]
	v_pk_fma_f32 v[6:7], v[8:9], v[24:25], v[4:5] neg_lo:[0,0,1] neg_hi:[0,0,1]
	v_pk_fma_f32 v[4:5], v[8:9], v[24:25], v[4:5] op_sel_hi:[1,0,1]
	v_pk_add_f32 v[2:3], v[2:3], v[20:21]
	v_mov_b32_e32 v4, v27
	v_mov_b32_e32 v7, v5
	v_pk_mul_f32 v[4:5], v[10:11], v[4:5] op_sel:[1,0] op_sel_hi:[0,0]
	v_pk_add_f32 v[2:3], v[2:3], v[6:7]
	v_pk_fma_f32 v[6:7], v[10:11], v[26:27], v[4:5] neg_lo:[0,0,1] neg_hi:[0,0,1]
	v_pk_fma_f32 v[4:5], v[10:11], v[26:27], v[4:5] op_sel_hi:[1,0,1]
	s_nop 0
	v_mov_b32_e32 v7, v5
	s_waitcnt vmcnt(1) lgkmcnt(1)
	v_pk_mul_f32 v[4:5], v[12:13], v[28:29] op_sel:[1,1] op_sel_hi:[0,1]
	v_pk_add_f32 v[2:3], v[2:3], v[6:7]
	v_pk_fma_f32 v[6:7], v[12:13], v[28:29], v[4:5] neg_lo:[0,0,1] neg_hi:[0,0,1]
	v_pk_fma_f32 v[4:5], v[12:13], v[28:29], v[4:5] op_sel_hi:[1,0,1]
	s_nop 0
	v_mov_b32_e32 v4, v31
	v_mov_b32_e32 v7, v5
	v_pk_mul_f32 v[4:5], v[14:15], v[4:5] op_sel:[1,0] op_sel_hi:[0,0]
	v_pk_add_f32 v[2:3], v[2:3], v[6:7]
	v_pk_fma_f32 v[6:7], v[14:15], v[30:31], v[4:5] neg_lo:[0,0,1] neg_hi:[0,0,1]
	v_pk_fma_f32 v[4:5], v[14:15], v[30:31], v[4:5] op_sel_hi:[1,0,1]
	s_nop 0
	v_mov_b32_e32 v7, v5
	s_waitcnt vmcnt(0) lgkmcnt(0)
	v_pk_mul_f32 v[4:5], v[16:17], v[32:33] op_sel:[1,1] op_sel_hi:[0,1]
	v_pk_add_f32 v[2:3], v[2:3], v[6:7]
	v_pk_fma_f32 v[6:7], v[16:17], v[32:33], v[4:5] neg_lo:[0,0,1] neg_hi:[0,0,1]
	v_pk_fma_f32 v[4:5], v[16:17], v[32:33], v[4:5] op_sel_hi:[1,0,1]
	s_nop 0
	v_mov_b32_e32 v4, v35
	v_mov_b32_e32 v7, v5
	v_pk_mul_f32 v[4:5], v[18:19], v[4:5] op_sel:[1,0] op_sel_hi:[0,0]
	v_pk_add_f32 v[2:3], v[2:3], v[6:7]
	v_pk_fma_f32 v[6:7], v[18:19], v[34:35], v[4:5] neg_lo:[0,0,1] neg_hi:[0,0,1]
	v_pk_fma_f32 v[4:5], v[18:19], v[34:35], v[4:5] op_sel_hi:[1,0,1]
	s_nop 0
	v_mov_b32_e32 v7, v5
	scratch_load_dwordx2 v[4:5], off, off offset:224
	v_pk_add_f32 v[2:3], v[2:3], v[6:7]
	s_waitcnt vmcnt(0)
	v_pk_add_f32 v[2:3], v[4:5], v[2:3] neg_lo:[0,1] neg_hi:[0,1]
	scratch_store_dwordx2 off, v[2:3], off offset:224
	s_and_saveexec_b64 s[0:1], vcc
	s_cbranch_execz .LBB104_205
; %bb.204:
	scratch_load_dwordx2 v[2:3], off, off offset:216
	v_mov_b32_e32 v4, 0
	v_mov_b32_e32 v5, v4
	scratch_store_dwordx2 off, v[4:5], off offset:216
	s_waitcnt vmcnt(1)
	ds_write_b64 v1, v[2:3]
.LBB104_205:
	s_or_b64 exec, exec, s[0:1]
	s_waitcnt lgkmcnt(0)
	; wave barrier
	scratch_load_dwordx4 v[4:7], off, off offset:224
	scratch_load_dwordx4 v[8:11], off, off offset:240
	;; [unrolled: 1-line block ×6, first 2 shown]
	scratch_load_dwordx2 v[52:53], off, off offset:320
	scratch_load_dwordx2 v[54:55], off, off offset:216
	v_mov_b32_e32 v2, 0
	ds_read_b128 v[28:31], v2 offset:560
	ds_read_b128 v[32:35], v2 offset:576
	;; [unrolled: 1-line block ×6, first 2 shown]
	ds_read_b64 v[56:57], v2 offset:656
	v_cmp_lt_u32_e32 vcc, 26, v0
	s_waitcnt vmcnt(7) lgkmcnt(6)
	v_mul_f32_e32 v63, v30, v7
	v_mul_f32_e32 v3, v28, v5
	s_waitcnt vmcnt(5) lgkmcnt(4)
	v_mul_f32_e32 v61, v36, v13
	v_mul_f32_e32 v5, v29, v5
	v_mov_b32_e32 v62, v15
	s_waitcnt vmcnt(2) lgkmcnt(1)
	v_pk_mul_f32 v[72:73], v[48:49], v[24:25] op_sel:[1,1] op_sel_hi:[0,1]
	v_fmac_f32_e32 v63, v31, v6
	v_mul_f32_e32 v7, v31, v7
	v_mul_f32_e32 v13, v37, v13
	v_fmac_f32_e32 v3, v29, v4
	v_fmac_f32_e32 v61, v37, v12
	v_fma_f32 v37, v28, v4, -v5
	v_pk_mul_f32 v[4:5], v[38:39], v[62:63] op_sel:[1,0] op_sel_hi:[0,0]
	v_pk_fma_f32 v[28:29], v[48:49], v[24:25], v[72:73] neg_lo:[0,0,1] neg_hi:[0,0,1]
	v_pk_fma_f32 v[24:25], v[48:49], v[24:25], v[72:73] op_sel_hi:[1,0,1]
	v_mul_f32_e32 v67, v32, v9
	v_mul_f32_e32 v9, v33, v9
	v_fma_f32 v71, v30, v6, -v7
	v_fma_f32 v60, v36, v12, -v13
	v_add_f32_e32 v3, 0, v3
	v_add_f32_e32 v24, 0, v37
	v_pk_fma_f32 v[36:37], v[38:39], v[14:15], v[4:5] neg_lo:[0,0,1] neg_hi:[0,0,1]
	v_pk_fma_f32 v[4:5], v[38:39], v[14:15], v[4:5] op_sel_hi:[1,0,1]
	v_mul_f32_e32 v59, v34, v11
	v_mul_f32_e32 v11, v35, v11
	v_fmac_f32_e32 v67, v33, v8
	v_fma_f32 v75, v32, v8, -v9
	v_add_f32_e32 v3, v3, v63
	v_add_f32_e32 v4, v24, v71
	v_fmac_f32_e32 v59, v35, v10
	v_fma_f32 v58, v34, v10, -v11
	v_mov_b32_e32 v37, v5
	v_add_f32_e32 v5, v3, v67
	v_add_f32_e32 v4, v4, v75
	v_pk_mul_f32 v[64:65], v[40:41], v[16:17] op_sel:[1,1] op_sel_hi:[0,1]
	v_mov_b32_e32 v66, v19
	v_pk_add_f32 v[4:5], v[4:5], v[58:59]
	v_pk_fma_f32 v[6:7], v[40:41], v[16:17], v[64:65] neg_lo:[0,0,1] neg_hi:[0,0,1]
	v_pk_fma_f32 v[8:9], v[40:41], v[16:17], v[64:65] op_sel_hi:[1,0,1]
	v_pk_mul_f32 v[10:11], v[42:43], v[66:67] op_sel:[1,0] op_sel_hi:[0,0]
	v_pk_add_f32 v[4:5], v[4:5], v[60:61]
	v_pk_mul_f32 v[68:69], v[44:45], v[20:21] op_sel:[1,1] op_sel_hi:[0,1]
	v_mov_b32_e32 v70, v23
	v_mov_b32_e32 v7, v9
	v_pk_fma_f32 v[8:9], v[42:43], v[18:19], v[10:11] neg_lo:[0,0,1] neg_hi:[0,0,1]
	v_pk_fma_f32 v[10:11], v[42:43], v[18:19], v[10:11] op_sel_hi:[1,0,1]
	v_pk_add_f32 v[4:5], v[4:5], v[36:37]
	v_pk_fma_f32 v[12:13], v[44:45], v[20:21], v[68:69] neg_lo:[0,0,1] neg_hi:[0,0,1]
	v_pk_fma_f32 v[16:17], v[44:45], v[20:21], v[68:69] op_sel_hi:[1,0,1]
	v_pk_mul_f32 v[20:21], v[46:47], v[70:71] op_sel:[1,0] op_sel_hi:[0,0]
	v_mov_b32_e32 v9, v11
	v_pk_add_f32 v[4:5], v[4:5], v[6:7]
	v_mov_b32_e32 v74, v27
	v_mov_b32_e32 v13, v17
	v_pk_fma_f32 v[14:15], v[46:47], v[22:23], v[20:21] neg_lo:[0,0,1] neg_hi:[0,0,1]
	v_pk_fma_f32 v[16:17], v[46:47], v[22:23], v[20:21] op_sel_hi:[1,0,1]
	v_pk_add_f32 v[4:5], v[4:5], v[8:9]
	v_pk_mul_f32 v[30:31], v[50:51], v[74:75] op_sel:[1,0] op_sel_hi:[0,0]
	v_mov_b32_e32 v15, v17
	v_pk_add_f32 v[4:5], v[4:5], v[12:13]
	s_waitcnt vmcnt(1) lgkmcnt(0)
	v_pk_mul_f32 v[76:77], v[56:57], v[52:53] op_sel:[1,1] op_sel_hi:[0,1]
	v_mov_b32_e32 v29, v25
	v_pk_fma_f32 v[18:19], v[50:51], v[26:27], v[30:31] neg_lo:[0,0,1] neg_hi:[0,0,1]
	v_pk_fma_f32 v[20:21], v[50:51], v[26:27], v[30:31] op_sel_hi:[1,0,1]
	v_pk_add_f32 v[4:5], v[4:5], v[14:15]
	v_pk_fma_f32 v[32:33], v[56:57], v[52:53], v[76:77] neg_lo:[0,0,1] neg_hi:[0,0,1]
	v_pk_fma_f32 v[34:35], v[56:57], v[52:53], v[76:77] op_sel_hi:[1,0,1]
	v_mov_b32_e32 v19, v21
	v_pk_add_f32 v[4:5], v[4:5], v[28:29]
	v_mov_b32_e32 v33, v35
	v_pk_add_f32 v[4:5], v[4:5], v[18:19]
	s_nop 0
	v_pk_add_f32 v[4:5], v[4:5], v[32:33]
	s_waitcnt vmcnt(0)
	v_pk_add_f32 v[4:5], v[54:55], v[4:5] neg_lo:[0,1] neg_hi:[0,1]
	scratch_store_dwordx2 off, v[4:5], off offset:216
	s_and_saveexec_b64 s[0:1], vcc
	s_cbranch_execz .LBB104_207
; %bb.206:
	scratch_load_dwordx2 v[4:5], off, off offset:208
	v_mov_b32_e32 v3, v2
	scratch_store_dwordx2 off, v[2:3], off offset:208
	s_waitcnt vmcnt(1)
	ds_write_b64 v1, v[4:5]
.LBB104_207:
	s_or_b64 exec, exec, s[0:1]
	s_waitcnt lgkmcnt(0)
	; wave barrier
	scratch_load_dwordx4 v[4:7], off, off offset:216
	scratch_load_dwordx4 v[8:11], off, off offset:232
	;; [unrolled: 1-line block ×7, first 2 shown]
	ds_read2_b64 v[32:35], v2 offset0:69 offset1:70
	ds_read2_b64 v[36:39], v2 offset0:71 offset1:72
	;; [unrolled: 1-line block ×6, first 2 shown]
	scratch_load_dwordx2 v[60:61], off, off offset:208
	ds_read2_b64 v[56:59], v2 offset0:81 offset1:82
	v_cmp_lt_u32_e32 vcc, 25, v0
	s_waitcnt vmcnt(7) lgkmcnt(6)
	v_mul_f32_e32 v67, v32, v5
	v_mul_f32_e32 v71, v34, v7
	s_waitcnt vmcnt(6) lgkmcnt(5)
	v_mul_f32_e32 v75, v36, v9
	v_mul_f32_e32 v79, v38, v11
	s_waitcnt vmcnt(5) lgkmcnt(4)
	v_mul_f32_e32 v3, v40, v13
	v_mul_f32_e32 v63, v42, v15
	v_mul_f32_e32 v2, v33, v5
	v_mul_f32_e32 v5, v35, v7
	;; [unrolled: 1-line block ×6, first 2 shown]
	s_waitcnt vmcnt(4) lgkmcnt(3)
	v_pk_mul_f32 v[64:65], v[44:45], v[16:17] op_sel:[1,1] op_sel_hi:[0,1]
	v_mov_b32_e32 v66, v19
	s_waitcnt vmcnt(3) lgkmcnt(2)
	v_pk_mul_f32 v[68:69], v[48:49], v[20:21] op_sel:[1,1] op_sel_hi:[0,1]
	v_mov_b32_e32 v70, v23
	s_waitcnt vmcnt(1) lgkmcnt(0)
	v_pk_mul_f32 v[76:77], v[56:57], v[28:29] op_sel:[1,1] op_sel_hi:[0,1]
	v_fmac_f32_e32 v67, v33, v4
	v_fmac_f32_e32 v71, v35, v6
	;; [unrolled: 1-line block ×6, first 2 shown]
	v_fma_f32 v37, v32, v4, -v2
	v_fma_f32 v39, v34, v6, -v5
	;; [unrolled: 1-line block ×6, first 2 shown]
	v_pk_fma_f32 v[4:5], v[44:45], v[16:17], v[64:65] neg_lo:[0,0,1] neg_hi:[0,0,1]
	v_pk_fma_f32 v[6:7], v[44:45], v[16:17], v[64:65] op_sel_hi:[1,0,1]
	v_pk_mul_f32 v[8:9], v[46:47], v[66:67] op_sel:[1,0] op_sel_hi:[0,0]
	v_pk_fma_f32 v[10:11], v[48:49], v[20:21], v[68:69] neg_lo:[0,0,1] neg_hi:[0,0,1]
	v_pk_fma_f32 v[12:13], v[48:49], v[20:21], v[68:69] op_sel_hi:[1,0,1]
	v_pk_mul_f32 v[14:15], v[50:51], v[70:71] op_sel:[1,0] op_sel_hi:[0,0]
	v_pk_fma_f32 v[32:33], v[56:57], v[28:29], v[76:77] neg_lo:[0,0,1] neg_hi:[0,0,1]
	v_pk_fma_f32 v[28:29], v[56:57], v[28:29], v[76:77] op_sel_hi:[1,0,1]
	v_add_f32_e32 v37, 0, v37
	v_add_f32_e32 v28, 0, v67
	v_mov_b32_e32 v5, v7
	v_pk_fma_f32 v[6:7], v[46:47], v[18:19], v[8:9] neg_lo:[0,0,1] neg_hi:[0,0,1]
	v_pk_fma_f32 v[8:9], v[46:47], v[18:19], v[8:9] op_sel_hi:[1,0,1]
	v_mov_b32_e32 v11, v13
	v_pk_fma_f32 v[12:13], v[50:51], v[22:23], v[14:15] neg_lo:[0,0,1] neg_hi:[0,0,1]
	v_pk_fma_f32 v[14:15], v[50:51], v[22:23], v[14:15] op_sel_hi:[1,0,1]
	v_add_f32_e32 v8, v28, v71
	v_add_f32_e32 v14, v37, v39
	;; [unrolled: 1-line block ×4, first 2 shown]
	v_mov_b32_e32 v7, v9
	v_add_f32_e32 v9, v8, v79
	v_add_f32_e32 v8, v14, v38
	v_pk_add_f32 v[2:3], v[8:9], v[2:3]
	v_pk_mul_f32 v[72:73], v[52:53], v[24:25] op_sel:[1,1] op_sel_hi:[0,1]
	v_pk_add_f32 v[2:3], v[2:3], v[62:63]
	v_mov_b32_e32 v74, v27
	v_pk_add_f32 v[2:3], v[2:3], v[4:5]
	v_pk_fma_f32 v[16:17], v[52:53], v[24:25], v[72:73] neg_lo:[0,0,1] neg_hi:[0,0,1]
	v_pk_add_f32 v[2:3], v[2:3], v[6:7]
	v_pk_fma_f32 v[20:21], v[52:53], v[24:25], v[72:73] op_sel_hi:[1,0,1]
	v_pk_mul_f32 v[24:25], v[54:55], v[74:75] op_sel:[1,0] op_sel_hi:[0,0]
	v_mov_b32_e32 v13, v15
	v_pk_add_f32 v[2:3], v[2:3], v[10:11]
	v_mov_b32_e32 v78, v31
	v_mov_b32_e32 v17, v21
	v_pk_fma_f32 v[18:19], v[54:55], v[26:27], v[24:25] neg_lo:[0,0,1] neg_hi:[0,0,1]
	v_pk_fma_f32 v[20:21], v[54:55], v[26:27], v[24:25] op_sel_hi:[1,0,1]
	v_pk_add_f32 v[2:3], v[2:3], v[12:13]
	v_pk_mul_f32 v[34:35], v[58:59], v[78:79] op_sel:[1,0] op_sel_hi:[0,0]
	v_mov_b32_e32 v19, v21
	v_pk_add_f32 v[2:3], v[2:3], v[16:17]
	v_mov_b32_e32 v33, v29
	v_pk_fma_f32 v[22:23], v[58:59], v[30:31], v[34:35] neg_lo:[0,0,1] neg_hi:[0,0,1]
	v_pk_fma_f32 v[24:25], v[58:59], v[30:31], v[34:35] op_sel_hi:[1,0,1]
	v_pk_add_f32 v[2:3], v[2:3], v[18:19]
	v_mov_b32_e32 v23, v25
	v_pk_add_f32 v[2:3], v[2:3], v[32:33]
	s_nop 0
	v_pk_add_f32 v[2:3], v[2:3], v[22:23]
	s_waitcnt vmcnt(0)
	v_pk_add_f32 v[2:3], v[60:61], v[2:3] neg_lo:[0,1] neg_hi:[0,1]
	scratch_store_dwordx2 off, v[2:3], off offset:208
	s_and_saveexec_b64 s[0:1], vcc
	s_cbranch_execz .LBB104_209
; %bb.208:
	scratch_load_dwordx2 v[2:3], off, off offset:200
	v_mov_b32_e32 v4, 0
	v_mov_b32_e32 v5, v4
	scratch_store_dwordx2 off, v[4:5], off offset:200
	s_waitcnt vmcnt(1)
	ds_write_b64 v1, v[2:3]
.LBB104_209:
	s_or_b64 exec, exec, s[0:1]
	s_waitcnt lgkmcnt(0)
	; wave barrier
	scratch_load_dwordx4 v[4:7], off, off offset:208
	scratch_load_dwordx4 v[8:11], off, off offset:224
	scratch_load_dwordx4 v[12:15], off, off offset:240
	scratch_load_dwordx4 v[16:19], off, off offset:256
	scratch_load_dwordx4 v[20:23], off, off offset:272
	scratch_load_dwordx4 v[24:27], off, off offset:288
	scratch_load_dwordx4 v[28:31], off, off offset:304
	scratch_load_dwordx2 v[60:61], off, off offset:320
	scratch_load_dwordx2 v[62:63], off, off offset:200
	v_mov_b32_e32 v2, 0
	ds_read_b128 v[32:35], v2 offset:544
	ds_read_b128 v[36:39], v2 offset:560
	;; [unrolled: 1-line block ×7, first 2 shown]
	ds_read_b64 v[64:65], v2 offset:656
	v_cmp_lt_u32_e32 vcc, 24, v0
	s_waitcnt vmcnt(8) lgkmcnt(7)
	v_mul_f32_e32 v71, v34, v7
	v_mul_f32_e32 v3, v32, v5
	s_waitcnt vmcnt(7) lgkmcnt(6)
	v_mul_f32_e32 v75, v36, v9
	s_waitcnt vmcnt(6) lgkmcnt(5)
	v_mul_f32_e32 v83, v40, v13
	v_mul_f32_e32 v67, v42, v15
	;; [unrolled: 1-line block ×5, first 2 shown]
	s_waitcnt vmcnt(5)
	v_mov_b32_e32 v70, v19
	s_waitcnt vmcnt(3) lgkmcnt(2)
	v_pk_mul_f32 v[76:77], v[52:53], v[24:25] op_sel:[1,1] op_sel_hi:[0,1]
	s_waitcnt vmcnt(2) lgkmcnt(1)
	v_pk_mul_f32 v[80:81], v[56:57], v[28:29] op_sel:[1,1] op_sel_hi:[0,1]
	v_fmac_f32_e32 v71, v35, v6
	v_mul_f32_e32 v7, v35, v7
	v_mul_f32_e32 v9, v37, v9
	v_fmac_f32_e32 v3, v33, v4
	v_fmac_f32_e32 v75, v37, v8
	;; [unrolled: 1-line block ×4, first 2 shown]
	v_fma_f32 v32, v32, v4, -v5
	v_fma_f32 v37, v40, v12, -v13
	;; [unrolled: 1-line block ×3, first 2 shown]
	v_pk_mul_f32 v[4:5], v[46:47], v[70:71] op_sel:[1,0] op_sel_hi:[0,0]
	v_pk_fma_f32 v[12:13], v[52:53], v[24:25], v[76:77] neg_lo:[0,0,1] neg_hi:[0,0,1]
	v_pk_fma_f32 v[14:15], v[52:53], v[24:25], v[76:77] op_sel_hi:[1,0,1]
	v_pk_fma_f32 v[24:25], v[56:57], v[28:29], v[80:81] op_sel_hi:[1,0,1]
	v_fma_f32 v34, v34, v6, -v7
	v_add_f32_e32 v3, 0, v3
	v_add_f32_e32 v24, 0, v32
	v_pk_fma_f32 v[32:33], v[46:47], v[18:19], v[4:5] neg_lo:[0,0,1] neg_hi:[0,0,1]
	v_pk_fma_f32 v[4:5], v[46:47], v[18:19], v[4:5] op_sel_hi:[1,0,1]
	v_mul_f32_e32 v79, v38, v11
	v_mul_f32_e32 v11, v39, v11
	v_fma_f32 v35, v36, v8, -v9
	v_add_f32_e32 v3, v3, v71
	v_add_f32_e32 v4, v24, v34
	v_fmac_f32_e32 v79, v39, v10
	v_fma_f32 v36, v38, v10, -v11
	v_add_f32_e32 v3, v3, v75
	v_add_f32_e32 v4, v4, v35
	;; [unrolled: 1-line block ×4, first 2 shown]
	v_mul_f32_e32 v69, v44, v17
	v_mul_f32_e32 v17, v45, v17
	v_mov_b32_e32 v33, v5
	v_add_f32_e32 v5, v3, v83
	v_add_f32_e32 v4, v4, v37
	v_pk_mul_f32 v[72:73], v[48:49], v[20:21] op_sel:[1,1] op_sel_hi:[0,1]
	v_mov_b32_e32 v74, v23
	v_fmac_f32_e32 v69, v45, v16
	v_fma_f32 v68, v44, v16, -v17
	v_pk_add_f32 v[4:5], v[4:5], v[66:67]
	v_pk_fma_f32 v[6:7], v[48:49], v[20:21], v[72:73] neg_lo:[0,0,1] neg_hi:[0,0,1]
	v_pk_fma_f32 v[8:9], v[48:49], v[20:21], v[72:73] op_sel_hi:[1,0,1]
	v_pk_mul_f32 v[10:11], v[50:51], v[74:75] op_sel:[1,0] op_sel_hi:[0,0]
	v_pk_add_f32 v[4:5], v[4:5], v[68:69]
	v_mov_b32_e32 v78, v27
	v_mov_b32_e32 v7, v9
	v_pk_fma_f32 v[8:9], v[50:51], v[22:23], v[10:11] neg_lo:[0,0,1] neg_hi:[0,0,1]
	v_pk_fma_f32 v[10:11], v[50:51], v[22:23], v[10:11] op_sel_hi:[1,0,1]
	v_pk_add_f32 v[4:5], v[4:5], v[32:33]
	v_pk_mul_f32 v[16:17], v[54:55], v[78:79] op_sel:[1,0] op_sel_hi:[0,0]
	v_mov_b32_e32 v9, v11
	v_pk_add_f32 v[4:5], v[4:5], v[6:7]
	v_mov_b32_e32 v82, v31
	v_mov_b32_e32 v13, v15
	v_pk_fma_f32 v[14:15], v[54:55], v[26:27], v[16:17] neg_lo:[0,0,1] neg_hi:[0,0,1]
	v_pk_fma_f32 v[16:17], v[54:55], v[26:27], v[16:17] op_sel_hi:[1,0,1]
	v_pk_add_f32 v[4:5], v[4:5], v[8:9]
	v_pk_fma_f32 v[20:21], v[56:57], v[28:29], v[80:81] neg_lo:[0,0,1] neg_hi:[0,0,1]
	v_pk_mul_f32 v[28:29], v[58:59], v[82:83] op_sel:[1,0] op_sel_hi:[0,0]
	v_mov_b32_e32 v15, v17
	v_pk_add_f32 v[4:5], v[4:5], v[12:13]
	v_mov_b32_e32 v21, v25
	v_pk_add_f32 v[4:5], v[4:5], v[14:15]
	v_pk_fma_f32 v[6:7], v[58:59], v[30:31], v[28:29] neg_lo:[0,0,1] neg_hi:[0,0,1]
	v_pk_fma_f32 v[8:9], v[58:59], v[30:31], v[28:29] op_sel_hi:[1,0,1]
	v_pk_add_f32 v[4:5], v[4:5], v[20:21]
	v_mov_b32_e32 v7, v9
	v_pk_add_f32 v[4:5], v[4:5], v[6:7]
	s_waitcnt vmcnt(1) lgkmcnt(0)
	v_pk_mul_f32 v[6:7], v[64:65], v[60:61] op_sel:[1,1] op_sel_hi:[0,1]
	v_pk_fma_f32 v[8:9], v[64:65], v[60:61], v[6:7] neg_lo:[0,0,1] neg_hi:[0,0,1]
	v_pk_fma_f32 v[6:7], v[64:65], v[60:61], v[6:7] op_sel_hi:[1,0,1]
	s_nop 0
	v_mov_b32_e32 v9, v7
	v_pk_add_f32 v[4:5], v[4:5], v[8:9]
	s_waitcnt vmcnt(0)
	v_pk_add_f32 v[4:5], v[62:63], v[4:5] neg_lo:[0,1] neg_hi:[0,1]
	scratch_store_dwordx2 off, v[4:5], off offset:200
	s_and_saveexec_b64 s[0:1], vcc
	s_cbranch_execz .LBB104_211
; %bb.210:
	scratch_load_dwordx2 v[4:5], off, off offset:192
	v_mov_b32_e32 v3, v2
	scratch_store_dwordx2 off, v[2:3], off offset:192
	s_waitcnt vmcnt(1)
	ds_write_b64 v1, v[4:5]
.LBB104_211:
	s_or_b64 exec, exec, s[0:1]
	s_waitcnt lgkmcnt(0)
	; wave barrier
	scratch_load_dwordx4 v[4:7], off, off offset:200
	scratch_load_dwordx4 v[8:11], off, off offset:216
	;; [unrolled: 1-line block ×7, first 2 shown]
	ds_read2_b64 v[32:35], v2 offset0:67 offset1:68
	ds_read2_b64 v[36:39], v2 offset0:69 offset1:70
	;; [unrolled: 1-line block ×4, first 2 shown]
	scratch_load_dwordx4 v[48:51], off, off offset:312
	ds_read2_b64 v[52:55], v2 offset0:75 offset1:76
	ds_read2_b64 v[56:59], v2 offset0:77 offset1:78
	;; [unrolled: 1-line block ×4, first 2 shown]
	scratch_load_dwordx2 v[2:3], off, off offset:192
	v_cmp_lt_u32_e32 vcc, 23, v0
	s_waitcnt vmcnt(8) lgkmcnt(7)
	v_mul_f32_e32 v75, v32, v5
	v_mul_f32_e32 v79, v34, v7
	s_waitcnt vmcnt(7) lgkmcnt(6)
	v_mul_f32_e32 v83, v36, v9
	v_mul_f32_e32 v84, v38, v11
	;; [unrolled: 3-line block ×3, first 2 shown]
	v_mul_f32_e32 v5, v33, v5
	v_mul_f32_e32 v7, v35, v7
	;; [unrolled: 1-line block ×6, first 2 shown]
	s_waitcnt vmcnt(4) lgkmcnt(3)
	v_pk_mul_f32 v[72:73], v[52:53], v[20:21] op_sel:[1,1] op_sel_hi:[0,1]
	v_mov_b32_e32 v74, v23
	s_waitcnt vmcnt(3) lgkmcnt(2)
	v_pk_mul_f32 v[76:77], v[56:57], v[24:25] op_sel:[1,1] op_sel_hi:[0,1]
	v_mov_b32_e32 v78, v27
	v_fmac_f32_e32 v75, v33, v4
	v_fmac_f32_e32 v79, v35, v6
	;; [unrolled: 1-line block ×6, first 2 shown]
	v_fma_f32 v32, v32, v4, -v5
	v_fma_f32 v33, v34, v6, -v7
	;; [unrolled: 1-line block ×6, first 2 shown]
	v_pk_fma_f32 v[4:5], v[52:53], v[20:21], v[72:73] neg_lo:[0,0,1] neg_hi:[0,0,1]
	v_pk_fma_f32 v[6:7], v[52:53], v[20:21], v[72:73] op_sel_hi:[1,0,1]
	v_pk_mul_f32 v[8:9], v[54:55], v[74:75] op_sel:[1,0] op_sel_hi:[0,0]
	v_pk_fma_f32 v[10:11], v[56:57], v[24:25], v[76:77] neg_lo:[0,0,1] neg_hi:[0,0,1]
	v_pk_fma_f32 v[12:13], v[56:57], v[24:25], v[76:77] op_sel_hi:[1,0,1]
	v_pk_mul_f32 v[14:15], v[58:59], v[78:79] op_sel:[1,0] op_sel_hi:[0,0]
	v_add_f32_e32 v24, 0, v75
	v_add_f32_e32 v25, 0, v32
	v_mov_b32_e32 v5, v7
	v_pk_fma_f32 v[6:7], v[54:55], v[22:23], v[8:9] neg_lo:[0,0,1] neg_hi:[0,0,1]
	v_pk_fma_f32 v[8:9], v[54:55], v[22:23], v[8:9] op_sel_hi:[1,0,1]
	v_mov_b32_e32 v11, v13
	v_pk_fma_f32 v[12:13], v[58:59], v[26:27], v[14:15] neg_lo:[0,0,1] neg_hi:[0,0,1]
	v_pk_fma_f32 v[14:15], v[58:59], v[26:27], v[14:15] op_sel_hi:[1,0,1]
	v_add_f32_e32 v8, v24, v79
	v_add_f32_e32 v14, v25, v33
	v_mov_b32_e32 v7, v9
	v_add_f32_e32 v8, v8, v83
	v_add_f32_e32 v9, v14, v34
	;; [unrolled: 1-line block ×4, first 2 shown]
	v_mul_f32_e32 v69, v44, v17
	v_mul_f32_e32 v17, v45, v17
	v_add_f32_e32 v8, v8, v85
	v_add_f32_e32 v14, v9, v36
	v_mul_f32_e32 v71, v46, v19
	v_mul_f32_e32 v19, v47, v19
	v_fmac_f32_e32 v69, v45, v16
	v_fma_f32 v68, v44, v16, -v17
	v_add_f32_e32 v9, v8, v86
	v_add_f32_e32 v8, v14, v37
	v_fmac_f32_e32 v71, v47, v18
	v_fma_f32 v70, v46, v18, -v19
	v_pk_add_f32 v[8:9], v[8:9], v[68:69]
	s_waitcnt vmcnt(2) lgkmcnt(1)
	v_pk_mul_f32 v[80:81], v[60:61], v[28:29] op_sel:[1,1] op_sel_hi:[0,1]
	v_mov_b32_e32 v82, v31
	v_pk_add_f32 v[8:9], v[8:9], v[70:71]
	v_pk_fma_f32 v[16:17], v[60:61], v[28:29], v[80:81] neg_lo:[0,0,1] neg_hi:[0,0,1]
	v_pk_fma_f32 v[18:19], v[60:61], v[28:29], v[80:81] op_sel_hi:[1,0,1]
	v_pk_mul_f32 v[20:21], v[62:63], v[82:83] op_sel:[1,0] op_sel_hi:[0,0]
	v_pk_add_f32 v[4:5], v[8:9], v[4:5]
	v_mov_b32_e32 v17, v19
	v_pk_fma_f32 v[18:19], v[62:63], v[30:31], v[20:21] neg_lo:[0,0,1] neg_hi:[0,0,1]
	v_pk_add_f32 v[4:5], v[4:5], v[6:7]
	v_pk_fma_f32 v[6:7], v[62:63], v[30:31], v[20:21] op_sel_hi:[1,0,1]
	v_mov_b32_e32 v13, v15
	v_pk_add_f32 v[4:5], v[4:5], v[10:11]
	v_mov_b32_e32 v19, v7
	s_waitcnt vmcnt(1) lgkmcnt(0)
	v_pk_mul_f32 v[6:7], v[64:65], v[48:49] op_sel:[1,1] op_sel_hi:[0,1]
	v_pk_add_f32 v[4:5], v[4:5], v[12:13]
	v_pk_fma_f32 v[8:9], v[64:65], v[48:49], v[6:7] neg_lo:[0,0,1] neg_hi:[0,0,1]
	v_pk_fma_f32 v[6:7], v[64:65], v[48:49], v[6:7] op_sel_hi:[1,0,1]
	v_pk_add_f32 v[4:5], v[4:5], v[16:17]
	v_mov_b32_e32 v6, v51
	v_pk_add_f32 v[4:5], v[4:5], v[18:19]
	v_mov_b32_e32 v9, v7
	v_pk_mul_f32 v[6:7], v[66:67], v[6:7] op_sel:[1,0] op_sel_hi:[0,0]
	v_pk_add_f32 v[4:5], v[4:5], v[8:9]
	v_pk_fma_f32 v[8:9], v[66:67], v[50:51], v[6:7] neg_lo:[0,0,1] neg_hi:[0,0,1]
	v_pk_fma_f32 v[6:7], v[66:67], v[50:51], v[6:7] op_sel_hi:[1,0,1]
	s_nop 0
	v_mov_b32_e32 v9, v7
	v_pk_add_f32 v[4:5], v[4:5], v[8:9]
	s_waitcnt vmcnt(0)
	v_pk_add_f32 v[2:3], v[2:3], v[4:5] neg_lo:[0,1] neg_hi:[0,1]
	scratch_store_dwordx2 off, v[2:3], off offset:192
	s_and_saveexec_b64 s[0:1], vcc
	s_cbranch_execz .LBB104_213
; %bb.212:
	scratch_load_dwordx2 v[2:3], off, off offset:184
	v_mov_b32_e32 v4, 0
	v_mov_b32_e32 v5, v4
	scratch_store_dwordx2 off, v[4:5], off offset:184
	s_waitcnt vmcnt(1)
	ds_write_b64 v1, v[2:3]
.LBB104_213:
	s_or_b64 exec, exec, s[0:1]
	v_mov_b32_e32 v2, 0
	s_waitcnt lgkmcnt(0)
	; wave barrier
	ds_read_b128 v[4:7], v2 offset:528
	ds_read_b128 v[8:11], v2 offset:544
	;; [unrolled: 1-line block ×4, first 2 shown]
	scratch_load_dwordx4 v[20:23], off, off offset:192
	scratch_load_dwordx4 v[40:43], off, off offset:256
	v_cmp_lt_u32_e32 vcc, 22, v0
	s_waitcnt vmcnt(1) lgkmcnt(3)
	v_mul_f32_e32 v3, v4, v21
	v_fmac_f32_e32 v3, v5, v20
	v_mul_f32_e32 v24, v6, v23
	v_add_f32_e32 v3, 0, v3
	v_fmac_f32_e32 v24, v7, v22
	v_add_f32_e32 v3, v3, v24
	scratch_load_dwordx4 v[24:27], off, off offset:208
	s_waitcnt vmcnt(0) lgkmcnt(2)
	v_mul_f32_e32 v28, v8, v25
	v_fmac_f32_e32 v28, v9, v24
	v_add_f32_e32 v3, v3, v28
	v_mul_f32_e32 v28, v10, v27
	v_fmac_f32_e32 v28, v11, v26
	v_add_f32_e32 v3, v3, v28
	scratch_load_dwordx4 v[28:31], off, off offset:224
	s_waitcnt vmcnt(0) lgkmcnt(1)
	v_mul_f32_e32 v32, v12, v29
	v_fmac_f32_e32 v32, v13, v28
	v_add_f32_e32 v3, v3, v32
	v_mul_f32_e32 v32, v14, v31
	v_fmac_f32_e32 v32, v15, v30
	v_add_f32_e32 v3, v3, v32
	scratch_load_dwordx4 v[32:35], off, off offset:240
	s_waitcnt vmcnt(0) lgkmcnt(0)
	v_mul_f32_e32 v36, v16, v33
	v_fmac_f32_e32 v36, v17, v32
	v_add_f32_e32 v57, v3, v36
	ds_read_b128 v[36:39], v2 offset:592
	scratch_load_dwordx4 v[44:47], off, off offset:272
	scratch_load_dwordx4 v[48:51], off, off offset:288
	;; [unrolled: 1-line block ×3, first 2 shown]
	scratch_load_dwordx2 v[62:63], off, off offset:320
	v_mul_f32_e32 v3, v5, v21
	v_fma_f32 v3, v4, v20, -v3
	v_mul_f32_e32 v4, v7, v23
	v_add_f32_e32 v3, 0, v3
	v_fma_f32 v4, v6, v22, -v4
	v_add_f32_e32 v3, v3, v4
	v_mul_f32_e32 v4, v9, v25
	v_fma_f32 v4, v8, v24, -v4
	v_add_f32_e32 v3, v3, v4
	v_mul_f32_e32 v4, v11, v27
	;; [unrolled: 3-line block ×5, first 2 shown]
	v_fma_f32 v4, v16, v32, -v4
	v_mul_f32_e32 v59, v18, v35
	v_add_f32_e32 v56, v3, v4
	v_mul_f32_e32 v3, v19, v35
	v_mov_b32_e32 v20, v43
	v_fmac_f32_e32 v59, v19, v34
	s_waitcnt lgkmcnt(0)
	v_mul_f32_e32 v61, v36, v41
	v_fma_f32 v58, v18, v34, -v3
	v_mul_f32_e32 v3, v37, v41
	ds_read_b128 v[4:7], v2 offset:608
	ds_read_b128 v[8:11], v2 offset:624
	;; [unrolled: 1-line block ×3, first 2 shown]
	ds_read_b64 v[16:17], v2 offset:656
	v_pk_mul_f32 v[20:21], v[38:39], v[20:21] op_sel:[1,0] op_sel_hi:[0,0]
	v_fmac_f32_e32 v61, v37, v40
	v_fma_f32 v60, v36, v40, -v3
	v_pk_add_f32 v[18:19], v[56:57], v[58:59]
	v_pk_fma_f32 v[22:23], v[38:39], v[42:43], v[20:21] neg_lo:[0,0,1] neg_hi:[0,0,1]
	v_pk_fma_f32 v[20:21], v[38:39], v[42:43], v[20:21] op_sel_hi:[1,0,1]
	v_pk_add_f32 v[18:19], v[18:19], v[60:61]
	v_mov_b32_e32 v23, v21
	v_pk_add_f32 v[18:19], v[18:19], v[22:23]
	s_waitcnt vmcnt(3) lgkmcnt(3)
	v_pk_mul_f32 v[20:21], v[4:5], v[44:45] op_sel:[1,1] op_sel_hi:[0,1]
	v_pk_fma_f32 v[22:23], v[4:5], v[44:45], v[20:21] neg_lo:[0,0,1] neg_hi:[0,0,1]
	v_pk_fma_f32 v[4:5], v[4:5], v[44:45], v[20:21] op_sel_hi:[1,0,1]
	s_nop 0
	v_mov_b32_e32 v23, v5
	v_pk_add_f32 v[4:5], v[18:19], v[22:23]
	v_mov_b32_e32 v18, v47
	v_pk_mul_f32 v[18:19], v[6:7], v[18:19] op_sel:[1,0] op_sel_hi:[0,0]
	v_pk_fma_f32 v[20:21], v[6:7], v[46:47], v[18:19] neg_lo:[0,0,1] neg_hi:[0,0,1]
	v_pk_fma_f32 v[6:7], v[6:7], v[46:47], v[18:19] op_sel_hi:[1,0,1]
	s_nop 0
	v_mov_b32_e32 v21, v7
	s_waitcnt vmcnt(2) lgkmcnt(2)
	v_pk_mul_f32 v[6:7], v[8:9], v[48:49] op_sel:[1,1] op_sel_hi:[0,1]
	v_pk_fma_f32 v[18:19], v[8:9], v[48:49], v[6:7] neg_lo:[0,0,1] neg_hi:[0,0,1]
	v_pk_fma_f32 v[6:7], v[8:9], v[48:49], v[6:7] op_sel_hi:[1,0,1]
	v_pk_add_f32 v[4:5], v[4:5], v[20:21]
	v_mov_b32_e32 v6, v51
	v_mov_b32_e32 v19, v7
	v_pk_mul_f32 v[6:7], v[10:11], v[6:7] op_sel:[1,0] op_sel_hi:[0,0]
	v_pk_fma_f32 v[8:9], v[10:11], v[50:51], v[6:7] neg_lo:[0,0,1] neg_hi:[0,0,1]
	v_pk_fma_f32 v[6:7], v[10:11], v[50:51], v[6:7] op_sel_hi:[1,0,1]
	v_pk_add_f32 v[4:5], v[4:5], v[18:19]
	v_mov_b32_e32 v9, v7
	s_waitcnt vmcnt(1) lgkmcnt(1)
	v_pk_mul_f32 v[6:7], v[12:13], v[52:53] op_sel:[1,1] op_sel_hi:[0,1]
	v_pk_add_f32 v[4:5], v[4:5], v[8:9]
	v_pk_fma_f32 v[8:9], v[12:13], v[52:53], v[6:7] neg_lo:[0,0,1] neg_hi:[0,0,1]
	v_pk_fma_f32 v[6:7], v[12:13], v[52:53], v[6:7] op_sel_hi:[1,0,1]
	s_nop 0
	v_mov_b32_e32 v6, v55
	v_mov_b32_e32 v9, v7
	v_pk_mul_f32 v[6:7], v[14:15], v[6:7] op_sel:[1,0] op_sel_hi:[0,0]
	v_pk_add_f32 v[4:5], v[4:5], v[8:9]
	v_pk_fma_f32 v[8:9], v[14:15], v[54:55], v[6:7] neg_lo:[0,0,1] neg_hi:[0,0,1]
	v_pk_fma_f32 v[6:7], v[14:15], v[54:55], v[6:7] op_sel_hi:[1,0,1]
	s_nop 0
	v_mov_b32_e32 v9, v7
	s_waitcnt vmcnt(0) lgkmcnt(0)
	v_pk_mul_f32 v[6:7], v[16:17], v[62:63] op_sel:[1,1] op_sel_hi:[0,1]
	v_pk_add_f32 v[4:5], v[4:5], v[8:9]
	v_pk_fma_f32 v[8:9], v[16:17], v[62:63], v[6:7] neg_lo:[0,0,1] neg_hi:[0,0,1]
	v_pk_fma_f32 v[6:7], v[16:17], v[62:63], v[6:7] op_sel_hi:[1,0,1]
	s_nop 0
	v_mov_b32_e32 v9, v7
	scratch_load_dwordx2 v[6:7], off, off offset:184
	v_pk_add_f32 v[4:5], v[4:5], v[8:9]
	s_waitcnt vmcnt(0)
	v_pk_add_f32 v[4:5], v[6:7], v[4:5] neg_lo:[0,1] neg_hi:[0,1]
	scratch_store_dwordx2 off, v[4:5], off offset:184
	s_and_saveexec_b64 s[0:1], vcc
	s_cbranch_execz .LBB104_215
; %bb.214:
	scratch_load_dwordx2 v[4:5], off, off offset:176
	v_mov_b32_e32 v3, v2
	scratch_store_dwordx2 off, v[2:3], off offset:176
	s_waitcnt vmcnt(1)
	ds_write_b64 v1, v[4:5]
.LBB104_215:
	s_or_b64 exec, exec, s[0:1]
	s_waitcnt lgkmcnt(0)
	; wave barrier
	scratch_load_dwordx4 v[8:11], off, off offset:184
	scratch_load_dwordx4 v[16:19], off, off offset:200
	;; [unrolled: 1-line block ×4, first 2 shown]
	ds_read2_b64 v[4:7], v2 offset0:65 offset1:66
	scratch_load_dwordx4 v[40:43], off, off offset:248
	v_cmp_lt_u32_e32 vcc, 21, v0
	s_waitcnt vmcnt(4) lgkmcnt(0)
	v_mul_f32_e32 v3, v4, v9
	v_fmac_f32_e32 v3, v5, v8
	v_mul_f32_e32 v12, v6, v11
	v_add_f32_e32 v3, 0, v3
	v_fmac_f32_e32 v12, v7, v10
	v_add_f32_e32 v3, v3, v12
	ds_read2_b64 v[12:15], v2 offset0:67 offset1:68
	s_waitcnt vmcnt(3) lgkmcnt(0)
	v_mul_f32_e32 v20, v12, v17
	v_fmac_f32_e32 v20, v13, v16
	v_add_f32_e32 v3, v3, v20
	v_mul_f32_e32 v20, v14, v19
	v_fmac_f32_e32 v20, v15, v18
	v_add_f32_e32 v3, v3, v20
	ds_read2_b64 v[20:23], v2 offset0:69 offset1:70
	s_waitcnt vmcnt(2) lgkmcnt(0)
	v_mul_f32_e32 v28, v20, v25
	v_fmac_f32_e32 v28, v21, v24
	v_add_f32_e32 v3, v3, v28
	v_mul_f32_e32 v28, v22, v27
	;; [unrolled: 8-line block ×3, first 2 shown]
	v_fmac_f32_e32 v36, v31, v34
	v_add_f32_e32 v61, v3, v36
	ds_read2_b64 v[36:39], v2 offset0:73 offset1:74
	scratch_load_dwordx4 v[44:47], off, off offset:264
	scratch_load_dwordx4 v[48:51], off, off offset:280
	scratch_load_dwordx4 v[52:55], off, off offset:296
	scratch_load_dwordx4 v[56:59], off, off offset:312
	v_mul_f32_e32 v3, v5, v9
	v_fma_f32 v3, v4, v8, -v3
	v_mul_f32_e32 v4, v7, v11
	v_add_f32_e32 v3, 0, v3
	v_fma_f32 v4, v6, v10, -v4
	v_add_f32_e32 v3, v3, v4
	v_mul_f32_e32 v4, v13, v17
	v_fma_f32 v4, v12, v16, -v4
	v_add_f32_e32 v3, v3, v4
	v_mul_f32_e32 v4, v15, v19
	v_fma_f32 v4, v14, v18, -v4
	v_add_f32_e32 v3, v3, v4
	v_mul_f32_e32 v4, v21, v25
	v_fma_f32 v4, v20, v24, -v4
	v_add_f32_e32 v3, v3, v4
	v_mul_f32_e32 v4, v23, v27
	v_fma_f32 v4, v22, v26, -v4
	v_add_f32_e32 v3, v3, v4
	v_mul_f32_e32 v4, v29, v33
	v_fma_f32 v4, v28, v32, -v4
	v_add_f32_e32 v3, v3, v4
	v_mul_f32_e32 v4, v31, v35
	v_fma_f32 v4, v30, v34, -v4
	v_add_f32_e32 v60, v3, v4
	ds_read2_b64 v[4:7], v2 offset0:75 offset1:76
	ds_read2_b64 v[8:11], v2 offset0:77 offset1:78
	ds_read2_b64 v[12:15], v2 offset0:79 offset1:80
	ds_read2_b64 v[16:19], v2 offset0:81 offset1:82
	s_waitcnt vmcnt(4) lgkmcnt(4)
	v_mul_f32_e32 v63, v36, v41
	v_mul_f32_e32 v3, v37, v41
	v_fmac_f32_e32 v63, v37, v40
	v_mul_f32_e32 v65, v38, v43
	v_fma_f32 v62, v36, v40, -v3
	v_mul_f32_e32 v3, v39, v43
	v_fmac_f32_e32 v65, v39, v42
	v_fma_f32 v64, v38, v42, -v3
	v_pk_add_f32 v[2:3], v[60:61], v[62:63]
	s_waitcnt vmcnt(3) lgkmcnt(3)
	v_pk_mul_f32 v[20:21], v[4:5], v[44:45] op_sel:[1,1] op_sel_hi:[0,1]
	v_pk_fma_f32 v[22:23], v[4:5], v[44:45], v[20:21] neg_lo:[0,0,1] neg_hi:[0,0,1]
	v_pk_fma_f32 v[4:5], v[4:5], v[44:45], v[20:21] op_sel_hi:[1,0,1]
	v_pk_add_f32 v[2:3], v[2:3], v[64:65]
	v_mov_b32_e32 v4, v47
	v_mov_b32_e32 v23, v5
	v_pk_mul_f32 v[4:5], v[6:7], v[4:5] op_sel:[1,0] op_sel_hi:[0,0]
	v_pk_fma_f32 v[20:21], v[6:7], v[46:47], v[4:5] neg_lo:[0,0,1] neg_hi:[0,0,1]
	v_pk_fma_f32 v[4:5], v[6:7], v[46:47], v[4:5] op_sel_hi:[1,0,1]
	v_pk_add_f32 v[2:3], v[2:3], v[22:23]
	v_mov_b32_e32 v21, v5
	s_waitcnt vmcnt(2) lgkmcnt(2)
	v_pk_mul_f32 v[4:5], v[8:9], v[48:49] op_sel:[1,1] op_sel_hi:[0,1]
	v_pk_fma_f32 v[6:7], v[8:9], v[48:49], v[4:5] neg_lo:[0,0,1] neg_hi:[0,0,1]
	v_pk_fma_f32 v[4:5], v[8:9], v[48:49], v[4:5] op_sel_hi:[1,0,1]
	v_pk_add_f32 v[2:3], v[2:3], v[20:21]
	v_mov_b32_e32 v4, v51
	v_mov_b32_e32 v7, v5
	v_pk_mul_f32 v[4:5], v[10:11], v[4:5] op_sel:[1,0] op_sel_hi:[0,0]
	v_pk_add_f32 v[2:3], v[2:3], v[6:7]
	v_pk_fma_f32 v[6:7], v[10:11], v[50:51], v[4:5] neg_lo:[0,0,1] neg_hi:[0,0,1]
	v_pk_fma_f32 v[4:5], v[10:11], v[50:51], v[4:5] op_sel_hi:[1,0,1]
	s_nop 0
	v_mov_b32_e32 v7, v5
	s_waitcnt vmcnt(1) lgkmcnt(1)
	v_pk_mul_f32 v[4:5], v[12:13], v[52:53] op_sel:[1,1] op_sel_hi:[0,1]
	v_pk_add_f32 v[2:3], v[2:3], v[6:7]
	v_pk_fma_f32 v[6:7], v[12:13], v[52:53], v[4:5] neg_lo:[0,0,1] neg_hi:[0,0,1]
	v_pk_fma_f32 v[4:5], v[12:13], v[52:53], v[4:5] op_sel_hi:[1,0,1]
	s_nop 0
	v_mov_b32_e32 v4, v55
	v_mov_b32_e32 v7, v5
	v_pk_mul_f32 v[4:5], v[14:15], v[4:5] op_sel:[1,0] op_sel_hi:[0,0]
	v_pk_add_f32 v[2:3], v[2:3], v[6:7]
	v_pk_fma_f32 v[6:7], v[14:15], v[54:55], v[4:5] neg_lo:[0,0,1] neg_hi:[0,0,1]
	v_pk_fma_f32 v[4:5], v[14:15], v[54:55], v[4:5] op_sel_hi:[1,0,1]
	s_nop 0
	v_mov_b32_e32 v7, v5
	s_waitcnt vmcnt(0) lgkmcnt(0)
	v_pk_mul_f32 v[4:5], v[16:17], v[56:57] op_sel:[1,1] op_sel_hi:[0,1]
	v_pk_add_f32 v[2:3], v[2:3], v[6:7]
	v_pk_fma_f32 v[6:7], v[16:17], v[56:57], v[4:5] neg_lo:[0,0,1] neg_hi:[0,0,1]
	v_pk_fma_f32 v[4:5], v[16:17], v[56:57], v[4:5] op_sel_hi:[1,0,1]
	s_nop 0
	v_mov_b32_e32 v4, v59
	v_mov_b32_e32 v7, v5
	v_pk_mul_f32 v[4:5], v[18:19], v[4:5] op_sel:[1,0] op_sel_hi:[0,0]
	v_pk_add_f32 v[2:3], v[2:3], v[6:7]
	v_pk_fma_f32 v[6:7], v[18:19], v[58:59], v[4:5] neg_lo:[0,0,1] neg_hi:[0,0,1]
	v_pk_fma_f32 v[4:5], v[18:19], v[58:59], v[4:5] op_sel_hi:[1,0,1]
	s_nop 0
	v_mov_b32_e32 v7, v5
	scratch_load_dwordx2 v[4:5], off, off offset:176
	v_pk_add_f32 v[2:3], v[2:3], v[6:7]
	s_waitcnt vmcnt(0)
	v_pk_add_f32 v[2:3], v[4:5], v[2:3] neg_lo:[0,1] neg_hi:[0,1]
	scratch_store_dwordx2 off, v[2:3], off offset:176
	s_and_saveexec_b64 s[0:1], vcc
	s_cbranch_execz .LBB104_217
; %bb.216:
	scratch_load_dwordx2 v[2:3], off, off offset:168
	v_mov_b32_e32 v4, 0
	v_mov_b32_e32 v5, v4
	scratch_store_dwordx2 off, v[4:5], off offset:168
	s_waitcnt vmcnt(1)
	ds_write_b64 v1, v[2:3]
.LBB104_217:
	s_or_b64 exec, exec, s[0:1]
	v_mov_b32_e32 v2, 0
	s_waitcnt lgkmcnt(0)
	; wave barrier
	ds_read_b128 v[4:7], v2 offset:512
	ds_read_b128 v[8:11], v2 offset:528
	;; [unrolled: 1-line block ×4, first 2 shown]
	scratch_load_dwordx4 v[20:23], off, off offset:176
	scratch_load_dwordx4 v[40:43], off, off offset:240
	v_cmp_lt_u32_e32 vcc, 20, v0
	scratch_load_dwordx4 v[48:51], off, off offset:256
	s_waitcnt vmcnt(2) lgkmcnt(3)
	v_mul_f32_e32 v3, v4, v21
	v_fmac_f32_e32 v3, v5, v20
	v_mul_f32_e32 v24, v6, v23
	v_add_f32_e32 v3, 0, v3
	v_fmac_f32_e32 v24, v7, v22
	v_add_f32_e32 v3, v3, v24
	scratch_load_dwordx4 v[24:27], off, off offset:192
	s_waitcnt vmcnt(0) lgkmcnt(2)
	v_mul_f32_e32 v28, v8, v25
	v_fmac_f32_e32 v28, v9, v24
	v_add_f32_e32 v3, v3, v28
	v_mul_f32_e32 v28, v10, v27
	v_fmac_f32_e32 v28, v11, v26
	v_add_f32_e32 v3, v3, v28
	scratch_load_dwordx4 v[28:31], off, off offset:208
	s_waitcnt vmcnt(0) lgkmcnt(1)
	v_mul_f32_e32 v32, v12, v29
	v_fmac_f32_e32 v32, v13, v28
	v_add_f32_e32 v3, v3, v32
	v_mul_f32_e32 v32, v14, v31
	v_fmac_f32_e32 v32, v15, v30
	v_add_f32_e32 v3, v3, v32
	scratch_load_dwordx4 v[32:35], off, off offset:224
	s_waitcnt vmcnt(0) lgkmcnt(0)
	v_mul_f32_e32 v36, v16, v33
	v_fmac_f32_e32 v36, v17, v32
	v_add_f32_e32 v3, v3, v36
	v_mul_f32_e32 v36, v18, v35
	v_fmac_f32_e32 v36, v19, v34
	v_add_f32_e32 v3, v3, v36
	ds_read_b128 v[36:39], v2 offset:576
	s_waitcnt lgkmcnt(0)
	v_mul_f32_e32 v44, v36, v41
	v_fmac_f32_e32 v44, v37, v40
	v_add_f32_e32 v65, v3, v44
	ds_read_b128 v[44:47], v2 offset:592
	scratch_load_dwordx4 v[52:55], off, off offset:272
	scratch_load_dwordx4 v[56:59], off, off offset:288
	;; [unrolled: 1-line block ×3, first 2 shown]
	scratch_load_dwordx2 v[70:71], off, off offset:320
	v_mul_f32_e32 v3, v5, v21
	v_fma_f32 v3, v4, v20, -v3
	v_mul_f32_e32 v4, v7, v23
	v_add_f32_e32 v3, 0, v3
	v_fma_f32 v4, v6, v22, -v4
	v_add_f32_e32 v3, v3, v4
	v_mul_f32_e32 v4, v9, v25
	v_fma_f32 v4, v8, v24, -v4
	v_add_f32_e32 v3, v3, v4
	v_mul_f32_e32 v4, v11, v27
	;; [unrolled: 3-line block ×7, first 2 shown]
	v_fma_f32 v4, v36, v40, -v4
	v_mul_f32_e32 v67, v38, v43
	v_add_f32_e32 v64, v3, v4
	v_mul_f32_e32 v3, v39, v43
	v_mov_b32_e32 v20, v51
	v_fmac_f32_e32 v67, v39, v42
	s_waitcnt lgkmcnt(0)
	v_mul_f32_e32 v69, v44, v49
	v_fma_f32 v66, v38, v42, -v3
	v_mul_f32_e32 v3, v45, v49
	ds_read_b128 v[4:7], v2 offset:608
	ds_read_b128 v[8:11], v2 offset:624
	;; [unrolled: 1-line block ×3, first 2 shown]
	ds_read_b64 v[16:17], v2 offset:656
	v_pk_mul_f32 v[20:21], v[46:47], v[20:21] op_sel:[1,0] op_sel_hi:[0,0]
	v_fmac_f32_e32 v69, v45, v48
	v_fma_f32 v68, v44, v48, -v3
	v_pk_add_f32 v[18:19], v[64:65], v[66:67]
	v_pk_fma_f32 v[22:23], v[46:47], v[50:51], v[20:21] neg_lo:[0,0,1] neg_hi:[0,0,1]
	v_pk_fma_f32 v[20:21], v[46:47], v[50:51], v[20:21] op_sel_hi:[1,0,1]
	v_pk_add_f32 v[18:19], v[18:19], v[68:69]
	v_mov_b32_e32 v23, v21
	v_pk_add_f32 v[18:19], v[18:19], v[22:23]
	s_waitcnt vmcnt(3) lgkmcnt(3)
	v_pk_mul_f32 v[20:21], v[4:5], v[52:53] op_sel:[1,1] op_sel_hi:[0,1]
	v_pk_fma_f32 v[22:23], v[4:5], v[52:53], v[20:21] neg_lo:[0,0,1] neg_hi:[0,0,1]
	v_pk_fma_f32 v[4:5], v[4:5], v[52:53], v[20:21] op_sel_hi:[1,0,1]
	s_nop 0
	v_mov_b32_e32 v23, v5
	v_pk_add_f32 v[4:5], v[18:19], v[22:23]
	v_mov_b32_e32 v18, v55
	v_pk_mul_f32 v[18:19], v[6:7], v[18:19] op_sel:[1,0] op_sel_hi:[0,0]
	v_pk_fma_f32 v[20:21], v[6:7], v[54:55], v[18:19] neg_lo:[0,0,1] neg_hi:[0,0,1]
	v_pk_fma_f32 v[6:7], v[6:7], v[54:55], v[18:19] op_sel_hi:[1,0,1]
	s_nop 0
	v_mov_b32_e32 v21, v7
	s_waitcnt vmcnt(2) lgkmcnt(2)
	v_pk_mul_f32 v[6:7], v[8:9], v[56:57] op_sel:[1,1] op_sel_hi:[0,1]
	v_pk_fma_f32 v[18:19], v[8:9], v[56:57], v[6:7] neg_lo:[0,0,1] neg_hi:[0,0,1]
	v_pk_fma_f32 v[6:7], v[8:9], v[56:57], v[6:7] op_sel_hi:[1,0,1]
	v_pk_add_f32 v[4:5], v[4:5], v[20:21]
	v_mov_b32_e32 v6, v59
	v_mov_b32_e32 v19, v7
	v_pk_mul_f32 v[6:7], v[10:11], v[6:7] op_sel:[1,0] op_sel_hi:[0,0]
	v_pk_fma_f32 v[8:9], v[10:11], v[58:59], v[6:7] neg_lo:[0,0,1] neg_hi:[0,0,1]
	v_pk_fma_f32 v[6:7], v[10:11], v[58:59], v[6:7] op_sel_hi:[1,0,1]
	v_pk_add_f32 v[4:5], v[4:5], v[18:19]
	v_mov_b32_e32 v9, v7
	s_waitcnt vmcnt(1) lgkmcnt(1)
	v_pk_mul_f32 v[6:7], v[12:13], v[60:61] op_sel:[1,1] op_sel_hi:[0,1]
	v_pk_add_f32 v[4:5], v[4:5], v[8:9]
	v_pk_fma_f32 v[8:9], v[12:13], v[60:61], v[6:7] neg_lo:[0,0,1] neg_hi:[0,0,1]
	v_pk_fma_f32 v[6:7], v[12:13], v[60:61], v[6:7] op_sel_hi:[1,0,1]
	s_nop 0
	v_mov_b32_e32 v6, v63
	v_mov_b32_e32 v9, v7
	v_pk_mul_f32 v[6:7], v[14:15], v[6:7] op_sel:[1,0] op_sel_hi:[0,0]
	v_pk_add_f32 v[4:5], v[4:5], v[8:9]
	v_pk_fma_f32 v[8:9], v[14:15], v[62:63], v[6:7] neg_lo:[0,0,1] neg_hi:[0,0,1]
	v_pk_fma_f32 v[6:7], v[14:15], v[62:63], v[6:7] op_sel_hi:[1,0,1]
	s_nop 0
	v_mov_b32_e32 v9, v7
	s_waitcnt vmcnt(0) lgkmcnt(0)
	v_pk_mul_f32 v[6:7], v[16:17], v[70:71] op_sel:[1,1] op_sel_hi:[0,1]
	v_pk_add_f32 v[4:5], v[4:5], v[8:9]
	v_pk_fma_f32 v[8:9], v[16:17], v[70:71], v[6:7] neg_lo:[0,0,1] neg_hi:[0,0,1]
	v_pk_fma_f32 v[6:7], v[16:17], v[70:71], v[6:7] op_sel_hi:[1,0,1]
	s_nop 0
	v_mov_b32_e32 v9, v7
	scratch_load_dwordx2 v[6:7], off, off offset:168
	v_pk_add_f32 v[4:5], v[4:5], v[8:9]
	s_waitcnt vmcnt(0)
	v_pk_add_f32 v[4:5], v[6:7], v[4:5] neg_lo:[0,1] neg_hi:[0,1]
	scratch_store_dwordx2 off, v[4:5], off offset:168
	s_and_saveexec_b64 s[0:1], vcc
	s_cbranch_execz .LBB104_219
; %bb.218:
	scratch_load_dwordx2 v[4:5], off, off offset:160
	v_mov_b32_e32 v3, v2
	scratch_store_dwordx2 off, v[2:3], off offset:160
	s_waitcnt vmcnt(1)
	ds_write_b64 v1, v[4:5]
.LBB104_219:
	s_or_b64 exec, exec, s[0:1]
	s_waitcnt lgkmcnt(0)
	; wave barrier
	scratch_load_dwordx4 v[8:11], off, off offset:168
	scratch_load_dwordx4 v[16:19], off, off offset:184
	;; [unrolled: 1-line block ×6, first 2 shown]
	ds_read2_b64 v[4:7], v2 offset0:63 offset1:64
	v_cmp_lt_u32_e32 vcc, 19, v0
	s_waitcnt vmcnt(5) lgkmcnt(0)
	v_mul_f32_e32 v3, v4, v9
	v_fmac_f32_e32 v3, v5, v8
	v_mul_f32_e32 v12, v6, v11
	v_add_f32_e32 v3, 0, v3
	v_fmac_f32_e32 v12, v7, v10
	v_add_f32_e32 v3, v3, v12
	ds_read2_b64 v[12:15], v2 offset0:65 offset1:66
	s_waitcnt vmcnt(4) lgkmcnt(0)
	v_mul_f32_e32 v20, v12, v17
	v_fmac_f32_e32 v20, v13, v16
	v_add_f32_e32 v3, v3, v20
	v_mul_f32_e32 v20, v14, v19
	v_fmac_f32_e32 v20, v15, v18
	v_add_f32_e32 v3, v3, v20
	ds_read2_b64 v[20:23], v2 offset0:67 offset1:68
	s_waitcnt vmcnt(3) lgkmcnt(0)
	v_mul_f32_e32 v28, v20, v25
	v_fmac_f32_e32 v28, v21, v24
	v_add_f32_e32 v3, v3, v28
	v_mul_f32_e32 v28, v22, v27
	;; [unrolled: 8-line block ×4, first 2 shown]
	v_fmac_f32_e32 v44, v39, v42
	v_add_f32_e32 v69, v3, v44
	ds_read2_b64 v[44:47], v2 offset0:73 offset1:74
	scratch_load_dwordx4 v[52:55], off, off offset:264
	scratch_load_dwordx4 v[56:59], off, off offset:280
	;; [unrolled: 1-line block ×4, first 2 shown]
	v_mul_f32_e32 v3, v5, v9
	v_fma_f32 v3, v4, v8, -v3
	v_mul_f32_e32 v4, v7, v11
	v_add_f32_e32 v3, 0, v3
	v_fma_f32 v4, v6, v10, -v4
	v_add_f32_e32 v3, v3, v4
	v_mul_f32_e32 v4, v13, v17
	v_fma_f32 v4, v12, v16, -v4
	v_add_f32_e32 v3, v3, v4
	v_mul_f32_e32 v4, v15, v19
	;; [unrolled: 3-line block ×8, first 2 shown]
	v_fma_f32 v4, v38, v42, -v4
	v_add_f32_e32 v68, v3, v4
	ds_read2_b64 v[4:7], v2 offset0:75 offset1:76
	ds_read2_b64 v[8:11], v2 offset0:77 offset1:78
	;; [unrolled: 1-line block ×4, first 2 shown]
	s_waitcnt vmcnt(4) lgkmcnt(4)
	v_mul_f32_e32 v71, v44, v49
	v_mul_f32_e32 v3, v45, v49
	v_fmac_f32_e32 v71, v45, v48
	v_mul_f32_e32 v73, v46, v51
	v_fma_f32 v70, v44, v48, -v3
	v_mul_f32_e32 v3, v47, v51
	v_fmac_f32_e32 v73, v47, v50
	v_fma_f32 v72, v46, v50, -v3
	v_pk_add_f32 v[2:3], v[68:69], v[70:71]
	s_waitcnt vmcnt(3) lgkmcnt(3)
	v_pk_mul_f32 v[20:21], v[4:5], v[52:53] op_sel:[1,1] op_sel_hi:[0,1]
	v_pk_fma_f32 v[22:23], v[4:5], v[52:53], v[20:21] neg_lo:[0,0,1] neg_hi:[0,0,1]
	v_pk_fma_f32 v[4:5], v[4:5], v[52:53], v[20:21] op_sel_hi:[1,0,1]
	v_pk_add_f32 v[2:3], v[2:3], v[72:73]
	v_mov_b32_e32 v4, v55
	v_mov_b32_e32 v23, v5
	v_pk_mul_f32 v[4:5], v[6:7], v[4:5] op_sel:[1,0] op_sel_hi:[0,0]
	v_pk_fma_f32 v[20:21], v[6:7], v[54:55], v[4:5] neg_lo:[0,0,1] neg_hi:[0,0,1]
	v_pk_fma_f32 v[4:5], v[6:7], v[54:55], v[4:5] op_sel_hi:[1,0,1]
	v_pk_add_f32 v[2:3], v[2:3], v[22:23]
	v_mov_b32_e32 v21, v5
	s_waitcnt vmcnt(2) lgkmcnt(2)
	v_pk_mul_f32 v[4:5], v[8:9], v[56:57] op_sel:[1,1] op_sel_hi:[0,1]
	v_pk_fma_f32 v[6:7], v[8:9], v[56:57], v[4:5] neg_lo:[0,0,1] neg_hi:[0,0,1]
	v_pk_fma_f32 v[4:5], v[8:9], v[56:57], v[4:5] op_sel_hi:[1,0,1]
	v_pk_add_f32 v[2:3], v[2:3], v[20:21]
	v_mov_b32_e32 v4, v59
	v_mov_b32_e32 v7, v5
	v_pk_mul_f32 v[4:5], v[10:11], v[4:5] op_sel:[1,0] op_sel_hi:[0,0]
	v_pk_add_f32 v[2:3], v[2:3], v[6:7]
	v_pk_fma_f32 v[6:7], v[10:11], v[58:59], v[4:5] neg_lo:[0,0,1] neg_hi:[0,0,1]
	v_pk_fma_f32 v[4:5], v[10:11], v[58:59], v[4:5] op_sel_hi:[1,0,1]
	s_nop 0
	v_mov_b32_e32 v7, v5
	s_waitcnt vmcnt(1) lgkmcnt(1)
	v_pk_mul_f32 v[4:5], v[12:13], v[60:61] op_sel:[1,1] op_sel_hi:[0,1]
	v_pk_add_f32 v[2:3], v[2:3], v[6:7]
	v_pk_fma_f32 v[6:7], v[12:13], v[60:61], v[4:5] neg_lo:[0,0,1] neg_hi:[0,0,1]
	v_pk_fma_f32 v[4:5], v[12:13], v[60:61], v[4:5] op_sel_hi:[1,0,1]
	s_nop 0
	v_mov_b32_e32 v4, v63
	v_mov_b32_e32 v7, v5
	v_pk_mul_f32 v[4:5], v[14:15], v[4:5] op_sel:[1,0] op_sel_hi:[0,0]
	v_pk_add_f32 v[2:3], v[2:3], v[6:7]
	v_pk_fma_f32 v[6:7], v[14:15], v[62:63], v[4:5] neg_lo:[0,0,1] neg_hi:[0,0,1]
	v_pk_fma_f32 v[4:5], v[14:15], v[62:63], v[4:5] op_sel_hi:[1,0,1]
	s_nop 0
	v_mov_b32_e32 v7, v5
	s_waitcnt vmcnt(0) lgkmcnt(0)
	v_pk_mul_f32 v[4:5], v[16:17], v[64:65] op_sel:[1,1] op_sel_hi:[0,1]
	v_pk_add_f32 v[2:3], v[2:3], v[6:7]
	v_pk_fma_f32 v[6:7], v[16:17], v[64:65], v[4:5] neg_lo:[0,0,1] neg_hi:[0,0,1]
	v_pk_fma_f32 v[4:5], v[16:17], v[64:65], v[4:5] op_sel_hi:[1,0,1]
	s_nop 0
	v_mov_b32_e32 v4, v67
	v_mov_b32_e32 v7, v5
	v_pk_mul_f32 v[4:5], v[18:19], v[4:5] op_sel:[1,0] op_sel_hi:[0,0]
	v_pk_add_f32 v[2:3], v[2:3], v[6:7]
	v_pk_fma_f32 v[6:7], v[18:19], v[66:67], v[4:5] neg_lo:[0,0,1] neg_hi:[0,0,1]
	v_pk_fma_f32 v[4:5], v[18:19], v[66:67], v[4:5] op_sel_hi:[1,0,1]
	s_nop 0
	v_mov_b32_e32 v7, v5
	scratch_load_dwordx2 v[4:5], off, off offset:160
	v_pk_add_f32 v[2:3], v[2:3], v[6:7]
	s_waitcnt vmcnt(0)
	v_pk_add_f32 v[2:3], v[4:5], v[2:3] neg_lo:[0,1] neg_hi:[0,1]
	scratch_store_dwordx2 off, v[2:3], off offset:160
	s_and_saveexec_b64 s[0:1], vcc
	s_cbranch_execz .LBB104_221
; %bb.220:
	scratch_load_dwordx2 v[2:3], off, off offset:152
	v_mov_b32_e32 v4, 0
	v_mov_b32_e32 v5, v4
	scratch_store_dwordx2 off, v[4:5], off offset:152
	s_waitcnt vmcnt(1)
	ds_write_b64 v1, v[2:3]
.LBB104_221:
	s_or_b64 exec, exec, s[0:1]
	v_mov_b32_e32 v2, 0
	s_waitcnt lgkmcnt(0)
	; wave barrier
	ds_read_b128 v[4:7], v2 offset:496
	ds_read_b128 v[8:11], v2 offset:512
	;; [unrolled: 1-line block ×4, first 2 shown]
	scratch_load_dwordx4 v[20:23], off, off offset:160
	scratch_load_dwordx4 v[40:43], off, off offset:224
	v_cmp_lt_u32_e32 vcc, 18, v0
	scratch_load_dwordx4 v[48:51], off, off offset:240
	scratch_load_dwordx4 v[56:59], off, off offset:256
	s_waitcnt vmcnt(3) lgkmcnt(3)
	v_mul_f32_e32 v3, v4, v21
	v_fmac_f32_e32 v3, v5, v20
	v_mul_f32_e32 v24, v6, v23
	v_add_f32_e32 v3, 0, v3
	v_fmac_f32_e32 v24, v7, v22
	v_add_f32_e32 v3, v3, v24
	scratch_load_dwordx4 v[24:27], off, off offset:176
	s_waitcnt vmcnt(0) lgkmcnt(2)
	v_mul_f32_e32 v28, v8, v25
	v_fmac_f32_e32 v28, v9, v24
	v_add_f32_e32 v3, v3, v28
	v_mul_f32_e32 v28, v10, v27
	v_fmac_f32_e32 v28, v11, v26
	v_add_f32_e32 v3, v3, v28
	scratch_load_dwordx4 v[28:31], off, off offset:192
	s_waitcnt vmcnt(0) lgkmcnt(1)
	v_mul_f32_e32 v32, v12, v29
	v_fmac_f32_e32 v32, v13, v28
	v_add_f32_e32 v3, v3, v32
	v_mul_f32_e32 v32, v14, v31
	;; [unrolled: 8-line block ×3, first 2 shown]
	v_fmac_f32_e32 v36, v19, v34
	v_add_f32_e32 v3, v3, v36
	ds_read_b128 v[36:39], v2 offset:560
	s_waitcnt lgkmcnt(0)
	v_mul_f32_e32 v44, v36, v41
	v_fmac_f32_e32 v44, v37, v40
	v_add_f32_e32 v3, v3, v44
	v_mul_f32_e32 v44, v38, v43
	v_fmac_f32_e32 v44, v39, v42
	v_add_f32_e32 v3, v3, v44
	ds_read_b128 v[44:47], v2 offset:576
	s_waitcnt lgkmcnt(0)
	v_mul_f32_e32 v52, v44, v49
	v_fmac_f32_e32 v52, v45, v48
	v_add_f32_e32 v73, v3, v52
	ds_read_b128 v[52:55], v2 offset:592
	scratch_load_dwordx4 v[60:63], off, off offset:272
	scratch_load_dwordx4 v[64:67], off, off offset:288
	;; [unrolled: 1-line block ×3, first 2 shown]
	scratch_load_dwordx2 v[78:79], off, off offset:320
	v_mul_f32_e32 v3, v5, v21
	v_fma_f32 v3, v4, v20, -v3
	v_mul_f32_e32 v4, v7, v23
	v_add_f32_e32 v3, 0, v3
	v_fma_f32 v4, v6, v22, -v4
	v_add_f32_e32 v3, v3, v4
	v_mul_f32_e32 v4, v9, v25
	v_fma_f32 v4, v8, v24, -v4
	v_add_f32_e32 v3, v3, v4
	v_mul_f32_e32 v4, v11, v27
	;; [unrolled: 3-line block ×9, first 2 shown]
	v_fma_f32 v4, v44, v48, -v4
	v_mul_f32_e32 v75, v46, v51
	v_add_f32_e32 v72, v3, v4
	v_mul_f32_e32 v3, v47, v51
	v_mov_b32_e32 v20, v59
	v_fmac_f32_e32 v75, v47, v50
	s_waitcnt lgkmcnt(0)
	v_mul_f32_e32 v77, v52, v57
	v_fma_f32 v74, v46, v50, -v3
	v_mul_f32_e32 v3, v53, v57
	ds_read_b128 v[4:7], v2 offset:608
	ds_read_b128 v[8:11], v2 offset:624
	;; [unrolled: 1-line block ×3, first 2 shown]
	ds_read_b64 v[16:17], v2 offset:656
	v_pk_mul_f32 v[20:21], v[54:55], v[20:21] op_sel:[1,0] op_sel_hi:[0,0]
	v_fmac_f32_e32 v77, v53, v56
	v_fma_f32 v76, v52, v56, -v3
	v_pk_add_f32 v[18:19], v[72:73], v[74:75]
	v_pk_fma_f32 v[22:23], v[54:55], v[58:59], v[20:21] neg_lo:[0,0,1] neg_hi:[0,0,1]
	v_pk_fma_f32 v[20:21], v[54:55], v[58:59], v[20:21] op_sel_hi:[1,0,1]
	v_pk_add_f32 v[18:19], v[18:19], v[76:77]
	v_mov_b32_e32 v23, v21
	v_pk_add_f32 v[18:19], v[18:19], v[22:23]
	s_waitcnt vmcnt(3) lgkmcnt(3)
	v_pk_mul_f32 v[20:21], v[4:5], v[60:61] op_sel:[1,1] op_sel_hi:[0,1]
	v_pk_fma_f32 v[22:23], v[4:5], v[60:61], v[20:21] neg_lo:[0,0,1] neg_hi:[0,0,1]
	v_pk_fma_f32 v[4:5], v[4:5], v[60:61], v[20:21] op_sel_hi:[1,0,1]
	s_nop 0
	v_mov_b32_e32 v23, v5
	v_pk_add_f32 v[4:5], v[18:19], v[22:23]
	v_mov_b32_e32 v18, v63
	v_pk_mul_f32 v[18:19], v[6:7], v[18:19] op_sel:[1,0] op_sel_hi:[0,0]
	v_pk_fma_f32 v[20:21], v[6:7], v[62:63], v[18:19] neg_lo:[0,0,1] neg_hi:[0,0,1]
	v_pk_fma_f32 v[6:7], v[6:7], v[62:63], v[18:19] op_sel_hi:[1,0,1]
	s_nop 0
	v_mov_b32_e32 v21, v7
	s_waitcnt vmcnt(2) lgkmcnt(2)
	v_pk_mul_f32 v[6:7], v[8:9], v[64:65] op_sel:[1,1] op_sel_hi:[0,1]
	v_pk_fma_f32 v[18:19], v[8:9], v[64:65], v[6:7] neg_lo:[0,0,1] neg_hi:[0,0,1]
	v_pk_fma_f32 v[6:7], v[8:9], v[64:65], v[6:7] op_sel_hi:[1,0,1]
	v_pk_add_f32 v[4:5], v[4:5], v[20:21]
	v_mov_b32_e32 v6, v67
	v_mov_b32_e32 v19, v7
	v_pk_mul_f32 v[6:7], v[10:11], v[6:7] op_sel:[1,0] op_sel_hi:[0,0]
	v_pk_fma_f32 v[8:9], v[10:11], v[66:67], v[6:7] neg_lo:[0,0,1] neg_hi:[0,0,1]
	v_pk_fma_f32 v[6:7], v[10:11], v[66:67], v[6:7] op_sel_hi:[1,0,1]
	v_pk_add_f32 v[4:5], v[4:5], v[18:19]
	v_mov_b32_e32 v9, v7
	s_waitcnt vmcnt(1) lgkmcnt(1)
	v_pk_mul_f32 v[6:7], v[12:13], v[68:69] op_sel:[1,1] op_sel_hi:[0,1]
	v_pk_add_f32 v[4:5], v[4:5], v[8:9]
	v_pk_fma_f32 v[8:9], v[12:13], v[68:69], v[6:7] neg_lo:[0,0,1] neg_hi:[0,0,1]
	v_pk_fma_f32 v[6:7], v[12:13], v[68:69], v[6:7] op_sel_hi:[1,0,1]
	s_nop 0
	v_mov_b32_e32 v6, v71
	v_mov_b32_e32 v9, v7
	v_pk_mul_f32 v[6:7], v[14:15], v[6:7] op_sel:[1,0] op_sel_hi:[0,0]
	v_pk_add_f32 v[4:5], v[4:5], v[8:9]
	v_pk_fma_f32 v[8:9], v[14:15], v[70:71], v[6:7] neg_lo:[0,0,1] neg_hi:[0,0,1]
	v_pk_fma_f32 v[6:7], v[14:15], v[70:71], v[6:7] op_sel_hi:[1,0,1]
	s_nop 0
	v_mov_b32_e32 v9, v7
	s_waitcnt vmcnt(0) lgkmcnt(0)
	v_pk_mul_f32 v[6:7], v[16:17], v[78:79] op_sel:[1,1] op_sel_hi:[0,1]
	v_pk_add_f32 v[4:5], v[4:5], v[8:9]
	v_pk_fma_f32 v[8:9], v[16:17], v[78:79], v[6:7] neg_lo:[0,0,1] neg_hi:[0,0,1]
	v_pk_fma_f32 v[6:7], v[16:17], v[78:79], v[6:7] op_sel_hi:[1,0,1]
	s_nop 0
	v_mov_b32_e32 v9, v7
	scratch_load_dwordx2 v[6:7], off, off offset:152
	v_pk_add_f32 v[4:5], v[4:5], v[8:9]
	s_waitcnt vmcnt(0)
	v_pk_add_f32 v[4:5], v[6:7], v[4:5] neg_lo:[0,1] neg_hi:[0,1]
	scratch_store_dwordx2 off, v[4:5], off offset:152
	s_and_saveexec_b64 s[0:1], vcc
	s_cbranch_execz .LBB104_223
; %bb.222:
	scratch_load_dwordx2 v[4:5], off, off offset:144
	v_mov_b32_e32 v3, v2
	scratch_store_dwordx2 off, v[2:3], off offset:144
	s_waitcnt vmcnt(1)
	ds_write_b64 v1, v[4:5]
.LBB104_223:
	s_or_b64 exec, exec, s[0:1]
	s_waitcnt lgkmcnt(0)
	; wave barrier
	scratch_load_dwordx4 v[8:11], off, off offset:152
	scratch_load_dwordx4 v[16:19], off, off offset:168
	;; [unrolled: 1-line block ×6, first 2 shown]
	ds_read2_b64 v[4:7], v2 offset0:61 offset1:62
	scratch_load_dwordx4 v[56:59], off, off offset:248
	v_cmp_lt_u32_e32 vcc, 17, v0
	s_waitcnt vmcnt(6) lgkmcnt(0)
	v_mul_f32_e32 v3, v4, v9
	v_fmac_f32_e32 v3, v5, v8
	v_mul_f32_e32 v12, v6, v11
	v_add_f32_e32 v3, 0, v3
	v_fmac_f32_e32 v12, v7, v10
	v_add_f32_e32 v3, v3, v12
	ds_read2_b64 v[12:15], v2 offset0:63 offset1:64
	s_waitcnt vmcnt(5) lgkmcnt(0)
	v_mul_f32_e32 v20, v12, v17
	v_fmac_f32_e32 v20, v13, v16
	v_add_f32_e32 v3, v3, v20
	v_mul_f32_e32 v20, v14, v19
	v_fmac_f32_e32 v20, v15, v18
	v_add_f32_e32 v3, v3, v20
	ds_read2_b64 v[20:23], v2 offset0:65 offset1:66
	s_waitcnt vmcnt(4) lgkmcnt(0)
	v_mul_f32_e32 v28, v20, v25
	v_fmac_f32_e32 v28, v21, v24
	v_add_f32_e32 v3, v3, v28
	v_mul_f32_e32 v28, v22, v27
	;; [unrolled: 8-line block ×5, first 2 shown]
	v_fmac_f32_e32 v52, v47, v50
	v_add_f32_e32 v77, v3, v52
	ds_read2_b64 v[52:55], v2 offset0:73 offset1:74
	scratch_load_dwordx4 v[60:63], off, off offset:264
	scratch_load_dwordx4 v[64:67], off, off offset:280
	scratch_load_dwordx4 v[68:71], off, off offset:296
	scratch_load_dwordx4 v[72:75], off, off offset:312
	v_mul_f32_e32 v3, v5, v9
	v_fma_f32 v3, v4, v8, -v3
	v_mul_f32_e32 v4, v7, v11
	v_add_f32_e32 v3, 0, v3
	v_fma_f32 v4, v6, v10, -v4
	v_add_f32_e32 v3, v3, v4
	v_mul_f32_e32 v4, v13, v17
	v_fma_f32 v4, v12, v16, -v4
	v_add_f32_e32 v3, v3, v4
	v_mul_f32_e32 v4, v15, v19
	;; [unrolled: 3-line block ×10, first 2 shown]
	v_fma_f32 v4, v46, v50, -v4
	v_add_f32_e32 v76, v3, v4
	ds_read2_b64 v[4:7], v2 offset0:75 offset1:76
	ds_read2_b64 v[8:11], v2 offset0:77 offset1:78
	;; [unrolled: 1-line block ×4, first 2 shown]
	s_waitcnt vmcnt(4) lgkmcnt(4)
	v_mul_f32_e32 v79, v52, v57
	v_mul_f32_e32 v3, v53, v57
	v_fmac_f32_e32 v79, v53, v56
	v_mul_f32_e32 v81, v54, v59
	v_fma_f32 v78, v52, v56, -v3
	v_mul_f32_e32 v3, v55, v59
	v_fmac_f32_e32 v81, v55, v58
	v_fma_f32 v80, v54, v58, -v3
	v_pk_add_f32 v[2:3], v[76:77], v[78:79]
	s_waitcnt vmcnt(3) lgkmcnt(3)
	v_pk_mul_f32 v[20:21], v[4:5], v[60:61] op_sel:[1,1] op_sel_hi:[0,1]
	v_pk_fma_f32 v[22:23], v[4:5], v[60:61], v[20:21] neg_lo:[0,0,1] neg_hi:[0,0,1]
	v_pk_fma_f32 v[4:5], v[4:5], v[60:61], v[20:21] op_sel_hi:[1,0,1]
	v_pk_add_f32 v[2:3], v[2:3], v[80:81]
	v_mov_b32_e32 v4, v63
	v_mov_b32_e32 v23, v5
	v_pk_mul_f32 v[4:5], v[6:7], v[4:5] op_sel:[1,0] op_sel_hi:[0,0]
	v_pk_fma_f32 v[20:21], v[6:7], v[62:63], v[4:5] neg_lo:[0,0,1] neg_hi:[0,0,1]
	v_pk_fma_f32 v[4:5], v[6:7], v[62:63], v[4:5] op_sel_hi:[1,0,1]
	v_pk_add_f32 v[2:3], v[2:3], v[22:23]
	v_mov_b32_e32 v21, v5
	s_waitcnt vmcnt(2) lgkmcnt(2)
	v_pk_mul_f32 v[4:5], v[8:9], v[64:65] op_sel:[1,1] op_sel_hi:[0,1]
	v_pk_fma_f32 v[6:7], v[8:9], v[64:65], v[4:5] neg_lo:[0,0,1] neg_hi:[0,0,1]
	v_pk_fma_f32 v[4:5], v[8:9], v[64:65], v[4:5] op_sel_hi:[1,0,1]
	v_pk_add_f32 v[2:3], v[2:3], v[20:21]
	v_mov_b32_e32 v4, v67
	v_mov_b32_e32 v7, v5
	v_pk_mul_f32 v[4:5], v[10:11], v[4:5] op_sel:[1,0] op_sel_hi:[0,0]
	v_pk_add_f32 v[2:3], v[2:3], v[6:7]
	v_pk_fma_f32 v[6:7], v[10:11], v[66:67], v[4:5] neg_lo:[0,0,1] neg_hi:[0,0,1]
	v_pk_fma_f32 v[4:5], v[10:11], v[66:67], v[4:5] op_sel_hi:[1,0,1]
	s_nop 0
	v_mov_b32_e32 v7, v5
	s_waitcnt vmcnt(1) lgkmcnt(1)
	v_pk_mul_f32 v[4:5], v[12:13], v[68:69] op_sel:[1,1] op_sel_hi:[0,1]
	v_pk_add_f32 v[2:3], v[2:3], v[6:7]
	v_pk_fma_f32 v[6:7], v[12:13], v[68:69], v[4:5] neg_lo:[0,0,1] neg_hi:[0,0,1]
	v_pk_fma_f32 v[4:5], v[12:13], v[68:69], v[4:5] op_sel_hi:[1,0,1]
	s_nop 0
	v_mov_b32_e32 v4, v71
	v_mov_b32_e32 v7, v5
	v_pk_mul_f32 v[4:5], v[14:15], v[4:5] op_sel:[1,0] op_sel_hi:[0,0]
	v_pk_add_f32 v[2:3], v[2:3], v[6:7]
	v_pk_fma_f32 v[6:7], v[14:15], v[70:71], v[4:5] neg_lo:[0,0,1] neg_hi:[0,0,1]
	v_pk_fma_f32 v[4:5], v[14:15], v[70:71], v[4:5] op_sel_hi:[1,0,1]
	s_nop 0
	v_mov_b32_e32 v7, v5
	s_waitcnt vmcnt(0) lgkmcnt(0)
	v_pk_mul_f32 v[4:5], v[16:17], v[72:73] op_sel:[1,1] op_sel_hi:[0,1]
	v_pk_add_f32 v[2:3], v[2:3], v[6:7]
	v_pk_fma_f32 v[6:7], v[16:17], v[72:73], v[4:5] neg_lo:[0,0,1] neg_hi:[0,0,1]
	v_pk_fma_f32 v[4:5], v[16:17], v[72:73], v[4:5] op_sel_hi:[1,0,1]
	s_nop 0
	v_mov_b32_e32 v4, v75
	v_mov_b32_e32 v7, v5
	v_pk_mul_f32 v[4:5], v[18:19], v[4:5] op_sel:[1,0] op_sel_hi:[0,0]
	v_pk_add_f32 v[2:3], v[2:3], v[6:7]
	v_pk_fma_f32 v[6:7], v[18:19], v[74:75], v[4:5] neg_lo:[0,0,1] neg_hi:[0,0,1]
	v_pk_fma_f32 v[4:5], v[18:19], v[74:75], v[4:5] op_sel_hi:[1,0,1]
	s_nop 0
	v_mov_b32_e32 v7, v5
	scratch_load_dwordx2 v[4:5], off, off offset:144
	v_pk_add_f32 v[2:3], v[2:3], v[6:7]
	s_waitcnt vmcnt(0)
	v_pk_add_f32 v[2:3], v[4:5], v[2:3] neg_lo:[0,1] neg_hi:[0,1]
	scratch_store_dwordx2 off, v[2:3], off offset:144
	s_and_saveexec_b64 s[0:1], vcc
	s_cbranch_execz .LBB104_225
; %bb.224:
	scratch_load_dwordx2 v[2:3], off, off offset:136
	v_mov_b32_e32 v4, 0
	v_mov_b32_e32 v5, v4
	scratch_store_dwordx2 off, v[4:5], off offset:136
	s_waitcnt vmcnt(1)
	ds_write_b64 v1, v[2:3]
.LBB104_225:
	s_or_b64 exec, exec, s[0:1]
	v_mov_b32_e32 v38, 0
	s_waitcnt lgkmcnt(0)
	; wave barrier
	ds_read_b128 v[2:5], v38 offset:480
	ds_read_b128 v[6:9], v38 offset:496
	;; [unrolled: 1-line block ×4, first 2 shown]
	scratch_load_dwordx4 v[18:21], off, off offset:144
	scratch_load_dwordx4 v[40:43], off, off offset:208
	v_cmp_lt_u32_e32 vcc, 16, v0
	scratch_load_dwordx4 v[48:51], off, off offset:224
	scratch_load_dwordx4 v[56:59], off, off offset:240
	;; [unrolled: 1-line block ×3, first 2 shown]
	s_waitcnt vmcnt(4) lgkmcnt(3)
	v_mul_f32_e32 v22, v2, v19
	v_fmac_f32_e32 v22, v3, v18
	v_mul_f32_e32 v23, v4, v21
	v_add_f32_e32 v22, 0, v22
	v_fmac_f32_e32 v23, v5, v20
	v_add_f32_e32 v26, v22, v23
	scratch_load_dwordx4 v[22:25], off, off offset:160
	v_mul_f32_e32 v3, v3, v19
	v_fma_f32 v2, v2, v18, -v3
	v_mul_f32_e32 v3, v5, v21
	v_add_f32_e32 v2, 0, v2
	v_fma_f32 v3, v4, v20, -v3
	v_add_f32_e32 v2, v2, v3
	s_waitcnt vmcnt(1)
	v_mov_b32_e32 v18, v67
	s_waitcnt vmcnt(0) lgkmcnt(2)
	v_mul_f32_e32 v27, v6, v23
	v_fmac_f32_e32 v27, v7, v22
	v_add_f32_e32 v26, v26, v27
	v_mul_f32_e32 v27, v8, v25
	v_fmac_f32_e32 v27, v9, v24
	v_add_f32_e32 v30, v26, v27
	scratch_load_dwordx4 v[26:29], off, off offset:176
	v_mul_f32_e32 v3, v7, v23
	v_fma_f32 v3, v6, v22, -v3
	v_add_f32_e32 v2, v2, v3
	v_mul_f32_e32 v3, v9, v25
	v_fma_f32 v3, v8, v24, -v3
	v_add_f32_e32 v2, v2, v3
	s_waitcnt vmcnt(0) lgkmcnt(1)
	v_mul_f32_e32 v31, v10, v27
	v_fmac_f32_e32 v31, v11, v26
	v_add_f32_e32 v30, v30, v31
	v_mul_f32_e32 v31, v12, v29
	v_fmac_f32_e32 v31, v13, v28
	v_add_f32_e32 v34, v30, v31
	scratch_load_dwordx4 v[30:33], off, off offset:192
	v_mul_f32_e32 v3, v11, v27
	v_fma_f32 v3, v10, v26, -v3
	v_add_f32_e32 v2, v2, v3
	v_mul_f32_e32 v3, v13, v29
	v_fma_f32 v3, v12, v28, -v3
	v_add_f32_e32 v2, v2, v3
	s_waitcnt vmcnt(0) lgkmcnt(0)
	v_mul_f32_e32 v35, v14, v31
	v_fmac_f32_e32 v35, v15, v30
	v_add_f32_e32 v34, v34, v35
	v_mul_f32_e32 v35, v16, v33
	v_fmac_f32_e32 v35, v17, v32
	v_add_f32_e32 v39, v34, v35
	ds_read_b128 v[34:37], v38 offset:544
	v_mul_f32_e32 v3, v15, v31
	v_fma_f32 v3, v14, v30, -v3
	v_add_f32_e32 v2, v2, v3
	v_mul_f32_e32 v3, v17, v33
	s_waitcnt lgkmcnt(0)
	v_mul_f32_e32 v44, v34, v41
	v_fmac_f32_e32 v44, v35, v40
	v_add_f32_e32 v39, v39, v44
	v_mul_f32_e32 v44, v36, v43
	v_fmac_f32_e32 v44, v37, v42
	v_add_f32_e32 v39, v39, v44
	ds_read_b128 v[44:47], v38 offset:560
	v_fma_f32 v3, v16, v32, -v3
	v_add_f32_e32 v2, v2, v3
	v_mul_f32_e32 v3, v35, v41
	v_fma_f32 v3, v34, v40, -v3
	s_waitcnt lgkmcnt(0)
	v_mul_f32_e32 v52, v44, v49
	v_fmac_f32_e32 v52, v45, v48
	v_add_f32_e32 v39, v39, v52
	v_mul_f32_e32 v52, v46, v51
	v_fmac_f32_e32 v52, v47, v50
	v_add_f32_e32 v39, v39, v52
	ds_read_b128 v[52:55], v38 offset:576
	v_add_f32_e32 v2, v2, v3
	v_mul_f32_e32 v3, v37, v43
	v_fma_f32 v3, v36, v42, -v3
	v_add_f32_e32 v2, v2, v3
	s_waitcnt lgkmcnt(0)
	v_mul_f32_e32 v60, v52, v57
	v_fmac_f32_e32 v60, v53, v56
	v_add_f32_e32 v81, v39, v60
	ds_read_b128 v[60:63], v38 offset:592
	scratch_load_dwordx4 v[68:71], off, off offset:272
	scratch_load_dwordx4 v[72:75], off, off offset:288
	;; [unrolled: 1-line block ×3, first 2 shown]
	scratch_load_dwordx2 v[86:87], off, off offset:320
	v_mul_f32_e32 v3, v45, v49
	v_fma_f32 v3, v44, v48, -v3
	v_add_f32_e32 v2, v2, v3
	v_mul_f32_e32 v3, v47, v51
	v_fma_f32 v3, v46, v50, -v3
	v_add_f32_e32 v2, v2, v3
	;; [unrolled: 3-line block ×3, first 2 shown]
	v_mul_f32_e32 v2, v55, v59
	v_mul_f32_e32 v83, v54, v59
	v_fma_f32 v82, v54, v58, -v2
	s_waitcnt lgkmcnt(0)
	v_mul_f32_e32 v2, v61, v65
	v_fmac_f32_e32 v83, v55, v58
	v_mul_f32_e32 v85, v60, v65
	v_fma_f32 v84, v60, v64, -v2
	ds_read_b128 v[2:5], v38 offset:608
	ds_read_b128 v[6:9], v38 offset:624
	;; [unrolled: 1-line block ×3, first 2 shown]
	ds_read_b64 v[14:15], v38 offset:656
	v_pk_mul_f32 v[18:19], v[62:63], v[18:19] op_sel:[1,0] op_sel_hi:[0,0]
	v_fmac_f32_e32 v85, v61, v64
	v_pk_add_f32 v[16:17], v[80:81], v[82:83]
	v_pk_fma_f32 v[20:21], v[62:63], v[66:67], v[18:19] neg_lo:[0,0,1] neg_hi:[0,0,1]
	v_pk_fma_f32 v[18:19], v[62:63], v[66:67], v[18:19] op_sel_hi:[1,0,1]
	v_pk_add_f32 v[16:17], v[16:17], v[84:85]
	v_mov_b32_e32 v21, v19
	v_pk_add_f32 v[16:17], v[16:17], v[20:21]
	s_waitcnt vmcnt(3) lgkmcnt(3)
	v_pk_mul_f32 v[18:19], v[2:3], v[68:69] op_sel:[1,1] op_sel_hi:[0,1]
	v_pk_fma_f32 v[20:21], v[2:3], v[68:69], v[18:19] neg_lo:[0,0,1] neg_hi:[0,0,1]
	v_pk_fma_f32 v[2:3], v[2:3], v[68:69], v[18:19] op_sel_hi:[1,0,1]
	s_nop 0
	v_mov_b32_e32 v21, v3
	v_pk_add_f32 v[2:3], v[16:17], v[20:21]
	v_mov_b32_e32 v16, v71
	v_pk_mul_f32 v[16:17], v[4:5], v[16:17] op_sel:[1,0] op_sel_hi:[0,0]
	v_pk_fma_f32 v[18:19], v[4:5], v[70:71], v[16:17] neg_lo:[0,0,1] neg_hi:[0,0,1]
	v_pk_fma_f32 v[4:5], v[4:5], v[70:71], v[16:17] op_sel_hi:[1,0,1]
	s_nop 0
	v_mov_b32_e32 v19, v5
	s_waitcnt vmcnt(2) lgkmcnt(2)
	v_pk_mul_f32 v[4:5], v[6:7], v[72:73] op_sel:[1,1] op_sel_hi:[0,1]
	v_pk_fma_f32 v[16:17], v[6:7], v[72:73], v[4:5] neg_lo:[0,0,1] neg_hi:[0,0,1]
	v_pk_fma_f32 v[4:5], v[6:7], v[72:73], v[4:5] op_sel_hi:[1,0,1]
	v_pk_add_f32 v[2:3], v[2:3], v[18:19]
	v_mov_b32_e32 v4, v75
	v_mov_b32_e32 v17, v5
	v_pk_mul_f32 v[4:5], v[8:9], v[4:5] op_sel:[1,0] op_sel_hi:[0,0]
	v_pk_fma_f32 v[6:7], v[8:9], v[74:75], v[4:5] neg_lo:[0,0,1] neg_hi:[0,0,1]
	v_pk_fma_f32 v[4:5], v[8:9], v[74:75], v[4:5] op_sel_hi:[1,0,1]
	v_pk_add_f32 v[2:3], v[2:3], v[16:17]
	v_mov_b32_e32 v7, v5
	s_waitcnt vmcnt(1) lgkmcnt(1)
	v_pk_mul_f32 v[4:5], v[10:11], v[76:77] op_sel:[1,1] op_sel_hi:[0,1]
	v_pk_add_f32 v[2:3], v[2:3], v[6:7]
	v_pk_fma_f32 v[6:7], v[10:11], v[76:77], v[4:5] neg_lo:[0,0,1] neg_hi:[0,0,1]
	v_pk_fma_f32 v[4:5], v[10:11], v[76:77], v[4:5] op_sel_hi:[1,0,1]
	s_nop 0
	v_mov_b32_e32 v4, v79
	v_mov_b32_e32 v7, v5
	v_pk_mul_f32 v[4:5], v[12:13], v[4:5] op_sel:[1,0] op_sel_hi:[0,0]
	v_pk_add_f32 v[2:3], v[2:3], v[6:7]
	v_pk_fma_f32 v[6:7], v[12:13], v[78:79], v[4:5] neg_lo:[0,0,1] neg_hi:[0,0,1]
	v_pk_fma_f32 v[4:5], v[12:13], v[78:79], v[4:5] op_sel_hi:[1,0,1]
	s_nop 0
	v_mov_b32_e32 v7, v5
	s_waitcnt vmcnt(0) lgkmcnt(0)
	v_pk_mul_f32 v[4:5], v[14:15], v[86:87] op_sel:[1,1] op_sel_hi:[0,1]
	v_pk_add_f32 v[2:3], v[2:3], v[6:7]
	v_pk_fma_f32 v[6:7], v[14:15], v[86:87], v[4:5] neg_lo:[0,0,1] neg_hi:[0,0,1]
	v_pk_fma_f32 v[4:5], v[14:15], v[86:87], v[4:5] op_sel_hi:[1,0,1]
	s_nop 0
	v_mov_b32_e32 v7, v5
	scratch_load_dwordx2 v[4:5], off, off offset:136
	v_pk_add_f32 v[2:3], v[2:3], v[6:7]
	s_waitcnt vmcnt(0)
	v_pk_add_f32 v[2:3], v[4:5], v[2:3] neg_lo:[0,1] neg_hi:[0,1]
	scratch_store_dwordx2 off, v[2:3], off offset:136
	s_and_saveexec_b64 s[0:1], vcc
	s_cbranch_execz .LBB104_227
; %bb.226:
	scratch_load_dwordx2 v[2:3], off, off offset:128
	v_mov_b32_e32 v39, v38
	scratch_store_dwordx2 off, v[38:39], off offset:128
	s_waitcnt vmcnt(1)
	ds_write_b64 v1, v[2:3]
.LBB104_227:
	s_or_b64 exec, exec, s[0:1]
	s_waitcnt lgkmcnt(0)
	; wave barrier
	scratch_load_dwordx4 v[2:5], off, off offset:136
	scratch_load_dwordx4 v[14:17], off, off offset:152
	;; [unrolled: 1-line block ×8, first 2 shown]
	ds_read2_b64 v[48:51], v38 offset0:59 offset1:60
	ds_read2_b64 v[52:55], v38 offset0:61 offset1:62
	ds_read2_b64 v[56:59], v38 offset0:63 offset1:64
	ds_read2_b64 v[60:63], v38 offset0:65 offset1:66
	ds_read2_b64 v[64:67], v38 offset0:67 offset1:68
	ds_read2_b64 v[68:71], v38 offset0:69 offset1:70
	ds_read2_b64 v[72:75], v38 offset0:71 offset1:72
	ds_read2_b64 v[76:79], v38 offset0:73 offset1:74
	scratch_load_dwordx4 v[80:83], off, off offset:264
	scratch_load_dwordx4 v[26:29], off, off offset:280
	;; [unrolled: 1-line block ×4, first 2 shown]
	scratch_load_dwordx2 v[84:85], off, off offset:128
	v_cmp_lt_u32_e32 vcc, 15, v0
	s_waitcnt vmcnt(12) lgkmcnt(7)
	v_mul_f32_e32 v39, v48, v3
	v_mul_f32_e32 v86, v50, v5
	;; [unrolled: 1-line block ×3, first 2 shown]
	v_fmac_f32_e32 v39, v49, v2
	s_waitcnt vmcnt(8) lgkmcnt(3)
	v_mul_f32_e32 v95, v64, v19
	v_mul_f32_e32 v19, v65, v19
	;; [unrolled: 1-line block ×4, first 2 shown]
	v_fmac_f32_e32 v86, v51, v4
	v_fmac_f32_e32 v95, v65, v18
	v_fma_f32 v2, v48, v2, -v3
	v_fma_f32 v18, v64, v18, -v19
	v_add_f32_e32 v19, 0, v39
	v_mul_f32_e32 v90, v54, v17
	v_fmac_f32_e32 v88, v53, v14
	v_fma_f32 v3, v50, v4, -v5
	v_add_f32_e32 v2, 0, v2
	v_add_f32_e32 v19, v19, v86
	v_mul_f32_e32 v91, v56, v31
	v_fmac_f32_e32 v90, v55, v16
	v_add_f32_e32 v2, v2, v3
	v_add_f32_e32 v3, v19, v88
	v_mul_f32_e32 v92, v58, v33
	v_fmac_f32_e32 v91, v57, v30
	v_add_f32_e32 v3, v3, v90
	v_mul_f32_e32 v93, v60, v41
	v_fmac_f32_e32 v92, v59, v32
	v_add_f32_e32 v3, v3, v91
	v_mul_f32_e32 v94, v62, v43
	v_fmac_f32_e32 v93, v61, v40
	v_add_f32_e32 v3, v3, v92
	v_mul_f32_e32 v15, v53, v15
	v_fmac_f32_e32 v94, v63, v42
	v_add_f32_e32 v3, v3, v93
	v_mul_f32_e32 v96, v66, v21
	v_mul_f32_e32 v17, v55, v17
	v_fma_f32 v4, v52, v14, -v15
	v_add_f32_e32 v3, v3, v94
	s_waitcnt vmcnt(7) lgkmcnt(2)
	v_mul_f32_e32 v97, v68, v23
	v_mul_f32_e32 v31, v57, v31
	v_fmac_f32_e32 v96, v67, v20
	v_fma_f32 v5, v54, v16, -v17
	v_add_f32_e32 v2, v2, v4
	v_add_f32_e32 v3, v3, v95
	v_mul_f32_e32 v98, v70, v25
	v_mul_f32_e32 v33, v59, v33
	v_fmac_f32_e32 v97, v69, v22
	v_fma_f32 v14, v56, v30, -v31
	v_add_f32_e32 v2, v2, v5
	v_add_f32_e32 v3, v3, v96
	s_waitcnt vmcnt(6) lgkmcnt(1)
	v_mul_f32_e32 v99, v72, v35
	v_mul_f32_e32 v41, v61, v41
	v_fmac_f32_e32 v98, v71, v24
	v_fma_f32 v15, v58, v32, -v33
	v_add_f32_e32 v2, v2, v14
	v_add_f32_e32 v3, v3, v97
	v_mul_f32_e32 v100, v74, v37
	v_mul_f32_e32 v43, v63, v43
	v_fmac_f32_e32 v99, v73, v34
	v_fma_f32 v16, v60, v40, -v41
	v_add_f32_e32 v2, v2, v15
	v_add_f32_e32 v3, v3, v98
	v_fmac_f32_e32 v100, v75, v36
	v_fma_f32 v17, v62, v42, -v43
	v_add_f32_e32 v2, v2, v16
	v_add_f32_e32 v3, v3, v99
	;; [unrolled: 1-line block ×4, first 2 shown]
	v_mul_f32_e32 v3, v67, v21
	v_add_f32_e32 v2, v2, v18
	v_fma_f32 v3, v66, v20, -v3
	v_add_f32_e32 v2, v2, v3
	v_mul_f32_e32 v3, v69, v23
	v_fma_f32 v3, v68, v22, -v3
	v_add_f32_e32 v2, v2, v3
	v_mul_f32_e32 v3, v71, v25
	;; [unrolled: 3-line block ×4, first 2 shown]
	v_fma_f32 v3, v74, v36, -v3
	v_add_f32_e32 v30, v2, v3
	s_waitcnt vmcnt(5) lgkmcnt(0)
	v_mul_f32_e32 v2, v77, v45
	v_fma_f32 v86, v76, v44, -v2
	v_mul_f32_e32 v2, v79, v47
	v_fma_f32 v88, v78, v46, -v2
	ds_read2_b64 v[2:5], v38 offset0:75 offset1:76
	ds_read2_b64 v[14:17], v38 offset0:77 offset1:78
	;; [unrolled: 1-line block ×4, first 2 shown]
	v_mul_f32_e32 v87, v76, v45
	v_mul_f32_e32 v89, v78, v47
	v_fmac_f32_e32 v87, v77, v44
	s_waitcnt vmcnt(4) lgkmcnt(3)
	v_pk_mul_f32 v[32:33], v[2:3], v[80:81] op_sel:[1,1] op_sel_hi:[0,1]
	v_fmac_f32_e32 v89, v79, v46
	v_pk_add_f32 v[30:31], v[30:31], v[86:87]
	v_pk_fma_f32 v[34:35], v[2:3], v[80:81], v[32:33] neg_lo:[0,0,1] neg_hi:[0,0,1]
	v_pk_fma_f32 v[2:3], v[2:3], v[80:81], v[32:33] op_sel_hi:[1,0,1]
	v_pk_add_f32 v[30:31], v[30:31], v[88:89]
	v_mov_b32_e32 v35, v3
	v_pk_add_f32 v[2:3], v[30:31], v[34:35]
	v_mov_b32_e32 v30, v83
	v_pk_mul_f32 v[30:31], v[4:5], v[30:31] op_sel:[1,0] op_sel_hi:[0,0]
	v_pk_fma_f32 v[32:33], v[4:5], v[82:83], v[30:31] neg_lo:[0,0,1] neg_hi:[0,0,1]
	v_pk_fma_f32 v[4:5], v[4:5], v[82:83], v[30:31] op_sel_hi:[1,0,1]
	s_nop 0
	v_mov_b32_e32 v33, v5
	s_waitcnt vmcnt(3) lgkmcnt(2)
	v_pk_mul_f32 v[4:5], v[14:15], v[26:27] op_sel:[1,1] op_sel_hi:[0,1]
	v_pk_fma_f32 v[30:31], v[14:15], v[26:27], v[4:5] neg_lo:[0,0,1] neg_hi:[0,0,1]
	v_pk_fma_f32 v[4:5], v[14:15], v[26:27], v[4:5] op_sel_hi:[1,0,1]
	v_pk_add_f32 v[2:3], v[2:3], v[32:33]
	v_mov_b32_e32 v4, v29
	v_mov_b32_e32 v31, v5
	v_pk_mul_f32 v[4:5], v[16:17], v[4:5] op_sel:[1,0] op_sel_hi:[0,0]
	v_pk_fma_f32 v[14:15], v[16:17], v[28:29], v[4:5] neg_lo:[0,0,1] neg_hi:[0,0,1]
	v_pk_fma_f32 v[4:5], v[16:17], v[28:29], v[4:5] op_sel_hi:[1,0,1]
	v_pk_add_f32 v[2:3], v[2:3], v[30:31]
	v_mov_b32_e32 v15, v5
	s_waitcnt vmcnt(2) lgkmcnt(1)
	v_pk_mul_f32 v[4:5], v[18:19], v[10:11] op_sel:[1,1] op_sel_hi:[0,1]
	v_pk_add_f32 v[2:3], v[2:3], v[14:15]
	v_pk_fma_f32 v[14:15], v[18:19], v[10:11], v[4:5] neg_lo:[0,0,1] neg_hi:[0,0,1]
	v_pk_fma_f32 v[4:5], v[18:19], v[10:11], v[4:5] op_sel_hi:[1,0,1]
	s_nop 0
	v_mov_b32_e32 v4, v13
	v_mov_b32_e32 v15, v5
	v_pk_mul_f32 v[4:5], v[20:21], v[4:5] op_sel:[1,0] op_sel_hi:[0,0]
	v_pk_fma_f32 v[10:11], v[20:21], v[12:13], v[4:5] neg_lo:[0,0,1] neg_hi:[0,0,1]
	v_pk_fma_f32 v[4:5], v[20:21], v[12:13], v[4:5] op_sel_hi:[1,0,1]
	v_pk_add_f32 v[2:3], v[2:3], v[14:15]
	v_mov_b32_e32 v11, v5
	s_waitcnt vmcnt(1) lgkmcnt(0)
	v_pk_mul_f32 v[4:5], v[22:23], v[6:7] op_sel:[1,1] op_sel_hi:[0,1]
	v_pk_add_f32 v[2:3], v[2:3], v[10:11]
	v_pk_fma_f32 v[10:11], v[22:23], v[6:7], v[4:5] neg_lo:[0,0,1] neg_hi:[0,0,1]
	v_pk_fma_f32 v[4:5], v[22:23], v[6:7], v[4:5] op_sel_hi:[1,0,1]
	s_nop 0
	v_mov_b32_e32 v4, v9
	v_mov_b32_e32 v11, v5
	v_pk_mul_f32 v[4:5], v[24:25], v[4:5] op_sel:[1,0] op_sel_hi:[0,0]
	v_pk_fma_f32 v[6:7], v[24:25], v[8:9], v[4:5] neg_lo:[0,0,1] neg_hi:[0,0,1]
	v_pk_fma_f32 v[4:5], v[24:25], v[8:9], v[4:5] op_sel_hi:[1,0,1]
	v_pk_add_f32 v[2:3], v[2:3], v[10:11]
	v_mov_b32_e32 v7, v5
	v_pk_add_f32 v[2:3], v[2:3], v[6:7]
	s_waitcnt vmcnt(0)
	v_pk_add_f32 v[2:3], v[84:85], v[2:3] neg_lo:[0,1] neg_hi:[0,1]
	scratch_store_dwordx2 off, v[2:3], off offset:128
	s_and_saveexec_b64 s[0:1], vcc
	s_cbranch_execz .LBB104_229
; %bb.228:
	scratch_load_dwordx2 v[2:3], off, off offset:120
	v_mov_b32_e32 v4, 0
	v_mov_b32_e32 v5, v4
	scratch_store_dwordx2 off, v[4:5], off offset:120
	s_waitcnt vmcnt(1)
	ds_write_b64 v1, v[2:3]
.LBB104_229:
	s_or_b64 exec, exec, s[0:1]
	s_waitcnt lgkmcnt(0)
	; wave barrier
	scratch_load_dwordx4 v[10:13], off, off offset:128
	scratch_load_dwordx4 v[26:29], off, off offset:144
	;; [unrolled: 1-line block ×12, first 2 shown]
	scratch_load_dwordx2 v[50:51], off, off offset:320
	scratch_load_dwordx2 v[56:57], off, off offset:120
	v_mov_b32_e32 v58, 0
	ds_read_b128 v[52:55], v58 offset:464
	ds_read_b128 v[60:63], v58 offset:480
	;; [unrolled: 1-line block ×10, first 2 shown]
	v_cmp_lt_u32_e32 vcc, 14, v0
	s_waitcnt vmcnt(13) lgkmcnt(9)
	v_mul_f32_e32 v59, v52, v11
	v_mul_f32_e32 v96, v54, v13
	v_fmac_f32_e32 v59, v53, v10
	s_waitcnt vmcnt(10) lgkmcnt(6)
	v_mul_f32_e32 v103, v68, v7
	v_mul_f32_e32 v7, v69, v7
	;; [unrolled: 1-line block ×3, first 2 shown]
	v_fmac_f32_e32 v96, v55, v12
	v_fmac_f32_e32 v103, v69, v6
	v_fma_f32 v6, v68, v6, -v7
	v_add_f32_e32 v7, 0, v59
	v_mul_f32_e32 v100, v62, v29
	v_fmac_f32_e32 v98, v61, v26
	v_add_f32_e32 v7, v7, v96
	v_mul_f32_e32 v101, v64, v39
	v_fmac_f32_e32 v100, v63, v28
	;; [unrolled: 3-line block ×3, first 2 shown]
	v_add_f32_e32 v7, v7, v100
	v_fmac_f32_e32 v102, v67, v40
	v_add_f32_e32 v7, v7, v101
	v_mul_f32_e32 v104, v70, v9
	v_add_f32_e32 v7, v7, v102
	s_waitcnt vmcnt(9) lgkmcnt(5)
	v_mul_f32_e32 v105, v72, v15
	v_fmac_f32_e32 v104, v71, v8
	v_add_f32_e32 v7, v7, v103
	v_mul_f32_e32 v106, v74, v17
	v_mul_f32_e32 v11, v53, v11
	v_fmac_f32_e32 v105, v73, v14
	v_add_f32_e32 v7, v7, v104
	s_waitcnt vmcnt(8) lgkmcnt(4)
	v_mul_f32_e32 v107, v76, v23
	v_mul_f32_e32 v13, v55, v13
	v_fmac_f32_e32 v106, v75, v16
	v_fma_f32 v10, v52, v10, -v11
	v_add_f32_e32 v7, v7, v105
	v_mul_f32_e32 v108, v78, v25
	v_mul_f32_e32 v27, v61, v27
	v_fmac_f32_e32 v107, v77, v22
	v_fma_f32 v11, v54, v12, -v13
	v_add_f32_e32 v10, 0, v10
	v_add_f32_e32 v7, v7, v106
	s_waitcnt vmcnt(7) lgkmcnt(3)
	v_mul_f32_e32 v109, v80, v31
	v_mul_f32_e32 v29, v63, v29
	v_fmac_f32_e32 v108, v79, v24
	v_fma_f32 v12, v60, v26, -v27
	v_add_f32_e32 v10, v10, v11
	v_add_f32_e32 v7, v7, v107
	v_mul_f32_e32 v110, v82, v33
	v_mul_f32_e32 v39, v65, v39
	v_fmac_f32_e32 v109, v81, v30
	v_fma_f32 v13, v62, v28, -v29
	v_add_f32_e32 v10, v10, v12
	v_add_f32_e32 v7, v7, v108
	s_waitcnt vmcnt(6) lgkmcnt(2)
	v_mul_f32_e32 v111, v84, v43
	v_mul_f32_e32 v41, v67, v41
	v_fmac_f32_e32 v110, v83, v32
	v_fma_f32 v26, v64, v38, -v39
	v_add_f32_e32 v10, v10, v13
	v_add_f32_e32 v7, v7, v109
	v_fmac_f32_e32 v111, v85, v42
	v_fma_f32 v27, v66, v40, -v41
	v_add_f32_e32 v10, v10, v26
	v_add_f32_e32 v7, v7, v110
	;; [unrolled: 1-line block ×4, first 2 shown]
	v_mul_f32_e32 v7, v71, v9
	v_add_f32_e32 v6, v10, v6
	v_fma_f32 v7, v70, v8, -v7
	v_add_f32_e32 v6, v6, v7
	v_mul_f32_e32 v7, v73, v15
	v_fma_f32 v7, v72, v14, -v7
	v_add_f32_e32 v6, v6, v7
	v_mul_f32_e32 v7, v75, v17
	;; [unrolled: 3-line block ×7, first 2 shown]
	v_fma_f32 v7, v84, v42, -v7
	v_mul_f32_e32 v97, v86, v45
	v_add_f32_e32 v26, v6, v7
	v_mul_f32_e32 v6, v87, v45
	s_waitcnt vmcnt(5)
	v_mov_b32_e32 v22, v49
	s_waitcnt lgkmcnt(1)
	v_mul_f32_e32 v99, v88, v47
	v_fmac_f32_e32 v97, v87, v44
	v_fma_f32 v96, v86, v44, -v6
	v_mul_f32_e32 v6, v89, v47
	v_pk_mul_f32 v[22:23], v[90:91], v[22:23] op_sel:[1,0] op_sel_hi:[0,0]
	v_fmac_f32_e32 v99, v89, v46
	v_fma_f32 v98, v88, v46, -v6
	v_pk_add_f32 v[16:17], v[26:27], v[96:97]
	v_pk_fma_f32 v[24:25], v[90:91], v[48:49], v[22:23] neg_lo:[0,0,1] neg_hi:[0,0,1]
	v_pk_fma_f32 v[22:23], v[90:91], v[48:49], v[22:23] op_sel_hi:[1,0,1]
	v_pk_add_f32 v[16:17], v[16:17], v[98:99]
	v_mov_b32_e32 v25, v23
	s_waitcnt vmcnt(4) lgkmcnt(0)
	v_pk_mul_f32 v[22:23], v[92:93], v[34:35] op_sel:[1,1] op_sel_hi:[0,1]
	v_pk_add_f32 v[16:17], v[16:17], v[24:25]
	v_pk_fma_f32 v[24:25], v[92:93], v[34:35], v[22:23] neg_lo:[0,0,1] neg_hi:[0,0,1]
	v_pk_fma_f32 v[22:23], v[92:93], v[34:35], v[22:23] op_sel_hi:[1,0,1]
	ds_read_b128 v[6:9], v58 offset:624
	ds_read_b128 v[10:13], v58 offset:640
	ds_read_b64 v[14:15], v58 offset:656
	v_mov_b32_e32 v22, v37
	v_mov_b32_e32 v25, v23
	v_pk_mul_f32 v[22:23], v[94:95], v[22:23] op_sel:[1,0] op_sel_hi:[0,0]
	v_pk_add_f32 v[16:17], v[16:17], v[24:25]
	v_pk_fma_f32 v[24:25], v[94:95], v[36:37], v[22:23] neg_lo:[0,0,1] neg_hi:[0,0,1]
	v_pk_fma_f32 v[22:23], v[94:95], v[36:37], v[22:23] op_sel_hi:[1,0,1]
	s_nop 0
	v_mov_b32_e32 v25, v23
	s_waitcnt vmcnt(3) lgkmcnt(2)
	v_pk_mul_f32 v[22:23], v[6:7], v[18:19] op_sel:[1,1] op_sel_hi:[0,1]
	v_pk_add_f32 v[16:17], v[16:17], v[24:25]
	v_pk_fma_f32 v[24:25], v[6:7], v[18:19], v[22:23] neg_lo:[0,0,1] neg_hi:[0,0,1]
	v_pk_fma_f32 v[6:7], v[6:7], v[18:19], v[22:23] op_sel_hi:[1,0,1]
	s_nop 0
	v_mov_b32_e32 v25, v7
	v_pk_add_f32 v[6:7], v[16:17], v[24:25]
	v_mov_b32_e32 v16, v21
	v_pk_mul_f32 v[16:17], v[8:9], v[16:17] op_sel:[1,0] op_sel_hi:[0,0]
	v_pk_fma_f32 v[18:19], v[8:9], v[20:21], v[16:17] neg_lo:[0,0,1] neg_hi:[0,0,1]
	v_pk_fma_f32 v[8:9], v[8:9], v[20:21], v[16:17] op_sel_hi:[1,0,1]
	s_nop 0
	v_mov_b32_e32 v19, v9
	s_waitcnt vmcnt(2) lgkmcnt(1)
	v_pk_mul_f32 v[8:9], v[10:11], v[2:3] op_sel:[1,1] op_sel_hi:[0,1]
	v_pk_fma_f32 v[16:17], v[10:11], v[2:3], v[8:9] neg_lo:[0,0,1] neg_hi:[0,0,1]
	v_pk_fma_f32 v[2:3], v[10:11], v[2:3], v[8:9] op_sel_hi:[1,0,1]
	v_pk_add_f32 v[6:7], v[6:7], v[18:19]
	v_mov_b32_e32 v17, v3
	v_pk_add_f32 v[2:3], v[6:7], v[16:17]
	v_mov_b32_e32 v6, v5
	v_pk_mul_f32 v[6:7], v[12:13], v[6:7] op_sel:[1,0] op_sel_hi:[0,0]
	v_pk_fma_f32 v[8:9], v[12:13], v[4:5], v[6:7] neg_lo:[0,0,1] neg_hi:[0,0,1]
	v_pk_fma_f32 v[4:5], v[12:13], v[4:5], v[6:7] op_sel_hi:[1,0,1]
	s_nop 0
	v_mov_b32_e32 v9, v5
	s_waitcnt vmcnt(1) lgkmcnt(0)
	v_pk_mul_f32 v[4:5], v[14:15], v[50:51] op_sel:[1,1] op_sel_hi:[0,1]
	v_pk_fma_f32 v[6:7], v[14:15], v[50:51], v[4:5] neg_lo:[0,0,1] neg_hi:[0,0,1]
	v_pk_fma_f32 v[4:5], v[14:15], v[50:51], v[4:5] op_sel_hi:[1,0,1]
	v_pk_add_f32 v[2:3], v[2:3], v[8:9]
	v_mov_b32_e32 v7, v5
	v_pk_add_f32 v[2:3], v[2:3], v[6:7]
	s_waitcnt vmcnt(0)
	v_pk_add_f32 v[2:3], v[56:57], v[2:3] neg_lo:[0,1] neg_hi:[0,1]
	scratch_store_dwordx2 off, v[2:3], off offset:120
	s_and_saveexec_b64 s[0:1], vcc
	s_cbranch_execz .LBB104_231
; %bb.230:
	scratch_load_dwordx2 v[2:3], off, off offset:112
	v_mov_b32_e32 v59, v58
	scratch_store_dwordx2 off, v[58:59], off offset:112
	s_waitcnt vmcnt(1)
	ds_write_b64 v1, v[2:3]
.LBB104_231:
	s_or_b64 exec, exec, s[0:1]
	s_waitcnt lgkmcnt(0)
	; wave barrier
	scratch_load_dwordx4 v[2:5], off, off offset:120
	scratch_load_dwordx4 v[18:21], off, off offset:136
	;; [unrolled: 1-line block ×9, first 2 shown]
	ds_read2_b64 v[60:63], v58 offset0:57 offset1:58
	ds_read2_b64 v[64:67], v58 offset0:59 offset1:60
	;; [unrolled: 1-line block ×8, first 2 shown]
	scratch_load_dwordx4 v[50:53], off, off offset:264
	scratch_load_dwordx4 v[34:37], off, off offset:280
	scratch_load_dwordx4 v[26:29], off, off offset:296
	scratch_load_dwordx4 v[10:13], off, off offset:312
	ds_read2_b64 v[88:91], v58 offset0:73 offset1:74
	ds_read2_b64 v[92:95], v58 offset0:75 offset1:76
	scratch_load_dwordx2 v[96:97], off, off offset:112
	v_cmp_lt_u32_e32 vcc, 13, v0
	s_waitcnt vmcnt(13) lgkmcnt(9)
	v_mul_f32_e32 v59, v60, v3
	v_mul_f32_e32 v98, v62, v5
	;; [unrolled: 1-line block ×3, first 2 shown]
	s_waitcnt vmcnt(10) lgkmcnt(6)
	v_mul_f32_e32 v105, v72, v7
	v_mul_f32_e32 v7, v73, v7
	v_fmac_f32_e32 v59, v61, v2
	v_mul_f32_e32 v100, v64, v19
	v_mul_f32_e32 v5, v63, v5
	v_fmac_f32_e32 v98, v63, v4
	v_fmac_f32_e32 v105, v73, v6
	v_fma_f32 v2, v60, v2, -v3
	v_fma_f32 v6, v72, v6, -v7
	v_add_f32_e32 v7, 0, v59
	v_mul_f32_e32 v102, v66, v21
	v_fmac_f32_e32 v100, v65, v18
	v_fma_f32 v3, v62, v4, -v5
	v_add_f32_e32 v2, 0, v2
	v_add_f32_e32 v7, v7, v98
	v_mul_f32_e32 v103, v68, v39
	v_fmac_f32_e32 v102, v67, v20
	v_add_f32_e32 v2, v2, v3
	v_add_f32_e32 v3, v7, v100
	v_mul_f32_e32 v104, v70, v41
	v_fmac_f32_e32 v103, v69, v38
	v_add_f32_e32 v3, v3, v102
	v_fmac_f32_e32 v104, v71, v40
	v_add_f32_e32 v3, v3, v103
	v_mul_f32_e32 v106, v74, v9
	v_add_f32_e32 v3, v3, v104
	s_waitcnt vmcnt(9) lgkmcnt(5)
	v_mul_f32_e32 v107, v76, v15
	v_fmac_f32_e32 v106, v75, v8
	v_add_f32_e32 v3, v3, v105
	v_mul_f32_e32 v108, v78, v17
	v_fmac_f32_e32 v107, v77, v14
	v_add_f32_e32 v3, v3, v106
	s_waitcnt vmcnt(8) lgkmcnt(4)
	v_mul_f32_e32 v109, v80, v23
	v_fmac_f32_e32 v108, v79, v16
	v_add_f32_e32 v3, v3, v107
	v_mul_f32_e32 v110, v82, v25
	v_fmac_f32_e32 v109, v81, v22
	v_add_f32_e32 v3, v3, v108
	s_waitcnt vmcnt(7) lgkmcnt(3)
	v_mul_f32_e32 v111, v84, v31
	v_mul_f32_e32 v19, v65, v19
	v_fmac_f32_e32 v110, v83, v24
	v_add_f32_e32 v3, v3, v109
	v_mul_f32_e32 v112, v86, v33
	v_mul_f32_e32 v21, v67, v21
	v_fmac_f32_e32 v111, v85, v30
	v_fma_f32 v4, v64, v18, -v19
	v_add_f32_e32 v3, v3, v110
	s_waitcnt vmcnt(6) lgkmcnt(2)
	v_mul_f32_e32 v113, v54, v43
	v_mul_f32_e32 v39, v69, v39
	v_fmac_f32_e32 v112, v87, v32
	v_fma_f32 v5, v66, v20, -v21
	v_add_f32_e32 v2, v2, v4
	v_add_f32_e32 v3, v3, v111
	v_mul_f32_e32 v114, v56, v45
	v_mul_f32_e32 v41, v71, v41
	v_fmac_f32_e32 v113, v55, v42
	v_fma_f32 v18, v68, v38, -v39
	v_add_f32_e32 v2, v2, v5
	v_add_f32_e32 v3, v3, v112
	v_fmac_f32_e32 v114, v57, v44
	v_fma_f32 v19, v70, v40, -v41
	v_add_f32_e32 v2, v2, v18
	v_add_f32_e32 v3, v3, v113
	;; [unrolled: 1-line block ×4, first 2 shown]
	v_mul_f32_e32 v3, v75, v9
	v_add_f32_e32 v2, v2, v6
	v_fma_f32 v3, v74, v8, -v3
	v_add_f32_e32 v2, v2, v3
	v_mul_f32_e32 v3, v77, v15
	v_fma_f32 v3, v76, v14, -v3
	v_add_f32_e32 v2, v2, v3
	v_mul_f32_e32 v3, v79, v17
	;; [unrolled: 3-line block ×8, first 2 shown]
	v_fma_f32 v3, v56, v44, -v3
	s_waitcnt vmcnt(5) lgkmcnt(1)
	v_mul_f32_e32 v99, v88, v47
	v_add_f32_e32 v18, v2, v3
	v_mul_f32_e32 v2, v89, v47
	s_waitcnt vmcnt(4) lgkmcnt(0)
	v_pk_mul_f32 v[20:21], v[92:93], v[50:51] op_sel:[1,1] op_sel_hi:[0,1]
	v_mul_f32_e32 v101, v90, v49
	v_fmac_f32_e32 v99, v89, v46
	v_fma_f32 v98, v88, v46, -v2
	v_mul_f32_e32 v2, v91, v49
	v_pk_fma_f32 v[22:23], v[92:93], v[50:51], v[20:21] neg_lo:[0,0,1] neg_hi:[0,0,1]
	v_pk_fma_f32 v[20:21], v[92:93], v[50:51], v[20:21] op_sel_hi:[1,0,1]
	v_fmac_f32_e32 v101, v91, v48
	v_fma_f32 v100, v90, v48, -v2
	ds_read2_b64 v[2:5], v58 offset0:77 offset1:78
	ds_read2_b64 v[6:9], v58 offset0:79 offset1:80
	;; [unrolled: 1-line block ×3, first 2 shown]
	v_pk_add_f32 v[18:19], v[18:19], v[98:99]
	v_mov_b32_e32 v20, v53
	v_pk_add_f32 v[18:19], v[18:19], v[100:101]
	v_mov_b32_e32 v23, v21
	v_pk_mul_f32 v[20:21], v[94:95], v[20:21] op_sel:[1,0] op_sel_hi:[0,0]
	v_pk_add_f32 v[18:19], v[18:19], v[22:23]
	v_pk_fma_f32 v[22:23], v[94:95], v[52:53], v[20:21] neg_lo:[0,0,1] neg_hi:[0,0,1]
	v_pk_fma_f32 v[20:21], v[94:95], v[52:53], v[20:21] op_sel_hi:[1,0,1]
	s_nop 0
	v_mov_b32_e32 v23, v21
	s_waitcnt vmcnt(3) lgkmcnt(2)
	v_pk_mul_f32 v[20:21], v[2:3], v[34:35] op_sel:[1,1] op_sel_hi:[0,1]
	v_pk_add_f32 v[18:19], v[18:19], v[22:23]
	v_pk_fma_f32 v[22:23], v[2:3], v[34:35], v[20:21] neg_lo:[0,0,1] neg_hi:[0,0,1]
	v_pk_fma_f32 v[2:3], v[2:3], v[34:35], v[20:21] op_sel_hi:[1,0,1]
	s_nop 0
	v_mov_b32_e32 v23, v3
	v_pk_add_f32 v[2:3], v[18:19], v[22:23]
	v_mov_b32_e32 v18, v37
	v_pk_mul_f32 v[18:19], v[4:5], v[18:19] op_sel:[1,0] op_sel_hi:[0,0]
	v_pk_fma_f32 v[20:21], v[4:5], v[36:37], v[18:19] neg_lo:[0,0,1] neg_hi:[0,0,1]
	v_pk_fma_f32 v[4:5], v[4:5], v[36:37], v[18:19] op_sel_hi:[1,0,1]
	s_nop 0
	v_mov_b32_e32 v21, v5
	s_waitcnt vmcnt(2) lgkmcnt(1)
	v_pk_mul_f32 v[4:5], v[6:7], v[26:27] op_sel:[1,1] op_sel_hi:[0,1]
	v_pk_fma_f32 v[18:19], v[6:7], v[26:27], v[4:5] neg_lo:[0,0,1] neg_hi:[0,0,1]
	v_pk_fma_f32 v[4:5], v[6:7], v[26:27], v[4:5] op_sel_hi:[1,0,1]
	v_pk_add_f32 v[2:3], v[2:3], v[20:21]
	v_mov_b32_e32 v4, v29
	v_mov_b32_e32 v19, v5
	v_pk_mul_f32 v[4:5], v[8:9], v[4:5] op_sel:[1,0] op_sel_hi:[0,0]
	v_pk_fma_f32 v[6:7], v[8:9], v[28:29], v[4:5] neg_lo:[0,0,1] neg_hi:[0,0,1]
	v_pk_fma_f32 v[4:5], v[8:9], v[28:29], v[4:5] op_sel_hi:[1,0,1]
	v_pk_add_f32 v[2:3], v[2:3], v[18:19]
	v_mov_b32_e32 v7, v5
	s_waitcnt vmcnt(1) lgkmcnt(0)
	v_pk_mul_f32 v[4:5], v[14:15], v[10:11] op_sel:[1,1] op_sel_hi:[0,1]
	v_pk_add_f32 v[2:3], v[2:3], v[6:7]
	v_pk_fma_f32 v[6:7], v[14:15], v[10:11], v[4:5] neg_lo:[0,0,1] neg_hi:[0,0,1]
	v_pk_fma_f32 v[4:5], v[14:15], v[10:11], v[4:5] op_sel_hi:[1,0,1]
	s_nop 0
	v_mov_b32_e32 v4, v13
	v_mov_b32_e32 v7, v5
	v_pk_mul_f32 v[4:5], v[16:17], v[4:5] op_sel:[1,0] op_sel_hi:[0,0]
	v_pk_add_f32 v[2:3], v[2:3], v[6:7]
	v_pk_fma_f32 v[6:7], v[16:17], v[12:13], v[4:5] neg_lo:[0,0,1] neg_hi:[0,0,1]
	v_pk_fma_f32 v[4:5], v[16:17], v[12:13], v[4:5] op_sel_hi:[1,0,1]
	s_nop 0
	v_mov_b32_e32 v7, v5
	v_pk_add_f32 v[2:3], v[2:3], v[6:7]
	s_waitcnt vmcnt(0)
	v_pk_add_f32 v[2:3], v[96:97], v[2:3] neg_lo:[0,1] neg_hi:[0,1]
	scratch_store_dwordx2 off, v[2:3], off offset:112
	s_and_saveexec_b64 s[0:1], vcc
	s_cbranch_execz .LBB104_233
; %bb.232:
	scratch_load_dwordx2 v[2:3], off, off offset:104
	v_mov_b32_e32 v4, 0
	v_mov_b32_e32 v5, v4
	scratch_store_dwordx2 off, v[4:5], off offset:104
	s_waitcnt vmcnt(1)
	ds_write_b64 v1, v[2:3]
.LBB104_233:
	s_or_b64 exec, exec, s[0:1]
	s_waitcnt lgkmcnt(0)
	; wave barrier
	scratch_load_dwordx4 v[18:21], off, off offset:112
	scratch_load_dwordx4 v[30:33], off, off offset:128
	;; [unrolled: 1-line block ×13, first 2 shown]
	scratch_load_dwordx2 v[54:55], off, off offset:320
	scratch_load_dwordx2 v[80:81], off, off offset:104
	v_mov_b32_e32 v82, 0
	ds_read_b128 v[56:59], v82 offset:448
	ds_read_b128 v[60:63], v82 offset:464
	;; [unrolled: 1-line block ×10, first 2 shown]
	v_cmp_lt_u32_e32 vcc, 12, v0
	s_waitcnt vmcnt(14) lgkmcnt(9)
	v_mul_f32_e32 v83, v56, v19
	v_mul_f32_e32 v100, v58, v21
	s_waitcnt vmcnt(12) lgkmcnt(7)
	v_mul_f32_e32 v105, v64, v3
	v_mul_f32_e32 v3, v65, v3
	v_fmac_f32_e32 v83, v57, v18
	v_mul_f32_e32 v102, v60, v31
	v_fmac_f32_e32 v100, v59, v20
	v_fmac_f32_e32 v105, v65, v2
	v_fma_f32 v2, v64, v2, -v3
	v_add_f32_e32 v3, 0, v83
	v_mul_f32_e32 v104, v62, v33
	v_fmac_f32_e32 v102, v61, v30
	v_add_f32_e32 v3, v3, v100
	v_fmac_f32_e32 v104, v63, v32
	v_add_f32_e32 v3, v3, v102
	v_mul_f32_e32 v106, v66, v5
	v_add_f32_e32 v3, v3, v104
	s_waitcnt vmcnt(11) lgkmcnt(6)
	v_mul_f32_e32 v107, v68, v7
	v_fmac_f32_e32 v106, v67, v4
	v_add_f32_e32 v3, v3, v105
	v_mul_f32_e32 v108, v70, v9
	v_fmac_f32_e32 v107, v69, v6
	v_add_f32_e32 v3, v3, v106
	s_waitcnt vmcnt(10) lgkmcnt(5)
	v_mul_f32_e32 v109, v72, v15
	v_fmac_f32_e32 v108, v71, v8
	v_add_f32_e32 v3, v3, v107
	v_mul_f32_e32 v110, v74, v17
	v_fmac_f32_e32 v109, v73, v14
	;; [unrolled: 7-line block ×3, first 2 shown]
	v_add_f32_e32 v3, v3, v110
	s_waitcnt vmcnt(8) lgkmcnt(3)
	v_mul_f32_e32 v113, v84, v35
	v_mul_f32_e32 v19, v57, v19
	v_fmac_f32_e32 v112, v79, v24
	v_add_f32_e32 v3, v3, v111
	v_mul_f32_e32 v114, v86, v37
	v_mul_f32_e32 v21, v59, v21
	v_fmac_f32_e32 v113, v85, v34
	v_fma_f32 v18, v56, v18, -v19
	v_add_f32_e32 v3, v3, v112
	s_waitcnt vmcnt(7) lgkmcnt(2)
	v_mul_f32_e32 v115, v88, v39
	v_mul_f32_e32 v31, v61, v31
	v_fmac_f32_e32 v114, v87, v36
	v_fma_f32 v19, v58, v20, -v21
	v_add_f32_e32 v18, 0, v18
	v_add_f32_e32 v3, v3, v113
	v_mul_f32_e32 v116, v90, v41
	v_mul_f32_e32 v33, v63, v33
	v_fmac_f32_e32 v115, v89, v38
	v_fma_f32 v20, v60, v30, -v31
	v_add_f32_e32 v18, v18, v19
	v_add_f32_e32 v3, v3, v114
	s_waitcnt vmcnt(6) lgkmcnt(1)
	v_mul_f32_e32 v117, v92, v51
	v_fmac_f32_e32 v116, v91, v40
	v_fma_f32 v21, v62, v32, -v33
	v_add_f32_e32 v18, v18, v20
	v_add_f32_e32 v3, v3, v115
	v_mul_f32_e32 v5, v67, v5
	v_fmac_f32_e32 v117, v93, v50
	v_add_f32_e32 v18, v18, v21
	v_add_f32_e32 v3, v3, v116
	;; [unrolled: 1-line block ×4, first 2 shown]
	v_fma_f32 v3, v66, v4, -v5
	v_add_f32_e32 v2, v2, v3
	v_mul_f32_e32 v3, v69, v7
	v_fma_f32 v3, v68, v6, -v3
	v_add_f32_e32 v2, v2, v3
	v_mul_f32_e32 v3, v71, v9
	;; [unrolled: 3-line block ×12, first 2 shown]
	v_mul_f32_e32 v101, v94, v53
	v_fma_f32 v100, v94, v52, -v2
	s_waitcnt vmcnt(5) lgkmcnt(0)
	v_mul_f32_e32 v2, v97, v47
	v_mov_b32_e32 v22, v49
	v_mul_f32_e32 v103, v96, v47
	v_fmac_f32_e32 v101, v95, v52
	v_fma_f32 v102, v96, v46, -v2
	ds_read_b128 v[2:5], v82 offset:608
	ds_read_b128 v[6:9], v82 offset:624
	;; [unrolled: 1-line block ×3, first 2 shown]
	ds_read_b64 v[20:21], v82 offset:656
	v_pk_mul_f32 v[22:23], v[98:99], v[22:23] op_sel:[1,0] op_sel_hi:[0,0]
	v_fmac_f32_e32 v103, v97, v46
	v_pk_add_f32 v[18:19], v[18:19], v[100:101]
	v_pk_fma_f32 v[24:25], v[98:99], v[48:49], v[22:23] neg_lo:[0,0,1] neg_hi:[0,0,1]
	v_pk_fma_f32 v[22:23], v[98:99], v[48:49], v[22:23] op_sel_hi:[1,0,1]
	v_pk_add_f32 v[18:19], v[18:19], v[102:103]
	v_mov_b32_e32 v25, v23
	s_waitcnt vmcnt(4) lgkmcnt(3)
	v_pk_mul_f32 v[22:23], v[2:3], v[42:43] op_sel:[1,1] op_sel_hi:[0,1]
	v_pk_add_f32 v[18:19], v[18:19], v[24:25]
	v_pk_fma_f32 v[24:25], v[2:3], v[42:43], v[22:23] neg_lo:[0,0,1] neg_hi:[0,0,1]
	v_pk_fma_f32 v[2:3], v[2:3], v[42:43], v[22:23] op_sel_hi:[1,0,1]
	s_nop 0
	v_mov_b32_e32 v25, v3
	v_pk_add_f32 v[2:3], v[18:19], v[24:25]
	v_mov_b32_e32 v18, v45
	v_pk_mul_f32 v[18:19], v[4:5], v[18:19] op_sel:[1,0] op_sel_hi:[0,0]
	v_pk_fma_f32 v[22:23], v[4:5], v[44:45], v[18:19] neg_lo:[0,0,1] neg_hi:[0,0,1]
	v_pk_fma_f32 v[4:5], v[4:5], v[44:45], v[18:19] op_sel_hi:[1,0,1]
	s_nop 0
	v_mov_b32_e32 v23, v5
	s_waitcnt vmcnt(3) lgkmcnt(2)
	v_pk_mul_f32 v[4:5], v[6:7], v[26:27] op_sel:[1,1] op_sel_hi:[0,1]
	v_pk_fma_f32 v[18:19], v[6:7], v[26:27], v[4:5] neg_lo:[0,0,1] neg_hi:[0,0,1]
	v_pk_fma_f32 v[4:5], v[6:7], v[26:27], v[4:5] op_sel_hi:[1,0,1]
	v_pk_add_f32 v[2:3], v[2:3], v[22:23]
	v_mov_b32_e32 v4, v29
	v_mov_b32_e32 v19, v5
	v_pk_mul_f32 v[4:5], v[8:9], v[4:5] op_sel:[1,0] op_sel_hi:[0,0]
	v_pk_fma_f32 v[6:7], v[8:9], v[28:29], v[4:5] neg_lo:[0,0,1] neg_hi:[0,0,1]
	v_pk_fma_f32 v[4:5], v[8:9], v[28:29], v[4:5] op_sel_hi:[1,0,1]
	v_pk_add_f32 v[2:3], v[2:3], v[18:19]
	v_mov_b32_e32 v7, v5
	s_waitcnt vmcnt(2) lgkmcnt(1)
	v_pk_mul_f32 v[4:5], v[14:15], v[10:11] op_sel:[1,1] op_sel_hi:[0,1]
	v_pk_add_f32 v[2:3], v[2:3], v[6:7]
	v_pk_fma_f32 v[6:7], v[14:15], v[10:11], v[4:5] neg_lo:[0,0,1] neg_hi:[0,0,1]
	v_pk_fma_f32 v[4:5], v[14:15], v[10:11], v[4:5] op_sel_hi:[1,0,1]
	s_nop 0
	v_mov_b32_e32 v4, v13
	v_mov_b32_e32 v7, v5
	v_pk_mul_f32 v[4:5], v[16:17], v[4:5] op_sel:[1,0] op_sel_hi:[0,0]
	v_pk_add_f32 v[2:3], v[2:3], v[6:7]
	v_pk_fma_f32 v[6:7], v[16:17], v[12:13], v[4:5] neg_lo:[0,0,1] neg_hi:[0,0,1]
	v_pk_fma_f32 v[4:5], v[16:17], v[12:13], v[4:5] op_sel_hi:[1,0,1]
	s_nop 0
	v_mov_b32_e32 v7, v5
	s_waitcnt vmcnt(1) lgkmcnt(0)
	v_pk_mul_f32 v[4:5], v[20:21], v[54:55] op_sel:[1,1] op_sel_hi:[0,1]
	v_pk_add_f32 v[2:3], v[2:3], v[6:7]
	v_pk_fma_f32 v[6:7], v[20:21], v[54:55], v[4:5] neg_lo:[0,0,1] neg_hi:[0,0,1]
	v_pk_fma_f32 v[4:5], v[20:21], v[54:55], v[4:5] op_sel_hi:[1,0,1]
	s_nop 0
	v_mov_b32_e32 v7, v5
	v_pk_add_f32 v[2:3], v[2:3], v[6:7]
	s_waitcnt vmcnt(0)
	v_pk_add_f32 v[2:3], v[80:81], v[2:3] neg_lo:[0,1] neg_hi:[0,1]
	scratch_store_dwordx2 off, v[2:3], off offset:104
	s_and_saveexec_b64 s[0:1], vcc
	s_cbranch_execz .LBB104_235
; %bb.234:
	scratch_load_dwordx2 v[2:3], off, off offset:96
	v_mov_b32_e32 v83, v82
	scratch_store_dwordx2 off, v[82:83], off offset:96
	s_waitcnt vmcnt(1)
	ds_write_b64 v1, v[2:3]
.LBB104_235:
	s_or_b64 exec, exec, s[0:1]
	s_waitcnt lgkmcnt(0)
	; wave barrier
	scratch_load_dwordx4 v[10:13], off, off offset:104
	scratch_load_dwordx4 v[26:29], off, off offset:120
	;; [unrolled: 1-line block ×10, first 2 shown]
	ds_read2_b64 v[84:87], v82 offset0:55 offset1:56
	ds_read2_b64 v[88:91], v82 offset0:57 offset1:58
	;; [unrolled: 1-line block ×10, first 2 shown]
	scratch_load_dwordx4 v[54:57], off, off offset:264
	scratch_load_dwordx4 v[46:49], off, off offset:280
	;; [unrolled: 1-line block ×4, first 2 shown]
	scratch_load_dwordx2 v[100:101], off, off offset:96
	v_cmp_lt_u32_e32 vcc, 11, v0
	s_waitcnt vmcnt(14) lgkmcnt(9)
	v_mul_f32_e32 v83, v84, v11
	v_mul_f32_e32 v102, v86, v13
	s_waitcnt vmcnt(12) lgkmcnt(7)
	v_mul_f32_e32 v107, v92, v3
	v_mul_f32_e32 v3, v93, v3
	v_fmac_f32_e32 v83, v85, v10
	v_mul_f32_e32 v104, v88, v27
	v_fmac_f32_e32 v102, v87, v12
	v_fmac_f32_e32 v107, v93, v2
	v_fma_f32 v2, v92, v2, -v3
	v_add_f32_e32 v3, 0, v83
	v_mul_f32_e32 v106, v90, v29
	v_fmac_f32_e32 v104, v89, v26
	v_add_f32_e32 v3, v3, v102
	v_fmac_f32_e32 v106, v91, v28
	v_add_f32_e32 v3, v3, v104
	v_mul_f32_e32 v108, v94, v5
	v_add_f32_e32 v3, v3, v106
	s_waitcnt vmcnt(11) lgkmcnt(6)
	v_mul_f32_e32 v109, v96, v7
	v_fmac_f32_e32 v108, v95, v4
	v_add_f32_e32 v3, v3, v107
	v_mul_f32_e32 v110, v98, v9
	v_fmac_f32_e32 v109, v97, v6
	v_add_f32_e32 v3, v3, v108
	s_waitcnt vmcnt(10) lgkmcnt(5)
	v_mul_f32_e32 v111, v78, v15
	v_fmac_f32_e32 v110, v99, v8
	v_add_f32_e32 v3, v3, v109
	v_mul_f32_e32 v112, v80, v17
	v_fmac_f32_e32 v111, v79, v14
	;; [unrolled: 7-line block ×4, first 2 shown]
	v_add_f32_e32 v3, v3, v114
	s_waitcnt vmcnt(7) lgkmcnt(2)
	v_mul_f32_e32 v117, v66, v39
	v_mul_f32_e32 v11, v85, v11
	v_fmac_f32_e32 v116, v73, v32
	v_add_f32_e32 v3, v3, v115
	v_mul_f32_e32 v118, v68, v41
	v_mul_f32_e32 v13, v87, v13
	v_fmac_f32_e32 v117, v67, v38
	v_fma_f32 v10, v84, v10, -v11
	v_add_f32_e32 v3, v3, v116
	s_waitcnt vmcnt(6) lgkmcnt(1)
	v_mul_f32_e32 v119, v62, v43
	v_mul_f32_e32 v27, v89, v27
	v_fmac_f32_e32 v118, v69, v40
	v_fma_f32 v11, v86, v12, -v13
	v_add_f32_e32 v10, 0, v10
	v_add_f32_e32 v3, v3, v117
	v_mul_f32_e32 v202, v64, v45
	v_mul_f32_e32 v29, v91, v29
	v_fmac_f32_e32 v119, v63, v42
	v_fma_f32 v12, v88, v26, -v27
	v_add_f32_e32 v10, v10, v11
	v_add_f32_e32 v3, v3, v118
	v_fmac_f32_e32 v202, v65, v44
	v_fma_f32 v13, v90, v28, -v29
	v_add_f32_e32 v10, v10, v12
	v_add_f32_e32 v3, v3, v119
	;; [unrolled: 1-line block ×4, first 2 shown]
	v_mul_f32_e32 v3, v95, v5
	v_add_f32_e32 v2, v10, v2
	v_fma_f32 v3, v94, v4, -v3
	v_add_f32_e32 v2, v2, v3
	v_mul_f32_e32 v3, v97, v7
	v_fma_f32 v3, v96, v6, -v3
	v_add_f32_e32 v2, v2, v3
	v_mul_f32_e32 v3, v99, v9
	;; [unrolled: 3-line block ×12, first 2 shown]
	v_fma_f32 v3, v64, v44, -v3
	v_add_f32_e32 v26, v2, v3
	s_waitcnt vmcnt(5) lgkmcnt(0)
	v_mul_f32_e32 v2, v59, v51
	v_fma_f32 v102, v58, v50, -v2
	v_mul_f32_e32 v2, v61, v53
	v_fma_f32 v104, v60, v52, -v2
	ds_read2_b64 v[2:5], v82 offset0:75 offset1:76
	ds_read2_b64 v[6:9], v82 offset0:77 offset1:78
	;; [unrolled: 1-line block ×4, first 2 shown]
	v_mul_f32_e32 v103, v58, v51
	v_mul_f32_e32 v105, v60, v53
	v_fmac_f32_e32 v103, v59, v50
	s_waitcnt vmcnt(4) lgkmcnt(3)
	v_pk_mul_f32 v[24:25], v[2:3], v[54:55] op_sel:[1,1] op_sel_hi:[0,1]
	v_fmac_f32_e32 v105, v61, v52
	v_pk_add_f32 v[22:23], v[26:27], v[102:103]
	v_pk_fma_f32 v[26:27], v[2:3], v[54:55], v[24:25] neg_lo:[0,0,1] neg_hi:[0,0,1]
	v_pk_fma_f32 v[2:3], v[2:3], v[54:55], v[24:25] op_sel_hi:[1,0,1]
	v_pk_add_f32 v[22:23], v[22:23], v[104:105]
	v_mov_b32_e32 v27, v3
	v_pk_add_f32 v[2:3], v[22:23], v[26:27]
	v_mov_b32_e32 v22, v57
	v_pk_mul_f32 v[22:23], v[4:5], v[22:23] op_sel:[1,0] op_sel_hi:[0,0]
	v_pk_fma_f32 v[24:25], v[4:5], v[56:57], v[22:23] neg_lo:[0,0,1] neg_hi:[0,0,1]
	v_pk_fma_f32 v[4:5], v[4:5], v[56:57], v[22:23] op_sel_hi:[1,0,1]
	s_nop 0
	v_mov_b32_e32 v25, v5
	s_waitcnt vmcnt(3) lgkmcnt(2)
	v_pk_mul_f32 v[4:5], v[6:7], v[46:47] op_sel:[1,1] op_sel_hi:[0,1]
	v_pk_fma_f32 v[22:23], v[6:7], v[46:47], v[4:5] neg_lo:[0,0,1] neg_hi:[0,0,1]
	v_pk_fma_f32 v[4:5], v[6:7], v[46:47], v[4:5] op_sel_hi:[1,0,1]
	v_pk_add_f32 v[2:3], v[2:3], v[24:25]
	v_mov_b32_e32 v4, v49
	v_mov_b32_e32 v23, v5
	v_pk_mul_f32 v[4:5], v[8:9], v[4:5] op_sel:[1,0] op_sel_hi:[0,0]
	v_pk_fma_f32 v[6:7], v[8:9], v[48:49], v[4:5] neg_lo:[0,0,1] neg_hi:[0,0,1]
	v_pk_fma_f32 v[4:5], v[8:9], v[48:49], v[4:5] op_sel_hi:[1,0,1]
	v_pk_add_f32 v[2:3], v[2:3], v[22:23]
	v_mov_b32_e32 v7, v5
	s_waitcnt vmcnt(2) lgkmcnt(1)
	v_pk_mul_f32 v[4:5], v[10:11], v[34:35] op_sel:[1,1] op_sel_hi:[0,1]
	v_pk_add_f32 v[2:3], v[2:3], v[6:7]
	v_pk_fma_f32 v[6:7], v[10:11], v[34:35], v[4:5] neg_lo:[0,0,1] neg_hi:[0,0,1]
	v_pk_fma_f32 v[4:5], v[10:11], v[34:35], v[4:5] op_sel_hi:[1,0,1]
	s_nop 0
	v_mov_b32_e32 v4, v37
	v_mov_b32_e32 v7, v5
	v_pk_mul_f32 v[4:5], v[12:13], v[4:5] op_sel:[1,0] op_sel_hi:[0,0]
	v_pk_add_f32 v[2:3], v[2:3], v[6:7]
	v_pk_fma_f32 v[6:7], v[12:13], v[36:37], v[4:5] neg_lo:[0,0,1] neg_hi:[0,0,1]
	v_pk_fma_f32 v[4:5], v[12:13], v[36:37], v[4:5] op_sel_hi:[1,0,1]
	s_nop 0
	v_mov_b32_e32 v7, v5
	s_waitcnt vmcnt(1) lgkmcnt(0)
	v_pk_mul_f32 v[4:5], v[14:15], v[18:19] op_sel:[1,1] op_sel_hi:[0,1]
	v_pk_add_f32 v[2:3], v[2:3], v[6:7]
	v_pk_fma_f32 v[6:7], v[14:15], v[18:19], v[4:5] neg_lo:[0,0,1] neg_hi:[0,0,1]
	v_pk_fma_f32 v[4:5], v[14:15], v[18:19], v[4:5] op_sel_hi:[1,0,1]
	s_nop 0
	v_mov_b32_e32 v4, v21
	v_mov_b32_e32 v7, v5
	v_pk_mul_f32 v[4:5], v[16:17], v[4:5] op_sel:[1,0] op_sel_hi:[0,0]
	v_pk_add_f32 v[2:3], v[2:3], v[6:7]
	v_pk_fma_f32 v[6:7], v[16:17], v[20:21], v[4:5] neg_lo:[0,0,1] neg_hi:[0,0,1]
	v_pk_fma_f32 v[4:5], v[16:17], v[20:21], v[4:5] op_sel_hi:[1,0,1]
	s_nop 0
	v_mov_b32_e32 v7, v5
	v_pk_add_f32 v[2:3], v[2:3], v[6:7]
	s_waitcnt vmcnt(0)
	v_pk_add_f32 v[2:3], v[100:101], v[2:3] neg_lo:[0,1] neg_hi:[0,1]
	scratch_store_dwordx2 off, v[2:3], off offset:96
	s_and_saveexec_b64 s[0:1], vcc
	s_cbranch_execz .LBB104_237
; %bb.236:
	scratch_load_dwordx2 v[2:3], off, off offset:88
	v_mov_b32_e32 v4, 0
	v_mov_b32_e32 v5, v4
	scratch_store_dwordx2 off, v[4:5], off offset:88
	s_waitcnt vmcnt(1)
	ds_write_b64 v1, v[2:3]
.LBB104_237:
	s_or_b64 exec, exec, s[0:1]
	s_waitcnt lgkmcnt(0)
	; wave barrier
	scratch_load_dwordx4 v[26:29], off, off offset:96
	scratch_load_dwordx4 v[2:5], off, off offset:112
	;; [unrolled: 1-line block ×14, first 2 shown]
	scratch_load_dwordx2 v[58:59], off, off offset:320
	scratch_load_dwordx2 v[100:101], off, off offset:88
	v_mov_b32_e32 v102, 0
	ds_read_b128 v[60:63], v102 offset:432
	ds_read_b128 v[64:67], v102 offset:448
	;; [unrolled: 1-line block ×12, first 2 shown]
	v_cmp_lt_u32_e32 vcc, 10, v0
	s_waitcnt vmcnt(15) lgkmcnt(11)
	v_mul_f32_e32 v103, v60, v27
	v_mul_f32_e32 v112, v62, v29
	s_waitcnt vmcnt(14) lgkmcnt(10)
	v_mul_f32_e32 v114, v64, v3
	v_mul_f32_e32 v3, v65, v3
	v_fmac_f32_e32 v103, v61, v26
	v_fmac_f32_e32 v112, v63, v28
	;; [unrolled: 1-line block ×3, first 2 shown]
	v_fma_f32 v2, v64, v2, -v3
	v_add_f32_e32 v3, 0, v103
	v_mul_f32_e32 v116, v66, v5
	v_add_f32_e32 v3, v3, v112
	s_waitcnt vmcnt(13) lgkmcnt(9)
	v_mul_f32_e32 v117, v68, v7
	v_fmac_f32_e32 v116, v67, v4
	v_add_f32_e32 v3, v3, v114
	v_mul_f32_e32 v118, v70, v9
	v_fmac_f32_e32 v117, v69, v6
	v_add_f32_e32 v3, v3, v116
	s_waitcnt vmcnt(12) lgkmcnt(8)
	v_mul_f32_e32 v119, v72, v11
	v_fmac_f32_e32 v118, v71, v8
	v_add_f32_e32 v3, v3, v117
	v_mul_f32_e32 v202, v74, v13
	v_fmac_f32_e32 v119, v73, v10
	v_add_f32_e32 v3, v3, v118
	s_waitcnt vmcnt(11) lgkmcnt(7)
	v_mul_f32_e32 v203, v76, v15
	v_fmac_f32_e32 v202, v75, v12
	v_add_f32_e32 v3, v3, v119
	v_mul_f32_e32 v204, v78, v17
	v_fmac_f32_e32 v203, v77, v14
	v_add_f32_e32 v3, v3, v202
	s_waitcnt vmcnt(10) lgkmcnt(6)
	v_mul_f32_e32 v205, v80, v23
	v_fmac_f32_e32 v204, v79, v16
	v_add_f32_e32 v3, v3, v203
	v_mul_f32_e32 v206, v82, v25
	v_fmac_f32_e32 v205, v81, v22
	v_add_f32_e32 v3, v3, v204
	s_waitcnt vmcnt(9) lgkmcnt(5)
	v_mul_f32_e32 v207, v84, v31
	v_fmac_f32_e32 v206, v83, v24
	v_add_f32_e32 v3, v3, v205
	v_mul_f32_e32 v208, v86, v33
	v_fmac_f32_e32 v207, v85, v30
	v_add_f32_e32 v3, v3, v206
	s_waitcnt vmcnt(8) lgkmcnt(4)
	v_mul_f32_e32 v209, v88, v39
	v_fmac_f32_e32 v208, v87, v32
	v_add_f32_e32 v3, v3, v207
	v_mul_f32_e32 v210, v90, v41
	v_fmac_f32_e32 v209, v89, v38
	v_add_f32_e32 v3, v3, v208
	s_waitcnt vmcnt(7) lgkmcnt(3)
	v_mul_f32_e32 v211, v92, v43
	v_fmac_f32_e32 v210, v91, v40
	v_add_f32_e32 v3, v3, v209
	v_mul_f32_e32 v212, v94, v45
	v_mul_f32_e32 v27, v61, v27
	v_fmac_f32_e32 v211, v93, v42
	v_add_f32_e32 v3, v3, v210
	s_waitcnt vmcnt(6) lgkmcnt(2)
	v_mul_f32_e32 v213, v96, v51
	v_mul_f32_e32 v29, v63, v29
	v_fmac_f32_e32 v212, v95, v44
	v_fma_f32 v26, v60, v26, -v27
	v_add_f32_e32 v3, v3, v211
	v_fmac_f32_e32 v213, v97, v50
	v_fma_f32 v27, v62, v28, -v29
	v_add_f32_e32 v26, 0, v26
	v_add_f32_e32 v3, v3, v212
	;; [unrolled: 1-line block ×4, first 2 shown]
	v_mul_f32_e32 v3, v67, v5
	v_add_f32_e32 v2, v26, v2
	v_fma_f32 v3, v66, v4, -v3
	v_add_f32_e32 v2, v2, v3
	v_mul_f32_e32 v3, v69, v7
	v_fma_f32 v3, v68, v6, -v3
	v_add_f32_e32 v2, v2, v3
	v_mul_f32_e32 v3, v71, v9
	;; [unrolled: 3-line block ×15, first 2 shown]
	v_fma_f32 v3, v96, v50, -v3
	v_mul_f32_e32 v113, v98, v53
	v_add_f32_e32 v26, v2, v3
	v_mul_f32_e32 v2, v99, v53
	s_waitcnt vmcnt(5)
	v_mov_b32_e32 v14, v57
	s_waitcnt lgkmcnt(1)
	v_mul_f32_e32 v115, v104, v55
	v_fmac_f32_e32 v113, v99, v52
	v_fma_f32 v112, v98, v52, -v2
	v_mul_f32_e32 v2, v105, v55
	v_pk_mul_f32 v[14:15], v[106:107], v[14:15] op_sel:[1,0] op_sel_hi:[0,0]
	v_fmac_f32_e32 v115, v105, v54
	v_fma_f32 v114, v104, v54, -v2
	v_pk_add_f32 v[12:13], v[26:27], v[112:113]
	v_pk_fma_f32 v[16:17], v[106:107], v[56:57], v[14:15] neg_lo:[0,0,1] neg_hi:[0,0,1]
	v_pk_fma_f32 v[14:15], v[106:107], v[56:57], v[14:15] op_sel_hi:[1,0,1]
	v_pk_add_f32 v[12:13], v[12:13], v[114:115]
	v_mov_b32_e32 v17, v15
	s_waitcnt vmcnt(4) lgkmcnt(0)
	v_pk_mul_f32 v[14:15], v[108:109], v[46:47] op_sel:[1,1] op_sel_hi:[0,1]
	v_pk_add_f32 v[12:13], v[12:13], v[16:17]
	v_pk_fma_f32 v[16:17], v[108:109], v[46:47], v[14:15] neg_lo:[0,0,1] neg_hi:[0,0,1]
	v_pk_fma_f32 v[14:15], v[108:109], v[46:47], v[14:15] op_sel_hi:[1,0,1]
	ds_read_b128 v[2:5], v102 offset:624
	ds_read_b128 v[6:9], v102 offset:640
	ds_read_b64 v[10:11], v102 offset:656
	v_mov_b32_e32 v14, v49
	v_mov_b32_e32 v17, v15
	v_pk_mul_f32 v[14:15], v[110:111], v[14:15] op_sel:[1,0] op_sel_hi:[0,0]
	v_pk_add_f32 v[12:13], v[12:13], v[16:17]
	v_pk_fma_f32 v[16:17], v[110:111], v[48:49], v[14:15] neg_lo:[0,0,1] neg_hi:[0,0,1]
	v_pk_fma_f32 v[14:15], v[110:111], v[48:49], v[14:15] op_sel_hi:[1,0,1]
	s_nop 0
	v_mov_b32_e32 v17, v15
	s_waitcnt vmcnt(3) lgkmcnt(2)
	v_pk_mul_f32 v[14:15], v[2:3], v[34:35] op_sel:[1,1] op_sel_hi:[0,1]
	v_pk_add_f32 v[12:13], v[12:13], v[16:17]
	v_pk_fma_f32 v[16:17], v[2:3], v[34:35], v[14:15] neg_lo:[0,0,1] neg_hi:[0,0,1]
	v_pk_fma_f32 v[2:3], v[2:3], v[34:35], v[14:15] op_sel_hi:[1,0,1]
	s_nop 0
	v_mov_b32_e32 v17, v3
	v_pk_add_f32 v[2:3], v[12:13], v[16:17]
	v_mov_b32_e32 v12, v37
	v_pk_mul_f32 v[12:13], v[4:5], v[12:13] op_sel:[1,0] op_sel_hi:[0,0]
	v_pk_fma_f32 v[14:15], v[4:5], v[36:37], v[12:13] neg_lo:[0,0,1] neg_hi:[0,0,1]
	v_pk_fma_f32 v[4:5], v[4:5], v[36:37], v[12:13] op_sel_hi:[1,0,1]
	s_nop 0
	v_mov_b32_e32 v15, v5
	s_waitcnt vmcnt(2) lgkmcnt(1)
	v_pk_mul_f32 v[4:5], v[6:7], v[18:19] op_sel:[1,1] op_sel_hi:[0,1]
	v_pk_fma_f32 v[12:13], v[6:7], v[18:19], v[4:5] neg_lo:[0,0,1] neg_hi:[0,0,1]
	v_pk_fma_f32 v[4:5], v[6:7], v[18:19], v[4:5] op_sel_hi:[1,0,1]
	v_pk_add_f32 v[2:3], v[2:3], v[14:15]
	v_mov_b32_e32 v4, v21
	v_mov_b32_e32 v13, v5
	v_pk_mul_f32 v[4:5], v[8:9], v[4:5] op_sel:[1,0] op_sel_hi:[0,0]
	v_pk_fma_f32 v[6:7], v[8:9], v[20:21], v[4:5] neg_lo:[0,0,1] neg_hi:[0,0,1]
	v_pk_fma_f32 v[4:5], v[8:9], v[20:21], v[4:5] op_sel_hi:[1,0,1]
	v_pk_add_f32 v[2:3], v[2:3], v[12:13]
	v_mov_b32_e32 v7, v5
	s_waitcnt vmcnt(1) lgkmcnt(0)
	v_pk_mul_f32 v[4:5], v[10:11], v[58:59] op_sel:[1,1] op_sel_hi:[0,1]
	v_pk_add_f32 v[2:3], v[2:3], v[6:7]
	v_pk_fma_f32 v[6:7], v[10:11], v[58:59], v[4:5] neg_lo:[0,0,1] neg_hi:[0,0,1]
	v_pk_fma_f32 v[4:5], v[10:11], v[58:59], v[4:5] op_sel_hi:[1,0,1]
	s_nop 0
	v_mov_b32_e32 v7, v5
	v_pk_add_f32 v[2:3], v[2:3], v[6:7]
	s_waitcnt vmcnt(0)
	v_pk_add_f32 v[2:3], v[100:101], v[2:3] neg_lo:[0,1] neg_hi:[0,1]
	scratch_store_dwordx2 off, v[2:3], off offset:88
	s_and_saveexec_b64 s[0:1], vcc
	s_cbranch_execz .LBB104_239
; %bb.238:
	scratch_load_dwordx2 v[2:3], off, off offset:80
	v_mov_b32_e32 v103, v102
	scratch_store_dwordx2 off, v[102:103], off offset:80
	s_waitcnt vmcnt(1)
	ds_write_b64 v1, v[2:3]
.LBB104_239:
	s_or_b64 exec, exec, s[0:1]
	s_waitcnt lgkmcnt(0)
	; wave barrier
	scratch_load_dwordx4 v[18:21], off, off offset:88
	scratch_load_dwordx4 v[2:5], off, off offset:104
	;; [unrolled: 1-line block ×11, first 2 shown]
	ds_read2_b64 v[104:107], v102 offset0:53 offset1:54
	ds_read2_b64 v[98:101], v102 offset0:55 offset1:56
	ds_read2_b64 v[94:97], v102 offset0:57 offset1:58
	ds_read2_b64 v[90:93], v102 offset0:59 offset1:60
	ds_read2_b64 v[86:89], v102 offset0:61 offset1:62
	ds_read2_b64 v[82:85], v102 offset0:63 offset1:64
	ds_read2_b64 v[74:77], v102 offset0:65 offset1:66
	ds_read2_b64 v[70:73], v102 offset0:67 offset1:68
	ds_read2_b64 v[66:69], v102 offset0:69 offset1:70
	ds_read2_b64 v[62:65], v102 offset0:71 offset1:72
	scratch_load_dwordx4 v[58:61], off, off offset:264
	scratch_load_dwordx4 v[50:53], off, off offset:280
	;; [unrolled: 1-line block ×4, first 2 shown]
	ds_read2_b64 v[78:81], v102 offset0:73 offset1:74
	ds_read2_b64 v[108:111], v102 offset0:75 offset1:76
	scratch_load_dwordx2 v[112:113], off, off offset:80
	v_cmp_lt_u32_e32 vcc, 9, v0
	s_waitcnt vmcnt(15) lgkmcnt(11)
	v_mul_f32_e32 v103, v104, v19
	v_mul_f32_e32 v114, v106, v21
	s_waitcnt vmcnt(14) lgkmcnt(10)
	v_mul_f32_e32 v116, v98, v3
	v_mul_f32_e32 v3, v99, v3
	v_fmac_f32_e32 v103, v105, v18
	v_fmac_f32_e32 v114, v107, v20
	;; [unrolled: 1-line block ×3, first 2 shown]
	v_fma_f32 v2, v98, v2, -v3
	v_add_f32_e32 v3, 0, v103
	v_mul_f32_e32 v118, v100, v5
	v_add_f32_e32 v3, v3, v114
	s_waitcnt vmcnt(13) lgkmcnt(9)
	v_mul_f32_e32 v119, v94, v7
	v_fmac_f32_e32 v118, v101, v4
	v_add_f32_e32 v3, v3, v116
	v_mul_f32_e32 v202, v96, v9
	v_fmac_f32_e32 v119, v95, v6
	v_add_f32_e32 v3, v3, v118
	s_waitcnt vmcnt(12) lgkmcnt(8)
	v_mul_f32_e32 v203, v90, v11
	v_fmac_f32_e32 v202, v97, v8
	v_add_f32_e32 v3, v3, v119
	v_mul_f32_e32 v204, v92, v13
	v_fmac_f32_e32 v203, v91, v10
	;; [unrolled: 7-line block ×7, first 2 shown]
	v_add_f32_e32 v3, v3, v212
	s_waitcnt vmcnt(6) lgkmcnt(2)
	v_mul_f32_e32 v215, v62, v47
	v_mul_f32_e32 v19, v105, v19
	v_fmac_f32_e32 v214, v69, v44
	v_add_f32_e32 v3, v3, v213
	v_mul_f32_e32 v216, v64, v49
	v_mul_f32_e32 v21, v107, v21
	v_fmac_f32_e32 v215, v63, v46
	v_fma_f32 v18, v104, v18, -v19
	v_add_f32_e32 v3, v3, v214
	v_fmac_f32_e32 v216, v65, v48
	v_fma_f32 v19, v106, v20, -v21
	v_add_f32_e32 v18, 0, v18
	v_add_f32_e32 v3, v3, v215
	;; [unrolled: 1-line block ×4, first 2 shown]
	v_mul_f32_e32 v3, v101, v5
	v_add_f32_e32 v2, v18, v2
	v_fma_f32 v3, v100, v4, -v3
	v_add_f32_e32 v2, v2, v3
	v_mul_f32_e32 v3, v95, v7
	v_fma_f32 v3, v94, v6, -v3
	v_add_f32_e32 v2, v2, v3
	v_mul_f32_e32 v3, v97, v9
	;; [unrolled: 3-line block ×16, first 2 shown]
	v_fma_f32 v3, v64, v48, -v3
	s_waitcnt vmcnt(5) lgkmcnt(1)
	v_mul_f32_e32 v115, v78, v55
	v_add_f32_e32 v18, v2, v3
	v_mul_f32_e32 v2, v79, v55
	v_fmac_f32_e32 v115, v79, v54
	v_fma_f32 v114, v78, v54, -v2
	s_waitcnt vmcnt(4) lgkmcnt(0)
	v_pk_mul_f32 v[16:17], v[108:109], v[58:59] op_sel:[1,1] op_sel_hi:[0,1]
	v_mul_f32_e32 v117, v80, v57
	v_mul_f32_e32 v2, v81, v57
	v_pk_add_f32 v[14:15], v[18:19], v[114:115]
	v_pk_fma_f32 v[18:19], v[108:109], v[58:59], v[16:17] neg_lo:[0,0,1] neg_hi:[0,0,1]
	v_pk_fma_f32 v[16:17], v[108:109], v[58:59], v[16:17] op_sel_hi:[1,0,1]
	v_fmac_f32_e32 v117, v81, v56
	v_fma_f32 v116, v80, v56, -v2
	ds_read2_b64 v[2:5], v102 offset0:77 offset1:78
	ds_read2_b64 v[6:9], v102 offset0:79 offset1:80
	ds_read2_b64 v[10:13], v102 offset0:81 offset1:82
	v_mov_b32_e32 v16, v61
	v_pk_add_f32 v[14:15], v[14:15], v[116:117]
	v_mov_b32_e32 v19, v17
	v_pk_mul_f32 v[16:17], v[110:111], v[16:17] op_sel:[1,0] op_sel_hi:[0,0]
	v_pk_add_f32 v[14:15], v[14:15], v[18:19]
	v_pk_fma_f32 v[18:19], v[110:111], v[60:61], v[16:17] neg_lo:[0,0,1] neg_hi:[0,0,1]
	v_pk_fma_f32 v[16:17], v[110:111], v[60:61], v[16:17] op_sel_hi:[1,0,1]
	s_nop 0
	v_mov_b32_e32 v19, v17
	s_waitcnt vmcnt(3) lgkmcnt(2)
	v_pk_mul_f32 v[16:17], v[2:3], v[50:51] op_sel:[1,1] op_sel_hi:[0,1]
	v_pk_add_f32 v[14:15], v[14:15], v[18:19]
	v_pk_fma_f32 v[18:19], v[2:3], v[50:51], v[16:17] neg_lo:[0,0,1] neg_hi:[0,0,1]
	v_pk_fma_f32 v[2:3], v[2:3], v[50:51], v[16:17] op_sel_hi:[1,0,1]
	s_nop 0
	v_mov_b32_e32 v19, v3
	v_pk_add_f32 v[2:3], v[14:15], v[18:19]
	v_mov_b32_e32 v14, v53
	v_pk_mul_f32 v[14:15], v[4:5], v[14:15] op_sel:[1,0] op_sel_hi:[0,0]
	v_pk_fma_f32 v[16:17], v[4:5], v[52:53], v[14:15] neg_lo:[0,0,1] neg_hi:[0,0,1]
	v_pk_fma_f32 v[4:5], v[4:5], v[52:53], v[14:15] op_sel_hi:[1,0,1]
	s_nop 0
	v_mov_b32_e32 v17, v5
	s_waitcnt vmcnt(2) lgkmcnt(1)
	v_pk_mul_f32 v[4:5], v[6:7], v[38:39] op_sel:[1,1] op_sel_hi:[0,1]
	v_pk_fma_f32 v[14:15], v[6:7], v[38:39], v[4:5] neg_lo:[0,0,1] neg_hi:[0,0,1]
	v_pk_fma_f32 v[4:5], v[6:7], v[38:39], v[4:5] op_sel_hi:[1,0,1]
	v_pk_add_f32 v[2:3], v[2:3], v[16:17]
	v_mov_b32_e32 v4, v41
	v_mov_b32_e32 v15, v5
	v_pk_mul_f32 v[4:5], v[8:9], v[4:5] op_sel:[1,0] op_sel_hi:[0,0]
	v_pk_fma_f32 v[6:7], v[8:9], v[40:41], v[4:5] neg_lo:[0,0,1] neg_hi:[0,0,1]
	v_pk_fma_f32 v[4:5], v[8:9], v[40:41], v[4:5] op_sel_hi:[1,0,1]
	v_pk_add_f32 v[2:3], v[2:3], v[14:15]
	v_mov_b32_e32 v7, v5
	s_waitcnt vmcnt(1) lgkmcnt(0)
	v_pk_mul_f32 v[4:5], v[10:11], v[26:27] op_sel:[1,1] op_sel_hi:[0,1]
	v_pk_add_f32 v[2:3], v[2:3], v[6:7]
	v_pk_fma_f32 v[6:7], v[10:11], v[26:27], v[4:5] neg_lo:[0,0,1] neg_hi:[0,0,1]
	v_pk_fma_f32 v[4:5], v[10:11], v[26:27], v[4:5] op_sel_hi:[1,0,1]
	s_nop 0
	v_mov_b32_e32 v4, v29
	v_mov_b32_e32 v7, v5
	v_pk_mul_f32 v[4:5], v[12:13], v[4:5] op_sel:[1,0] op_sel_hi:[0,0]
	v_pk_add_f32 v[2:3], v[2:3], v[6:7]
	v_pk_fma_f32 v[6:7], v[12:13], v[28:29], v[4:5] neg_lo:[0,0,1] neg_hi:[0,0,1]
	v_pk_fma_f32 v[4:5], v[12:13], v[28:29], v[4:5] op_sel_hi:[1,0,1]
	s_nop 0
	v_mov_b32_e32 v7, v5
	v_pk_add_f32 v[2:3], v[2:3], v[6:7]
	s_waitcnt vmcnt(0)
	v_pk_add_f32 v[2:3], v[112:113], v[2:3] neg_lo:[0,1] neg_hi:[0,1]
	scratch_store_dwordx2 off, v[2:3], off offset:80
	s_and_saveexec_b64 s[0:1], vcc
	s_cbranch_execz .LBB104_241
; %bb.240:
	scratch_load_dwordx2 v[2:3], off, off offset:72
	v_mov_b32_e32 v4, 0
	v_mov_b32_e32 v5, v4
	scratch_store_dwordx2 off, v[4:5], off offset:72
	s_waitcnt vmcnt(1)
	ds_write_b64 v1, v[2:3]
.LBB104_241:
	s_or_b64 exec, exec, s[0:1]
	s_waitcnt lgkmcnt(0)
	; wave barrier
	scratch_load_dwordx4 v[2:5], off, off offset:80
	scratch_load_dwordx4 v[6:9], off, off offset:96
	;; [unrolled: 1-line block ×15, first 2 shown]
	scratch_load_dwordx2 v[62:63], off, off offset:320
	scratch_load_dwordx2 v[112:113], off, off offset:72
	v_mov_b32_e32 v114, 0
	ds_read_b128 v[64:67], v114 offset:416
	ds_read_b128 v[68:71], v114 offset:432
	ds_read_b128 v[72:75], v114 offset:448
	ds_read_b128 v[76:79], v114 offset:464
	ds_read_b128 v[80:83], v114 offset:480
	ds_read_b128 v[84:87], v114 offset:496
	ds_read_b128 v[88:91], v114 offset:512
	ds_read_b128 v[92:95], v114 offset:528
	ds_read_b128 v[96:99], v114 offset:544
	ds_read_b128 v[100:103], v114 offset:560
	ds_read_b128 v[104:107], v114 offset:576
	ds_read_b128 v[108:111], v114 offset:592
	v_cmp_lt_u32_e32 vcc, 8, v0
	s_waitcnt vmcnt(16) lgkmcnt(11)
	v_mul_f32_e32 v115, v64, v3
	v_mul_f32_e32 v116, v66, v5
	;; [unrolled: 1-line block ×3, first 2 shown]
	v_fmac_f32_e32 v115, v65, v2
	s_waitcnt vmcnt(15) lgkmcnt(10)
	v_mul_f32_e32 v118, v68, v7
	v_fmac_f32_e32 v116, v67, v4
	v_fma_f32 v2, v64, v2, -v3
	v_add_f32_e32 v3, 0, v115
	v_mul_f32_e32 v202, v70, v9
	v_fmac_f32_e32 v118, v69, v6
	v_add_f32_e32 v3, v3, v116
	s_waitcnt vmcnt(14) lgkmcnt(9)
	v_mul_f32_e32 v203, v72, v11
	v_fmac_f32_e32 v202, v71, v8
	v_add_f32_e32 v3, v3, v118
	v_mul_f32_e32 v204, v74, v13
	v_fmac_f32_e32 v203, v73, v10
	v_add_f32_e32 v3, v3, v202
	s_waitcnt vmcnt(13) lgkmcnt(8)
	v_mul_f32_e32 v205, v76, v15
	v_fmac_f32_e32 v204, v75, v12
	;; [unrolled: 7-line block ×9, first 2 shown]
	v_add_f32_e32 v3, v3, v217
	v_mul_f32_e32 v5, v67, v5
	v_fmac_f32_e32 v219, v105, v58
	v_add_f32_e32 v3, v3, v218
	v_add_f32_e32 v2, 0, v2
	;; [unrolled: 1-line block ×3, first 2 shown]
	v_fma_f32 v3, v66, v4, -v5
	v_add_f32_e32 v2, v2, v3
	v_mul_f32_e32 v3, v69, v7
	v_fma_f32 v3, v68, v6, -v3
	v_add_f32_e32 v2, v2, v3
	v_mul_f32_e32 v3, v71, v9
	;; [unrolled: 3-line block ×20, first 2 shown]
	v_mul_f32_e32 v117, v106, v61
	v_fma_f32 v116, v106, v60, -v2
	s_waitcnt vmcnt(5) lgkmcnt(0)
	v_mul_f32_e32 v2, v109, v55
	v_mov_b32_e32 v18, v57
	v_mul_f32_e32 v119, v108, v55
	v_fmac_f32_e32 v117, v107, v60
	v_fma_f32 v118, v108, v54, -v2
	ds_read_b128 v[2:5], v114 offset:608
	ds_read_b128 v[6:9], v114 offset:624
	;; [unrolled: 1-line block ×3, first 2 shown]
	ds_read_b64 v[14:15], v114 offset:656
	v_pk_mul_f32 v[18:19], v[110:111], v[18:19] op_sel:[1,0] op_sel_hi:[0,0]
	v_fmac_f32_e32 v119, v109, v54
	v_pk_add_f32 v[16:17], v[64:65], v[116:117]
	v_pk_fma_f32 v[20:21], v[110:111], v[56:57], v[18:19] neg_lo:[0,0,1] neg_hi:[0,0,1]
	v_pk_fma_f32 v[18:19], v[110:111], v[56:57], v[18:19] op_sel_hi:[1,0,1]
	v_pk_add_f32 v[16:17], v[16:17], v[118:119]
	v_mov_b32_e32 v21, v19
	s_waitcnt vmcnt(4) lgkmcnt(3)
	v_pk_mul_f32 v[18:19], v[2:3], v[50:51] op_sel:[1,1] op_sel_hi:[0,1]
	v_pk_add_f32 v[16:17], v[16:17], v[20:21]
	v_pk_fma_f32 v[20:21], v[2:3], v[50:51], v[18:19] neg_lo:[0,0,1] neg_hi:[0,0,1]
	v_pk_fma_f32 v[2:3], v[2:3], v[50:51], v[18:19] op_sel_hi:[1,0,1]
	s_nop 0
	v_mov_b32_e32 v21, v3
	v_pk_add_f32 v[2:3], v[16:17], v[20:21]
	v_mov_b32_e32 v16, v53
	v_pk_mul_f32 v[16:17], v[4:5], v[16:17] op_sel:[1,0] op_sel_hi:[0,0]
	v_pk_fma_f32 v[18:19], v[4:5], v[52:53], v[16:17] neg_lo:[0,0,1] neg_hi:[0,0,1]
	v_pk_fma_f32 v[4:5], v[4:5], v[52:53], v[16:17] op_sel_hi:[1,0,1]
	s_nop 0
	v_mov_b32_e32 v19, v5
	s_waitcnt vmcnt(3) lgkmcnt(2)
	v_pk_mul_f32 v[4:5], v[6:7], v[38:39] op_sel:[1,1] op_sel_hi:[0,1]
	v_pk_fma_f32 v[16:17], v[6:7], v[38:39], v[4:5] neg_lo:[0,0,1] neg_hi:[0,0,1]
	v_pk_fma_f32 v[4:5], v[6:7], v[38:39], v[4:5] op_sel_hi:[1,0,1]
	v_pk_add_f32 v[2:3], v[2:3], v[18:19]
	v_mov_b32_e32 v4, v41
	v_mov_b32_e32 v17, v5
	v_pk_mul_f32 v[4:5], v[8:9], v[4:5] op_sel:[1,0] op_sel_hi:[0,0]
	v_pk_fma_f32 v[6:7], v[8:9], v[40:41], v[4:5] neg_lo:[0,0,1] neg_hi:[0,0,1]
	v_pk_fma_f32 v[4:5], v[8:9], v[40:41], v[4:5] op_sel_hi:[1,0,1]
	v_pk_add_f32 v[2:3], v[2:3], v[16:17]
	v_mov_b32_e32 v7, v5
	s_waitcnt vmcnt(2) lgkmcnt(1)
	v_pk_mul_f32 v[4:5], v[10:11], v[26:27] op_sel:[1,1] op_sel_hi:[0,1]
	v_pk_add_f32 v[2:3], v[2:3], v[6:7]
	v_pk_fma_f32 v[6:7], v[10:11], v[26:27], v[4:5] neg_lo:[0,0,1] neg_hi:[0,0,1]
	v_pk_fma_f32 v[4:5], v[10:11], v[26:27], v[4:5] op_sel_hi:[1,0,1]
	s_nop 0
	v_mov_b32_e32 v4, v29
	v_mov_b32_e32 v7, v5
	v_pk_mul_f32 v[4:5], v[12:13], v[4:5] op_sel:[1,0] op_sel_hi:[0,0]
	v_pk_add_f32 v[2:3], v[2:3], v[6:7]
	v_pk_fma_f32 v[6:7], v[12:13], v[28:29], v[4:5] neg_lo:[0,0,1] neg_hi:[0,0,1]
	v_pk_fma_f32 v[4:5], v[12:13], v[28:29], v[4:5] op_sel_hi:[1,0,1]
	s_nop 0
	v_mov_b32_e32 v7, v5
	s_waitcnt vmcnt(1) lgkmcnt(0)
	v_pk_mul_f32 v[4:5], v[14:15], v[62:63] op_sel:[1,1] op_sel_hi:[0,1]
	v_pk_add_f32 v[2:3], v[2:3], v[6:7]
	v_pk_fma_f32 v[6:7], v[14:15], v[62:63], v[4:5] neg_lo:[0,0,1] neg_hi:[0,0,1]
	v_pk_fma_f32 v[4:5], v[14:15], v[62:63], v[4:5] op_sel_hi:[1,0,1]
	s_nop 0
	v_mov_b32_e32 v7, v5
	v_pk_add_f32 v[2:3], v[2:3], v[6:7]
	s_waitcnt vmcnt(0)
	v_pk_add_f32 v[2:3], v[112:113], v[2:3] neg_lo:[0,1] neg_hi:[0,1]
	scratch_store_dwordx2 off, v[2:3], off offset:72
	s_and_saveexec_b64 s[0:1], vcc
	s_cbranch_execz .LBB104_243
; %bb.242:
	scratch_load_dwordx2 v[2:3], off, off offset:64
	v_mov_b32_e32 v115, v114
	scratch_store_dwordx2 off, v[114:115], off offset:64
	s_waitcnt vmcnt(1)
	ds_write_b64 v1, v[2:3]
.LBB104_243:
	s_or_b64 exec, exec, s[0:1]
	s_waitcnt lgkmcnt(0)
	; wave barrier
	scratch_load_dwordx4 v[2:5], off, off offset:72
	scratch_load_dwordx4 v[6:9], off, off offset:88
	;; [unrolled: 1-line block ×12, first 2 shown]
	ds_read2_b64 v[110:113], v114 offset0:51 offset1:52
	ds_read2_b64 v[106:109], v114 offset0:53 offset1:54
	;; [unrolled: 1-line block ×12, first 2 shown]
	scratch_load_dwordx4 v[62:65], off, off offset:264
	scratch_load_dwordx4 v[54:57], off, off offset:280
	;; [unrolled: 1-line block ×4, first 2 shown]
	scratch_load_dwordx2 v[116:117], off, off offset:64
	v_cmp_lt_u32_e32 vcc, 7, v0
	s_waitcnt vmcnt(16) lgkmcnt(11)
	v_mul_f32_e32 v115, v110, v3
	v_mul_f32_e32 v118, v112, v5
	;; [unrolled: 1-line block ×3, first 2 shown]
	v_fmac_f32_e32 v115, v111, v2
	s_waitcnt vmcnt(15) lgkmcnt(10)
	v_mul_f32_e32 v202, v106, v7
	v_fmac_f32_e32 v118, v113, v4
	v_fma_f32 v2, v110, v2, -v3
	v_add_f32_e32 v3, 0, v115
	v_mul_f32_e32 v204, v108, v9
	v_fmac_f32_e32 v202, v107, v6
	v_add_f32_e32 v3, v3, v118
	s_waitcnt vmcnt(14) lgkmcnt(9)
	v_mul_f32_e32 v205, v102, v11
	v_fmac_f32_e32 v204, v109, v8
	v_add_f32_e32 v3, v3, v202
	v_mul_f32_e32 v206, v104, v13
	v_fmac_f32_e32 v205, v103, v10
	v_add_f32_e32 v3, v3, v204
	s_waitcnt vmcnt(13) lgkmcnt(8)
	v_mul_f32_e32 v207, v98, v15
	v_fmac_f32_e32 v206, v105, v12
	;; [unrolled: 7-line block ×9, first 2 shown]
	v_add_f32_e32 v3, v3, v219
	v_mul_f32_e32 v222, v72, v53
	v_fmac_f32_e32 v221, v71, v50
	v_add_f32_e32 v3, v3, v220
	v_fmac_f32_e32 v222, v73, v52
	v_add_f32_e32 v3, v3, v221
	v_add_f32_e32 v111, v3, v222
	v_mul_f32_e32 v3, v113, v5
	v_add_f32_e32 v2, 0, v2
	v_fma_f32 v3, v112, v4, -v3
	v_add_f32_e32 v2, v2, v3
	v_mul_f32_e32 v3, v107, v7
	v_fma_f32 v3, v106, v6, -v3
	v_add_f32_e32 v2, v2, v3
	v_mul_f32_e32 v3, v109, v9
	;; [unrolled: 3-line block ×20, first 2 shown]
	v_fma_f32 v3, v72, v52, -v3
	v_add_f32_e32 v110, v2, v3
	s_waitcnt vmcnt(5) lgkmcnt(0)
	v_mul_f32_e32 v2, v67, v59
	v_fma_f32 v118, v66, v58, -v2
	v_mul_f32_e32 v2, v69, v61
	v_fma_f32 v202, v68, v60, -v2
	ds_read2_b64 v[2:5], v114 offset0:75 offset1:76
	ds_read2_b64 v[6:9], v114 offset0:77 offset1:78
	;; [unrolled: 1-line block ×4, first 2 shown]
	v_mul_f32_e32 v119, v66, v59
	v_mul_f32_e32 v203, v68, v61
	v_fmac_f32_e32 v119, v67, v58
	s_waitcnt vmcnt(4) lgkmcnt(3)
	v_pk_mul_f32 v[20:21], v[2:3], v[62:63] op_sel:[1,1] op_sel_hi:[0,1]
	v_fmac_f32_e32 v203, v69, v60
	v_pk_add_f32 v[18:19], v[110:111], v[118:119]
	v_pk_fma_f32 v[22:23], v[2:3], v[62:63], v[20:21] neg_lo:[0,0,1] neg_hi:[0,0,1]
	v_pk_fma_f32 v[2:3], v[2:3], v[62:63], v[20:21] op_sel_hi:[1,0,1]
	v_pk_add_f32 v[18:19], v[18:19], v[202:203]
	v_mov_b32_e32 v23, v3
	v_pk_add_f32 v[2:3], v[18:19], v[22:23]
	v_mov_b32_e32 v18, v65
	v_pk_mul_f32 v[18:19], v[4:5], v[18:19] op_sel:[1,0] op_sel_hi:[0,0]
	v_pk_fma_f32 v[20:21], v[4:5], v[64:65], v[18:19] neg_lo:[0,0,1] neg_hi:[0,0,1]
	v_pk_fma_f32 v[4:5], v[4:5], v[64:65], v[18:19] op_sel_hi:[1,0,1]
	s_nop 0
	v_mov_b32_e32 v21, v5
	s_waitcnt vmcnt(3) lgkmcnt(2)
	v_pk_mul_f32 v[4:5], v[6:7], v[54:55] op_sel:[1,1] op_sel_hi:[0,1]
	v_pk_fma_f32 v[18:19], v[6:7], v[54:55], v[4:5] neg_lo:[0,0,1] neg_hi:[0,0,1]
	v_pk_fma_f32 v[4:5], v[6:7], v[54:55], v[4:5] op_sel_hi:[1,0,1]
	v_pk_add_f32 v[2:3], v[2:3], v[20:21]
	v_mov_b32_e32 v4, v57
	v_mov_b32_e32 v19, v5
	v_pk_mul_f32 v[4:5], v[8:9], v[4:5] op_sel:[1,0] op_sel_hi:[0,0]
	v_pk_fma_f32 v[6:7], v[8:9], v[56:57], v[4:5] neg_lo:[0,0,1] neg_hi:[0,0,1]
	v_pk_fma_f32 v[4:5], v[8:9], v[56:57], v[4:5] op_sel_hi:[1,0,1]
	v_pk_add_f32 v[2:3], v[2:3], v[18:19]
	v_mov_b32_e32 v7, v5
	s_waitcnt vmcnt(2) lgkmcnt(1)
	v_pk_mul_f32 v[4:5], v[10:11], v[42:43] op_sel:[1,1] op_sel_hi:[0,1]
	v_pk_add_f32 v[2:3], v[2:3], v[6:7]
	v_pk_fma_f32 v[6:7], v[10:11], v[42:43], v[4:5] neg_lo:[0,0,1] neg_hi:[0,0,1]
	v_pk_fma_f32 v[4:5], v[10:11], v[42:43], v[4:5] op_sel_hi:[1,0,1]
	s_nop 0
	v_mov_b32_e32 v4, v45
	v_mov_b32_e32 v7, v5
	v_pk_mul_f32 v[4:5], v[12:13], v[4:5] op_sel:[1,0] op_sel_hi:[0,0]
	v_pk_add_f32 v[2:3], v[2:3], v[6:7]
	v_pk_fma_f32 v[6:7], v[12:13], v[44:45], v[4:5] neg_lo:[0,0,1] neg_hi:[0,0,1]
	v_pk_fma_f32 v[4:5], v[12:13], v[44:45], v[4:5] op_sel_hi:[1,0,1]
	s_nop 0
	v_mov_b32_e32 v7, v5
	s_waitcnt vmcnt(1) lgkmcnt(0)
	v_pk_mul_f32 v[4:5], v[14:15], v[34:35] op_sel:[1,1] op_sel_hi:[0,1]
	v_pk_add_f32 v[2:3], v[2:3], v[6:7]
	v_pk_fma_f32 v[6:7], v[14:15], v[34:35], v[4:5] neg_lo:[0,0,1] neg_hi:[0,0,1]
	v_pk_fma_f32 v[4:5], v[14:15], v[34:35], v[4:5] op_sel_hi:[1,0,1]
	s_nop 0
	v_mov_b32_e32 v4, v37
	v_mov_b32_e32 v7, v5
	v_pk_mul_f32 v[4:5], v[16:17], v[4:5] op_sel:[1,0] op_sel_hi:[0,0]
	v_pk_add_f32 v[2:3], v[2:3], v[6:7]
	v_pk_fma_f32 v[6:7], v[16:17], v[36:37], v[4:5] neg_lo:[0,0,1] neg_hi:[0,0,1]
	v_pk_fma_f32 v[4:5], v[16:17], v[36:37], v[4:5] op_sel_hi:[1,0,1]
	s_nop 0
	v_mov_b32_e32 v7, v5
	v_pk_add_f32 v[2:3], v[2:3], v[6:7]
	s_waitcnt vmcnt(0)
	v_pk_add_f32 v[2:3], v[116:117], v[2:3] neg_lo:[0,1] neg_hi:[0,1]
	scratch_store_dwordx2 off, v[2:3], off offset:64
	s_and_saveexec_b64 s[0:1], vcc
	s_cbranch_execz .LBB104_245
; %bb.244:
	scratch_load_dwordx2 v[2:3], off, off offset:56
	v_mov_b32_e32 v4, 0
	v_mov_b32_e32 v5, v4
	scratch_store_dwordx2 off, v[4:5], off offset:56
	s_waitcnt vmcnt(1)
	ds_write_b64 v1, v[2:3]
.LBB104_245:
	s_or_b64 exec, exec, s[0:1]
	s_waitcnt lgkmcnt(0)
	; wave barrier
	scratch_load_dwordx4 v[2:5], off, off offset:64
	scratch_load_dwordx4 v[6:9], off, off offset:80
	;; [unrolled: 1-line block ×13, first 2 shown]
	v_mov_b32_e32 v106, 0
	scratch_load_dwordx2 v[206:207], off, off offset:56
	ds_read_b128 v[54:57], v106 offset:400
	ds_read_b128 v[58:61], v106 offset:416
	;; [unrolled: 1-line block ×14, first 2 shown]
	v_cmp_lt_u32_e32 vcc, 6, v0
	s_waitcnt vmcnt(13) lgkmcnt(13)
	v_mul_f32_e32 v107, v54, v3
	v_mul_f32_e32 v112, v56, v5
	v_fmac_f32_e32 v107, v55, v2
	s_waitcnt vmcnt(12) lgkmcnt(12)
	v_mul_f32_e32 v113, v58, v7
	v_fmac_f32_e32 v112, v57, v4
	v_add_f32_e32 v107, 0, v107
	v_mul_f32_e32 v114, v60, v9
	v_fmac_f32_e32 v113, v59, v6
	v_add_f32_e32 v107, v107, v112
	s_waitcnt vmcnt(11) lgkmcnt(11)
	v_mul_f32_e32 v115, v62, v11
	v_fmac_f32_e32 v114, v61, v8
	v_add_f32_e32 v107, v107, v113
	v_mul_f32_e32 v116, v64, v13
	v_fmac_f32_e32 v115, v63, v10
	v_add_f32_e32 v107, v107, v114
	;; [unrolled: 7-line block ×8, first 2 shown]
	s_waitcnt vmcnt(4) lgkmcnt(4)
	v_mul_f32_e32 v215, v90, v39
	v_fmac_f32_e32 v214, v89, v36
	v_add_f32_e32 v107, v107, v213
	v_fmac_f32_e32 v215, v91, v38
	v_add_f32_e32 v107, v107, v214
	v_add_f32_e32 v107, v107, v215
	scratch_load_dwordx4 v[112:115], off, off offset:272
	scratch_load_dwordx4 v[116:119], off, off offset:288
	;; [unrolled: 1-line block ×3, first 2 shown]
	scratch_load_dwordx2 v[214:215], off, off offset:320
	v_mul_f32_e32 v3, v55, v3
	v_fma_f32 v2, v54, v2, -v3
	v_mul_f32_e32 v3, v57, v5
	v_add_f32_e32 v2, 0, v2
	v_fma_f32 v3, v56, v4, -v3
	v_add_f32_e32 v2, v2, v3
	v_mul_f32_e32 v3, v59, v7
	v_fma_f32 v3, v58, v6, -v3
	v_add_f32_e32 v2, v2, v3
	v_mul_f32_e32 v3, v61, v9
	;; [unrolled: 3-line block ×18, first 2 shown]
	v_fma_f32 v3, v92, v40, -v3
	v_add_f32_e32 v2, v2, v3
	s_waitcnt vmcnt(7) lgkmcnt(3)
	v_mul_f32_e32 v3, v95, v43
	v_fma_f32 v3, v94, v42, -v3
	v_mul_f32_e32 v216, v92, v41
	v_add_f32_e32 v2, v2, v3
	v_mul_f32_e32 v3, v97, v45
	v_mul_f32_e32 v217, v94, v43
	v_fmac_f32_e32 v216, v93, v40
	v_fma_f32 v3, v96, v44, -v3
	v_mul_f32_e32 v218, v96, v45
	v_fmac_f32_e32 v217, v95, v42
	v_add_f32_e32 v107, v107, v216
	v_add_f32_e32 v2, v2, v3
	s_waitcnt vmcnt(6) lgkmcnt(2)
	v_mul_f32_e32 v3, v99, v47
	v_mul_f32_e32 v219, v98, v47
	v_fmac_f32_e32 v218, v97, v44
	v_add_f32_e32 v107, v107, v217
	v_fma_f32 v3, v98, v46, -v3
	v_mul_f32_e32 v209, v100, v49
	v_fmac_f32_e32 v219, v99, v46
	v_add_f32_e32 v107, v107, v218
	v_add_f32_e32 v212, v2, v3
	v_mul_f32_e32 v2, v101, v49
	s_waitcnt vmcnt(5)
	v_mov_b32_e32 v14, v53
	s_waitcnt lgkmcnt(1)
	v_mul_f32_e32 v211, v102, v51
	v_fmac_f32_e32 v209, v101, v48
	v_add_f32_e32 v213, v107, v219
	v_fma_f32 v208, v100, v48, -v2
	v_mul_f32_e32 v2, v103, v51
	v_pk_mul_f32 v[14:15], v[104:105], v[14:15] op_sel:[1,0] op_sel_hi:[0,0]
	v_fmac_f32_e32 v211, v103, v50
	v_fma_f32 v210, v102, v50, -v2
	v_pk_add_f32 v[12:13], v[212:213], v[208:209]
	v_pk_fma_f32 v[16:17], v[104:105], v[52:53], v[14:15] neg_lo:[0,0,1] neg_hi:[0,0,1]
	v_pk_fma_f32 v[14:15], v[104:105], v[52:53], v[14:15] op_sel_hi:[1,0,1]
	v_pk_add_f32 v[12:13], v[12:13], v[210:211]
	v_mov_b32_e32 v17, v15
	s_waitcnt vmcnt(3) lgkmcnt(0)
	v_pk_mul_f32 v[14:15], v[108:109], v[112:113] op_sel:[1,1] op_sel_hi:[0,1]
	v_pk_add_f32 v[12:13], v[12:13], v[16:17]
	v_pk_fma_f32 v[16:17], v[108:109], v[112:113], v[14:15] neg_lo:[0,0,1] neg_hi:[0,0,1]
	v_pk_fma_f32 v[14:15], v[108:109], v[112:113], v[14:15] op_sel_hi:[1,0,1]
	ds_read_b128 v[2:5], v106 offset:624
	ds_read_b128 v[6:9], v106 offset:640
	ds_read_b64 v[10:11], v106 offset:656
	v_mov_b32_e32 v14, v115
	v_mov_b32_e32 v17, v15
	v_pk_mul_f32 v[14:15], v[110:111], v[14:15] op_sel:[1,0] op_sel_hi:[0,0]
	v_pk_add_f32 v[12:13], v[12:13], v[16:17]
	v_pk_fma_f32 v[16:17], v[110:111], v[114:115], v[14:15] neg_lo:[0,0,1] neg_hi:[0,0,1]
	v_pk_fma_f32 v[14:15], v[110:111], v[114:115], v[14:15] op_sel_hi:[1,0,1]
	s_nop 0
	v_mov_b32_e32 v17, v15
	s_waitcnt vmcnt(2) lgkmcnt(2)
	v_pk_mul_f32 v[14:15], v[2:3], v[116:117] op_sel:[1,1] op_sel_hi:[0,1]
	v_pk_add_f32 v[12:13], v[12:13], v[16:17]
	v_pk_fma_f32 v[16:17], v[2:3], v[116:117], v[14:15] neg_lo:[0,0,1] neg_hi:[0,0,1]
	v_pk_fma_f32 v[2:3], v[2:3], v[116:117], v[14:15] op_sel_hi:[1,0,1]
	s_nop 0
	v_mov_b32_e32 v17, v3
	v_pk_add_f32 v[2:3], v[12:13], v[16:17]
	v_mov_b32_e32 v12, v119
	v_pk_mul_f32 v[12:13], v[4:5], v[12:13] op_sel:[1,0] op_sel_hi:[0,0]
	v_pk_fma_f32 v[14:15], v[4:5], v[118:119], v[12:13] neg_lo:[0,0,1] neg_hi:[0,0,1]
	v_pk_fma_f32 v[4:5], v[4:5], v[118:119], v[12:13] op_sel_hi:[1,0,1]
	s_nop 0
	v_mov_b32_e32 v15, v5
	s_waitcnt vmcnt(1) lgkmcnt(1)
	v_pk_mul_f32 v[4:5], v[6:7], v[202:203] op_sel:[1,1] op_sel_hi:[0,1]
	v_pk_fma_f32 v[12:13], v[6:7], v[202:203], v[4:5] neg_lo:[0,0,1] neg_hi:[0,0,1]
	v_pk_fma_f32 v[4:5], v[6:7], v[202:203], v[4:5] op_sel_hi:[1,0,1]
	v_pk_add_f32 v[2:3], v[2:3], v[14:15]
	v_mov_b32_e32 v4, v205
	v_mov_b32_e32 v13, v5
	v_pk_mul_f32 v[4:5], v[8:9], v[4:5] op_sel:[1,0] op_sel_hi:[0,0]
	v_pk_fma_f32 v[6:7], v[8:9], v[204:205], v[4:5] neg_lo:[0,0,1] neg_hi:[0,0,1]
	v_pk_fma_f32 v[4:5], v[8:9], v[204:205], v[4:5] op_sel_hi:[1,0,1]
	v_pk_add_f32 v[2:3], v[2:3], v[12:13]
	v_mov_b32_e32 v7, v5
	s_waitcnt vmcnt(0) lgkmcnt(0)
	v_pk_mul_f32 v[4:5], v[10:11], v[214:215] op_sel:[1,1] op_sel_hi:[0,1]
	v_pk_add_f32 v[2:3], v[2:3], v[6:7]
	v_pk_fma_f32 v[6:7], v[10:11], v[214:215], v[4:5] neg_lo:[0,0,1] neg_hi:[0,0,1]
	v_pk_fma_f32 v[4:5], v[10:11], v[214:215], v[4:5] op_sel_hi:[1,0,1]
	s_nop 0
	v_mov_b32_e32 v7, v5
	v_pk_add_f32 v[2:3], v[2:3], v[6:7]
	s_nop 0
	v_pk_add_f32 v[2:3], v[206:207], v[2:3] neg_lo:[0,1] neg_hi:[0,1]
	scratch_store_dwordx2 off, v[2:3], off offset:56
	s_and_saveexec_b64 s[0:1], vcc
	s_cbranch_execz .LBB104_247
; %bb.246:
	scratch_load_dwordx2 v[2:3], off, off offset:48
	v_mov_b32_e32 v107, v106
	scratch_store_dwordx2 off, v[106:107], off offset:48
	s_waitcnt vmcnt(1)
	ds_write_b64 v1, v[2:3]
.LBB104_247:
	s_or_b64 exec, exec, s[0:1]
	s_waitcnt lgkmcnt(0)
	; wave barrier
	scratch_load_dwordx4 v[2:5], off, off offset:56
	scratch_load_dwordx4 v[6:9], off, off offset:72
	;; [unrolled: 1-line block ×13, first 2 shown]
	ds_read2_b64 v[102:105], v106 offset0:49 offset1:50
	ds_read2_b64 v[98:101], v106 offset0:51 offset1:52
	;; [unrolled: 1-line block ×14, first 2 shown]
	scratch_load_dwordx2 v[210:211], off, off offset:48
	v_cmp_lt_u32_e32 vcc, 5, v0
	s_waitcnt vmcnt(13) lgkmcnt(13)
	v_mul_f32_e32 v107, v102, v3
	v_mul_f32_e32 v112, v104, v5
	v_fmac_f32_e32 v107, v103, v2
	s_waitcnt vmcnt(12) lgkmcnt(12)
	v_mul_f32_e32 v113, v98, v7
	v_fmac_f32_e32 v112, v105, v4
	v_add_f32_e32 v107, 0, v107
	v_mul_f32_e32 v114, v100, v9
	v_fmac_f32_e32 v113, v99, v6
	v_add_f32_e32 v107, v107, v112
	s_waitcnt vmcnt(11) lgkmcnt(11)
	v_mul_f32_e32 v115, v94, v11
	v_fmac_f32_e32 v114, v101, v8
	v_add_f32_e32 v107, v107, v113
	v_mul_f32_e32 v116, v96, v13
	v_fmac_f32_e32 v115, v95, v10
	v_add_f32_e32 v107, v107, v114
	;; [unrolled: 7-line block ×7, first 2 shown]
	s_waitcnt vmcnt(5) lgkmcnt(5)
	v_mul_f32_e32 v209, v70, v35
	v_fmac_f32_e32 v208, v77, v32
	v_add_f32_e32 v107, v107, v207
	v_fmac_f32_e32 v209, v71, v34
	v_add_f32_e32 v107, v107, v208
	v_add_f32_e32 v107, v107, v209
	scratch_load_dwordx4 v[112:115], off, off offset:264
	scratch_load_dwordx4 v[116:119], off, off offset:280
	;; [unrolled: 1-line block ×4, first 2 shown]
	v_mul_f32_e32 v3, v103, v3
	v_fma_f32 v2, v102, v2, -v3
	v_mul_f32_e32 v3, v105, v5
	v_add_f32_e32 v2, 0, v2
	v_fma_f32 v3, v104, v4, -v3
	v_add_f32_e32 v2, v2, v3
	v_mul_f32_e32 v3, v99, v7
	v_fma_f32 v3, v98, v6, -v3
	v_add_f32_e32 v2, v2, v3
	v_mul_f32_e32 v3, v101, v9
	;; [unrolled: 3-line block ×16, first 2 shown]
	v_fma_f32 v3, v72, v36, -v3
	v_add_f32_e32 v2, v2, v3
	s_waitcnt vmcnt(8) lgkmcnt(4)
	v_mul_f32_e32 v3, v67, v39
	v_fma_f32 v3, v66, v38, -v3
	v_add_f32_e32 v2, v2, v3
	v_mul_f32_e32 v3, v69, v41
	v_fma_f32 v3, v68, v40, -v3
	v_add_f32_e32 v2, v2, v3
	s_waitcnt vmcnt(7) lgkmcnt(3)
	v_mul_f32_e32 v3, v63, v43
	v_mul_f32_e32 v212, v72, v37
	v_fma_f32 v3, v62, v42, -v3
	v_mul_f32_e32 v214, v66, v39
	v_fmac_f32_e32 v212, v73, v36
	v_add_f32_e32 v2, v2, v3
	v_mul_f32_e32 v3, v65, v45
	v_mul_f32_e32 v216, v68, v41
	v_fmac_f32_e32 v214, v67, v38
	v_add_f32_e32 v107, v107, v212
	v_fma_f32 v3, v64, v44, -v3
	v_mul_f32_e32 v217, v62, v43
	v_fmac_f32_e32 v216, v69, v40
	v_add_f32_e32 v107, v107, v214
	v_add_f32_e32 v2, v2, v3
	s_waitcnt vmcnt(6) lgkmcnt(2)
	v_mul_f32_e32 v3, v59, v47
	v_mul_f32_e32 v218, v64, v45
	v_fmac_f32_e32 v217, v63, v42
	v_add_f32_e32 v107, v107, v216
	v_fma_f32 v3, v58, v46, -v3
	v_mul_f32_e32 v219, v58, v47
	v_fmac_f32_e32 v218, v65, v44
	v_add_f32_e32 v107, v107, v217
	v_add_f32_e32 v2, v2, v3
	v_mul_f32_e32 v3, v61, v49
	v_mul_f32_e32 v220, v60, v49
	v_fmac_f32_e32 v219, v59, v46
	v_add_f32_e32 v107, v107, v218
	v_fma_f32 v3, v60, v48, -v3
	s_waitcnt vmcnt(5) lgkmcnt(1)
	v_mul_f32_e32 v213, v54, v51
	v_fmac_f32_e32 v220, v61, v48
	v_add_f32_e32 v107, v107, v219
	v_add_f32_e32 v216, v2, v3
	v_mul_f32_e32 v2, v55, v51
	s_waitcnt vmcnt(3) lgkmcnt(0)
	v_pk_mul_f32 v[16:17], v[108:109], v[112:113] op_sel:[1,1] op_sel_hi:[0,1]
	v_mul_f32_e32 v215, v56, v53
	v_fmac_f32_e32 v213, v55, v50
	v_add_f32_e32 v217, v107, v220
	v_fma_f32 v212, v54, v50, -v2
	v_mul_f32_e32 v2, v57, v53
	v_pk_fma_f32 v[18:19], v[108:109], v[112:113], v[16:17] neg_lo:[0,0,1] neg_hi:[0,0,1]
	v_pk_fma_f32 v[16:17], v[108:109], v[112:113], v[16:17] op_sel_hi:[1,0,1]
	v_fmac_f32_e32 v215, v57, v52
	v_fma_f32 v214, v56, v52, -v2
	ds_read2_b64 v[2:5], v106 offset0:77 offset1:78
	ds_read2_b64 v[6:9], v106 offset0:79 offset1:80
	;; [unrolled: 1-line block ×3, first 2 shown]
	v_pk_add_f32 v[14:15], v[216:217], v[212:213]
	v_mov_b32_e32 v16, v115
	v_pk_add_f32 v[14:15], v[14:15], v[214:215]
	v_mov_b32_e32 v19, v17
	v_pk_mul_f32 v[16:17], v[110:111], v[16:17] op_sel:[1,0] op_sel_hi:[0,0]
	v_pk_add_f32 v[14:15], v[14:15], v[18:19]
	v_pk_fma_f32 v[18:19], v[110:111], v[114:115], v[16:17] neg_lo:[0,0,1] neg_hi:[0,0,1]
	v_pk_fma_f32 v[16:17], v[110:111], v[114:115], v[16:17] op_sel_hi:[1,0,1]
	s_nop 0
	v_mov_b32_e32 v19, v17
	s_waitcnt vmcnt(2) lgkmcnt(2)
	v_pk_mul_f32 v[16:17], v[2:3], v[116:117] op_sel:[1,1] op_sel_hi:[0,1]
	v_pk_add_f32 v[14:15], v[14:15], v[18:19]
	v_pk_fma_f32 v[18:19], v[2:3], v[116:117], v[16:17] neg_lo:[0,0,1] neg_hi:[0,0,1]
	v_pk_fma_f32 v[2:3], v[2:3], v[116:117], v[16:17] op_sel_hi:[1,0,1]
	s_nop 0
	v_mov_b32_e32 v19, v3
	v_pk_add_f32 v[2:3], v[14:15], v[18:19]
	v_mov_b32_e32 v14, v119
	v_pk_mul_f32 v[14:15], v[4:5], v[14:15] op_sel:[1,0] op_sel_hi:[0,0]
	v_pk_fma_f32 v[16:17], v[4:5], v[118:119], v[14:15] neg_lo:[0,0,1] neg_hi:[0,0,1]
	v_pk_fma_f32 v[4:5], v[4:5], v[118:119], v[14:15] op_sel_hi:[1,0,1]
	s_nop 0
	v_mov_b32_e32 v17, v5
	s_waitcnt vmcnt(1) lgkmcnt(1)
	v_pk_mul_f32 v[4:5], v[6:7], v[202:203] op_sel:[1,1] op_sel_hi:[0,1]
	v_pk_fma_f32 v[14:15], v[6:7], v[202:203], v[4:5] neg_lo:[0,0,1] neg_hi:[0,0,1]
	v_pk_fma_f32 v[4:5], v[6:7], v[202:203], v[4:5] op_sel_hi:[1,0,1]
	v_pk_add_f32 v[2:3], v[2:3], v[16:17]
	v_mov_b32_e32 v4, v205
	v_mov_b32_e32 v15, v5
	v_pk_mul_f32 v[4:5], v[8:9], v[4:5] op_sel:[1,0] op_sel_hi:[0,0]
	v_pk_fma_f32 v[6:7], v[8:9], v[204:205], v[4:5] neg_lo:[0,0,1] neg_hi:[0,0,1]
	v_pk_fma_f32 v[4:5], v[8:9], v[204:205], v[4:5] op_sel_hi:[1,0,1]
	v_pk_add_f32 v[2:3], v[2:3], v[14:15]
	v_mov_b32_e32 v7, v5
	s_waitcnt vmcnt(0) lgkmcnt(0)
	v_pk_mul_f32 v[4:5], v[10:11], v[206:207] op_sel:[1,1] op_sel_hi:[0,1]
	v_pk_add_f32 v[2:3], v[2:3], v[6:7]
	v_pk_fma_f32 v[6:7], v[10:11], v[206:207], v[4:5] neg_lo:[0,0,1] neg_hi:[0,0,1]
	v_pk_fma_f32 v[4:5], v[10:11], v[206:207], v[4:5] op_sel_hi:[1,0,1]
	s_nop 0
	v_mov_b32_e32 v4, v209
	v_mov_b32_e32 v7, v5
	v_pk_mul_f32 v[4:5], v[12:13], v[4:5] op_sel:[1,0] op_sel_hi:[0,0]
	v_pk_add_f32 v[2:3], v[2:3], v[6:7]
	v_pk_fma_f32 v[6:7], v[12:13], v[208:209], v[4:5] neg_lo:[0,0,1] neg_hi:[0,0,1]
	v_pk_fma_f32 v[4:5], v[12:13], v[208:209], v[4:5] op_sel_hi:[1,0,1]
	s_nop 0
	v_mov_b32_e32 v7, v5
	v_pk_add_f32 v[2:3], v[2:3], v[6:7]
	s_nop 0
	v_pk_add_f32 v[2:3], v[210:211], v[2:3] neg_lo:[0,1] neg_hi:[0,1]
	scratch_store_dwordx2 off, v[2:3], off offset:48
	s_and_saveexec_b64 s[0:1], vcc
	s_cbranch_execz .LBB104_249
; %bb.248:
	scratch_load_dwordx2 v[2:3], off, off offset:40
	v_mov_b32_e32 v4, 0
	v_mov_b32_e32 v5, v4
	scratch_store_dwordx2 off, v[4:5], off offset:40
	s_waitcnt vmcnt(1)
	ds_write_b64 v1, v[2:3]
.LBB104_249:
	s_or_b64 exec, exec, s[0:1]
	s_waitcnt lgkmcnt(0)
	; wave barrier
	scratch_load_dwordx4 v[2:5], off, off offset:48
	scratch_load_dwordx4 v[6:9], off, off offset:64
	;; [unrolled: 1-line block ×13, first 2 shown]
	v_mov_b32_e32 v114, 0
	scratch_load_dwordx4 v[54:57], off, off offset:256
	scratch_load_dwordx2 v[210:211], off, off offset:40
	ds_read_b128 v[58:61], v114 offset:384
	ds_read_b128 v[62:65], v114 offset:400
	;; [unrolled: 1-line block ×14, first 2 shown]
	v_cmp_lt_u32_e32 vcc, 4, v0
	s_waitcnt vmcnt(14) lgkmcnt(13)
	v_mul_f32_e32 v115, v58, v3
	v_mul_f32_e32 v116, v60, v5
	v_fmac_f32_e32 v115, v59, v2
	s_waitcnt vmcnt(13) lgkmcnt(12)
	v_mul_f32_e32 v117, v62, v7
	v_fmac_f32_e32 v116, v61, v4
	v_add_f32_e32 v115, 0, v115
	v_mul_f32_e32 v118, v64, v9
	v_fmac_f32_e32 v117, v63, v6
	v_add_f32_e32 v115, v115, v116
	s_waitcnt vmcnt(12) lgkmcnt(11)
	v_mul_f32_e32 v119, v66, v11
	v_fmac_f32_e32 v118, v65, v8
	v_add_f32_e32 v115, v115, v117
	v_mul_f32_e32 v202, v68, v13
	v_fmac_f32_e32 v119, v67, v10
	v_add_f32_e32 v115, v115, v118
	;; [unrolled: 7-line block ×6, first 2 shown]
	s_waitcnt vmcnt(7) lgkmcnt(6)
	v_mul_f32_e32 v213, v86, v31
	v_fmac_f32_e32 v212, v85, v28
	v_add_f32_e32 v115, v115, v209
	scratch_load_dwordx4 v[116:119], off, off offset:272
	v_mul_f32_e32 v214, v88, v33
	v_fmac_f32_e32 v213, v87, v30
	v_add_f32_e32 v115, v115, v212
	s_waitcnt vmcnt(7) lgkmcnt(5)
	v_mul_f32_e32 v215, v90, v35
	v_fmac_f32_e32 v214, v89, v32
	v_add_f32_e32 v115, v115, v213
	v_mul_f32_e32 v216, v92, v37
	v_fmac_f32_e32 v215, v91, v34
	v_add_f32_e32 v115, v115, v214
	s_waitcnt vmcnt(6) lgkmcnt(4)
	v_mul_f32_e32 v217, v94, v39
	v_fmac_f32_e32 v216, v93, v36
	v_add_f32_e32 v115, v115, v215
	;; [unrolled: 7-line block ×3, first 2 shown]
	v_fmac_f32_e32 v219, v99, v42
	v_add_f32_e32 v115, v115, v218
	v_add_f32_e32 v115, v115, v219
	scratch_load_dwordx4 v[202:205], off, off offset:288
	scratch_load_dwordx4 v[206:209], off, off offset:304
	scratch_load_dwordx2 v[218:219], off, off offset:320
	v_mul_f32_e32 v3, v59, v3
	v_fma_f32 v2, v58, v2, -v3
	v_mul_f32_e32 v3, v61, v5
	v_add_f32_e32 v2, 0, v2
	v_fma_f32 v3, v60, v4, -v3
	v_add_f32_e32 v2, v2, v3
	v_mul_f32_e32 v3, v63, v7
	v_fma_f32 v3, v62, v6, -v3
	v_add_f32_e32 v2, v2, v3
	v_mul_f32_e32 v3, v65, v9
	;; [unrolled: 3-line block ×20, first 2 shown]
	v_fma_f32 v3, v100, v44, -v3
	v_add_f32_e32 v2, v2, v3
	s_waitcnt vmcnt(7) lgkmcnt(2)
	v_mul_f32_e32 v3, v103, v47
	v_fma_f32 v3, v102, v46, -v3
	v_add_f32_e32 v2, v2, v3
	v_mul_f32_e32 v3, v105, v49
	v_mul_f32_e32 v220, v100, v45
	v_fma_f32 v3, v104, v48, -v3
	v_mul_f32_e32 v221, v102, v47
	v_fmac_f32_e32 v220, v101, v44
	v_add_f32_e32 v2, v2, v3
	s_waitcnt vmcnt(6) lgkmcnt(1)
	v_mul_f32_e32 v3, v107, v51
	v_mul_f32_e32 v222, v104, v49
	v_fmac_f32_e32 v221, v103, v46
	v_add_f32_e32 v115, v115, v220
	v_fma_f32 v3, v106, v50, -v3
	v_mul_f32_e32 v223, v106, v51
	v_fmac_f32_e32 v222, v105, v48
	v_add_f32_e32 v115, v115, v221
	v_add_f32_e32 v212, v2, v3
	v_mul_f32_e32 v2, v109, v53
	v_fmac_f32_e32 v223, v107, v50
	v_add_f32_e32 v115, v115, v222
	v_mul_f32_e32 v215, v108, v53
	v_fma_f32 v214, v108, v52, -v2
	s_waitcnt vmcnt(5) lgkmcnt(0)
	v_mul_f32_e32 v2, v111, v55
	v_mov_b32_e32 v18, v57
	v_add_f32_e32 v213, v115, v223
	v_fmac_f32_e32 v215, v109, v52
	v_mul_f32_e32 v217, v110, v55
	v_fma_f32 v216, v110, v54, -v2
	ds_read_b128 v[2:5], v114 offset:608
	ds_read_b128 v[6:9], v114 offset:624
	;; [unrolled: 1-line block ×3, first 2 shown]
	ds_read_b64 v[14:15], v114 offset:656
	v_pk_mul_f32 v[18:19], v[112:113], v[18:19] op_sel:[1,0] op_sel_hi:[0,0]
	v_fmac_f32_e32 v217, v111, v54
	v_pk_add_f32 v[16:17], v[212:213], v[214:215]
	v_pk_fma_f32 v[20:21], v[112:113], v[56:57], v[18:19] neg_lo:[0,0,1] neg_hi:[0,0,1]
	v_pk_fma_f32 v[18:19], v[112:113], v[56:57], v[18:19] op_sel_hi:[1,0,1]
	v_pk_add_f32 v[16:17], v[16:17], v[216:217]
	v_mov_b32_e32 v21, v19
	s_waitcnt vmcnt(3) lgkmcnt(3)
	v_pk_mul_f32 v[18:19], v[2:3], v[116:117] op_sel:[1,1] op_sel_hi:[0,1]
	v_pk_add_f32 v[16:17], v[16:17], v[20:21]
	v_pk_fma_f32 v[20:21], v[2:3], v[116:117], v[18:19] neg_lo:[0,0,1] neg_hi:[0,0,1]
	v_pk_fma_f32 v[2:3], v[2:3], v[116:117], v[18:19] op_sel_hi:[1,0,1]
	s_nop 0
	v_mov_b32_e32 v21, v3
	v_pk_add_f32 v[2:3], v[16:17], v[20:21]
	v_mov_b32_e32 v16, v119
	v_pk_mul_f32 v[16:17], v[4:5], v[16:17] op_sel:[1,0] op_sel_hi:[0,0]
	v_pk_fma_f32 v[18:19], v[4:5], v[118:119], v[16:17] neg_lo:[0,0,1] neg_hi:[0,0,1]
	v_pk_fma_f32 v[4:5], v[4:5], v[118:119], v[16:17] op_sel_hi:[1,0,1]
	s_nop 0
	v_mov_b32_e32 v19, v5
	s_waitcnt vmcnt(2) lgkmcnt(2)
	v_pk_mul_f32 v[4:5], v[6:7], v[202:203] op_sel:[1,1] op_sel_hi:[0,1]
	v_pk_fma_f32 v[16:17], v[6:7], v[202:203], v[4:5] neg_lo:[0,0,1] neg_hi:[0,0,1]
	v_pk_fma_f32 v[4:5], v[6:7], v[202:203], v[4:5] op_sel_hi:[1,0,1]
	v_pk_add_f32 v[2:3], v[2:3], v[18:19]
	v_mov_b32_e32 v4, v205
	v_mov_b32_e32 v17, v5
	v_pk_mul_f32 v[4:5], v[8:9], v[4:5] op_sel:[1,0] op_sel_hi:[0,0]
	v_pk_fma_f32 v[6:7], v[8:9], v[204:205], v[4:5] neg_lo:[0,0,1] neg_hi:[0,0,1]
	v_pk_fma_f32 v[4:5], v[8:9], v[204:205], v[4:5] op_sel_hi:[1,0,1]
	v_pk_add_f32 v[2:3], v[2:3], v[16:17]
	v_mov_b32_e32 v7, v5
	s_waitcnt vmcnt(1) lgkmcnt(1)
	v_pk_mul_f32 v[4:5], v[10:11], v[206:207] op_sel:[1,1] op_sel_hi:[0,1]
	v_pk_add_f32 v[2:3], v[2:3], v[6:7]
	v_pk_fma_f32 v[6:7], v[10:11], v[206:207], v[4:5] neg_lo:[0,0,1] neg_hi:[0,0,1]
	v_pk_fma_f32 v[4:5], v[10:11], v[206:207], v[4:5] op_sel_hi:[1,0,1]
	s_nop 0
	v_mov_b32_e32 v4, v209
	v_mov_b32_e32 v7, v5
	v_pk_mul_f32 v[4:5], v[12:13], v[4:5] op_sel:[1,0] op_sel_hi:[0,0]
	v_pk_add_f32 v[2:3], v[2:3], v[6:7]
	v_pk_fma_f32 v[6:7], v[12:13], v[208:209], v[4:5] neg_lo:[0,0,1] neg_hi:[0,0,1]
	v_pk_fma_f32 v[4:5], v[12:13], v[208:209], v[4:5] op_sel_hi:[1,0,1]
	s_nop 0
	v_mov_b32_e32 v7, v5
	s_waitcnt vmcnt(0) lgkmcnt(0)
	v_pk_mul_f32 v[4:5], v[14:15], v[218:219] op_sel:[1,1] op_sel_hi:[0,1]
	v_pk_add_f32 v[2:3], v[2:3], v[6:7]
	v_pk_fma_f32 v[6:7], v[14:15], v[218:219], v[4:5] neg_lo:[0,0,1] neg_hi:[0,0,1]
	v_pk_fma_f32 v[4:5], v[14:15], v[218:219], v[4:5] op_sel_hi:[1,0,1]
	s_nop 0
	v_mov_b32_e32 v7, v5
	v_pk_add_f32 v[2:3], v[2:3], v[6:7]
	s_nop 0
	v_pk_add_f32 v[2:3], v[210:211], v[2:3] neg_lo:[0,1] neg_hi:[0,1]
	scratch_store_dwordx2 off, v[2:3], off offset:40
	s_and_saveexec_b64 s[0:1], vcc
	s_cbranch_execz .LBB104_251
; %bb.250:
	scratch_load_dwordx2 v[2:3], off, off offset:32
	v_mov_b32_e32 v115, v114
	scratch_store_dwordx2 off, v[114:115], off offset:32
	s_waitcnt vmcnt(1)
	ds_write_b64 v1, v[2:3]
.LBB104_251:
	s_or_b64 exec, exec, s[0:1]
	s_waitcnt lgkmcnt(0)
	; wave barrier
	scratch_load_dwordx4 v[2:5], off, off offset:40
	scratch_load_dwordx4 v[6:9], off, off offset:56
	;; [unrolled: 1-line block ×13, first 2 shown]
	ds_read2_b64 v[110:113], v114 offset0:47 offset1:48
	ds_read2_b64 v[106:109], v114 offset0:49 offset1:50
	;; [unrolled: 1-line block ×14, first 2 shown]
	scratch_load_dwordx4 v[66:69], off, off offset:248
	scratch_load_dwordx2 v[214:215], off, off offset:32
	v_cmp_lt_u32_e32 vcc, 3, v0
	s_waitcnt vmcnt(14) lgkmcnt(13)
	v_mul_f32_e32 v115, v110, v3
	v_mul_f32_e32 v116, v112, v5
	v_fmac_f32_e32 v115, v111, v2
	s_waitcnt vmcnt(13) lgkmcnt(12)
	v_mul_f32_e32 v117, v106, v7
	v_fmac_f32_e32 v116, v113, v4
	v_add_f32_e32 v115, 0, v115
	v_mul_f32_e32 v118, v108, v9
	v_fmac_f32_e32 v117, v107, v6
	v_add_f32_e32 v115, v115, v116
	s_waitcnt vmcnt(12) lgkmcnt(11)
	v_mul_f32_e32 v119, v102, v11
	v_fmac_f32_e32 v118, v109, v8
	v_add_f32_e32 v115, v115, v117
	v_mul_f32_e32 v202, v104, v13
	v_fmac_f32_e32 v119, v103, v10
	v_add_f32_e32 v115, v115, v118
	;; [unrolled: 7-line block ×4, first 2 shown]
	s_waitcnt vmcnt(9) lgkmcnt(8)
	v_mul_f32_e32 v207, v90, v23
	v_fmac_f32_e32 v206, v97, v20
	v_add_f32_e32 v115, v115, v205
	scratch_load_dwordx4 v[116:119], off, off offset:264
	v_mul_f32_e32 v208, v92, v25
	v_fmac_f32_e32 v207, v91, v22
	v_add_f32_e32 v115, v115, v206
	s_waitcnt vmcnt(9) lgkmcnt(7)
	v_mul_f32_e32 v209, v86, v27
	v_fmac_f32_e32 v208, v93, v24
	v_add_f32_e32 v115, v115, v207
	v_mul_f32_e32 v210, v88, v29
	v_fmac_f32_e32 v209, v87, v26
	v_add_f32_e32 v115, v115, v208
	s_waitcnt vmcnt(8) lgkmcnt(6)
	v_mul_f32_e32 v211, v82, v31
	v_fmac_f32_e32 v210, v89, v28
	v_add_f32_e32 v115, v115, v209
	;; [unrolled: 7-line block ×3, first 2 shown]
	v_fmac_f32_e32 v213, v79, v34
	v_add_f32_e32 v115, v115, v212
	v_add_f32_e32 v115, v115, v213
	scratch_load_dwordx4 v[202:205], off, off offset:280
	scratch_load_dwordx4 v[206:209], off, off offset:296
	;; [unrolled: 1-line block ×3, first 2 shown]
	v_mul_f32_e32 v3, v111, v3
	v_fma_f32 v2, v110, v2, -v3
	v_mul_f32_e32 v3, v113, v5
	v_add_f32_e32 v2, 0, v2
	v_fma_f32 v3, v112, v4, -v3
	v_add_f32_e32 v2, v2, v3
	v_mul_f32_e32 v3, v107, v7
	v_fma_f32 v3, v106, v6, -v3
	v_add_f32_e32 v2, v2, v3
	v_mul_f32_e32 v3, v109, v9
	;; [unrolled: 3-line block ×16, first 2 shown]
	v_fma_f32 v3, v80, v36, -v3
	v_add_f32_e32 v2, v2, v3
	s_waitcnt vmcnt(9) lgkmcnt(4)
	v_mul_f32_e32 v3, v75, v39
	v_fma_f32 v3, v74, v38, -v3
	v_add_f32_e32 v2, v2, v3
	v_mul_f32_e32 v3, v77, v41
	v_fma_f32 v3, v76, v40, -v3
	v_add_f32_e32 v2, v2, v3
	s_waitcnt vmcnt(8) lgkmcnt(3)
	v_mul_f32_e32 v3, v71, v43
	v_fma_f32 v3, v70, v42, -v3
	v_add_f32_e32 v2, v2, v3
	v_mul_f32_e32 v3, v73, v45
	v_fma_f32 v3, v72, v44, -v3
	v_add_f32_e32 v2, v2, v3
	s_waitcnt vmcnt(7) lgkmcnt(2)
	v_mul_f32_e32 v3, v63, v47
	v_fma_f32 v3, v62, v46, -v3
	v_mul_f32_e32 v216, v80, v37
	v_add_f32_e32 v2, v2, v3
	v_mul_f32_e32 v3, v65, v49
	v_mul_f32_e32 v217, v74, v39
	v_fmac_f32_e32 v216, v81, v36
	v_fma_f32 v3, v64, v48, -v3
	v_mul_f32_e32 v218, v76, v41
	v_fmac_f32_e32 v217, v75, v38
	v_add_f32_e32 v115, v115, v216
	v_add_f32_e32 v2, v2, v3
	s_waitcnt vmcnt(6) lgkmcnt(1)
	v_mul_f32_e32 v3, v55, v51
	v_mul_f32_e32 v219, v70, v43
	v_fmac_f32_e32 v218, v77, v40
	v_add_f32_e32 v115, v115, v217
	v_fma_f32 v3, v54, v50, -v3
	v_mul_f32_e32 v220, v72, v45
	v_fmac_f32_e32 v219, v71, v42
	v_add_f32_e32 v115, v115, v218
	v_add_f32_e32 v2, v2, v3
	v_mul_f32_e32 v3, v57, v53
	v_mul_f32_e32 v221, v62, v47
	v_fmac_f32_e32 v220, v73, v44
	v_add_f32_e32 v115, v115, v219
	v_fma_f32 v3, v56, v52, -v3
	v_mul_f32_e32 v222, v64, v49
	v_fmac_f32_e32 v221, v63, v46
	v_add_f32_e32 v115, v115, v220
	v_add_f32_e32 v216, v2, v3
	s_waitcnt vmcnt(5) lgkmcnt(0)
	v_mul_f32_e32 v2, v59, v67
	v_mul_f32_e32 v223, v54, v51
	v_fmac_f32_e32 v222, v65, v48
	v_add_f32_e32 v115, v115, v221
	v_fma_f32 v218, v58, v66, -v2
	v_mul_f32_e32 v2, v61, v69
	v_mul_f32_e32 v224, v56, v53
	v_fmac_f32_e32 v223, v55, v50
	v_add_f32_e32 v115, v115, v222
	v_fma_f32 v220, v60, v68, -v2
	ds_read2_b64 v[2:5], v114 offset0:75 offset1:76
	ds_read2_b64 v[6:9], v114 offset0:77 offset1:78
	;; [unrolled: 1-line block ×4, first 2 shown]
	v_add_f32_e32 v115, v115, v223
	v_fmac_f32_e32 v224, v57, v52
	v_mul_f32_e32 v219, v58, v67
	v_add_f32_e32 v217, v115, v224
	v_fmac_f32_e32 v219, v59, v66
	v_mul_f32_e32 v221, v60, v69
	s_waitcnt vmcnt(3) lgkmcnt(3)
	v_pk_mul_f32 v[20:21], v[2:3], v[116:117] op_sel:[1,1] op_sel_hi:[0,1]
	v_fmac_f32_e32 v221, v61, v68
	v_pk_add_f32 v[18:19], v[216:217], v[218:219]
	v_pk_fma_f32 v[22:23], v[2:3], v[116:117], v[20:21] neg_lo:[0,0,1] neg_hi:[0,0,1]
	v_pk_fma_f32 v[2:3], v[2:3], v[116:117], v[20:21] op_sel_hi:[1,0,1]
	v_pk_add_f32 v[18:19], v[18:19], v[220:221]
	v_mov_b32_e32 v23, v3
	v_pk_add_f32 v[2:3], v[18:19], v[22:23]
	v_mov_b32_e32 v18, v119
	v_pk_mul_f32 v[18:19], v[4:5], v[18:19] op_sel:[1,0] op_sel_hi:[0,0]
	v_pk_fma_f32 v[20:21], v[4:5], v[118:119], v[18:19] neg_lo:[0,0,1] neg_hi:[0,0,1]
	v_pk_fma_f32 v[4:5], v[4:5], v[118:119], v[18:19] op_sel_hi:[1,0,1]
	s_nop 0
	v_mov_b32_e32 v21, v5
	s_waitcnt vmcnt(2) lgkmcnt(2)
	v_pk_mul_f32 v[4:5], v[6:7], v[202:203] op_sel:[1,1] op_sel_hi:[0,1]
	v_pk_fma_f32 v[18:19], v[6:7], v[202:203], v[4:5] neg_lo:[0,0,1] neg_hi:[0,0,1]
	v_pk_fma_f32 v[4:5], v[6:7], v[202:203], v[4:5] op_sel_hi:[1,0,1]
	v_pk_add_f32 v[2:3], v[2:3], v[20:21]
	v_mov_b32_e32 v4, v205
	v_mov_b32_e32 v19, v5
	v_pk_mul_f32 v[4:5], v[8:9], v[4:5] op_sel:[1,0] op_sel_hi:[0,0]
	v_pk_fma_f32 v[6:7], v[8:9], v[204:205], v[4:5] neg_lo:[0,0,1] neg_hi:[0,0,1]
	v_pk_fma_f32 v[4:5], v[8:9], v[204:205], v[4:5] op_sel_hi:[1,0,1]
	v_pk_add_f32 v[2:3], v[2:3], v[18:19]
	v_mov_b32_e32 v7, v5
	s_waitcnt vmcnt(1) lgkmcnt(1)
	v_pk_mul_f32 v[4:5], v[10:11], v[206:207] op_sel:[1,1] op_sel_hi:[0,1]
	v_pk_add_f32 v[2:3], v[2:3], v[6:7]
	v_pk_fma_f32 v[6:7], v[10:11], v[206:207], v[4:5] neg_lo:[0,0,1] neg_hi:[0,0,1]
	v_pk_fma_f32 v[4:5], v[10:11], v[206:207], v[4:5] op_sel_hi:[1,0,1]
	s_nop 0
	v_mov_b32_e32 v4, v209
	v_mov_b32_e32 v7, v5
	v_pk_mul_f32 v[4:5], v[12:13], v[4:5] op_sel:[1,0] op_sel_hi:[0,0]
	v_pk_add_f32 v[2:3], v[2:3], v[6:7]
	v_pk_fma_f32 v[6:7], v[12:13], v[208:209], v[4:5] neg_lo:[0,0,1] neg_hi:[0,0,1]
	v_pk_fma_f32 v[4:5], v[12:13], v[208:209], v[4:5] op_sel_hi:[1,0,1]
	s_nop 0
	v_mov_b32_e32 v7, v5
	s_waitcnt vmcnt(0) lgkmcnt(0)
	v_pk_mul_f32 v[4:5], v[14:15], v[210:211] op_sel:[1,1] op_sel_hi:[0,1]
	v_pk_add_f32 v[2:3], v[2:3], v[6:7]
	v_pk_fma_f32 v[6:7], v[14:15], v[210:211], v[4:5] neg_lo:[0,0,1] neg_hi:[0,0,1]
	v_pk_fma_f32 v[4:5], v[14:15], v[210:211], v[4:5] op_sel_hi:[1,0,1]
	s_nop 0
	v_mov_b32_e32 v4, v213
	v_mov_b32_e32 v7, v5
	v_pk_mul_f32 v[4:5], v[16:17], v[4:5] op_sel:[1,0] op_sel_hi:[0,0]
	v_pk_add_f32 v[2:3], v[2:3], v[6:7]
	v_pk_fma_f32 v[6:7], v[16:17], v[212:213], v[4:5] neg_lo:[0,0,1] neg_hi:[0,0,1]
	v_pk_fma_f32 v[4:5], v[16:17], v[212:213], v[4:5] op_sel_hi:[1,0,1]
	s_nop 0
	v_mov_b32_e32 v7, v5
	v_pk_add_f32 v[2:3], v[2:3], v[6:7]
	s_nop 0
	v_pk_add_f32 v[2:3], v[214:215], v[2:3] neg_lo:[0,1] neg_hi:[0,1]
	scratch_store_dwordx2 off, v[2:3], off offset:32
	s_and_saveexec_b64 s[0:1], vcc
	s_cbranch_execz .LBB104_253
; %bb.252:
	scratch_load_dwordx2 v[2:3], off, off offset:24
	v_mov_b32_e32 v4, 0
	v_mov_b32_e32 v5, v4
	scratch_store_dwordx2 off, v[4:5], off offset:24
	s_waitcnt vmcnt(1)
	ds_write_b64 v1, v[2:3]
.LBB104_253:
	s_or_b64 exec, exec, s[0:1]
	s_waitcnt lgkmcnt(0)
	; wave barrier
	scratch_load_dwordx4 v[2:5], off, off offset:32
	scratch_load_dwordx4 v[6:9], off, off offset:48
	;; [unrolled: 1-line block ×15, first 2 shown]
	scratch_load_dwordx2 v[222:223], off, off offset:24
	v_mov_b32_e32 v118, 0
	ds_read_b128 v[62:65], v118 offset:368
	ds_read_b128 v[66:69], v118 offset:384
	;; [unrolled: 1-line block ×14, first 2 shown]
	v_cmp_lt_u32_e32 vcc, 2, v0
	s_waitcnt vmcnt(15) lgkmcnt(13)
	v_mul_f32_e32 v119, v62, v3
	v_mul_f32_e32 v202, v64, v5
	v_fmac_f32_e32 v119, v63, v2
	s_waitcnt vmcnt(14) lgkmcnt(12)
	v_mul_f32_e32 v203, v66, v7
	v_fmac_f32_e32 v202, v65, v4
	v_add_f32_e32 v119, 0, v119
	v_mul_f32_e32 v204, v68, v9
	v_fmac_f32_e32 v203, v67, v6
	v_add_f32_e32 v119, v119, v202
	s_waitcnt vmcnt(13) lgkmcnt(11)
	v_mul_f32_e32 v205, v70, v11
	v_fmac_f32_e32 v204, v69, v8
	v_add_f32_e32 v119, v119, v203
	v_mul_f32_e32 v206, v72, v13
	v_fmac_f32_e32 v205, v71, v10
	v_add_f32_e32 v119, v119, v204
	s_waitcnt vmcnt(12) lgkmcnt(10)
	v_mul_f32_e32 v207, v74, v15
	v_fmac_f32_e32 v206, v73, v12
	v_add_f32_e32 v119, v119, v205
	v_mul_f32_e32 v208, v76, v17
	v_fmac_f32_e32 v207, v75, v14
	v_add_f32_e32 v119, v119, v206
	s_waitcnt vmcnt(11) lgkmcnt(9)
	v_mul_f32_e32 v209, v78, v19
	v_fmac_f32_e32 v208, v77, v16
	v_add_f32_e32 v119, v119, v207
	v_mul_f32_e32 v210, v80, v21
	v_fmac_f32_e32 v209, v79, v18
	v_add_f32_e32 v119, v119, v208
	s_waitcnt vmcnt(10) lgkmcnt(8)
	v_mul_f32_e32 v211, v82, v23
	v_fmac_f32_e32 v210, v81, v20
	v_add_f32_e32 v119, v119, v209
	v_mul_f32_e32 v212, v84, v25
	v_fmac_f32_e32 v211, v83, v22
	v_add_f32_e32 v119, v119, v210
	s_waitcnt vmcnt(9) lgkmcnt(7)
	v_mul_f32_e32 v213, v86, v27
	v_fmac_f32_e32 v212, v85, v24
	v_add_f32_e32 v119, v119, v211
	v_mul_f32_e32 v214, v88, v29
	v_fmac_f32_e32 v213, v87, v26
	v_add_f32_e32 v119, v119, v212
	s_waitcnt vmcnt(8) lgkmcnt(6)
	v_mul_f32_e32 v215, v90, v31
	v_fmac_f32_e32 v214, v89, v28
	v_add_f32_e32 v119, v119, v213
	v_mul_f32_e32 v216, v92, v33
	v_fmac_f32_e32 v215, v91, v30
	v_add_f32_e32 v119, v119, v214
	s_waitcnt vmcnt(7) lgkmcnt(5)
	v_mul_f32_e32 v217, v94, v35
	v_fmac_f32_e32 v216, v93, v32
	v_add_f32_e32 v119, v119, v215
	v_mul_f32_e32 v218, v96, v37
	v_fmac_f32_e32 v217, v95, v34
	v_add_f32_e32 v119, v119, v216
	s_waitcnt vmcnt(6) lgkmcnt(4)
	v_mul_f32_e32 v219, v98, v39
	v_fmac_f32_e32 v218, v97, v36
	v_add_f32_e32 v119, v119, v217
	v_mul_f32_e32 v220, v100, v41
	v_fmac_f32_e32 v219, v99, v38
	v_add_f32_e32 v119, v119, v218
	s_waitcnt vmcnt(5) lgkmcnt(3)
	v_mul_f32_e32 v221, v102, v43
	v_fmac_f32_e32 v220, v101, v40
	v_add_f32_e32 v119, v119, v219
	v_mul_f32_e32 v224, v104, v45
	v_fmac_f32_e32 v221, v103, v42
	v_add_f32_e32 v119, v119, v220
	s_waitcnt vmcnt(4) lgkmcnt(2)
	v_mul_f32_e32 v225, v106, v47
	v_fmac_f32_e32 v224, v105, v44
	v_add_f32_e32 v119, v119, v221
	v_mul_f32_e32 v226, v108, v49
	v_fmac_f32_e32 v225, v107, v46
	v_add_f32_e32 v119, v119, v224
	s_waitcnt vmcnt(3) lgkmcnt(1)
	v_mul_f32_e32 v227, v110, v51
	v_fmac_f32_e32 v226, v109, v48
	v_add_f32_e32 v119, v119, v225
	v_add_f32_e32 v119, v119, v226
	v_fmac_f32_e32 v227, v111, v50
	v_mul_f32_e32 v202, v112, v53
	v_add_f32_e32 v119, v119, v227
	v_fmac_f32_e32 v202, v113, v52
	s_waitcnt vmcnt(2) lgkmcnt(0)
	v_mul_f32_e32 v206, v114, v55
	v_add_f32_e32 v119, v119, v202
	v_fmac_f32_e32 v206, v115, v54
	ds_read_b128 v[202:205], v118 offset:592
	v_add_f32_e32 v225, v119, v206
	ds_read_b128 v[206:209], v118 offset:608
	scratch_load_dwordx4 v[210:213], off, off offset:272
	scratch_load_dwordx4 v[214:217], off, off offset:288
	;; [unrolled: 1-line block ×3, first 2 shown]
	scratch_load_dwordx2 v[230:231], off, off offset:320
	v_mul_f32_e32 v3, v63, v3
	v_fma_f32 v2, v62, v2, -v3
	v_mul_f32_e32 v3, v65, v5
	v_add_f32_e32 v2, 0, v2
	v_fma_f32 v3, v64, v4, -v3
	v_add_f32_e32 v2, v2, v3
	v_mul_f32_e32 v3, v67, v7
	v_fma_f32 v3, v66, v6, -v3
	v_add_f32_e32 v2, v2, v3
	v_mul_f32_e32 v3, v69, v9
	;; [unrolled: 3-line block ×25, first 2 shown]
	v_fma_f32 v3, v114, v54, -v3
	v_mul_f32_e32 v227, v116, v57
	v_add_f32_e32 v224, v2, v3
	v_mul_f32_e32 v2, v117, v57
	s_waitcnt vmcnt(5)
	v_mov_b32_e32 v14, v61
	v_fmac_f32_e32 v227, v117, v56
	s_waitcnt lgkmcnt(1)
	v_mul_f32_e32 v229, v202, v59
	v_fma_f32 v226, v116, v56, -v2
	v_mul_f32_e32 v2, v203, v59
	v_pk_mul_f32 v[14:15], v[204:205], v[14:15] op_sel:[1,0] op_sel_hi:[0,0]
	v_fmac_f32_e32 v229, v203, v58
	v_fma_f32 v228, v202, v58, -v2
	v_pk_add_f32 v[12:13], v[224:225], v[226:227]
	v_pk_fma_f32 v[16:17], v[204:205], v[60:61], v[14:15] neg_lo:[0,0,1] neg_hi:[0,0,1]
	v_pk_fma_f32 v[14:15], v[204:205], v[60:61], v[14:15] op_sel_hi:[1,0,1]
	v_pk_add_f32 v[12:13], v[12:13], v[228:229]
	v_mov_b32_e32 v17, v15
	s_waitcnt vmcnt(3) lgkmcnt(0)
	v_pk_mul_f32 v[14:15], v[206:207], v[210:211] op_sel:[1,1] op_sel_hi:[0,1]
	v_pk_add_f32 v[12:13], v[12:13], v[16:17]
	v_pk_fma_f32 v[16:17], v[206:207], v[210:211], v[14:15] neg_lo:[0,0,1] neg_hi:[0,0,1]
	v_pk_fma_f32 v[14:15], v[206:207], v[210:211], v[14:15] op_sel_hi:[1,0,1]
	ds_read_b128 v[2:5], v118 offset:624
	ds_read_b128 v[6:9], v118 offset:640
	ds_read_b64 v[10:11], v118 offset:656
	v_mov_b32_e32 v14, v213
	v_mov_b32_e32 v17, v15
	v_pk_mul_f32 v[14:15], v[208:209], v[14:15] op_sel:[1,0] op_sel_hi:[0,0]
	v_pk_add_f32 v[12:13], v[12:13], v[16:17]
	v_pk_fma_f32 v[16:17], v[208:209], v[212:213], v[14:15] neg_lo:[0,0,1] neg_hi:[0,0,1]
	v_pk_fma_f32 v[14:15], v[208:209], v[212:213], v[14:15] op_sel_hi:[1,0,1]
	s_nop 0
	v_mov_b32_e32 v17, v15
	s_waitcnt vmcnt(2) lgkmcnt(2)
	v_pk_mul_f32 v[14:15], v[2:3], v[214:215] op_sel:[1,1] op_sel_hi:[0,1]
	v_pk_add_f32 v[12:13], v[12:13], v[16:17]
	v_pk_fma_f32 v[16:17], v[2:3], v[214:215], v[14:15] neg_lo:[0,0,1] neg_hi:[0,0,1]
	v_pk_fma_f32 v[2:3], v[2:3], v[214:215], v[14:15] op_sel_hi:[1,0,1]
	s_nop 0
	v_mov_b32_e32 v17, v3
	v_pk_add_f32 v[2:3], v[12:13], v[16:17]
	v_mov_b32_e32 v12, v217
	v_pk_mul_f32 v[12:13], v[4:5], v[12:13] op_sel:[1,0] op_sel_hi:[0,0]
	v_pk_fma_f32 v[14:15], v[4:5], v[216:217], v[12:13] neg_lo:[0,0,1] neg_hi:[0,0,1]
	v_pk_fma_f32 v[4:5], v[4:5], v[216:217], v[12:13] op_sel_hi:[1,0,1]
	s_nop 0
	v_mov_b32_e32 v15, v5
	s_waitcnt vmcnt(1) lgkmcnt(1)
	v_pk_mul_f32 v[4:5], v[6:7], v[218:219] op_sel:[1,1] op_sel_hi:[0,1]
	v_pk_fma_f32 v[12:13], v[6:7], v[218:219], v[4:5] neg_lo:[0,0,1] neg_hi:[0,0,1]
	v_pk_fma_f32 v[4:5], v[6:7], v[218:219], v[4:5] op_sel_hi:[1,0,1]
	v_pk_add_f32 v[2:3], v[2:3], v[14:15]
	v_mov_b32_e32 v4, v221
	v_mov_b32_e32 v13, v5
	v_pk_mul_f32 v[4:5], v[8:9], v[4:5] op_sel:[1,0] op_sel_hi:[0,0]
	v_pk_fma_f32 v[6:7], v[8:9], v[220:221], v[4:5] neg_lo:[0,0,1] neg_hi:[0,0,1]
	v_pk_fma_f32 v[4:5], v[8:9], v[220:221], v[4:5] op_sel_hi:[1,0,1]
	v_pk_add_f32 v[2:3], v[2:3], v[12:13]
	v_mov_b32_e32 v7, v5
	s_waitcnt vmcnt(0) lgkmcnt(0)
	v_pk_mul_f32 v[4:5], v[10:11], v[230:231] op_sel:[1,1] op_sel_hi:[0,1]
	v_pk_add_f32 v[2:3], v[2:3], v[6:7]
	v_pk_fma_f32 v[6:7], v[10:11], v[230:231], v[4:5] neg_lo:[0,0,1] neg_hi:[0,0,1]
	v_pk_fma_f32 v[4:5], v[10:11], v[230:231], v[4:5] op_sel_hi:[1,0,1]
	s_nop 0
	v_mov_b32_e32 v7, v5
	v_pk_add_f32 v[2:3], v[2:3], v[6:7]
	s_nop 0
	v_pk_add_f32 v[2:3], v[222:223], v[2:3] neg_lo:[0,1] neg_hi:[0,1]
	scratch_store_dwordx2 off, v[2:3], off offset:24
	s_and_saveexec_b64 s[0:1], vcc
	s_cbranch_execz .LBB104_255
; %bb.254:
	scratch_load_dwordx2 v[2:3], off, off offset:16
	v_mov_b32_e32 v119, v118
	scratch_store_dwordx2 off, v[118:119], off offset:16
	s_waitcnt vmcnt(1)
	ds_write_b64 v1, v[2:3]
.LBB104_255:
	s_or_b64 exec, exec, s[0:1]
	s_waitcnt lgkmcnt(0)
	; wave barrier
	scratch_load_dwordx4 v[2:5], off, off offset:24
	scratch_load_dwordx4 v[6:9], off, off offset:40
	;; [unrolled: 1-line block ×13, first 2 shown]
	ds_read2_b64 v[114:117], v118 offset0:45 offset1:46
	ds_read2_b64 v[110:113], v118 offset0:47 offset1:48
	ds_read2_b64 v[106:109], v118 offset0:49 offset1:50
	ds_read2_b64 v[102:105], v118 offset0:51 offset1:52
	ds_read2_b64 v[98:101], v118 offset0:53 offset1:54
	ds_read2_b64 v[94:97], v118 offset0:55 offset1:56
	ds_read2_b64 v[90:93], v118 offset0:57 offset1:58
	ds_read2_b64 v[86:89], v118 offset0:59 offset1:60
	ds_read2_b64 v[82:85], v118 offset0:61 offset1:62
	ds_read2_b64 v[78:81], v118 offset0:63 offset1:64
	ds_read2_b64 v[74:77], v118 offset0:65 offset1:66
	ds_read2_b64 v[66:69], v118 offset0:67 offset1:68
	ds_read2_b64 v[54:57], v118 offset0:69 offset1:70
	ds_read2_b64 v[58:61], v118 offset0:71 offset1:72
	scratch_load_dwordx4 v[62:65], off, off offset:232
	scratch_load_dwordx4 v[70:73], off, off offset:248
	scratch_load_dwordx2 v[226:227], off, off offset:16
	v_cmp_lt_u32_e32 vcc, 1, v0
	s_waitcnt vmcnt(15) lgkmcnt(13)
	v_mul_f32_e32 v119, v114, v3
	v_mul_f32_e32 v202, v116, v5
	v_fmac_f32_e32 v119, v115, v2
	s_waitcnt vmcnt(14) lgkmcnt(12)
	v_mul_f32_e32 v203, v110, v7
	v_fmac_f32_e32 v202, v117, v4
	v_add_f32_e32 v119, 0, v119
	v_mul_f32_e32 v204, v112, v9
	v_fmac_f32_e32 v203, v111, v6
	v_add_f32_e32 v119, v119, v202
	s_waitcnt vmcnt(13) lgkmcnt(11)
	v_mul_f32_e32 v205, v106, v11
	v_fmac_f32_e32 v204, v113, v8
	v_add_f32_e32 v119, v119, v203
	v_mul_f32_e32 v206, v108, v13
	v_fmac_f32_e32 v205, v107, v10
	v_add_f32_e32 v119, v119, v204
	;; [unrolled: 7-line block ×11, first 2 shown]
	s_waitcnt vmcnt(3) lgkmcnt(1)
	v_mul_f32_e32 v225, v54, v51
	v_fmac_f32_e32 v224, v69, v48
	v_add_f32_e32 v119, v119, v223
	v_fmac_f32_e32 v225, v55, v50
	v_add_f32_e32 v119, v119, v224
	v_mul_f32_e32 v202, v56, v53
	v_add_f32_e32 v119, v119, v225
	v_fmac_f32_e32 v202, v57, v52
	v_add_f32_e32 v119, v119, v202
	s_waitcnt vmcnt(2) lgkmcnt(0)
	v_mul_f32_e32 v202, v58, v63
	v_fmac_f32_e32 v202, v59, v62
	v_mul_f32_e32 v206, v60, v65
	v_add_f32_e32 v119, v119, v202
	v_fmac_f32_e32 v206, v61, v64
	ds_read2_b64 v[202:205], v118 offset0:73 offset1:74
	v_add_f32_e32 v229, v119, v206
	ds_read2_b64 v[206:209], v118 offset0:75 offset1:76
	scratch_load_dwordx4 v[210:213], off, off offset:264
	scratch_load_dwordx4 v[214:217], off, off offset:280
	;; [unrolled: 1-line block ×4, first 2 shown]
	v_mul_f32_e32 v3, v115, v3
	v_fma_f32 v2, v114, v2, -v3
	v_mul_f32_e32 v3, v117, v5
	v_add_f32_e32 v2, 0, v2
	v_fma_f32 v3, v116, v4, -v3
	v_add_f32_e32 v2, v2, v3
	v_mul_f32_e32 v3, v111, v7
	v_fma_f32 v3, v110, v6, -v3
	v_add_f32_e32 v2, v2, v3
	v_mul_f32_e32 v3, v113, v9
	;; [unrolled: 3-line block ×26, first 2 shown]
	v_fma_f32 v3, v60, v64, -v3
	s_waitcnt vmcnt(5) lgkmcnt(1)
	v_mul_f32_e32 v231, v202, v71
	v_add_f32_e32 v228, v2, v3
	v_mul_f32_e32 v2, v203, v71
	s_waitcnt vmcnt(3) lgkmcnt(0)
	v_pk_mul_f32 v[16:17], v[206:207], v[210:211] op_sel:[1,1] op_sel_hi:[0,1]
	v_fmac_f32_e32 v231, v203, v70
	v_mul_f32_e32 v233, v204, v73
	v_fma_f32 v230, v202, v70, -v2
	v_mul_f32_e32 v2, v205, v73
	v_pk_fma_f32 v[18:19], v[206:207], v[210:211], v[16:17] neg_lo:[0,0,1] neg_hi:[0,0,1]
	v_pk_fma_f32 v[16:17], v[206:207], v[210:211], v[16:17] op_sel_hi:[1,0,1]
	v_fmac_f32_e32 v233, v205, v72
	v_fma_f32 v232, v204, v72, -v2
	ds_read2_b64 v[2:5], v118 offset0:77 offset1:78
	ds_read2_b64 v[6:9], v118 offset0:79 offset1:80
	;; [unrolled: 1-line block ×3, first 2 shown]
	v_pk_add_f32 v[14:15], v[228:229], v[230:231]
	v_mov_b32_e32 v16, v213
	v_pk_add_f32 v[14:15], v[14:15], v[232:233]
	v_mov_b32_e32 v19, v17
	v_pk_mul_f32 v[16:17], v[208:209], v[16:17] op_sel:[1,0] op_sel_hi:[0,0]
	v_pk_add_f32 v[14:15], v[14:15], v[18:19]
	v_pk_fma_f32 v[18:19], v[208:209], v[212:213], v[16:17] neg_lo:[0,0,1] neg_hi:[0,0,1]
	v_pk_fma_f32 v[16:17], v[208:209], v[212:213], v[16:17] op_sel_hi:[1,0,1]
	s_nop 0
	v_mov_b32_e32 v19, v17
	s_waitcnt vmcnt(2) lgkmcnt(2)
	v_pk_mul_f32 v[16:17], v[2:3], v[214:215] op_sel:[1,1] op_sel_hi:[0,1]
	v_pk_add_f32 v[14:15], v[14:15], v[18:19]
	v_pk_fma_f32 v[18:19], v[2:3], v[214:215], v[16:17] neg_lo:[0,0,1] neg_hi:[0,0,1]
	v_pk_fma_f32 v[2:3], v[2:3], v[214:215], v[16:17] op_sel_hi:[1,0,1]
	s_nop 0
	v_mov_b32_e32 v19, v3
	v_pk_add_f32 v[2:3], v[14:15], v[18:19]
	v_mov_b32_e32 v14, v217
	v_pk_mul_f32 v[14:15], v[4:5], v[14:15] op_sel:[1,0] op_sel_hi:[0,0]
	v_pk_fma_f32 v[16:17], v[4:5], v[216:217], v[14:15] neg_lo:[0,0,1] neg_hi:[0,0,1]
	v_pk_fma_f32 v[4:5], v[4:5], v[216:217], v[14:15] op_sel_hi:[1,0,1]
	s_nop 0
	v_mov_b32_e32 v17, v5
	s_waitcnt vmcnt(1) lgkmcnt(1)
	v_pk_mul_f32 v[4:5], v[6:7], v[218:219] op_sel:[1,1] op_sel_hi:[0,1]
	v_pk_fma_f32 v[14:15], v[6:7], v[218:219], v[4:5] neg_lo:[0,0,1] neg_hi:[0,0,1]
	v_pk_fma_f32 v[4:5], v[6:7], v[218:219], v[4:5] op_sel_hi:[1,0,1]
	v_pk_add_f32 v[2:3], v[2:3], v[16:17]
	v_mov_b32_e32 v4, v221
	v_mov_b32_e32 v15, v5
	v_pk_mul_f32 v[4:5], v[8:9], v[4:5] op_sel:[1,0] op_sel_hi:[0,0]
	v_pk_fma_f32 v[6:7], v[8:9], v[220:221], v[4:5] neg_lo:[0,0,1] neg_hi:[0,0,1]
	v_pk_fma_f32 v[4:5], v[8:9], v[220:221], v[4:5] op_sel_hi:[1,0,1]
	v_pk_add_f32 v[2:3], v[2:3], v[14:15]
	v_mov_b32_e32 v7, v5
	s_waitcnt vmcnt(0) lgkmcnt(0)
	v_pk_mul_f32 v[4:5], v[10:11], v[222:223] op_sel:[1,1] op_sel_hi:[0,1]
	v_pk_add_f32 v[2:3], v[2:3], v[6:7]
	v_pk_fma_f32 v[6:7], v[10:11], v[222:223], v[4:5] neg_lo:[0,0,1] neg_hi:[0,0,1]
	v_pk_fma_f32 v[4:5], v[10:11], v[222:223], v[4:5] op_sel_hi:[1,0,1]
	s_nop 0
	v_mov_b32_e32 v4, v225
	v_mov_b32_e32 v7, v5
	v_pk_mul_f32 v[4:5], v[12:13], v[4:5] op_sel:[1,0] op_sel_hi:[0,0]
	v_pk_add_f32 v[2:3], v[2:3], v[6:7]
	v_pk_fma_f32 v[6:7], v[12:13], v[224:225], v[4:5] neg_lo:[0,0,1] neg_hi:[0,0,1]
	v_pk_fma_f32 v[4:5], v[12:13], v[224:225], v[4:5] op_sel_hi:[1,0,1]
	s_nop 0
	v_mov_b32_e32 v7, v5
	v_pk_add_f32 v[2:3], v[2:3], v[6:7]
	s_nop 0
	v_pk_add_f32 v[2:3], v[226:227], v[2:3] neg_lo:[0,1] neg_hi:[0,1]
	scratch_store_dwordx2 off, v[2:3], off offset:16
	s_and_saveexec_b64 s[0:1], vcc
	s_cbranch_execz .LBB104_257
; %bb.256:
	scratch_load_dwordx2 v[2:3], off, off offset:8
	v_mov_b32_e32 v4, 0
	v_mov_b32_e32 v5, v4
	scratch_store_dwordx2 off, v[4:5], off offset:8
	s_waitcnt vmcnt(1)
	ds_write_b64 v1, v[2:3]
.LBB104_257:
	s_or_b64 exec, exec, s[0:1]
	s_waitcnt lgkmcnt(0)
	; wave barrier
	scratch_load_dwordx4 v[2:5], off, off offset:16
	scratch_load_dwordx4 v[6:9], off, off offset:32
	scratch_load_dwordx4 v[10:13], off, off offset:48
	scratch_load_dwordx4 v[14:17], off, off offset:64
	scratch_load_dwordx4 v[18:21], off, off offset:80
	scratch_load_dwordx4 v[22:25], off, off offset:96
	scratch_load_dwordx4 v[26:29], off, off offset:112
	scratch_load_dwordx4 v[30:33], off, off offset:128
	scratch_load_dwordx4 v[34:37], off, off offset:144
	scratch_load_dwordx4 v[38:41], off, off offset:160
	scratch_load_dwordx4 v[42:45], off, off offset:176
	scratch_load_dwordx4 v[46:49], off, off offset:192
	scratch_load_dwordx4 v[50:53], off, off offset:208
	scratch_load_dwordx4 v[54:57], off, off offset:224
	scratch_load_dwordx4 v[62:65], off, off offset:240
	scratch_load_dwordx4 v[58:61], off, off offset:256
	scratch_load_dwordx2 v[118:119], off, off offset:8
	v_mov_b32_e32 v202, 0
	ds_read_b128 v[66:69], v202 offset:352
	ds_read_b128 v[70:73], v202 offset:368
	;; [unrolled: 1-line block ×14, first 2 shown]
	v_cmp_ne_u32_e32 vcc, 0, v0
	s_waitcnt vmcnt(16) lgkmcnt(13)
	v_mul_f32_e32 v203, v66, v3
	v_mul_f32_e32 v208, v68, v5
	v_fmac_f32_e32 v203, v67, v2
	s_waitcnt vmcnt(15) lgkmcnt(12)
	v_mul_f32_e32 v209, v70, v7
	v_fmac_f32_e32 v208, v69, v4
	v_add_f32_e32 v203, 0, v203
	v_mul_f32_e32 v210, v72, v9
	v_fmac_f32_e32 v209, v71, v6
	v_add_f32_e32 v203, v203, v208
	s_waitcnt vmcnt(14) lgkmcnt(11)
	v_mul_f32_e32 v211, v74, v11
	v_fmac_f32_e32 v210, v73, v8
	v_add_f32_e32 v203, v203, v209
	v_mul_f32_e32 v212, v76, v13
	v_fmac_f32_e32 v211, v75, v10
	v_add_f32_e32 v203, v203, v210
	;; [unrolled: 7-line block ×11, first 2 shown]
	v_fmac_f32_e32 v230, v113, v48
	v_add_f32_e32 v203, v203, v229
	s_waitcnt vmcnt(4) lgkmcnt(1)
	v_mul_f32_e32 v208, v114, v51
	v_add_f32_e32 v203, v203, v230
	v_fmac_f32_e32 v208, v115, v50
	v_add_f32_e32 v203, v203, v208
	v_mul_f32_e32 v208, v116, v53
	v_fmac_f32_e32 v208, v117, v52
	v_add_f32_e32 v203, v203, v208
	s_waitcnt vmcnt(3) lgkmcnt(0)
	v_mul_f32_e32 v208, v204, v55
	v_fmac_f32_e32 v208, v205, v54
	v_add_f32_e32 v203, v203, v208
	ds_read_b128 v[208:211], v202 offset:576
	v_mul_f32_e32 v212, v206, v57
	v_fmac_f32_e32 v212, v207, v56
	v_add_f32_e32 v203, v203, v212
	ds_read_b128 v[212:215], v202 offset:592
	s_waitcnt vmcnt(2) lgkmcnt(1)
	v_mul_f32_e32 v216, v208, v63
	v_fmac_f32_e32 v216, v209, v62
	v_add_f32_e32 v229, v203, v216
	scratch_load_dwordx4 v[216:219], off, off offset:272
	scratch_load_dwordx4 v[220:223], off, off offset:288
	;; [unrolled: 1-line block ×3, first 2 shown]
	scratch_load_dwordx2 v[234:235], off, off offset:320
	v_mul_f32_e32 v3, v67, v3
	v_fma_f32 v2, v66, v2, -v3
	v_mul_f32_e32 v3, v69, v5
	v_add_f32_e32 v2, 0, v2
	v_fma_f32 v3, v68, v4, -v3
	v_add_f32_e32 v2, v2, v3
	v_mul_f32_e32 v3, v71, v7
	v_fma_f32 v3, v70, v6, -v3
	v_add_f32_e32 v2, v2, v3
	v_mul_f32_e32 v3, v73, v9
	;; [unrolled: 3-line block ×28, first 2 shown]
	v_mul_f32_e32 v231, v210, v65
	v_fma_f32 v230, v210, v64, -v2
	s_waitcnt vmcnt(5) lgkmcnt(0)
	v_mul_f32_e32 v2, v213, v59
	v_mov_b32_e32 v18, v61
	v_fmac_f32_e32 v231, v211, v64
	v_mul_f32_e32 v233, v212, v59
	v_fma_f32 v232, v212, v58, -v2
	ds_read_b128 v[2:5], v202 offset:608
	ds_read_b128 v[6:9], v202 offset:624
	;; [unrolled: 1-line block ×3, first 2 shown]
	ds_read_b64 v[14:15], v202 offset:656
	v_pk_mul_f32 v[18:19], v[214:215], v[18:19] op_sel:[1,0] op_sel_hi:[0,0]
	v_fmac_f32_e32 v233, v213, v58
	v_pk_add_f32 v[16:17], v[228:229], v[230:231]
	v_pk_fma_f32 v[20:21], v[214:215], v[60:61], v[18:19] neg_lo:[0,0,1] neg_hi:[0,0,1]
	v_pk_fma_f32 v[18:19], v[214:215], v[60:61], v[18:19] op_sel_hi:[1,0,1]
	v_pk_add_f32 v[16:17], v[16:17], v[232:233]
	v_mov_b32_e32 v21, v19
	s_waitcnt vmcnt(3) lgkmcnt(3)
	v_pk_mul_f32 v[18:19], v[2:3], v[216:217] op_sel:[1,1] op_sel_hi:[0,1]
	v_pk_add_f32 v[16:17], v[16:17], v[20:21]
	v_pk_fma_f32 v[20:21], v[2:3], v[216:217], v[18:19] neg_lo:[0,0,1] neg_hi:[0,0,1]
	v_pk_fma_f32 v[2:3], v[2:3], v[216:217], v[18:19] op_sel_hi:[1,0,1]
	s_nop 0
	v_mov_b32_e32 v21, v3
	v_pk_add_f32 v[2:3], v[16:17], v[20:21]
	v_mov_b32_e32 v16, v219
	v_pk_mul_f32 v[16:17], v[4:5], v[16:17] op_sel:[1,0] op_sel_hi:[0,0]
	v_pk_fma_f32 v[18:19], v[4:5], v[218:219], v[16:17] neg_lo:[0,0,1] neg_hi:[0,0,1]
	v_pk_fma_f32 v[4:5], v[4:5], v[218:219], v[16:17] op_sel_hi:[1,0,1]
	s_nop 0
	v_mov_b32_e32 v19, v5
	s_waitcnt vmcnt(2) lgkmcnt(2)
	v_pk_mul_f32 v[4:5], v[6:7], v[220:221] op_sel:[1,1] op_sel_hi:[0,1]
	v_pk_fma_f32 v[16:17], v[6:7], v[220:221], v[4:5] neg_lo:[0,0,1] neg_hi:[0,0,1]
	v_pk_fma_f32 v[4:5], v[6:7], v[220:221], v[4:5] op_sel_hi:[1,0,1]
	v_pk_add_f32 v[2:3], v[2:3], v[18:19]
	v_mov_b32_e32 v4, v223
	v_mov_b32_e32 v17, v5
	v_pk_mul_f32 v[4:5], v[8:9], v[4:5] op_sel:[1,0] op_sel_hi:[0,0]
	v_pk_fma_f32 v[6:7], v[8:9], v[222:223], v[4:5] neg_lo:[0,0,1] neg_hi:[0,0,1]
	v_pk_fma_f32 v[4:5], v[8:9], v[222:223], v[4:5] op_sel_hi:[1,0,1]
	v_pk_add_f32 v[2:3], v[2:3], v[16:17]
	v_mov_b32_e32 v7, v5
	s_waitcnt vmcnt(1) lgkmcnt(1)
	v_pk_mul_f32 v[4:5], v[10:11], v[224:225] op_sel:[1,1] op_sel_hi:[0,1]
	v_pk_add_f32 v[2:3], v[2:3], v[6:7]
	v_pk_fma_f32 v[6:7], v[10:11], v[224:225], v[4:5] neg_lo:[0,0,1] neg_hi:[0,0,1]
	v_pk_fma_f32 v[4:5], v[10:11], v[224:225], v[4:5] op_sel_hi:[1,0,1]
	s_nop 0
	v_mov_b32_e32 v4, v227
	v_mov_b32_e32 v7, v5
	v_pk_mul_f32 v[4:5], v[12:13], v[4:5] op_sel:[1,0] op_sel_hi:[0,0]
	v_pk_add_f32 v[2:3], v[2:3], v[6:7]
	v_pk_fma_f32 v[6:7], v[12:13], v[226:227], v[4:5] neg_lo:[0,0,1] neg_hi:[0,0,1]
	v_pk_fma_f32 v[4:5], v[12:13], v[226:227], v[4:5] op_sel_hi:[1,0,1]
	s_nop 0
	v_mov_b32_e32 v7, v5
	s_waitcnt vmcnt(0) lgkmcnt(0)
	v_pk_mul_f32 v[4:5], v[14:15], v[234:235] op_sel:[1,1] op_sel_hi:[0,1]
	v_pk_add_f32 v[2:3], v[2:3], v[6:7]
	v_pk_fma_f32 v[6:7], v[14:15], v[234:235], v[4:5] neg_lo:[0,0,1] neg_hi:[0,0,1]
	v_pk_fma_f32 v[4:5], v[14:15], v[234:235], v[4:5] op_sel_hi:[1,0,1]
	s_nop 0
	v_mov_b32_e32 v7, v5
	v_pk_add_f32 v[2:3], v[2:3], v[6:7]
	s_nop 0
	v_pk_add_f32 v[2:3], v[118:119], v[2:3] neg_lo:[0,1] neg_hi:[0,1]
	scratch_store_dwordx2 off, v[2:3], off offset:8
	s_and_saveexec_b64 s[0:1], vcc
	s_cbranch_execz .LBB104_259
; %bb.258:
	scratch_load_dwordx2 v[2:3], off, off
	v_mov_b32_e32 v203, v202
	scratch_store_dwordx2 off, v[202:203], off
	s_waitcnt vmcnt(1)
	ds_write_b64 v1, v[2:3]
.LBB104_259:
	s_or_b64 exec, exec, s[0:1]
	s_waitcnt lgkmcnt(0)
	; wave barrier
	scratch_load_dwordx4 v[0:3], off, off offset:8
	scratch_load_dwordx4 v[4:7], off, off offset:24
	;; [unrolled: 1-line block ×13, first 2 shown]
	ds_read2_b64 v[116:119], v202 offset0:43 offset1:44
	ds_read2_b64 v[112:115], v202 offset0:45 offset1:46
	;; [unrolled: 1-line block ×14, first 2 shown]
	scratch_load_dwordx4 v[60:63], off, off offset:216
	scratch_load_dwordx4 v[68:71], off, off offset:232
	;; [unrolled: 1-line block ×3, first 2 shown]
	scratch_load_dwordx2 v[228:229], off, off
	s_and_b64 vcc, exec, s[10:11]
	s_waitcnt vmcnt(16) lgkmcnt(13)
	v_mul_f32_e32 v203, v116, v1
	v_mul_f32_e32 v204, v118, v3
	v_fmac_f32_e32 v203, v117, v0
	s_waitcnt vmcnt(15) lgkmcnt(12)
	v_mul_f32_e32 v205, v112, v5
	v_fmac_f32_e32 v204, v119, v2
	v_add_f32_e32 v203, 0, v203
	v_mul_f32_e32 v206, v114, v7
	v_fmac_f32_e32 v205, v113, v4
	v_add_f32_e32 v203, v203, v204
	s_waitcnt vmcnt(14) lgkmcnt(11)
	v_mul_f32_e32 v207, v108, v9
	v_fmac_f32_e32 v206, v115, v6
	v_add_f32_e32 v203, v203, v205
	v_mul_f32_e32 v208, v110, v11
	v_fmac_f32_e32 v207, v109, v8
	v_add_f32_e32 v203, v203, v206
	;; [unrolled: 7-line block ×11, first 2 shown]
	s_waitcnt vmcnt(4) lgkmcnt(1)
	v_mul_f32_e32 v227, v52, v49
	v_fmac_f32_e32 v226, v67, v46
	v_add_f32_e32 v203, v203, v225
	v_add_f32_e32 v203, v203, v226
	v_fmac_f32_e32 v227, v53, v48
	v_mul_f32_e32 v204, v54, v51
	v_add_f32_e32 v203, v203, v227
	v_fmac_f32_e32 v204, v55, v50
	v_add_f32_e32 v203, v203, v204
	s_waitcnt vmcnt(3) lgkmcnt(0)
	v_mul_f32_e32 v204, v56, v61
	v_fmac_f32_e32 v204, v57, v60
	v_add_f32_e32 v203, v203, v204
	ds_read2_b64 v[204:207], v202 offset0:71 offset1:72
	v_mul_f32_e32 v208, v58, v63
	v_fmac_f32_e32 v208, v59, v62
	v_add_f32_e32 v203, v203, v208
	ds_read2_b64 v[208:211], v202 offset0:73 offset1:74
	s_waitcnt vmcnt(2) lgkmcnt(1)
	v_mul_f32_e32 v212, v204, v69
	v_fmac_f32_e32 v212, v205, v68
	v_add_f32_e32 v203, v203, v212
	v_mul_f32_e32 v212, v206, v71
	v_fmac_f32_e32 v212, v207, v70
	v_add_f32_e32 v231, v203, v212
	scratch_load_dwordx4 v[212:215], off, off offset:264
	scratch_load_dwordx4 v[216:219], off, off offset:280
	;; [unrolled: 1-line block ×4, first 2 shown]
	v_mul_f32_e32 v1, v117, v1
	v_fma_f32 v0, v116, v0, -v1
	v_mul_f32_e32 v1, v119, v3
	v_add_f32_e32 v0, 0, v0
	v_fma_f32 v1, v118, v2, -v1
	v_add_f32_e32 v0, v0, v1
	v_mul_f32_e32 v1, v113, v5
	v_fma_f32 v1, v112, v4, -v1
	v_add_f32_e32 v0, v0, v1
	v_mul_f32_e32 v1, v115, v7
	;; [unrolled: 3-line block ×28, first 2 shown]
	v_fma_f32 v1, v206, v70, -v1
	v_add_f32_e32 v230, v0, v1
	s_waitcnt vmcnt(5) lgkmcnt(0)
	v_mul_f32_e32 v0, v209, v77
	v_fma_f32 v232, v208, v76, -v0
	v_mul_f32_e32 v0, v211, v79
	v_fma_f32 v234, v210, v78, -v0
	ds_read2_b64 v[0:3], v202 offset0:75 offset1:76
	ds_read2_b64 v[4:7], v202 offset0:77 offset1:78
	;; [unrolled: 1-line block ×4, first 2 shown]
	v_mul_f32_e32 v233, v208, v77
	v_fmac_f32_e32 v233, v209, v76
	v_mul_f32_e32 v235, v210, v79
	s_waitcnt vmcnt(3) lgkmcnt(3)
	v_pk_mul_f32 v[18:19], v[0:1], v[212:213] op_sel:[1,1] op_sel_hi:[0,1]
	v_fmac_f32_e32 v235, v211, v78
	v_pk_add_f32 v[16:17], v[230:231], v[232:233]
	v_pk_fma_f32 v[20:21], v[0:1], v[212:213], v[18:19] neg_lo:[0,0,1] neg_hi:[0,0,1]
	v_pk_fma_f32 v[0:1], v[0:1], v[212:213], v[18:19] op_sel_hi:[1,0,1]
	v_pk_add_f32 v[16:17], v[16:17], v[234:235]
	v_mov_b32_e32 v21, v1
	v_pk_add_f32 v[0:1], v[16:17], v[20:21]
	v_mov_b32_e32 v16, v215
	v_pk_mul_f32 v[16:17], v[2:3], v[16:17] op_sel:[1,0] op_sel_hi:[0,0]
	v_pk_fma_f32 v[18:19], v[2:3], v[214:215], v[16:17] neg_lo:[0,0,1] neg_hi:[0,0,1]
	v_pk_fma_f32 v[2:3], v[2:3], v[214:215], v[16:17] op_sel_hi:[1,0,1]
	s_nop 0
	v_mov_b32_e32 v19, v3
	s_waitcnt vmcnt(2) lgkmcnt(2)
	v_pk_mul_f32 v[2:3], v[4:5], v[216:217] op_sel:[1,1] op_sel_hi:[0,1]
	v_pk_fma_f32 v[16:17], v[4:5], v[216:217], v[2:3] neg_lo:[0,0,1] neg_hi:[0,0,1]
	v_pk_fma_f32 v[2:3], v[4:5], v[216:217], v[2:3] op_sel_hi:[1,0,1]
	v_pk_add_f32 v[0:1], v[0:1], v[18:19]
	v_mov_b32_e32 v2, v219
	v_mov_b32_e32 v17, v3
	v_pk_mul_f32 v[2:3], v[6:7], v[2:3] op_sel:[1,0] op_sel_hi:[0,0]
	v_pk_fma_f32 v[4:5], v[6:7], v[218:219], v[2:3] neg_lo:[0,0,1] neg_hi:[0,0,1]
	v_pk_fma_f32 v[2:3], v[6:7], v[218:219], v[2:3] op_sel_hi:[1,0,1]
	v_pk_add_f32 v[0:1], v[0:1], v[16:17]
	v_mov_b32_e32 v5, v3
	s_waitcnt vmcnt(1) lgkmcnt(1)
	v_pk_mul_f32 v[2:3], v[8:9], v[220:221] op_sel:[1,1] op_sel_hi:[0,1]
	v_pk_add_f32 v[0:1], v[0:1], v[4:5]
	v_pk_fma_f32 v[4:5], v[8:9], v[220:221], v[2:3] neg_lo:[0,0,1] neg_hi:[0,0,1]
	v_pk_fma_f32 v[2:3], v[8:9], v[220:221], v[2:3] op_sel_hi:[1,0,1]
	s_nop 0
	v_mov_b32_e32 v2, v223
	v_mov_b32_e32 v5, v3
	v_pk_mul_f32 v[2:3], v[10:11], v[2:3] op_sel:[1,0] op_sel_hi:[0,0]
	v_pk_add_f32 v[0:1], v[0:1], v[4:5]
	v_pk_fma_f32 v[4:5], v[10:11], v[222:223], v[2:3] neg_lo:[0,0,1] neg_hi:[0,0,1]
	v_pk_fma_f32 v[2:3], v[10:11], v[222:223], v[2:3] op_sel_hi:[1,0,1]
	s_nop 0
	v_mov_b32_e32 v5, v3
	s_waitcnt vmcnt(0) lgkmcnt(0)
	v_pk_mul_f32 v[2:3], v[12:13], v[224:225] op_sel:[1,1] op_sel_hi:[0,1]
	v_pk_add_f32 v[0:1], v[0:1], v[4:5]
	v_pk_fma_f32 v[4:5], v[12:13], v[224:225], v[2:3] neg_lo:[0,0,1] neg_hi:[0,0,1]
	v_pk_fma_f32 v[2:3], v[12:13], v[224:225], v[2:3] op_sel_hi:[1,0,1]
	s_nop 0
	v_mov_b32_e32 v2, v227
	v_mov_b32_e32 v5, v3
	v_pk_mul_f32 v[2:3], v[14:15], v[2:3] op_sel:[1,0] op_sel_hi:[0,0]
	v_pk_add_f32 v[0:1], v[0:1], v[4:5]
	v_pk_fma_f32 v[4:5], v[14:15], v[226:227], v[2:3] neg_lo:[0,0,1] neg_hi:[0,0,1]
	v_pk_fma_f32 v[2:3], v[14:15], v[226:227], v[2:3] op_sel_hi:[1,0,1]
	s_nop 0
	v_mov_b32_e32 v5, v3
	v_pk_add_f32 v[0:1], v[0:1], v[4:5]
	s_nop 0
	v_pk_add_f32 v[0:1], v[228:229], v[0:1] neg_lo:[0,1] neg_hi:[0,1]
	scratch_store_dwordx2 off, v[0:1], off
	s_cbranch_vccz .LBB104_340
; %bb.260:
	v_mov_b32_e32 v0, 0
	global_load_dword v1, v0, s[8:9] offset:156
	s_waitcnt vmcnt(0)
	v_readfirstlane_b32 s0, v1
	s_add_i32 s0, s0, -1
	s_cmp_lg_u32 s0, 39
	s_cbranch_scc0 .LBB104_262
; %bb.261:
	s_lshl_b32 s0, s0, 3
	s_nop 0
	scratch_load_dwordx2 v[2:3], off, s0
	scratch_load_dwordx2 v[4:5], off, off offset:312
	s_waitcnt vmcnt(1)
	scratch_store_dwordx2 off, v[2:3], off offset:312
	s_waitcnt vmcnt(1)
	scratch_store_dwordx2 off, v[4:5], s0
.LBB104_262:
	global_load_dword v0, v0, s[8:9] offset:152
	s_waitcnt vmcnt(0)
	v_readfirstlane_b32 s0, v0
	s_add_i32 s0, s0, -1
	s_cmp_eq_u32 s0, 38
	s_cbranch_scc1 .LBB104_264
; %bb.263:
	s_lshl_b32 s0, s0, 3
	s_nop 0
	scratch_load_dwordx2 v[0:1], off, s0
	scratch_load_dwordx2 v[2:3], off, off offset:304
	s_waitcnt vmcnt(1)
	scratch_store_dwordx2 off, v[0:1], off offset:304
	s_waitcnt vmcnt(1)
	scratch_store_dwordx2 off, v[2:3], s0
.LBB104_264:
	v_mov_b32_e32 v0, 0
	global_load_dword v1, v0, s[8:9] offset:148
	s_waitcnt vmcnt(0)
	v_readfirstlane_b32 s0, v1
	s_add_i32 s0, s0, -1
	s_cmp_eq_u32 s0, 37
	s_cbranch_scc1 .LBB104_266
; %bb.265:
	s_lshl_b32 s0, s0, 3
	s_nop 0
	scratch_load_dwordx2 v[2:3], off, s0
	scratch_load_dwordx2 v[4:5], off, off offset:296
	s_waitcnt vmcnt(1)
	scratch_store_dwordx2 off, v[2:3], off offset:296
	s_waitcnt vmcnt(1)
	scratch_store_dwordx2 off, v[4:5], s0
.LBB104_266:
	global_load_dword v0, v0, s[8:9] offset:144
	s_waitcnt vmcnt(0)
	v_readfirstlane_b32 s0, v0
	s_add_i32 s0, s0, -1
	s_cmp_eq_u32 s0, 36
	s_cbranch_scc1 .LBB104_268
; %bb.267:
	s_lshl_b32 s0, s0, 3
	s_nop 0
	scratch_load_dwordx2 v[0:1], off, s0
	scratch_load_dwordx2 v[2:3], off, off offset:288
	s_waitcnt vmcnt(1)
	scratch_store_dwordx2 off, v[0:1], off offset:288
	s_waitcnt vmcnt(1)
	scratch_store_dwordx2 off, v[2:3], s0
.LBB104_268:
	v_mov_b32_e32 v0, 0
	global_load_dword v1, v0, s[8:9] offset:140
	s_waitcnt vmcnt(0)
	v_readfirstlane_b32 s0, v1
	s_add_i32 s0, s0, -1
	s_cmp_eq_u32 s0, 35
	s_cbranch_scc1 .LBB104_270
; %bb.269:
	s_lshl_b32 s0, s0, 3
	s_nop 0
	scratch_load_dwordx2 v[2:3], off, s0
	scratch_load_dwordx2 v[4:5], off, off offset:280
	s_waitcnt vmcnt(1)
	scratch_store_dwordx2 off, v[2:3], off offset:280
	s_waitcnt vmcnt(1)
	scratch_store_dwordx2 off, v[4:5], s0
.LBB104_270:
	;; [unrolled: 33-line block ×19, first 2 shown]
	global_load_dword v2, v0, s[8:9]
	s_nop 0
	scratch_load_dwordx2 v[0:1], off, off
	s_waitcnt vmcnt(1)
	v_readfirstlane_b32 s0, v2
	s_add_i32 s0, s0, -1
	s_cmp_eq_u32 s0, 0
	s_cbranch_scc1 .LBB104_340
; %bb.339:
	s_lshl_b32 s0, s0, 3
	s_nop 0
	scratch_load_dwordx2 v[2:3], off, s0
	s_waitcnt vmcnt(0)
	scratch_store_dwordx2 off, v[2:3], off
	scratch_store_dwordx2 off, v[0:1], s0
	scratch_load_dwordx2 v[0:1], off, off
.LBB104_340:
	s_waitcnt vmcnt(0)
	flat_store_dwordx2 v[120:121], v[0:1]
	scratch_load_dwordx2 v[0:1], off, off offset:8
	s_waitcnt vmcnt(0)
	flat_store_dwordx2 v[122:123], v[0:1]
	scratch_load_dwordx2 v[0:1], off, off offset:16
	;; [unrolled: 3-line block ×40, first 2 shown]
	s_waitcnt vmcnt(0)
	flat_store_dwordx2 v[200:201], v[0:1]
	s_endpgm
	.section	.rodata,"a",@progbits
	.p2align	6, 0x0
	.amdhsa_kernel _ZN9rocsolver6v33100L18getri_kernel_smallILi41E19rocblas_complex_numIfEPKPS3_EEvT1_iilPiilS8_bb
		.amdhsa_group_segment_fixed_size 664
		.amdhsa_private_segment_fixed_size 336
		.amdhsa_kernarg_size 60
		.amdhsa_user_sgpr_count 2
		.amdhsa_user_sgpr_dispatch_ptr 0
		.amdhsa_user_sgpr_queue_ptr 0
		.amdhsa_user_sgpr_kernarg_segment_ptr 1
		.amdhsa_user_sgpr_dispatch_id 0
		.amdhsa_user_sgpr_kernarg_preload_length 0
		.amdhsa_user_sgpr_kernarg_preload_offset 0
		.amdhsa_user_sgpr_private_segment_size 0
		.amdhsa_uses_dynamic_stack 0
		.amdhsa_enable_private_segment 1
		.amdhsa_system_sgpr_workgroup_id_x 1
		.amdhsa_system_sgpr_workgroup_id_y 0
		.amdhsa_system_sgpr_workgroup_id_z 0
		.amdhsa_system_sgpr_workgroup_info 0
		.amdhsa_system_vgpr_workitem_id 0
		.amdhsa_next_free_vgpr 236
		.amdhsa_next_free_sgpr 17
		.amdhsa_accum_offset 236
		.amdhsa_reserve_vcc 1
		.amdhsa_float_round_mode_32 0
		.amdhsa_float_round_mode_16_64 0
		.amdhsa_float_denorm_mode_32 3
		.amdhsa_float_denorm_mode_16_64 3
		.amdhsa_dx10_clamp 1
		.amdhsa_ieee_mode 1
		.amdhsa_fp16_overflow 0
		.amdhsa_tg_split 0
		.amdhsa_exception_fp_ieee_invalid_op 0
		.amdhsa_exception_fp_denorm_src 0
		.amdhsa_exception_fp_ieee_div_zero 0
		.amdhsa_exception_fp_ieee_overflow 0
		.amdhsa_exception_fp_ieee_underflow 0
		.amdhsa_exception_fp_ieee_inexact 0
		.amdhsa_exception_int_div_zero 0
	.end_amdhsa_kernel
	.section	.text._ZN9rocsolver6v33100L18getri_kernel_smallILi41E19rocblas_complex_numIfEPKPS3_EEvT1_iilPiilS8_bb,"axG",@progbits,_ZN9rocsolver6v33100L18getri_kernel_smallILi41E19rocblas_complex_numIfEPKPS3_EEvT1_iilPiilS8_bb,comdat
.Lfunc_end104:
	.size	_ZN9rocsolver6v33100L18getri_kernel_smallILi41E19rocblas_complex_numIfEPKPS3_EEvT1_iilPiilS8_bb, .Lfunc_end104-_ZN9rocsolver6v33100L18getri_kernel_smallILi41E19rocblas_complex_numIfEPKPS3_EEvT1_iilPiilS8_bb
                                        ; -- End function
	.set _ZN9rocsolver6v33100L18getri_kernel_smallILi41E19rocblas_complex_numIfEPKPS3_EEvT1_iilPiilS8_bb.num_vgpr, 236
	.set _ZN9rocsolver6v33100L18getri_kernel_smallILi41E19rocblas_complex_numIfEPKPS3_EEvT1_iilPiilS8_bb.num_agpr, 0
	.set _ZN9rocsolver6v33100L18getri_kernel_smallILi41E19rocblas_complex_numIfEPKPS3_EEvT1_iilPiilS8_bb.numbered_sgpr, 17
	.set _ZN9rocsolver6v33100L18getri_kernel_smallILi41E19rocblas_complex_numIfEPKPS3_EEvT1_iilPiilS8_bb.num_named_barrier, 0
	.set _ZN9rocsolver6v33100L18getri_kernel_smallILi41E19rocblas_complex_numIfEPKPS3_EEvT1_iilPiilS8_bb.private_seg_size, 336
	.set _ZN9rocsolver6v33100L18getri_kernel_smallILi41E19rocblas_complex_numIfEPKPS3_EEvT1_iilPiilS8_bb.uses_vcc, 1
	.set _ZN9rocsolver6v33100L18getri_kernel_smallILi41E19rocblas_complex_numIfEPKPS3_EEvT1_iilPiilS8_bb.uses_flat_scratch, 0
	.set _ZN9rocsolver6v33100L18getri_kernel_smallILi41E19rocblas_complex_numIfEPKPS3_EEvT1_iilPiilS8_bb.has_dyn_sized_stack, 0
	.set _ZN9rocsolver6v33100L18getri_kernel_smallILi41E19rocblas_complex_numIfEPKPS3_EEvT1_iilPiilS8_bb.has_recursion, 0
	.set _ZN9rocsolver6v33100L18getri_kernel_smallILi41E19rocblas_complex_numIfEPKPS3_EEvT1_iilPiilS8_bb.has_indirect_call, 0
	.section	.AMDGPU.csdata,"",@progbits
; Kernel info:
; codeLenInByte = 53144
; TotalNumSgprs: 23
; NumVgprs: 236
; NumAgprs: 0
; TotalNumVgprs: 236
; ScratchSize: 336
; MemoryBound: 0
; FloatMode: 240
; IeeeMode: 1
; LDSByteSize: 664 bytes/workgroup (compile time only)
; SGPRBlocks: 2
; VGPRBlocks: 29
; NumSGPRsForWavesPerEU: 23
; NumVGPRsForWavesPerEU: 236
; AccumOffset: 236
; Occupancy: 2
; WaveLimiterHint : 1
; COMPUTE_PGM_RSRC2:SCRATCH_EN: 1
; COMPUTE_PGM_RSRC2:USER_SGPR: 2
; COMPUTE_PGM_RSRC2:TRAP_HANDLER: 0
; COMPUTE_PGM_RSRC2:TGID_X_EN: 1
; COMPUTE_PGM_RSRC2:TGID_Y_EN: 0
; COMPUTE_PGM_RSRC2:TGID_Z_EN: 0
; COMPUTE_PGM_RSRC2:TIDIG_COMP_CNT: 0
; COMPUTE_PGM_RSRC3_GFX90A:ACCUM_OFFSET: 58
; COMPUTE_PGM_RSRC3_GFX90A:TG_SPLIT: 0
	.section	.text._ZN9rocsolver6v33100L18getri_kernel_smallILi42E19rocblas_complex_numIfEPKPS3_EEvT1_iilPiilS8_bb,"axG",@progbits,_ZN9rocsolver6v33100L18getri_kernel_smallILi42E19rocblas_complex_numIfEPKPS3_EEvT1_iilPiilS8_bb,comdat
	.globl	_ZN9rocsolver6v33100L18getri_kernel_smallILi42E19rocblas_complex_numIfEPKPS3_EEvT1_iilPiilS8_bb ; -- Begin function _ZN9rocsolver6v33100L18getri_kernel_smallILi42E19rocblas_complex_numIfEPKPS3_EEvT1_iilPiilS8_bb
	.p2align	8
	.type	_ZN9rocsolver6v33100L18getri_kernel_smallILi42E19rocblas_complex_numIfEPKPS3_EEvT1_iilPiilS8_bb,@function
_ZN9rocsolver6v33100L18getri_kernel_smallILi42E19rocblas_complex_numIfEPKPS3_EEvT1_iilPiilS8_bb: ; @_ZN9rocsolver6v33100L18getri_kernel_smallILi42E19rocblas_complex_numIfEPKPS3_EEvT1_iilPiilS8_bb
; %bb.0:
	v_cmp_gt_u32_e32 vcc, 42, v0
	s_and_saveexec_b64 s[4:5], vcc
	s_cbranch_execz .LBB105_182
; %bb.1:
	s_load_dword s14, s[0:1], 0x38
	s_load_dwordx2 s[8:9], s[0:1], 0x0
	s_load_dwordx4 s[4:7], s[0:1], 0x28
	s_waitcnt lgkmcnt(0)
	s_bitcmp1_b32 s14, 8
	s_cselect_b64 s[10:11], -1, 0
	s_ashr_i32 s3, s2, 31
	s_lshl_b64 s[12:13], s[2:3], 3
	s_add_u32 s8, s8, s12
	s_addc_u32 s9, s9, s13
	s_load_dwordx2 s[12:13], s[8:9], 0x0
	s_bfe_u32 s8, s14, 0x10008
	s_cmp_eq_u32 s8, 0
                                        ; implicit-def: $sgpr8_sgpr9
	s_cbranch_scc1 .LBB105_3
; %bb.2:
	s_load_dword s8, s[0:1], 0x20
	s_load_dwordx2 s[14:15], s[0:1], 0x18
	s_mul_i32 s9, s4, s3
	s_mul_hi_u32 s16, s4, s2
	s_add_i32 s16, s16, s9
	s_mul_i32 s5, s5, s2
	s_add_i32 s5, s16, s5
	s_mul_i32 s4, s4, s2
	s_waitcnt lgkmcnt(0)
	s_ashr_i32 s9, s8, 31
	s_lshl_b64 s[4:5], s[4:5], 2
	s_add_u32 s14, s14, s4
	s_addc_u32 s15, s15, s5
	s_lshl_b64 s[4:5], s[8:9], 2
	s_add_u32 s8, s14, s4
	s_addc_u32 s9, s15, s5
.LBB105_3:
	s_load_dwordx2 s[4:5], s[0:1], 0x8
	s_load_dword s14, s[0:1], 0x38
	v_lshlrev_b32_e32 v2, 3, v0
	v_mov_b32_e32 v3, 0
	s_waitcnt lgkmcnt(0)
	s_ashr_i32 s1, s4, 31
	s_mov_b32 s0, s4
	s_lshl_b64 s[0:1], s[0:1], 3
	s_add_u32 s0, s12, s0
	s_addc_u32 s1, s13, s1
	v_lshl_add_u64 v[122:123], s[0:1], 0, v[2:3]
	flat_load_dwordx2 v[4:5], v[122:123]
	s_mov_b32 s12, s5
	s_ashr_i32 s13, s5, 31
	v_lshl_add_u64 v[124:125], s[12:13], 3, v[122:123]
	s_add_i32 s4, s5, s5
	v_add_u32_e32 v6, s4, v0
	v_ashrrev_i32_e32 v7, 31, v6
	v_lshl_add_u64 v[126:127], v[6:7], 3, s[0:1]
	v_add_u32_e32 v6, s5, v6
	v_ashrrev_i32_e32 v7, 31, v6
	v_lshl_add_u64 v[128:129], v[6:7], 3, s[0:1]
	v_add_u32_e32 v6, s5, v6
	v_ashrrev_i32_e32 v7, 31, v6
	v_lshl_add_u64 v[130:131], v[6:7], 3, s[0:1]
	v_add_u32_e32 v6, s5, v6
	v_ashrrev_i32_e32 v7, 31, v6
	v_lshl_add_u64 v[132:133], v[6:7], 3, s[0:1]
	v_add_u32_e32 v6, s5, v6
	v_ashrrev_i32_e32 v7, 31, v6
	v_lshl_add_u64 v[134:135], v[6:7], 3, s[0:1]
	v_add_u32_e32 v6, s5, v6
	v_ashrrev_i32_e32 v7, 31, v6
	v_lshl_add_u64 v[136:137], v[6:7], 3, s[0:1]
	v_add_u32_e32 v6, s5, v6
	v_ashrrev_i32_e32 v7, 31, v6
	v_lshl_add_u64 v[138:139], v[6:7], 3, s[0:1]
	v_add_u32_e32 v6, s5, v6
	v_ashrrev_i32_e32 v7, 31, v6
	v_lshl_add_u64 v[140:141], v[6:7], 3, s[0:1]
	v_add_u32_e32 v6, s5, v6
	v_ashrrev_i32_e32 v7, 31, v6
	v_lshl_add_u64 v[142:143], v[6:7], 3, s[0:1]
	v_add_u32_e32 v6, s5, v6
	v_ashrrev_i32_e32 v7, 31, v6
	v_lshl_add_u64 v[144:145], v[6:7], 3, s[0:1]
	v_add_u32_e32 v6, s5, v6
	v_ashrrev_i32_e32 v7, 31, v6
	v_lshl_add_u64 v[146:147], v[6:7], 3, s[0:1]
	v_add_u32_e32 v6, s5, v6
	v_ashrrev_i32_e32 v7, 31, v6
	v_lshl_add_u64 v[148:149], v[6:7], 3, s[0:1]
	v_add_u32_e32 v6, s5, v6
	v_ashrrev_i32_e32 v7, 31, v6
	v_lshl_add_u64 v[150:151], v[6:7], 3, s[0:1]
	v_add_u32_e32 v6, s5, v6
	v_ashrrev_i32_e32 v7, 31, v6
	v_lshl_add_u64 v[152:153], v[6:7], 3, s[0:1]
	v_add_u32_e32 v6, s5, v6
	v_ashrrev_i32_e32 v7, 31, v6
	v_lshl_add_u64 v[154:155], v[6:7], 3, s[0:1]
	v_add_u32_e32 v6, s5, v6
	v_ashrrev_i32_e32 v7, 31, v6
	v_lshl_add_u64 v[156:157], v[6:7], 3, s[0:1]
	v_add_u32_e32 v6, s5, v6
	v_ashrrev_i32_e32 v7, 31, v6
	v_lshl_add_u64 v[158:159], v[6:7], 3, s[0:1]
	v_add_u32_e32 v6, s5, v6
	v_ashrrev_i32_e32 v7, 31, v6
	v_lshl_add_u64 v[160:161], v[6:7], 3, s[0:1]
	v_add_u32_e32 v6, s5, v6
	v_ashrrev_i32_e32 v7, 31, v6
	v_lshl_add_u64 v[162:163], v[6:7], 3, s[0:1]
	v_add_u32_e32 v6, s5, v6
	v_ashrrev_i32_e32 v7, 31, v6
	v_lshl_add_u64 v[164:165], v[6:7], 3, s[0:1]
	v_add_u32_e32 v6, s5, v6
	v_ashrrev_i32_e32 v7, 31, v6
	v_lshl_add_u64 v[166:167], v[6:7], 3, s[0:1]
	v_add_u32_e32 v6, s5, v6
	v_ashrrev_i32_e32 v7, 31, v6
	v_lshl_add_u64 v[168:169], v[6:7], 3, s[0:1]
	v_add_u32_e32 v6, s5, v6
	v_ashrrev_i32_e32 v7, 31, v6
	v_lshl_add_u64 v[170:171], v[6:7], 3, s[0:1]
	v_add_u32_e32 v6, s5, v6
	v_ashrrev_i32_e32 v7, 31, v6
	v_lshl_add_u64 v[172:173], v[6:7], 3, s[0:1]
	v_add_u32_e32 v6, s5, v6
	v_ashrrev_i32_e32 v7, 31, v6
	v_lshl_add_u64 v[174:175], v[6:7], 3, s[0:1]
	s_waitcnt vmcnt(0) lgkmcnt(0)
	scratch_store_dwordx2 off, v[4:5], off
	flat_load_dwordx2 v[4:5], v[124:125]
	v_add_u32_e32 v6, s5, v6
	v_ashrrev_i32_e32 v7, 31, v6
	v_lshl_add_u64 v[176:177], v[6:7], 3, s[0:1]
	v_add_u32_e32 v6, s5, v6
	v_ashrrev_i32_e32 v7, 31, v6
	v_lshl_add_u64 v[178:179], v[6:7], 3, s[0:1]
	;; [unrolled: 3-line block ×15, first 2 shown]
	s_bitcmp0_b32 s14, 0
	s_mov_b64 s[4:5], -1
	s_waitcnt vmcnt(0) lgkmcnt(0)
	scratch_store_dwordx2 off, v[4:5], off offset:8
	flat_load_dwordx2 v[4:5], v[126:127]
	s_waitcnt vmcnt(0) lgkmcnt(0)
	scratch_store_dwordx2 off, v[4:5], off offset:16
	flat_load_dwordx2 v[4:5], v[128:129]
	;; [unrolled: 3-line block ×40, first 2 shown]
	s_waitcnt vmcnt(0) lgkmcnt(0)
	scratch_store_dwordx2 off, v[4:5], off offset:328
	s_cbranch_scc1 .LBB105_180
; %bb.4:
	v_cmp_eq_u32_e64 s[0:1], 0, v0
	s_and_saveexec_b64 s[4:5], s[0:1]
; %bb.5:
	v_mov_b32_e32 v1, 0
	ds_write_b32 v1, v1 offset:672
; %bb.6:
	s_or_b64 exec, exec, s[4:5]
	s_waitcnt lgkmcnt(0)
	; wave barrier
	scratch_load_dwordx2 v[4:5], v2, off
	s_waitcnt vmcnt(0)
	v_cmp_eq_f32_e32 vcc, 0, v4
	v_cmp_eq_f32_e64 s[4:5], 0, v5
	s_and_b64 s[4:5], vcc, s[4:5]
	s_and_saveexec_b64 s[12:13], s[4:5]
	s_cbranch_execz .LBB105_10
; %bb.7:
	v_mov_b32_e32 v1, 0
	ds_read_b32 v4, v1 offset:672
	v_add_u32_e32 v3, 1, v0
	s_waitcnt lgkmcnt(0)
	v_readfirstlane_b32 s4, v4
	s_cmp_eq_u32 s4, 0
	s_cselect_b64 s[14:15], -1, 0
	v_cmp_gt_i32_e32 vcc, s4, v3
	s_or_b64 s[14:15], s[14:15], vcc
	s_and_b64 exec, exec, s[14:15]
	s_cbranch_execz .LBB105_10
; %bb.8:
	s_mov_b64 s[14:15], 0
	v_mov_b32_e32 v4, s4
.LBB105_9:                              ; =>This Inner Loop Header: Depth=1
	ds_cmpst_rtn_b32 v4, v1, v4, v3 offset:672
	s_waitcnt lgkmcnt(0)
	v_cmp_ne_u32_e32 vcc, 0, v4
	v_cmp_le_i32_e64 s[4:5], v4, v3
	s_and_b64 s[4:5], vcc, s[4:5]
	s_and_b64 s[4:5], exec, s[4:5]
	s_or_b64 s[14:15], s[4:5], s[14:15]
	s_andn2_b64 exec, exec, s[14:15]
	s_cbranch_execnz .LBB105_9
.LBB105_10:
	s_or_b64 exec, exec, s[12:13]
	v_mov_b32_e32 v3, 0
	; wave barrier
	ds_read_b32 v1, v3 offset:672
	s_and_saveexec_b64 s[4:5], s[0:1]
	s_cbranch_execz .LBB105_12
; %bb.11:
	s_lshl_b64 s[12:13], s[2:3], 2
	s_add_u32 s12, s6, s12
	s_addc_u32 s13, s7, s13
	s_waitcnt lgkmcnt(0)
	global_store_dword v3, v1, s[12:13]
.LBB105_12:
	s_or_b64 exec, exec, s[4:5]
	s_waitcnt lgkmcnt(0)
	v_cmp_ne_u32_e32 vcc, 0, v1
	s_mov_b64 s[4:5], 0
	s_cbranch_vccnz .LBB105_180
; %bb.13:
	v_mov_b32_e32 v3, v2
	scratch_load_dwordx2 v[4:5], v3, off
                                        ; implicit-def: $vgpr7
                                        ; implicit-def: $vgpr8
	s_waitcnt vmcnt(0)
	v_cmp_ngt_f32_e64 s[4:5], |v4|, |v5|
	s_and_saveexec_b64 s[12:13], s[4:5]
	s_xor_b64 s[4:5], exec, s[12:13]
	s_cbranch_execz .LBB105_15
; %bb.14:
	v_div_scale_f32 v1, s[12:13], v5, v5, v4
	v_rcp_f32_e32 v6, v1
	v_div_scale_f32 v7, vcc, v4, v5, v4
	v_fma_f32 v8, -v1, v6, 1.0
	v_fmac_f32_e32 v6, v8, v6
	v_mul_f32_e32 v8, v7, v6
	v_fma_f32 v9, -v1, v8, v7
	v_fmac_f32_e32 v8, v9, v6
	v_fma_f32 v1, -v1, v8, v7
	v_div_fmas_f32 v1, v1, v6, v8
	v_div_fixup_f32 v1, v1, v5, v4
	v_fmac_f32_e32 v5, v4, v1
	v_div_scale_f32 v4, s[12:13], v5, v5, -1.0
	v_rcp_f32_e32 v6, v4
	s_nop 0
	v_fma_f32 v7, -v4, v6, 1.0
	v_fmac_f32_e32 v6, v7, v6
	v_div_scale_f32 v7, vcc, -1.0, v5, -1.0
	v_mul_f32_e32 v8, v7, v6
	v_fma_f32 v9, -v4, v8, v7
	v_fmac_f32_e32 v8, v9, v6
	v_fma_f32 v4, -v4, v8, v7
	v_div_fmas_f32 v4, v4, v6, v8
	v_div_fixup_f32 v7, v4, v5, -1.0
	v_mul_f32_e32 v8, v1, v7
	v_xor_b32_e32 v6, 0x80000000, v8
                                        ; implicit-def: $vgpr4_vgpr5
.LBB105_15:
	s_andn2_saveexec_b64 s[4:5], s[4:5]
	s_cbranch_execz .LBB105_17
; %bb.16:
	v_div_scale_f32 v1, s[12:13], v4, v4, v5
	v_rcp_f32_e32 v6, v1
	v_div_scale_f32 v7, vcc, v5, v4, v5
	v_fma_f32 v8, -v1, v6, 1.0
	v_fmac_f32_e32 v6, v8, v6
	v_mul_f32_e32 v8, v7, v6
	v_fma_f32 v9, -v1, v8, v7
	v_fmac_f32_e32 v8, v9, v6
	v_fma_f32 v1, -v1, v8, v7
	v_div_fmas_f32 v1, v1, v6, v8
	v_div_fixup_f32 v1, v1, v4, v5
	v_fmac_f32_e32 v4, v5, v1
	v_div_scale_f32 v5, s[12:13], v4, v4, 1.0
	v_rcp_f32_e32 v6, v5
	s_nop 0
	v_fma_f32 v7, -v5, v6, 1.0
	v_fmac_f32_e32 v6, v7, v6
	v_div_scale_f32 v7, vcc, 1.0, v4, 1.0
	v_mul_f32_e32 v8, v7, v6
	v_fma_f32 v9, -v5, v8, v7
	v_fmac_f32_e32 v8, v9, v6
	v_fma_f32 v5, -v5, v8, v7
	v_div_fmas_f32 v5, v5, v6, v8
	v_div_fixup_f32 v6, v5, v4, 1.0
	v_xor_b32_e32 v8, 0x80000000, v6
	v_mul_f32_e64 v7, v1, -v6
.LBB105_17:
	s_or_b64 exec, exec, s[4:5]
	scratch_store_dwordx2 v3, v[6:7], off
	scratch_load_dwordx2 v[4:5], off, off offset:8
	v_xor_b32_e32 v9, 0x80000000, v7
	v_add_u32_e32 v1, 0x150, v2
	s_waitcnt vmcnt(0)
	ds_write2_b64 v2, v[8:9], v[4:5] offset1:42
	s_waitcnt lgkmcnt(0)
	; wave barrier
	s_and_saveexec_b64 s[4:5], s[0:1]
	s_cbranch_execz .LBB105_19
; %bb.18:
	scratch_load_dwordx2 v[4:5], v3, off
	ds_read_b64 v[6:7], v1
	v_mov_b32_e32 v8, 0
	ds_read_b64 v[8:9], v8 offset:8
	s_waitcnt vmcnt(0) lgkmcnt(1)
	v_pk_mul_f32 v[10:11], v[6:7], v[4:5] op_sel:[1,1] op_sel_hi:[0,1]
	v_pk_fma_f32 v[12:13], v[6:7], v[4:5], v[10:11] neg_lo:[0,0,1] neg_hi:[0,0,1]
	v_pk_fma_f32 v[4:5], v[6:7], v[4:5], v[10:11] op_sel_hi:[1,0,1]
	s_nop 0
	v_mov_b32_e32 v13, v5
	v_pk_add_f32 v[4:5], v[12:13], 0 op_sel_hi:[1,0]
	s_waitcnt lgkmcnt(0)
	v_pk_mul_f32 v[6:7], v[4:5], v[8:9] op_sel:[1,1] op_sel_hi:[0,1]
	v_pk_fma_f32 v[10:11], v[4:5], v[8:9], v[6:7] neg_lo:[0,0,1] neg_hi:[0,0,1]
	v_pk_fma_f32 v[4:5], v[4:5], v[8:9], v[6:7] op_sel_hi:[1,0,1]
	s_nop 0
	v_mov_b32_e32 v11, v5
	scratch_store_dwordx2 off, v[10:11], off offset:8
.LBB105_19:
	s_or_b64 exec, exec, s[4:5]
	; wave barrier
	scratch_load_dwordx2 v[4:5], off, off offset:16
	v_cmp_gt_u32_e32 vcc, 2, v0
	s_waitcnt vmcnt(0)
	ds_write_b64 v1, v[4:5]
	s_waitcnt lgkmcnt(0)
	; wave barrier
	s_and_saveexec_b64 s[4:5], vcc
	s_cbranch_execz .LBB105_23
; %bb.20:
	scratch_load_dwordx2 v[4:5], v3, off
	ds_read_b64 v[6:7], v1
	s_waitcnt vmcnt(0) lgkmcnt(0)
	v_pk_mul_f32 v[8:9], v[6:7], v[4:5] op_sel:[1,1] op_sel_hi:[0,1]
	v_pk_fma_f32 v[10:11], v[6:7], v[4:5], v[8:9] neg_lo:[0,0,1] neg_hi:[0,0,1]
	v_pk_fma_f32 v[4:5], v[6:7], v[4:5], v[8:9] op_sel_hi:[1,0,1]
	s_nop 0
	v_mov_b32_e32 v11, v5
	v_pk_add_f32 v[4:5], v[10:11], 0 op_sel_hi:[1,0]
	s_and_saveexec_b64 s[12:13], s[0:1]
	s_cbranch_execz .LBB105_22
; %bb.21:
	scratch_load_dwordx2 v[6:7], off, off offset:8
	v_mov_b32_e32 v3, 0
	ds_read_b64 v[8:9], v3 offset:344
	s_waitcnt vmcnt(0) lgkmcnt(0)
	v_pk_mul_f32 v[10:11], v[8:9], v[6:7] op_sel:[1,1] op_sel_hi:[0,1]
	v_pk_fma_f32 v[12:13], v[8:9], v[6:7], v[10:11] neg_lo:[0,0,1] neg_hi:[0,0,1]
	v_pk_fma_f32 v[6:7], v[8:9], v[6:7], v[10:11] op_sel_hi:[1,0,1]
	s_nop 0
	v_mov_b32_e32 v13, v7
	v_pk_add_f32 v[4:5], v[4:5], v[12:13]
.LBB105_22:
	s_or_b64 exec, exec, s[12:13]
	v_mov_b32_e32 v3, 0
	ds_read_b64 v[6:7], v3 offset:16
	s_waitcnt lgkmcnt(0)
	v_pk_mul_f32 v[8:9], v[4:5], v[6:7] op_sel:[1,1] op_sel_hi:[0,1]
	v_pk_fma_f32 v[10:11], v[4:5], v[6:7], v[8:9] neg_lo:[0,0,1] neg_hi:[0,0,1]
	v_pk_fma_f32 v[4:5], v[4:5], v[6:7], v[8:9] op_sel_hi:[1,0,1]
	s_nop 0
	v_mov_b32_e32 v11, v5
	scratch_store_dwordx2 off, v[10:11], off offset:16
.LBB105_23:
	s_or_b64 exec, exec, s[4:5]
	; wave barrier
	scratch_load_dwordx2 v[4:5], off, off offset:24
	v_cmp_gt_u32_e32 vcc, 3, v0
	v_add_u32_e32 v6, -1, v0
	s_waitcnt vmcnt(0)
	ds_write_b64 v1, v[4:5]
	s_waitcnt lgkmcnt(0)
	; wave barrier
	s_and_saveexec_b64 s[0:1], vcc
	s_cbranch_execz .LBB105_27
; %bb.24:
	v_mov_b32_e32 v4, 0
	v_add_u32_e32 v3, -1, v0
	v_add_u32_e32 v7, 0x150, v2
	v_mov_b32_e32 v8, v2
	s_mov_b64 s[4:5], 0
	v_mov_b32_e32 v5, v4
.LBB105_25:                             ; =>This Inner Loop Header: Depth=1
	scratch_load_dwordx2 v[10:11], v8, off
	ds_read_b64 v[12:13], v7
	v_add_u32_e32 v3, 1, v3
	v_cmp_lt_u32_e32 vcc, 1, v3
	v_add_u32_e32 v7, 8, v7
	v_add_u32_e32 v8, 8, v8
	s_or_b64 s[4:5], vcc, s[4:5]
	s_waitcnt vmcnt(0) lgkmcnt(0)
	v_pk_mul_f32 v[14:15], v[12:13], v[10:11] op_sel:[1,1] op_sel_hi:[0,1]
	v_pk_fma_f32 v[16:17], v[12:13], v[10:11], v[14:15] neg_lo:[0,0,1] neg_hi:[0,0,1]
	v_pk_fma_f32 v[10:11], v[12:13], v[10:11], v[14:15] op_sel_hi:[1,0,1]
	s_nop 0
	v_mov_b32_e32 v17, v11
	v_pk_add_f32 v[4:5], v[4:5], v[16:17]
	s_andn2_b64 exec, exec, s[4:5]
	s_cbranch_execnz .LBB105_25
; %bb.26:
	s_or_b64 exec, exec, s[4:5]
	v_mov_b32_e32 v3, 0
	ds_read_b64 v[8:9], v3 offset:24
	s_waitcnt lgkmcnt(0)
	v_pk_mul_f32 v[10:11], v[4:5], v[8:9] op_sel:[1,1] op_sel_hi:[0,1]
	v_pk_fma_f32 v[12:13], v[4:5], v[8:9], v[10:11] neg_lo:[0,0,1] neg_hi:[0,0,1]
	v_pk_fma_f32 v[4:5], v[4:5], v[8:9], v[10:11] op_sel_hi:[1,0,1]
	s_nop 0
	v_mov_b32_e32 v13, v5
	scratch_store_dwordx2 off, v[12:13], off offset:24
.LBB105_27:
	s_or_b64 exec, exec, s[0:1]
	; wave barrier
	scratch_load_dwordx2 v[4:5], off, off offset:32
	v_cmp_gt_u32_e32 vcc, 4, v0
	s_waitcnt vmcnt(0)
	ds_write_b64 v1, v[4:5]
	s_waitcnt lgkmcnt(0)
	; wave barrier
	s_and_saveexec_b64 s[0:1], vcc
	s_cbranch_execz .LBB105_31
; %bb.28:
	v_mov_b32_e32 v4, 0
	v_add_u32_e32 v3, -1, v0
	v_add_u32_e32 v7, 0x150, v2
	v_mov_b32_e32 v8, v2
	s_mov_b64 s[4:5], 0
	v_mov_b32_e32 v5, v4
.LBB105_29:                             ; =>This Inner Loop Header: Depth=1
	scratch_load_dwordx2 v[10:11], v8, off
	ds_read_b64 v[12:13], v7
	v_add_u32_e32 v3, 1, v3
	v_cmp_lt_u32_e32 vcc, 2, v3
	v_add_u32_e32 v7, 8, v7
	v_add_u32_e32 v8, 8, v8
	s_or_b64 s[4:5], vcc, s[4:5]
	s_waitcnt vmcnt(0) lgkmcnt(0)
	v_pk_mul_f32 v[14:15], v[12:13], v[10:11] op_sel:[1,1] op_sel_hi:[0,1]
	v_pk_fma_f32 v[16:17], v[12:13], v[10:11], v[14:15] neg_lo:[0,0,1] neg_hi:[0,0,1]
	v_pk_fma_f32 v[10:11], v[12:13], v[10:11], v[14:15] op_sel_hi:[1,0,1]
	s_nop 0
	v_mov_b32_e32 v17, v11
	v_pk_add_f32 v[4:5], v[4:5], v[16:17]
	s_andn2_b64 exec, exec, s[4:5]
	s_cbranch_execnz .LBB105_29
; %bb.30:
	s_or_b64 exec, exec, s[4:5]
	v_mov_b32_e32 v3, 0
	ds_read_b64 v[8:9], v3 offset:32
	s_waitcnt lgkmcnt(0)
	v_pk_mul_f32 v[10:11], v[4:5], v[8:9] op_sel:[1,1] op_sel_hi:[0,1]
	v_pk_fma_f32 v[12:13], v[4:5], v[8:9], v[10:11] neg_lo:[0,0,1] neg_hi:[0,0,1]
	v_pk_fma_f32 v[4:5], v[4:5], v[8:9], v[10:11] op_sel_hi:[1,0,1]
	s_nop 0
	v_mov_b32_e32 v13, v5
	scratch_store_dwordx2 off, v[12:13], off offset:32
.LBB105_31:
	s_or_b64 exec, exec, s[0:1]
	; wave barrier
	scratch_load_dwordx2 v[4:5], off, off offset:40
	v_cmp_gt_u32_e32 vcc, 5, v0
	;; [unrolled: 46-line block ×19, first 2 shown]
	s_waitcnt vmcnt(0)
	ds_write_b64 v1, v[4:5]
	s_waitcnt lgkmcnt(0)
	; wave barrier
	s_and_saveexec_b64 s[0:1], vcc
	s_cbranch_execz .LBB105_103
; %bb.100:
	v_mov_b32_e32 v4, 0
	v_add_u32_e32 v3, -1, v0
	v_add_u32_e32 v7, 0x150, v2
	v_mov_b32_e32 v8, v2
	s_mov_b64 s[4:5], 0
	v_mov_b32_e32 v5, v4
.LBB105_101:                            ; =>This Inner Loop Header: Depth=1
	scratch_load_dwordx2 v[10:11], v8, off
	ds_read_b64 v[12:13], v7
	v_add_u32_e32 v3, 1, v3
	v_cmp_lt_u32_e32 vcc, 20, v3
	v_add_u32_e32 v7, 8, v7
	v_add_u32_e32 v8, 8, v8
	s_or_b64 s[4:5], vcc, s[4:5]
	s_waitcnt vmcnt(0) lgkmcnt(0)
	v_pk_mul_f32 v[14:15], v[12:13], v[10:11] op_sel:[1,1] op_sel_hi:[0,1]
	v_pk_fma_f32 v[16:17], v[12:13], v[10:11], v[14:15] neg_lo:[0,0,1] neg_hi:[0,0,1]
	v_pk_fma_f32 v[10:11], v[12:13], v[10:11], v[14:15] op_sel_hi:[1,0,1]
	s_nop 0
	v_mov_b32_e32 v17, v11
	v_pk_add_f32 v[4:5], v[4:5], v[16:17]
	s_andn2_b64 exec, exec, s[4:5]
	s_cbranch_execnz .LBB105_101
; %bb.102:
	s_or_b64 exec, exec, s[4:5]
	v_mov_b32_e32 v3, 0
	ds_read_b64 v[8:9], v3 offset:176
	s_waitcnt lgkmcnt(0)
	v_pk_mul_f32 v[10:11], v[4:5], v[8:9] op_sel:[1,1] op_sel_hi:[0,1]
	v_pk_fma_f32 v[12:13], v[4:5], v[8:9], v[10:11] neg_lo:[0,0,1] neg_hi:[0,0,1]
	v_pk_fma_f32 v[4:5], v[4:5], v[8:9], v[10:11] op_sel_hi:[1,0,1]
	s_nop 0
	v_mov_b32_e32 v13, v5
	scratch_store_dwordx2 off, v[12:13], off offset:176
.LBB105_103:
	s_or_b64 exec, exec, s[0:1]
	; wave barrier
	scratch_load_dwordx2 v[4:5], off, off offset:184
	v_cmp_gt_u32_e32 vcc, 23, v0
	s_waitcnt vmcnt(0)
	ds_write_b64 v1, v[4:5]
	s_waitcnt lgkmcnt(0)
	; wave barrier
	s_and_saveexec_b64 s[0:1], vcc
	s_cbranch_execz .LBB105_107
; %bb.104:
	v_mov_b32_e32 v4, 0
	v_add_u32_e32 v3, -1, v0
	v_add_u32_e32 v7, 0x150, v2
	v_mov_b32_e32 v8, v2
	s_mov_b64 s[4:5], 0
	v_mov_b32_e32 v5, v4
.LBB105_105:                            ; =>This Inner Loop Header: Depth=1
	scratch_load_dwordx2 v[10:11], v8, off
	ds_read_b64 v[12:13], v7
	v_add_u32_e32 v3, 1, v3
	v_cmp_lt_u32_e32 vcc, 21, v3
	v_add_u32_e32 v7, 8, v7
	v_add_u32_e32 v8, 8, v8
	s_or_b64 s[4:5], vcc, s[4:5]
	s_waitcnt vmcnt(0) lgkmcnt(0)
	v_pk_mul_f32 v[14:15], v[12:13], v[10:11] op_sel:[1,1] op_sel_hi:[0,1]
	v_pk_fma_f32 v[16:17], v[12:13], v[10:11], v[14:15] neg_lo:[0,0,1] neg_hi:[0,0,1]
	v_pk_fma_f32 v[10:11], v[12:13], v[10:11], v[14:15] op_sel_hi:[1,0,1]
	s_nop 0
	v_mov_b32_e32 v17, v11
	v_pk_add_f32 v[4:5], v[4:5], v[16:17]
	s_andn2_b64 exec, exec, s[4:5]
	s_cbranch_execnz .LBB105_105
; %bb.106:
	s_or_b64 exec, exec, s[4:5]
	v_mov_b32_e32 v3, 0
	ds_read_b64 v[8:9], v3 offset:184
	s_waitcnt lgkmcnt(0)
	v_pk_mul_f32 v[10:11], v[4:5], v[8:9] op_sel:[1,1] op_sel_hi:[0,1]
	v_pk_fma_f32 v[12:13], v[4:5], v[8:9], v[10:11] neg_lo:[0,0,1] neg_hi:[0,0,1]
	v_pk_fma_f32 v[4:5], v[4:5], v[8:9], v[10:11] op_sel_hi:[1,0,1]
	s_nop 0
	v_mov_b32_e32 v13, v5
	scratch_store_dwordx2 off, v[12:13], off offset:184
.LBB105_107:
	s_or_b64 exec, exec, s[0:1]
	; wave barrier
	scratch_load_dwordx2 v[4:5], off, off offset:192
	v_cmp_gt_u32_e32 vcc, 24, v0
	;; [unrolled: 46-line block ×18, first 2 shown]
	s_waitcnt vmcnt(0)
	ds_write_b64 v1, v[4:5]
	s_waitcnt lgkmcnt(0)
	; wave barrier
	s_and_saveexec_b64 s[0:1], vcc
	s_cbranch_execz .LBB105_175
; %bb.172:
	v_mov_b32_e32 v4, 0
	v_add_u32_e32 v3, -1, v0
	v_add_u32_e32 v7, 0x150, v2
	v_mov_b32_e32 v8, v2
	s_mov_b64 s[4:5], 0
	v_mov_b32_e32 v5, v4
.LBB105_173:                            ; =>This Inner Loop Header: Depth=1
	scratch_load_dwordx2 v[10:11], v8, off
	ds_read_b64 v[12:13], v7
	v_add_u32_e32 v3, 1, v3
	v_cmp_lt_u32_e32 vcc, 38, v3
	v_add_u32_e32 v7, 8, v7
	v_add_u32_e32 v8, 8, v8
	s_or_b64 s[4:5], vcc, s[4:5]
	s_waitcnt vmcnt(0) lgkmcnt(0)
	v_pk_mul_f32 v[14:15], v[12:13], v[10:11] op_sel:[1,1] op_sel_hi:[0,1]
	v_pk_fma_f32 v[16:17], v[12:13], v[10:11], v[14:15] neg_lo:[0,0,1] neg_hi:[0,0,1]
	v_pk_fma_f32 v[10:11], v[12:13], v[10:11], v[14:15] op_sel_hi:[1,0,1]
	s_nop 0
	v_mov_b32_e32 v17, v11
	v_pk_add_f32 v[4:5], v[4:5], v[16:17]
	s_andn2_b64 exec, exec, s[4:5]
	s_cbranch_execnz .LBB105_173
; %bb.174:
	s_or_b64 exec, exec, s[4:5]
	v_mov_b32_e32 v3, 0
	ds_read_b64 v[8:9], v3 offset:320
	s_waitcnt lgkmcnt(0)
	v_pk_mul_f32 v[10:11], v[4:5], v[8:9] op_sel:[1,1] op_sel_hi:[0,1]
	v_pk_fma_f32 v[12:13], v[4:5], v[8:9], v[10:11] neg_lo:[0,0,1] neg_hi:[0,0,1]
	v_pk_fma_f32 v[4:5], v[4:5], v[8:9], v[10:11] op_sel_hi:[1,0,1]
	s_nop 0
	v_mov_b32_e32 v13, v5
	scratch_store_dwordx2 off, v[12:13], off offset:320
.LBB105_175:
	s_or_b64 exec, exec, s[0:1]
	; wave barrier
	scratch_load_dwordx2 v[4:5], off, off offset:328
	v_cmp_ne_u32_e32 vcc, 41, v0
	s_waitcnt vmcnt(0)
	ds_write_b64 v1, v[4:5]
	s_waitcnt lgkmcnt(0)
	; wave barrier
	s_and_saveexec_b64 s[0:1], vcc
	s_cbranch_execz .LBB105_179
; %bb.176:
	v_add_u32_e32 v1, 0x150, v2
	v_mov_b32_e32 v4, v2
	v_mov_b32_e32 v2, 0
	s_mov_b64 s[4:5], 0
	v_mov_b32_e32 v3, v2
.LBB105_177:                            ; =>This Inner Loop Header: Depth=1
	scratch_load_dwordx2 v[8:9], v4, off
	ds_read_b64 v[10:11], v1
	v_add_u32_e32 v6, 1, v6
	v_cmp_lt_u32_e32 vcc, 39, v6
	v_add_u32_e32 v1, 8, v1
	v_add_u32_e32 v4, 8, v4
	s_or_b64 s[4:5], vcc, s[4:5]
	s_waitcnt vmcnt(0) lgkmcnt(0)
	v_pk_mul_f32 v[12:13], v[10:11], v[8:9] op_sel:[1,1] op_sel_hi:[0,1]
	v_pk_fma_f32 v[14:15], v[10:11], v[8:9], v[12:13] neg_lo:[0,0,1] neg_hi:[0,0,1]
	v_pk_fma_f32 v[8:9], v[10:11], v[8:9], v[12:13] op_sel_hi:[1,0,1]
	s_nop 0
	v_mov_b32_e32 v15, v9
	v_pk_add_f32 v[2:3], v[2:3], v[14:15]
	s_andn2_b64 exec, exec, s[4:5]
	s_cbranch_execnz .LBB105_177
; %bb.178:
	s_or_b64 exec, exec, s[4:5]
	v_mov_b32_e32 v1, 0
	ds_read_b64 v[4:5], v1 offset:328
	s_waitcnt lgkmcnt(0)
	v_pk_mul_f32 v[6:7], v[2:3], v[4:5] op_sel:[1,1] op_sel_hi:[0,1]
	v_pk_fma_f32 v[8:9], v[2:3], v[4:5], v[6:7] neg_lo:[0,0,1] neg_hi:[0,0,1]
	v_pk_fma_f32 v[2:3], v[2:3], v[4:5], v[6:7] op_sel_hi:[1,0,1]
	s_nop 0
	v_mov_b32_e32 v9, v3
	scratch_store_dwordx2 off, v[8:9], off offset:328
.LBB105_179:
	s_or_b64 exec, exec, s[0:1]
	s_mov_b64 s[4:5], -1
	; wave barrier
.LBB105_180:
	s_and_b64 vcc, exec, s[4:5]
	s_cbranch_vccz .LBB105_182
; %bb.181:
	s_lshl_b64 s[0:1], s[2:3], 2
	s_add_u32 s0, s6, s0
	s_addc_u32 s1, s7, s1
	v_mov_b32_e32 v1, 0
	global_load_dword v1, v1, s[0:1]
	s_waitcnt vmcnt(0)
	v_cmp_ne_u32_e32 vcc, 0, v1
	s_cbranch_vccz .LBB105_183
.LBB105_182:
	s_endpgm
.LBB105_183:
	v_mov_b32_e32 v1, 0x150
	v_lshl_add_u32 v1, v0, 3, v1
	v_cmp_eq_u32_e32 vcc, 41, v0
	s_and_saveexec_b64 s[0:1], vcc
	s_cbranch_execz .LBB105_185
; %bb.184:
	scratch_load_dwordx2 v[2:3], off, off offset:320
	v_mov_b32_e32 v4, 0
	v_mov_b32_e32 v5, v4
	scratch_store_dwordx2 off, v[4:5], off offset:320
	s_waitcnt vmcnt(1)
	ds_write_b64 v1, v[2:3]
.LBB105_185:
	s_or_b64 exec, exec, s[0:1]
	s_waitcnt lgkmcnt(0)
	; wave barrier
	scratch_load_dwordx2 v[4:5], off, off offset:328
	scratch_load_dwordx2 v[6:7], off, off offset:320
	v_mov_b32_e32 v2, 0
	ds_read_b64 v[8:9], v2 offset:664
	v_cmp_lt_u32_e32 vcc, 39, v0
	s_waitcnt vmcnt(1) lgkmcnt(0)
	v_pk_mul_f32 v[10:11], v[8:9], v[4:5] op_sel:[1,1] op_sel_hi:[0,1]
	v_pk_fma_f32 v[12:13], v[8:9], v[4:5], v[10:11] neg_lo:[0,0,1] neg_hi:[0,0,1]
	v_pk_fma_f32 v[4:5], v[8:9], v[4:5], v[10:11] op_sel_hi:[1,0,1]
	s_nop 0
	v_mov_b32_e32 v13, v5
	v_pk_add_f32 v[4:5], v[12:13], 0 op_sel_hi:[1,0]
	s_waitcnt vmcnt(0)
	v_pk_add_f32 v[4:5], v[6:7], v[4:5] neg_lo:[0,1] neg_hi:[0,1]
	scratch_store_dwordx2 off, v[4:5], off offset:320
	s_and_saveexec_b64 s[0:1], vcc
	s_cbranch_execz .LBB105_187
; %bb.186:
	scratch_load_dwordx2 v[4:5], off, off offset:312
	v_mov_b32_e32 v3, v2
	scratch_store_dwordx2 off, v[2:3], off offset:312
	s_waitcnt vmcnt(1)
	ds_write_b64 v1, v[4:5]
.LBB105_187:
	s_or_b64 exec, exec, s[0:1]
	s_waitcnt lgkmcnt(0)
	; wave barrier
	scratch_load_dwordx4 v[4:7], off, off offset:320
	scratch_load_dwordx2 v[12:13], off, off offset:312
	ds_read_b128 v[8:11], v2 offset:656
	v_cmp_lt_u32_e32 vcc, 38, v0
	s_waitcnt vmcnt(1) lgkmcnt(0)
	v_pk_mul_f32 v[2:3], v[8:9], v[4:5] op_sel:[1,1] op_sel_hi:[0,1]
	v_mov_b32_e32 v14, v7
	v_pk_fma_f32 v[16:17], v[8:9], v[4:5], v[2:3] neg_lo:[0,0,1] neg_hi:[0,0,1]
	v_pk_fma_f32 v[2:3], v[8:9], v[4:5], v[2:3] op_sel_hi:[1,0,1]
	v_pk_mul_f32 v[4:5], v[10:11], v[14:15] op_sel:[1,0] op_sel_hi:[0,0]
	v_mov_b32_e32 v17, v3
	v_pk_fma_f32 v[2:3], v[10:11], v[6:7], v[4:5] neg_lo:[0,0,1] neg_hi:[0,0,1]
	v_pk_fma_f32 v[4:5], v[10:11], v[6:7], v[4:5] op_sel_hi:[1,0,1]
	v_pk_add_f32 v[6:7], v[16:17], 0 op_sel_hi:[1,0]
	v_mov_b32_e32 v3, v5
	v_pk_add_f32 v[2:3], v[6:7], v[2:3]
	s_waitcnt vmcnt(0)
	v_pk_add_f32 v[2:3], v[12:13], v[2:3] neg_lo:[0,1] neg_hi:[0,1]
	scratch_store_dwordx2 off, v[2:3], off offset:312
	s_and_saveexec_b64 s[0:1], vcc
	s_cbranch_execz .LBB105_189
; %bb.188:
	scratch_load_dwordx2 v[2:3], off, off offset:304
	v_mov_b32_e32 v4, 0
	v_mov_b32_e32 v5, v4
	scratch_store_dwordx2 off, v[4:5], off offset:304
	s_waitcnt vmcnt(1)
	ds_write_b64 v1, v[2:3]
.LBB105_189:
	s_or_b64 exec, exec, s[0:1]
	s_waitcnt lgkmcnt(0)
	; wave barrier
	scratch_load_dwordx4 v[4:7], off, off offset:312
	scratch_load_dwordx2 v[12:13], off, off offset:328
	scratch_load_dwordx2 v[14:15], off, off offset:304
	v_mov_b32_e32 v2, 0
	ds_read2_b64 v[8:11], v2 offset0:81 offset1:82
	ds_read_b64 v[16:17], v2 offset:664
	v_cmp_lt_u32_e32 vcc, 37, v0
	s_waitcnt vmcnt(2) lgkmcnt(1)
	v_pk_mul_f32 v[18:19], v[8:9], v[4:5] op_sel:[1,1] op_sel_hi:[0,1]
	v_mov_b32_e32 v20, v7
	v_pk_fma_f32 v[24:25], v[8:9], v[4:5], v[18:19] neg_lo:[0,0,1] neg_hi:[0,0,1]
	v_pk_fma_f32 v[4:5], v[8:9], v[4:5], v[18:19] op_sel_hi:[1,0,1]
	v_pk_mul_f32 v[8:9], v[10:11], v[20:21] op_sel:[1,0] op_sel_hi:[0,0]
	s_waitcnt vmcnt(1) lgkmcnt(0)
	v_pk_mul_f32 v[22:23], v[16:17], v[12:13] op_sel:[1,1] op_sel_hi:[0,1]
	v_mov_b32_e32 v25, v5
	v_pk_fma_f32 v[4:5], v[10:11], v[6:7], v[8:9] neg_lo:[0,0,1] neg_hi:[0,0,1]
	v_pk_fma_f32 v[6:7], v[10:11], v[6:7], v[8:9] op_sel_hi:[1,0,1]
	v_pk_fma_f32 v[18:19], v[16:17], v[12:13], v[22:23] neg_lo:[0,0,1] neg_hi:[0,0,1]
	v_pk_fma_f32 v[12:13], v[16:17], v[12:13], v[22:23] op_sel_hi:[1,0,1]
	v_pk_add_f32 v[8:9], v[24:25], 0 op_sel_hi:[1,0]
	v_mov_b32_e32 v5, v7
	v_mov_b32_e32 v19, v13
	v_pk_add_f32 v[4:5], v[8:9], v[4:5]
	s_nop 0
	v_pk_add_f32 v[4:5], v[4:5], v[18:19]
	s_waitcnt vmcnt(0)
	v_pk_add_f32 v[4:5], v[14:15], v[4:5] neg_lo:[0,1] neg_hi:[0,1]
	scratch_store_dwordx2 off, v[4:5], off offset:304
	s_and_saveexec_b64 s[0:1], vcc
	s_cbranch_execz .LBB105_191
; %bb.190:
	scratch_load_dwordx2 v[4:5], off, off offset:296
	v_mov_b32_e32 v3, v2
	scratch_store_dwordx2 off, v[2:3], off offset:296
	s_waitcnt vmcnt(1)
	ds_write_b64 v1, v[4:5]
.LBB105_191:
	s_or_b64 exec, exec, s[0:1]
	s_waitcnt lgkmcnt(0)
	; wave barrier
	scratch_load_dwordx4 v[4:7], off, off offset:304
	scratch_load_dwordx4 v[8:11], off, off offset:320
	scratch_load_dwordx2 v[20:21], off, off offset:296
	ds_read_b128 v[12:15], v2 offset:640
	ds_read_b128 v[16:19], v2 offset:656
	v_cmp_lt_u32_e32 vcc, 36, v0
	s_waitcnt vmcnt(2) lgkmcnt(1)
	v_pk_mul_f32 v[2:3], v[12:13], v[4:5] op_sel:[1,1] op_sel_hi:[0,1]
	v_mov_b32_e32 v22, v7
	s_waitcnt vmcnt(1) lgkmcnt(0)
	v_pk_mul_f32 v[24:25], v[16:17], v[8:9] op_sel:[1,1] op_sel_hi:[0,1]
	v_mov_b32_e32 v26, v11
	v_pk_fma_f32 v[28:29], v[12:13], v[4:5], v[2:3] neg_lo:[0,0,1] neg_hi:[0,0,1]
	v_pk_fma_f32 v[2:3], v[12:13], v[4:5], v[2:3] op_sel_hi:[1,0,1]
	v_pk_mul_f32 v[4:5], v[14:15], v[22:23] op_sel:[1,0] op_sel_hi:[0,0]
	v_pk_fma_f32 v[12:13], v[16:17], v[8:9], v[24:25] neg_lo:[0,0,1] neg_hi:[0,0,1]
	v_pk_fma_f32 v[8:9], v[16:17], v[8:9], v[24:25] op_sel_hi:[1,0,1]
	v_pk_mul_f32 v[16:17], v[18:19], v[26:27] op_sel:[1,0] op_sel_hi:[0,0]
	v_mov_b32_e32 v29, v3
	v_pk_fma_f32 v[2:3], v[14:15], v[6:7], v[4:5] neg_lo:[0,0,1] neg_hi:[0,0,1]
	v_pk_fma_f32 v[4:5], v[14:15], v[6:7], v[4:5] op_sel_hi:[1,0,1]
	v_mov_b32_e32 v13, v9
	v_pk_fma_f32 v[6:7], v[18:19], v[10:11], v[16:17] neg_lo:[0,0,1] neg_hi:[0,0,1]
	v_pk_fma_f32 v[8:9], v[18:19], v[10:11], v[16:17] op_sel_hi:[1,0,1]
	v_pk_add_f32 v[10:11], v[28:29], 0 op_sel_hi:[1,0]
	v_mov_b32_e32 v3, v5
	v_pk_add_f32 v[2:3], v[10:11], v[2:3]
	v_mov_b32_e32 v7, v9
	v_pk_add_f32 v[2:3], v[2:3], v[12:13]
	s_nop 0
	v_pk_add_f32 v[2:3], v[2:3], v[6:7]
	s_waitcnt vmcnt(0)
	v_pk_add_f32 v[2:3], v[20:21], v[2:3] neg_lo:[0,1] neg_hi:[0,1]
	scratch_store_dwordx2 off, v[2:3], off offset:296
	s_and_saveexec_b64 s[0:1], vcc
	s_cbranch_execz .LBB105_193
; %bb.192:
	scratch_load_dwordx2 v[2:3], off, off offset:288
	v_mov_b32_e32 v4, 0
	v_mov_b32_e32 v5, v4
	scratch_store_dwordx2 off, v[4:5], off offset:288
	s_waitcnt vmcnt(1)
	ds_write_b64 v1, v[2:3]
.LBB105_193:
	s_or_b64 exec, exec, s[0:1]
	s_waitcnt lgkmcnt(0)
	; wave barrier
	scratch_load_dwordx4 v[4:7], off, off offset:296
	scratch_load_dwordx4 v[8:11], off, off offset:312
	scratch_load_dwordx2 v[20:21], off, off offset:328
	scratch_load_dwordx2 v[22:23], off, off offset:288
	v_mov_b32_e32 v2, 0
	ds_read2_b64 v[12:15], v2 offset0:79 offset1:80
	ds_read2_b64 v[16:19], v2 offset0:81 offset1:82
	ds_read_b64 v[24:25], v2 offset:664
	v_cmp_lt_u32_e32 vcc, 35, v0
	s_waitcnt vmcnt(3) lgkmcnt(2)
	v_pk_mul_f32 v[26:27], v[12:13], v[4:5] op_sel:[1,1] op_sel_hi:[0,1]
	v_mov_b32_e32 v28, v7
	v_pk_fma_f32 v[36:37], v[12:13], v[4:5], v[26:27] neg_lo:[0,0,1] neg_hi:[0,0,1]
	v_pk_fma_f32 v[4:5], v[12:13], v[4:5], v[26:27] op_sel_hi:[1,0,1]
	v_pk_mul_f32 v[12:13], v[14:15], v[28:29] op_sel:[1,0] op_sel_hi:[0,0]
	s_waitcnt vmcnt(2) lgkmcnt(1)
	v_pk_mul_f32 v[30:31], v[16:17], v[8:9] op_sel:[1,1] op_sel_hi:[0,1]
	v_mov_b32_e32 v32, v11
	v_mov_b32_e32 v37, v5
	v_pk_fma_f32 v[4:5], v[14:15], v[6:7], v[12:13] neg_lo:[0,0,1] neg_hi:[0,0,1]
	v_pk_fma_f32 v[6:7], v[14:15], v[6:7], v[12:13] op_sel_hi:[1,0,1]
	v_pk_fma_f32 v[26:27], v[16:17], v[8:9], v[30:31] neg_lo:[0,0,1] neg_hi:[0,0,1]
	v_pk_fma_f32 v[8:9], v[16:17], v[8:9], v[30:31] op_sel_hi:[1,0,1]
	v_pk_mul_f32 v[16:17], v[18:19], v[32:33] op_sel:[1,0] op_sel_hi:[0,0]
	v_pk_add_f32 v[12:13], v[36:37], 0 op_sel_hi:[1,0]
	v_mov_b32_e32 v5, v7
	s_waitcnt vmcnt(1) lgkmcnt(0)
	v_pk_mul_f32 v[34:35], v[24:25], v[20:21] op_sel:[1,1] op_sel_hi:[0,1]
	v_mov_b32_e32 v27, v9
	v_pk_fma_f32 v[8:9], v[18:19], v[10:11], v[16:17] neg_lo:[0,0,1] neg_hi:[0,0,1]
	v_pk_fma_f32 v[10:11], v[18:19], v[10:11], v[16:17] op_sel_hi:[1,0,1]
	v_pk_add_f32 v[4:5], v[12:13], v[4:5]
	v_pk_fma_f32 v[28:29], v[24:25], v[20:21], v[34:35] neg_lo:[0,0,1] neg_hi:[0,0,1]
	v_pk_fma_f32 v[20:21], v[24:25], v[20:21], v[34:35] op_sel_hi:[1,0,1]
	v_mov_b32_e32 v9, v11
	v_pk_add_f32 v[4:5], v[4:5], v[26:27]
	v_mov_b32_e32 v29, v21
	v_pk_add_f32 v[4:5], v[4:5], v[8:9]
	s_nop 0
	v_pk_add_f32 v[4:5], v[4:5], v[28:29]
	s_waitcnt vmcnt(0)
	v_pk_add_f32 v[4:5], v[22:23], v[4:5] neg_lo:[0,1] neg_hi:[0,1]
	scratch_store_dwordx2 off, v[4:5], off offset:288
	s_and_saveexec_b64 s[0:1], vcc
	s_cbranch_execz .LBB105_195
; %bb.194:
	scratch_load_dwordx2 v[4:5], off, off offset:280
	v_mov_b32_e32 v3, v2
	scratch_store_dwordx2 off, v[2:3], off offset:280
	s_waitcnt vmcnt(1)
	ds_write_b64 v1, v[4:5]
.LBB105_195:
	s_or_b64 exec, exec, s[0:1]
	s_waitcnt lgkmcnt(0)
	; wave barrier
	scratch_load_dwordx4 v[4:7], off, off offset:288
	scratch_load_dwordx4 v[8:11], off, off offset:304
	;; [unrolled: 1-line block ×3, first 2 shown]
	scratch_load_dwordx2 v[28:29], off, off offset:280
	ds_read_b128 v[16:19], v2 offset:624
	ds_read_b128 v[20:23], v2 offset:640
	;; [unrolled: 1-line block ×3, first 2 shown]
	v_cmp_lt_u32_e32 vcc, 34, v0
	s_waitcnt vmcnt(3) lgkmcnt(2)
	v_pk_mul_f32 v[2:3], v[16:17], v[4:5] op_sel:[1,1] op_sel_hi:[0,1]
	v_mov_b32_e32 v30, v7
	s_waitcnt vmcnt(2) lgkmcnt(1)
	v_pk_mul_f32 v[32:33], v[20:21], v[8:9] op_sel:[1,1] op_sel_hi:[0,1]
	v_mov_b32_e32 v34, v11
	;; [unrolled: 3-line block ×3, first 2 shown]
	v_pk_fma_f32 v[40:41], v[16:17], v[4:5], v[2:3] neg_lo:[0,0,1] neg_hi:[0,0,1]
	v_pk_fma_f32 v[2:3], v[16:17], v[4:5], v[2:3] op_sel_hi:[1,0,1]
	v_pk_mul_f32 v[4:5], v[18:19], v[30:31] op_sel:[1,0] op_sel_hi:[0,0]
	v_pk_fma_f32 v[16:17], v[20:21], v[8:9], v[32:33] neg_lo:[0,0,1] neg_hi:[0,0,1]
	v_pk_fma_f32 v[8:9], v[20:21], v[8:9], v[32:33] op_sel_hi:[1,0,1]
	v_pk_mul_f32 v[20:21], v[22:23], v[34:35] op_sel:[1,0] op_sel_hi:[0,0]
	;; [unrolled: 3-line block ×3, first 2 shown]
	v_mov_b32_e32 v41, v3
	v_pk_fma_f32 v[2:3], v[18:19], v[6:7], v[4:5] neg_lo:[0,0,1] neg_hi:[0,0,1]
	v_pk_fma_f32 v[4:5], v[18:19], v[6:7], v[4:5] op_sel_hi:[1,0,1]
	v_mov_b32_e32 v17, v9
	v_pk_fma_f32 v[6:7], v[22:23], v[10:11], v[20:21] neg_lo:[0,0,1] neg_hi:[0,0,1]
	v_pk_fma_f32 v[8:9], v[22:23], v[10:11], v[20:21] op_sel_hi:[1,0,1]
	;; [unrolled: 3-line block ×3, first 2 shown]
	v_pk_add_f32 v[14:15], v[40:41], 0 op_sel_hi:[1,0]
	v_mov_b32_e32 v3, v5
	v_pk_add_f32 v[2:3], v[14:15], v[2:3]
	v_mov_b32_e32 v7, v9
	v_pk_add_f32 v[2:3], v[2:3], v[16:17]
	;; [unrolled: 2-line block ×3, first 2 shown]
	s_nop 0
	v_pk_add_f32 v[2:3], v[2:3], v[30:31]
	s_nop 0
	v_pk_add_f32 v[2:3], v[2:3], v[10:11]
	s_waitcnt vmcnt(0)
	v_pk_add_f32 v[2:3], v[28:29], v[2:3] neg_lo:[0,1] neg_hi:[0,1]
	scratch_store_dwordx2 off, v[2:3], off offset:280
	s_and_saveexec_b64 s[0:1], vcc
	s_cbranch_execz .LBB105_197
; %bb.196:
	scratch_load_dwordx2 v[2:3], off, off offset:272
	v_mov_b32_e32 v4, 0
	v_mov_b32_e32 v5, v4
	scratch_store_dwordx2 off, v[4:5], off offset:272
	s_waitcnt vmcnt(1)
	ds_write_b64 v1, v[2:3]
.LBB105_197:
	s_or_b64 exec, exec, s[0:1]
	s_waitcnt lgkmcnt(0)
	; wave barrier
	scratch_load_dwordx4 v[4:7], off, off offset:280
	scratch_load_dwordx4 v[8:11], off, off offset:296
	;; [unrolled: 1-line block ×3, first 2 shown]
	scratch_load_dwordx2 v[28:29], off, off offset:328
	v_mov_b32_e32 v2, 0
	ds_read2_b64 v[16:19], v2 offset0:77 offset1:78
	ds_read2_b64 v[20:23], v2 offset0:79 offset1:80
	;; [unrolled: 1-line block ×3, first 2 shown]
	ds_read_b64 v[30:31], v2 offset:664
	v_cmp_lt_u32_e32 vcc, 33, v0
	s_waitcnt vmcnt(3) lgkmcnt(3)
	v_pk_mul_f32 v[32:33], v[16:17], v[4:5] op_sel:[1,1] op_sel_hi:[0,1]
	v_pk_fma_f32 v[34:35], v[16:17], v[4:5], v[32:33] neg_lo:[0,0,1] neg_hi:[0,0,1]
	v_pk_fma_f32 v[4:5], v[16:17], v[4:5], v[32:33] op_sel_hi:[1,0,1]
	v_mov_b32_e32 v16, v7
	v_pk_mul_f32 v[16:17], v[18:19], v[16:17] op_sel:[1,0] op_sel_hi:[0,0]
	v_pk_fma_f32 v[32:33], v[18:19], v[6:7], v[16:17] neg_lo:[0,0,1] neg_hi:[0,0,1]
	v_pk_fma_f32 v[6:7], v[18:19], v[6:7], v[16:17] op_sel_hi:[1,0,1]
	v_mov_b32_e32 v35, v5
	v_mov_b32_e32 v33, v7
	s_waitcnt vmcnt(2) lgkmcnt(2)
	v_pk_mul_f32 v[6:7], v[20:21], v[8:9] op_sel:[1,1] op_sel_hi:[0,1]
	v_pk_fma_f32 v[16:17], v[20:21], v[8:9], v[6:7] neg_lo:[0,0,1] neg_hi:[0,0,1]
	v_pk_fma_f32 v[6:7], v[20:21], v[8:9], v[6:7] op_sel_hi:[1,0,1]
	v_pk_add_f32 v[4:5], v[34:35], 0 op_sel_hi:[1,0]
	v_mov_b32_e32 v6, v11
	v_mov_b32_e32 v17, v7
	v_pk_mul_f32 v[6:7], v[22:23], v[6:7] op_sel:[1,0] op_sel_hi:[0,0]
	v_pk_add_f32 v[4:5], v[4:5], v[32:33]
	v_pk_fma_f32 v[8:9], v[22:23], v[10:11], v[6:7] neg_lo:[0,0,1] neg_hi:[0,0,1]
	v_pk_fma_f32 v[6:7], v[22:23], v[10:11], v[6:7] op_sel_hi:[1,0,1]
	v_pk_add_f32 v[4:5], v[4:5], v[16:17]
	v_mov_b32_e32 v9, v7
	s_waitcnt vmcnt(1) lgkmcnt(1)
	v_pk_mul_f32 v[6:7], v[24:25], v[12:13] op_sel:[1,1] op_sel_hi:[0,1]
	v_pk_add_f32 v[4:5], v[4:5], v[8:9]
	v_pk_fma_f32 v[8:9], v[24:25], v[12:13], v[6:7] neg_lo:[0,0,1] neg_hi:[0,0,1]
	v_pk_fma_f32 v[6:7], v[24:25], v[12:13], v[6:7] op_sel_hi:[1,0,1]
	s_nop 0
	v_mov_b32_e32 v6, v15
	v_mov_b32_e32 v9, v7
	v_pk_mul_f32 v[6:7], v[26:27], v[6:7] op_sel:[1,0] op_sel_hi:[0,0]
	v_pk_add_f32 v[4:5], v[4:5], v[8:9]
	v_pk_fma_f32 v[8:9], v[26:27], v[14:15], v[6:7] neg_lo:[0,0,1] neg_hi:[0,0,1]
	v_pk_fma_f32 v[6:7], v[26:27], v[14:15], v[6:7] op_sel_hi:[1,0,1]
	s_nop 0
	v_mov_b32_e32 v9, v7
	s_waitcnt vmcnt(0) lgkmcnt(0)
	v_pk_mul_f32 v[6:7], v[30:31], v[28:29] op_sel:[1,1] op_sel_hi:[0,1]
	v_pk_add_f32 v[4:5], v[4:5], v[8:9]
	v_pk_fma_f32 v[8:9], v[30:31], v[28:29], v[6:7] neg_lo:[0,0,1] neg_hi:[0,0,1]
	v_pk_fma_f32 v[6:7], v[30:31], v[28:29], v[6:7] op_sel_hi:[1,0,1]
	s_nop 0
	v_mov_b32_e32 v9, v7
	scratch_load_dwordx2 v[6:7], off, off offset:272
	v_pk_add_f32 v[4:5], v[4:5], v[8:9]
	s_waitcnt vmcnt(0)
	v_pk_add_f32 v[4:5], v[6:7], v[4:5] neg_lo:[0,1] neg_hi:[0,1]
	scratch_store_dwordx2 off, v[4:5], off offset:272
	s_and_saveexec_b64 s[0:1], vcc
	s_cbranch_execz .LBB105_199
; %bb.198:
	scratch_load_dwordx2 v[4:5], off, off offset:264
	v_mov_b32_e32 v3, v2
	scratch_store_dwordx2 off, v[2:3], off offset:264
	s_waitcnt vmcnt(1)
	ds_write_b64 v1, v[4:5]
.LBB105_199:
	s_or_b64 exec, exec, s[0:1]
	s_waitcnt lgkmcnt(0)
	; wave barrier
	scratch_load_dwordx4 v[4:7], off, off offset:272
	scratch_load_dwordx4 v[8:11], off, off offset:288
	;; [unrolled: 1-line block ×4, first 2 shown]
	ds_read_b128 v[20:23], v2 offset:608
	ds_read_b128 v[24:27], v2 offset:624
	;; [unrolled: 1-line block ×4, first 2 shown]
	v_cmp_lt_u32_e32 vcc, 32, v0
	s_waitcnt vmcnt(3) lgkmcnt(3)
	v_pk_mul_f32 v[2:3], v[20:21], v[4:5] op_sel:[1,1] op_sel_hi:[0,1]
	v_pk_fma_f32 v[36:37], v[20:21], v[4:5], v[2:3] neg_lo:[0,0,1] neg_hi:[0,0,1]
	v_pk_fma_f32 v[2:3], v[20:21], v[4:5], v[2:3] op_sel_hi:[1,0,1]
	v_mov_b32_e32 v4, v7
	v_pk_mul_f32 v[4:5], v[22:23], v[4:5] op_sel:[1,0] op_sel_hi:[0,0]
	v_pk_fma_f32 v[20:21], v[22:23], v[6:7], v[4:5] neg_lo:[0,0,1] neg_hi:[0,0,1]
	v_pk_fma_f32 v[4:5], v[22:23], v[6:7], v[4:5] op_sel_hi:[1,0,1]
	v_mov_b32_e32 v37, v3
	v_mov_b32_e32 v21, v5
	s_waitcnt vmcnt(2) lgkmcnt(2)
	v_pk_mul_f32 v[4:5], v[24:25], v[8:9] op_sel:[1,1] op_sel_hi:[0,1]
	v_pk_fma_f32 v[6:7], v[24:25], v[8:9], v[4:5] neg_lo:[0,0,1] neg_hi:[0,0,1]
	v_pk_fma_f32 v[4:5], v[24:25], v[8:9], v[4:5] op_sel_hi:[1,0,1]
	v_pk_add_f32 v[2:3], v[36:37], 0 op_sel_hi:[1,0]
	v_mov_b32_e32 v4, v11
	v_pk_add_f32 v[2:3], v[2:3], v[20:21]
	v_mov_b32_e32 v7, v5
	v_pk_mul_f32 v[4:5], v[26:27], v[4:5] op_sel:[1,0] op_sel_hi:[0,0]
	v_pk_add_f32 v[2:3], v[2:3], v[6:7]
	v_pk_fma_f32 v[6:7], v[26:27], v[10:11], v[4:5] neg_lo:[0,0,1] neg_hi:[0,0,1]
	v_pk_fma_f32 v[4:5], v[26:27], v[10:11], v[4:5] op_sel_hi:[1,0,1]
	s_nop 0
	v_mov_b32_e32 v7, v5
	s_waitcnt vmcnt(1) lgkmcnt(1)
	v_pk_mul_f32 v[4:5], v[28:29], v[12:13] op_sel:[1,1] op_sel_hi:[0,1]
	v_pk_add_f32 v[2:3], v[2:3], v[6:7]
	v_pk_fma_f32 v[6:7], v[28:29], v[12:13], v[4:5] neg_lo:[0,0,1] neg_hi:[0,0,1]
	v_pk_fma_f32 v[4:5], v[28:29], v[12:13], v[4:5] op_sel_hi:[1,0,1]
	s_nop 0
	v_mov_b32_e32 v4, v15
	v_mov_b32_e32 v7, v5
	v_pk_mul_f32 v[4:5], v[30:31], v[4:5] op_sel:[1,0] op_sel_hi:[0,0]
	v_pk_add_f32 v[2:3], v[2:3], v[6:7]
	v_pk_fma_f32 v[6:7], v[30:31], v[14:15], v[4:5] neg_lo:[0,0,1] neg_hi:[0,0,1]
	v_pk_fma_f32 v[4:5], v[30:31], v[14:15], v[4:5] op_sel_hi:[1,0,1]
	s_nop 0
	v_mov_b32_e32 v7, v5
	s_waitcnt vmcnt(0) lgkmcnt(0)
	v_pk_mul_f32 v[4:5], v[32:33], v[16:17] op_sel:[1,1] op_sel_hi:[0,1]
	v_pk_add_f32 v[2:3], v[2:3], v[6:7]
	v_pk_fma_f32 v[6:7], v[32:33], v[16:17], v[4:5] neg_lo:[0,0,1] neg_hi:[0,0,1]
	v_pk_fma_f32 v[4:5], v[32:33], v[16:17], v[4:5] op_sel_hi:[1,0,1]
	s_nop 0
	v_mov_b32_e32 v4, v19
	v_mov_b32_e32 v7, v5
	v_pk_mul_f32 v[4:5], v[34:35], v[4:5] op_sel:[1,0] op_sel_hi:[0,0]
	v_pk_add_f32 v[2:3], v[2:3], v[6:7]
	v_pk_fma_f32 v[6:7], v[34:35], v[18:19], v[4:5] neg_lo:[0,0,1] neg_hi:[0,0,1]
	v_pk_fma_f32 v[4:5], v[34:35], v[18:19], v[4:5] op_sel_hi:[1,0,1]
	s_nop 0
	v_mov_b32_e32 v7, v5
	scratch_load_dwordx2 v[4:5], off, off offset:264
	v_pk_add_f32 v[2:3], v[2:3], v[6:7]
	s_waitcnt vmcnt(0)
	v_pk_add_f32 v[2:3], v[4:5], v[2:3] neg_lo:[0,1] neg_hi:[0,1]
	scratch_store_dwordx2 off, v[2:3], off offset:264
	s_and_saveexec_b64 s[0:1], vcc
	s_cbranch_execz .LBB105_201
; %bb.200:
	scratch_load_dwordx2 v[2:3], off, off offset:256
	v_mov_b32_e32 v4, 0
	v_mov_b32_e32 v5, v4
	scratch_store_dwordx2 off, v[4:5], off offset:256
	s_waitcnt vmcnt(1)
	ds_write_b64 v1, v[2:3]
.LBB105_201:
	s_or_b64 exec, exec, s[0:1]
	s_waitcnt lgkmcnt(0)
	; wave barrier
	scratch_load_dwordx4 v[8:11], off, off offset:264
	v_mov_b32_e32 v2, 0
	ds_read2_b64 v[4:7], v2 offset0:75 offset1:76
	scratch_load_dwordx4 v[12:15], off, off offset:280
	scratch_load_dwordx4 v[16:19], off, off offset:296
	;; [unrolled: 1-line block ×3, first 2 shown]
	scratch_load_dwordx2 v[38:39], off, off offset:328
	v_cmp_lt_u32_e32 vcc, 31, v0
	s_waitcnt vmcnt(4) lgkmcnt(0)
	v_mul_f32_e32 v37, v4, v9
	v_mul_f32_e32 v3, v5, v9
	v_fmac_f32_e32 v37, v5, v8
	v_fma_f32 v36, v4, v8, -v3
	v_pk_add_f32 v[8:9], v[36:37], 0 op_sel_hi:[1,0]
	v_mov_b32_e32 v36, v11
	v_pk_mul_f32 v[36:37], v[6:7], v[36:37] op_sel:[1,0] op_sel_hi:[0,0]
	ds_read2_b64 v[24:27], v2 offset0:77 offset1:78
	ds_read2_b64 v[28:31], v2 offset0:79 offset1:80
	ds_read2_b64 v[32:35], v2 offset0:81 offset1:82
	ds_read_b64 v[4:5], v2 offset:664
	v_pk_fma_f32 v[40:41], v[6:7], v[10:11], v[36:37] neg_lo:[0,0,1] neg_hi:[0,0,1]
	v_pk_fma_f32 v[6:7], v[6:7], v[10:11], v[36:37] op_sel_hi:[1,0,1]
	s_nop 0
	v_mov_b32_e32 v41, v7
	v_pk_add_f32 v[6:7], v[8:9], v[40:41]
	s_waitcnt vmcnt(3) lgkmcnt(3)
	v_pk_mul_f32 v[8:9], v[24:25], v[12:13] op_sel:[1,1] op_sel_hi:[0,1]
	v_pk_fma_f32 v[10:11], v[24:25], v[12:13], v[8:9] neg_lo:[0,0,1] neg_hi:[0,0,1]
	v_pk_fma_f32 v[8:9], v[24:25], v[12:13], v[8:9] op_sel_hi:[1,0,1]
	s_nop 0
	v_mov_b32_e32 v8, v15
	v_mov_b32_e32 v11, v9
	v_pk_mul_f32 v[8:9], v[26:27], v[8:9] op_sel:[1,0] op_sel_hi:[0,0]
	v_pk_add_f32 v[6:7], v[6:7], v[10:11]
	v_pk_fma_f32 v[10:11], v[26:27], v[14:15], v[8:9] neg_lo:[0,0,1] neg_hi:[0,0,1]
	v_pk_fma_f32 v[8:9], v[26:27], v[14:15], v[8:9] op_sel_hi:[1,0,1]
	s_nop 0
	v_mov_b32_e32 v11, v9
	s_waitcnt vmcnt(2) lgkmcnt(2)
	v_pk_mul_f32 v[8:9], v[28:29], v[16:17] op_sel:[1,1] op_sel_hi:[0,1]
	v_pk_add_f32 v[6:7], v[6:7], v[10:11]
	v_pk_fma_f32 v[10:11], v[28:29], v[16:17], v[8:9] neg_lo:[0,0,1] neg_hi:[0,0,1]
	v_pk_fma_f32 v[8:9], v[28:29], v[16:17], v[8:9] op_sel_hi:[1,0,1]
	s_nop 0
	v_mov_b32_e32 v8, v19
	v_mov_b32_e32 v11, v9
	v_pk_mul_f32 v[8:9], v[30:31], v[8:9] op_sel:[1,0] op_sel_hi:[0,0]
	v_pk_add_f32 v[6:7], v[6:7], v[10:11]
	v_pk_fma_f32 v[10:11], v[30:31], v[18:19], v[8:9] neg_lo:[0,0,1] neg_hi:[0,0,1]
	v_pk_fma_f32 v[8:9], v[30:31], v[18:19], v[8:9] op_sel_hi:[1,0,1]
	s_nop 0
	v_mov_b32_e32 v11, v9
	s_waitcnt vmcnt(1) lgkmcnt(1)
	v_pk_mul_f32 v[8:9], v[32:33], v[20:21] op_sel:[1,1] op_sel_hi:[0,1]
	v_pk_add_f32 v[6:7], v[6:7], v[10:11]
	;; [unrolled: 14-line block ×3, first 2 shown]
	v_pk_fma_f32 v[10:11], v[4:5], v[38:39], v[8:9] neg_lo:[0,0,1] neg_hi:[0,0,1]
	v_pk_fma_f32 v[4:5], v[4:5], v[38:39], v[8:9] op_sel_hi:[1,0,1]
	s_nop 0
	v_mov_b32_e32 v11, v5
	v_pk_add_f32 v[4:5], v[6:7], v[10:11]
	scratch_load_dwordx2 v[6:7], off, off offset:256
	s_waitcnt vmcnt(0)
	v_pk_add_f32 v[4:5], v[6:7], v[4:5] neg_lo:[0,1] neg_hi:[0,1]
	scratch_store_dwordx2 off, v[4:5], off offset:256
	s_and_saveexec_b64 s[0:1], vcc
	s_cbranch_execz .LBB105_203
; %bb.202:
	scratch_load_dwordx2 v[4:5], off, off offset:248
	v_mov_b32_e32 v3, v2
	scratch_store_dwordx2 off, v[2:3], off offset:248
	s_waitcnt vmcnt(1)
	ds_write_b64 v1, v[4:5]
.LBB105_203:
	s_or_b64 exec, exec, s[0:1]
	s_waitcnt lgkmcnt(0)
	; wave barrier
	ds_read_b128 v[4:7], v2 offset:592
	ds_read_b128 v[8:11], v2 offset:608
	ds_read_b128 v[12:15], v2 offset:624
	ds_read_b128 v[16:19], v2 offset:640
	scratch_load_dwordx4 v[20:23], off, off offset:256
	scratch_load_dwordx4 v[24:27], off, off offset:272
	;; [unrolled: 1-line block ×5, first 2 shown]
	v_cmp_lt_u32_e32 vcc, 30, v0
	s_waitcnt vmcnt(4) lgkmcnt(3)
	v_mul_f32_e32 v41, v4, v21
	v_mul_f32_e32 v3, v5, v21
	v_fmac_f32_e32 v41, v5, v20
	v_mul_f32_e32 v43, v6, v23
	v_fma_f32 v40, v4, v20, -v3
	v_mul_f32_e32 v3, v7, v23
	s_waitcnt vmcnt(3) lgkmcnt(2)
	v_pk_mul_f32 v[20:21], v[8:9], v[24:25] op_sel:[1,1] op_sel_hi:[0,1]
	v_fmac_f32_e32 v43, v7, v22
	v_fma_f32 v42, v6, v22, -v3
	v_pk_fma_f32 v[22:23], v[8:9], v[24:25], v[20:21] neg_lo:[0,0,1] neg_hi:[0,0,1]
	v_pk_fma_f32 v[8:9], v[8:9], v[24:25], v[20:21] op_sel_hi:[1,0,1]
	v_pk_add_f32 v[6:7], v[40:41], 0 op_sel_hi:[1,0]
	v_mov_b32_e32 v8, v27
	v_mov_b32_e32 v23, v9
	v_pk_mul_f32 v[8:9], v[10:11], v[8:9] op_sel:[1,0] op_sel_hi:[0,0]
	v_pk_fma_f32 v[20:21], v[10:11], v[26:27], v[8:9] neg_lo:[0,0,1] neg_hi:[0,0,1]
	v_pk_fma_f32 v[8:9], v[10:11], v[26:27], v[8:9] op_sel_hi:[1,0,1]
	v_pk_add_f32 v[6:7], v[6:7], v[42:43]
	v_mov_b32_e32 v21, v9
	s_waitcnt vmcnt(2) lgkmcnt(1)
	v_pk_mul_f32 v[8:9], v[12:13], v[28:29] op_sel:[1,1] op_sel_hi:[0,1]
	v_pk_fma_f32 v[10:11], v[12:13], v[28:29], v[8:9] neg_lo:[0,0,1] neg_hi:[0,0,1]
	v_pk_fma_f32 v[8:9], v[12:13], v[28:29], v[8:9] op_sel_hi:[1,0,1]
	v_pk_add_f32 v[6:7], v[6:7], v[22:23]
	v_mov_b32_e32 v8, v31
	v_pk_add_f32 v[6:7], v[6:7], v[20:21]
	v_mov_b32_e32 v11, v9
	v_pk_mul_f32 v[8:9], v[14:15], v[8:9] op_sel:[1,0] op_sel_hi:[0,0]
	v_pk_add_f32 v[6:7], v[6:7], v[10:11]
	v_pk_fma_f32 v[10:11], v[14:15], v[30:31], v[8:9] neg_lo:[0,0,1] neg_hi:[0,0,1]
	v_pk_fma_f32 v[8:9], v[14:15], v[30:31], v[8:9] op_sel_hi:[1,0,1]
	ds_read_b128 v[2:5], v2 offset:656
	v_mov_b32_e32 v11, v9
	s_waitcnt vmcnt(1) lgkmcnt(1)
	v_pk_mul_f32 v[8:9], v[16:17], v[32:33] op_sel:[1,1] op_sel_hi:[0,1]
	v_pk_add_f32 v[6:7], v[6:7], v[10:11]
	v_pk_fma_f32 v[10:11], v[16:17], v[32:33], v[8:9] neg_lo:[0,0,1] neg_hi:[0,0,1]
	v_pk_fma_f32 v[8:9], v[16:17], v[32:33], v[8:9] op_sel_hi:[1,0,1]
	s_nop 0
	v_mov_b32_e32 v8, v35
	v_mov_b32_e32 v11, v9
	v_pk_mul_f32 v[8:9], v[18:19], v[8:9] op_sel:[1,0] op_sel_hi:[0,0]
	v_pk_add_f32 v[6:7], v[6:7], v[10:11]
	v_pk_fma_f32 v[10:11], v[18:19], v[34:35], v[8:9] neg_lo:[0,0,1] neg_hi:[0,0,1]
	v_pk_fma_f32 v[8:9], v[18:19], v[34:35], v[8:9] op_sel_hi:[1,0,1]
	s_nop 0
	v_mov_b32_e32 v11, v9
	s_waitcnt vmcnt(0) lgkmcnt(0)
	v_pk_mul_f32 v[8:9], v[2:3], v[36:37] op_sel:[1,1] op_sel_hi:[0,1]
	v_pk_add_f32 v[6:7], v[6:7], v[10:11]
	v_pk_fma_f32 v[10:11], v[2:3], v[36:37], v[8:9] neg_lo:[0,0,1] neg_hi:[0,0,1]
	v_pk_fma_f32 v[2:3], v[2:3], v[36:37], v[8:9] op_sel_hi:[1,0,1]
	s_nop 0
	v_mov_b32_e32 v11, v3
	v_pk_add_f32 v[2:3], v[6:7], v[10:11]
	v_mov_b32_e32 v6, v39
	v_pk_mul_f32 v[6:7], v[4:5], v[6:7] op_sel:[1,0] op_sel_hi:[0,0]
	v_pk_fma_f32 v[8:9], v[4:5], v[38:39], v[6:7] neg_lo:[0,0,1] neg_hi:[0,0,1]
	v_pk_fma_f32 v[4:5], v[4:5], v[38:39], v[6:7] op_sel_hi:[1,0,1]
	s_nop 0
	v_mov_b32_e32 v9, v5
	scratch_load_dwordx2 v[4:5], off, off offset:248
	v_pk_add_f32 v[2:3], v[2:3], v[8:9]
	s_waitcnt vmcnt(0)
	v_pk_add_f32 v[2:3], v[4:5], v[2:3] neg_lo:[0,1] neg_hi:[0,1]
	scratch_store_dwordx2 off, v[2:3], off offset:248
	s_and_saveexec_b64 s[0:1], vcc
	s_cbranch_execz .LBB105_205
; %bb.204:
	scratch_load_dwordx2 v[2:3], off, off offset:240
	v_mov_b32_e32 v4, 0
	v_mov_b32_e32 v5, v4
	scratch_store_dwordx2 off, v[4:5], off offset:240
	s_waitcnt vmcnt(1)
	ds_write_b64 v1, v[2:3]
.LBB105_205:
	s_or_b64 exec, exec, s[0:1]
	s_waitcnt lgkmcnt(0)
	; wave barrier
	scratch_load_dwordx4 v[8:11], off, off offset:248
	scratch_load_dwordx4 v[16:19], off, off offset:264
	v_mov_b32_e32 v2, 0
	ds_read2_b64 v[4:7], v2 offset0:73 offset1:74
	ds_read2_b64 v[12:15], v2 offset0:75 offset1:76
	scratch_load_dwordx4 v[20:23], off, off offset:280
	scratch_load_dwordx4 v[24:27], off, off offset:296
	;; [unrolled: 1-line block ×3, first 2 shown]
	scratch_load_dwordx2 v[42:43], off, off offset:328
	v_cmp_lt_u32_e32 vcc, 29, v0
	s_waitcnt vmcnt(5) lgkmcnt(1)
	v_mul_f32_e32 v3, v4, v9
	v_fmac_f32_e32 v3, v5, v8
	v_add_f32_e32 v37, 0, v3
	v_mul_f32_e32 v3, v5, v9
	v_fma_f32 v3, v4, v8, -v3
	v_mul_f32_e32 v39, v6, v11
	v_add_f32_e32 v36, 0, v3
	v_mul_f32_e32 v3, v7, v11
	v_fmac_f32_e32 v39, v7, v10
	s_waitcnt vmcnt(4) lgkmcnt(0)
	v_mul_f32_e32 v41, v12, v17
	v_fma_f32 v38, v6, v10, -v3
	v_mul_f32_e32 v3, v13, v17
	v_fmac_f32_e32 v41, v13, v16
	v_fma_f32 v40, v12, v16, -v3
	v_pk_add_f32 v[16:17], v[36:37], v[38:39]
	v_mov_b32_e32 v36, v19
	v_pk_mul_f32 v[36:37], v[14:15], v[36:37] op_sel:[1,0] op_sel_hi:[0,0]
	ds_read2_b64 v[4:7], v2 offset0:77 offset1:78
	ds_read2_b64 v[8:11], v2 offset0:79 offset1:80
	;; [unrolled: 1-line block ×3, first 2 shown]
	ds_read_b64 v[12:13], v2 offset:664
	v_pk_fma_f32 v[38:39], v[14:15], v[18:19], v[36:37] neg_lo:[0,0,1] neg_hi:[0,0,1]
	v_pk_fma_f32 v[14:15], v[14:15], v[18:19], v[36:37] op_sel_hi:[1,0,1]
	v_pk_add_f32 v[16:17], v[16:17], v[40:41]
	v_mov_b32_e32 v39, v15
	v_pk_add_f32 v[14:15], v[16:17], v[38:39]
	s_waitcnt vmcnt(3) lgkmcnt(3)
	v_pk_mul_f32 v[16:17], v[4:5], v[20:21] op_sel:[1,1] op_sel_hi:[0,1]
	v_pk_fma_f32 v[18:19], v[4:5], v[20:21], v[16:17] neg_lo:[0,0,1] neg_hi:[0,0,1]
	v_pk_fma_f32 v[4:5], v[4:5], v[20:21], v[16:17] op_sel_hi:[1,0,1]
	s_nop 0
	v_mov_b32_e32 v19, v5
	v_pk_add_f32 v[4:5], v[14:15], v[18:19]
	v_mov_b32_e32 v14, v23
	v_pk_mul_f32 v[14:15], v[6:7], v[14:15] op_sel:[1,0] op_sel_hi:[0,0]
	v_pk_fma_f32 v[16:17], v[6:7], v[22:23], v[14:15] neg_lo:[0,0,1] neg_hi:[0,0,1]
	v_pk_fma_f32 v[6:7], v[6:7], v[22:23], v[14:15] op_sel_hi:[1,0,1]
	s_nop 0
	v_mov_b32_e32 v17, v7
	s_waitcnt vmcnt(2) lgkmcnt(2)
	v_pk_mul_f32 v[6:7], v[8:9], v[24:25] op_sel:[1,1] op_sel_hi:[0,1]
	v_pk_fma_f32 v[14:15], v[8:9], v[24:25], v[6:7] neg_lo:[0,0,1] neg_hi:[0,0,1]
	v_pk_fma_f32 v[6:7], v[8:9], v[24:25], v[6:7] op_sel_hi:[1,0,1]
	v_pk_add_f32 v[4:5], v[4:5], v[16:17]
	v_mov_b32_e32 v6, v27
	v_mov_b32_e32 v15, v7
	v_pk_mul_f32 v[6:7], v[10:11], v[6:7] op_sel:[1,0] op_sel_hi:[0,0]
	v_pk_fma_f32 v[8:9], v[10:11], v[26:27], v[6:7] neg_lo:[0,0,1] neg_hi:[0,0,1]
	v_pk_fma_f32 v[6:7], v[10:11], v[26:27], v[6:7] op_sel_hi:[1,0,1]
	v_pk_add_f32 v[4:5], v[4:5], v[14:15]
	v_mov_b32_e32 v9, v7
	s_waitcnt vmcnt(1) lgkmcnt(1)
	v_pk_mul_f32 v[6:7], v[32:33], v[28:29] op_sel:[1,1] op_sel_hi:[0,1]
	v_pk_add_f32 v[4:5], v[4:5], v[8:9]
	v_pk_fma_f32 v[8:9], v[32:33], v[28:29], v[6:7] neg_lo:[0,0,1] neg_hi:[0,0,1]
	v_pk_fma_f32 v[6:7], v[32:33], v[28:29], v[6:7] op_sel_hi:[1,0,1]
	s_nop 0
	v_mov_b32_e32 v6, v31
	v_mov_b32_e32 v9, v7
	v_pk_mul_f32 v[6:7], v[34:35], v[6:7] op_sel:[1,0] op_sel_hi:[0,0]
	v_pk_add_f32 v[4:5], v[4:5], v[8:9]
	v_pk_fma_f32 v[8:9], v[34:35], v[30:31], v[6:7] neg_lo:[0,0,1] neg_hi:[0,0,1]
	v_pk_fma_f32 v[6:7], v[34:35], v[30:31], v[6:7] op_sel_hi:[1,0,1]
	s_nop 0
	v_mov_b32_e32 v9, v7
	s_waitcnt vmcnt(0) lgkmcnt(0)
	v_pk_mul_f32 v[6:7], v[12:13], v[42:43] op_sel:[1,1] op_sel_hi:[0,1]
	v_pk_add_f32 v[4:5], v[4:5], v[8:9]
	v_pk_fma_f32 v[8:9], v[12:13], v[42:43], v[6:7] neg_lo:[0,0,1] neg_hi:[0,0,1]
	v_pk_fma_f32 v[6:7], v[12:13], v[42:43], v[6:7] op_sel_hi:[1,0,1]
	s_nop 0
	v_mov_b32_e32 v9, v7
	scratch_load_dwordx2 v[6:7], off, off offset:240
	v_pk_add_f32 v[4:5], v[4:5], v[8:9]
	s_waitcnt vmcnt(0)
	v_pk_add_f32 v[4:5], v[6:7], v[4:5] neg_lo:[0,1] neg_hi:[0,1]
	scratch_store_dwordx2 off, v[4:5], off offset:240
	s_and_saveexec_b64 s[0:1], vcc
	s_cbranch_execz .LBB105_207
; %bb.206:
	scratch_load_dwordx2 v[4:5], off, off offset:232
	v_mov_b32_e32 v3, v2
	scratch_store_dwordx2 off, v[2:3], off offset:232
	s_waitcnt vmcnt(1)
	ds_write_b64 v1, v[4:5]
.LBB105_207:
	s_or_b64 exec, exec, s[0:1]
	s_waitcnt lgkmcnt(0)
	; wave barrier
	scratch_load_dwordx4 v[4:7], off, off offset:240
	scratch_load_dwordx4 v[8:11], off, off offset:256
	;; [unrolled: 1-line block ×6, first 2 shown]
	scratch_load_dwordx2 v[52:53], off, off offset:232
	ds_read_b128 v[28:31], v2 offset:576
	ds_read_b128 v[32:35], v2 offset:592
	;; [unrolled: 1-line block ×6, first 2 shown]
	v_cmp_lt_u32_e32 vcc, 28, v0
	s_waitcnt vmcnt(6) lgkmcnt(5)
	v_mul_f32_e32 v59, v28, v5
	v_mul_f32_e32 v63, v30, v7
	s_waitcnt vmcnt(5) lgkmcnt(4)
	v_mul_f32_e32 v3, v32, v9
	v_mul_f32_e32 v2, v29, v5
	;; [unrolled: 1-line block ×4, first 2 shown]
	s_waitcnt vmcnt(1) lgkmcnt(0)
	v_pk_mul_f32 v[68:69], v[48:49], v[24:25] op_sel:[1,1] op_sel_hi:[0,1]
	v_pk_mul_f32 v[56:57], v[36:37], v[12:13] op_sel:[1,1] op_sel_hi:[0,1]
	v_fmac_f32_e32 v59, v29, v4
	v_fmac_f32_e32 v3, v33, v8
	v_fma_f32 v67, v28, v4, -v2
	v_fma_f32 v2, v32, v8, -v7
	v_pk_fma_f32 v[32:33], v[48:49], v[24:25], v[68:69] neg_lo:[0,0,1] neg_hi:[0,0,1]
	v_pk_fma_f32 v[24:25], v[48:49], v[24:25], v[68:69] op_sel_hi:[1,0,1]
	v_fmac_f32_e32 v63, v31, v6
	v_fma_f32 v71, v30, v6, -v5
	v_pk_fma_f32 v[4:5], v[36:37], v[12:13], v[56:57] neg_lo:[0,0,1] neg_hi:[0,0,1]
	v_pk_fma_f32 v[6:7], v[36:37], v[12:13], v[56:57] op_sel_hi:[1,0,1]
	v_add_f32_e32 v24, 0, v59
	v_add_f32_e32 v36, 0, v67
	v_mul_f32_e32 v55, v34, v11
	v_mul_f32_e32 v9, v35, v11
	v_mov_b32_e32 v58, v15
	v_mov_b32_e32 v33, v25
	v_add_f32_e32 v25, v24, v63
	v_add_f32_e32 v24, v36, v71
	v_fmac_f32_e32 v55, v35, v10
	v_fma_f32 v54, v34, v10, -v9
	v_pk_mul_f32 v[8:9], v[38:39], v[58:59] op_sel:[1,0] op_sel_hi:[0,0]
	v_pk_add_f32 v[2:3], v[24:25], v[2:3]
	v_pk_mul_f32 v[60:61], v[40:41], v[16:17] op_sel:[1,1] op_sel_hi:[0,1]
	v_mov_b32_e32 v62, v19
	v_mov_b32_e32 v5, v7
	v_pk_fma_f32 v[6:7], v[38:39], v[14:15], v[8:9] neg_lo:[0,0,1] neg_hi:[0,0,1]
	v_pk_fma_f32 v[8:9], v[38:39], v[14:15], v[8:9] op_sel_hi:[1,0,1]
	v_pk_add_f32 v[2:3], v[2:3], v[54:55]
	v_pk_fma_f32 v[10:11], v[40:41], v[16:17], v[60:61] neg_lo:[0,0,1] neg_hi:[0,0,1]
	v_pk_fma_f32 v[12:13], v[40:41], v[16:17], v[60:61] op_sel_hi:[1,0,1]
	v_pk_mul_f32 v[16:17], v[42:43], v[62:63] op_sel:[1,0] op_sel_hi:[0,0]
	v_mov_b32_e32 v7, v9
	v_pk_add_f32 v[2:3], v[2:3], v[4:5]
	v_pk_mul_f32 v[64:65], v[44:45], v[20:21] op_sel:[1,1] op_sel_hi:[0,1]
	v_mov_b32_e32 v66, v23
	v_mov_b32_e32 v11, v13
	v_pk_fma_f32 v[12:13], v[42:43], v[18:19], v[16:17] neg_lo:[0,0,1] neg_hi:[0,0,1]
	v_pk_fma_f32 v[14:15], v[42:43], v[18:19], v[16:17] op_sel_hi:[1,0,1]
	v_pk_add_f32 v[2:3], v[2:3], v[6:7]
	v_pk_fma_f32 v[28:29], v[44:45], v[20:21], v[64:65] neg_lo:[0,0,1] neg_hi:[0,0,1]
	v_pk_fma_f32 v[20:21], v[44:45], v[20:21], v[64:65] op_sel_hi:[1,0,1]
	v_pk_mul_f32 v[30:31], v[46:47], v[66:67] op_sel:[1,0] op_sel_hi:[0,0]
	v_mov_b32_e32 v13, v15
	v_pk_add_f32 v[2:3], v[2:3], v[10:11]
	v_mov_b32_e32 v70, v27
	v_mov_b32_e32 v29, v21
	v_pk_fma_f32 v[16:17], v[46:47], v[22:23], v[30:31] neg_lo:[0,0,1] neg_hi:[0,0,1]
	v_pk_fma_f32 v[18:19], v[46:47], v[22:23], v[30:31] op_sel_hi:[1,0,1]
	v_pk_add_f32 v[2:3], v[2:3], v[12:13]
	v_pk_mul_f32 v[34:35], v[50:51], v[70:71] op_sel:[1,0] op_sel_hi:[0,0]
	v_mov_b32_e32 v17, v19
	v_pk_add_f32 v[2:3], v[2:3], v[28:29]
	v_pk_fma_f32 v[20:21], v[50:51], v[26:27], v[34:35] neg_lo:[0,0,1] neg_hi:[0,0,1]
	v_pk_fma_f32 v[22:23], v[50:51], v[26:27], v[34:35] op_sel_hi:[1,0,1]
	v_pk_add_f32 v[2:3], v[2:3], v[16:17]
	v_mov_b32_e32 v21, v23
	v_pk_add_f32 v[2:3], v[2:3], v[32:33]
	s_nop 0
	v_pk_add_f32 v[2:3], v[2:3], v[20:21]
	s_waitcnt vmcnt(0)
	v_pk_add_f32 v[2:3], v[52:53], v[2:3] neg_lo:[0,1] neg_hi:[0,1]
	scratch_store_dwordx2 off, v[2:3], off offset:232
	s_and_saveexec_b64 s[0:1], vcc
	s_cbranch_execz .LBB105_209
; %bb.208:
	scratch_load_dwordx2 v[2:3], off, off offset:224
	v_mov_b32_e32 v4, 0
	v_mov_b32_e32 v5, v4
	scratch_store_dwordx2 off, v[4:5], off offset:224
	s_waitcnt vmcnt(1)
	ds_write_b64 v1, v[2:3]
.LBB105_209:
	s_or_b64 exec, exec, s[0:1]
	s_waitcnt lgkmcnt(0)
	; wave barrier
	scratch_load_dwordx4 v[4:7], off, off offset:232
	scratch_load_dwordx4 v[8:11], off, off offset:248
	;; [unrolled: 1-line block ×6, first 2 shown]
	scratch_load_dwordx2 v[52:53], off, off offset:328
	scratch_load_dwordx2 v[54:55], off, off offset:224
	v_mov_b32_e32 v2, 0
	ds_read2_b64 v[28:31], v2 offset0:71 offset1:72
	ds_read2_b64 v[32:35], v2 offset0:73 offset1:74
	;; [unrolled: 1-line block ×6, first 2 shown]
	ds_read_b64 v[56:57], v2 offset:664
	v_cmp_lt_u32_e32 vcc, 27, v0
	s_waitcnt vmcnt(7) lgkmcnt(6)
	v_mul_f32_e32 v63, v30, v7
	v_mul_f32_e32 v3, v28, v5
	s_waitcnt vmcnt(5) lgkmcnt(4)
	v_mul_f32_e32 v61, v36, v13
	v_mul_f32_e32 v5, v29, v5
	v_mov_b32_e32 v62, v15
	s_waitcnt vmcnt(2) lgkmcnt(1)
	v_pk_mul_f32 v[72:73], v[48:49], v[24:25] op_sel:[1,1] op_sel_hi:[0,1]
	v_fmac_f32_e32 v63, v31, v6
	v_mul_f32_e32 v7, v31, v7
	v_mul_f32_e32 v13, v37, v13
	v_fmac_f32_e32 v3, v29, v4
	v_fmac_f32_e32 v61, v37, v12
	v_fma_f32 v37, v28, v4, -v5
	v_pk_mul_f32 v[4:5], v[38:39], v[62:63] op_sel:[1,0] op_sel_hi:[0,0]
	v_pk_fma_f32 v[28:29], v[48:49], v[24:25], v[72:73] neg_lo:[0,0,1] neg_hi:[0,0,1]
	v_pk_fma_f32 v[24:25], v[48:49], v[24:25], v[72:73] op_sel_hi:[1,0,1]
	v_mul_f32_e32 v67, v32, v9
	v_mul_f32_e32 v9, v33, v9
	v_fma_f32 v71, v30, v6, -v7
	v_fma_f32 v60, v36, v12, -v13
	v_add_f32_e32 v3, 0, v3
	v_add_f32_e32 v24, 0, v37
	v_pk_fma_f32 v[36:37], v[38:39], v[14:15], v[4:5] neg_lo:[0,0,1] neg_hi:[0,0,1]
	v_pk_fma_f32 v[4:5], v[38:39], v[14:15], v[4:5] op_sel_hi:[1,0,1]
	v_mul_f32_e32 v59, v34, v11
	v_mul_f32_e32 v11, v35, v11
	v_fmac_f32_e32 v67, v33, v8
	v_fma_f32 v75, v32, v8, -v9
	v_add_f32_e32 v3, v3, v63
	v_add_f32_e32 v4, v24, v71
	v_fmac_f32_e32 v59, v35, v10
	v_fma_f32 v58, v34, v10, -v11
	v_mov_b32_e32 v37, v5
	v_add_f32_e32 v5, v3, v67
	v_add_f32_e32 v4, v4, v75
	v_pk_mul_f32 v[64:65], v[40:41], v[16:17] op_sel:[1,1] op_sel_hi:[0,1]
	v_mov_b32_e32 v66, v19
	v_pk_add_f32 v[4:5], v[4:5], v[58:59]
	v_pk_fma_f32 v[6:7], v[40:41], v[16:17], v[64:65] neg_lo:[0,0,1] neg_hi:[0,0,1]
	v_pk_fma_f32 v[8:9], v[40:41], v[16:17], v[64:65] op_sel_hi:[1,0,1]
	v_pk_mul_f32 v[10:11], v[42:43], v[66:67] op_sel:[1,0] op_sel_hi:[0,0]
	v_pk_add_f32 v[4:5], v[4:5], v[60:61]
	v_pk_mul_f32 v[68:69], v[44:45], v[20:21] op_sel:[1,1] op_sel_hi:[0,1]
	v_mov_b32_e32 v70, v23
	v_mov_b32_e32 v7, v9
	v_pk_fma_f32 v[8:9], v[42:43], v[18:19], v[10:11] neg_lo:[0,0,1] neg_hi:[0,0,1]
	v_pk_fma_f32 v[10:11], v[42:43], v[18:19], v[10:11] op_sel_hi:[1,0,1]
	v_pk_add_f32 v[4:5], v[4:5], v[36:37]
	v_pk_fma_f32 v[12:13], v[44:45], v[20:21], v[68:69] neg_lo:[0,0,1] neg_hi:[0,0,1]
	v_pk_fma_f32 v[16:17], v[44:45], v[20:21], v[68:69] op_sel_hi:[1,0,1]
	v_pk_mul_f32 v[20:21], v[46:47], v[70:71] op_sel:[1,0] op_sel_hi:[0,0]
	v_mov_b32_e32 v9, v11
	v_pk_add_f32 v[4:5], v[4:5], v[6:7]
	v_mov_b32_e32 v74, v27
	v_mov_b32_e32 v13, v17
	v_pk_fma_f32 v[14:15], v[46:47], v[22:23], v[20:21] neg_lo:[0,0,1] neg_hi:[0,0,1]
	v_pk_fma_f32 v[16:17], v[46:47], v[22:23], v[20:21] op_sel_hi:[1,0,1]
	v_pk_add_f32 v[4:5], v[4:5], v[8:9]
	v_pk_mul_f32 v[30:31], v[50:51], v[74:75] op_sel:[1,0] op_sel_hi:[0,0]
	v_mov_b32_e32 v15, v17
	v_pk_add_f32 v[4:5], v[4:5], v[12:13]
	s_waitcnt vmcnt(1) lgkmcnt(0)
	v_pk_mul_f32 v[76:77], v[56:57], v[52:53] op_sel:[1,1] op_sel_hi:[0,1]
	v_mov_b32_e32 v29, v25
	v_pk_fma_f32 v[18:19], v[50:51], v[26:27], v[30:31] neg_lo:[0,0,1] neg_hi:[0,0,1]
	v_pk_fma_f32 v[20:21], v[50:51], v[26:27], v[30:31] op_sel_hi:[1,0,1]
	v_pk_add_f32 v[4:5], v[4:5], v[14:15]
	v_pk_fma_f32 v[32:33], v[56:57], v[52:53], v[76:77] neg_lo:[0,0,1] neg_hi:[0,0,1]
	v_pk_fma_f32 v[34:35], v[56:57], v[52:53], v[76:77] op_sel_hi:[1,0,1]
	v_mov_b32_e32 v19, v21
	v_pk_add_f32 v[4:5], v[4:5], v[28:29]
	v_mov_b32_e32 v33, v35
	v_pk_add_f32 v[4:5], v[4:5], v[18:19]
	s_nop 0
	v_pk_add_f32 v[4:5], v[4:5], v[32:33]
	s_waitcnt vmcnt(0)
	v_pk_add_f32 v[4:5], v[54:55], v[4:5] neg_lo:[0,1] neg_hi:[0,1]
	scratch_store_dwordx2 off, v[4:5], off offset:224
	s_and_saveexec_b64 s[0:1], vcc
	s_cbranch_execz .LBB105_211
; %bb.210:
	scratch_load_dwordx2 v[4:5], off, off offset:216
	v_mov_b32_e32 v3, v2
	scratch_store_dwordx2 off, v[2:3], off offset:216
	s_waitcnt vmcnt(1)
	ds_write_b64 v1, v[4:5]
.LBB105_211:
	s_or_b64 exec, exec, s[0:1]
	s_waitcnt lgkmcnt(0)
	; wave barrier
	scratch_load_dwordx4 v[4:7], off, off offset:224
	scratch_load_dwordx4 v[8:11], off, off offset:240
	;; [unrolled: 1-line block ×7, first 2 shown]
	ds_read_b128 v[32:35], v2 offset:560
	ds_read_b128 v[36:39], v2 offset:576
	;; [unrolled: 1-line block ×6, first 2 shown]
	scratch_load_dwordx2 v[60:61], off, off offset:216
	ds_read_b128 v[56:59], v2 offset:656
	v_cmp_lt_u32_e32 vcc, 26, v0
	s_waitcnt vmcnt(7) lgkmcnt(6)
	v_mul_f32_e32 v67, v32, v5
	v_mul_f32_e32 v71, v34, v7
	s_waitcnt vmcnt(6) lgkmcnt(5)
	v_mul_f32_e32 v75, v36, v9
	v_mul_f32_e32 v79, v38, v11
	s_waitcnt vmcnt(5) lgkmcnt(4)
	v_mul_f32_e32 v3, v40, v13
	v_mul_f32_e32 v63, v42, v15
	v_mul_f32_e32 v2, v33, v5
	v_mul_f32_e32 v5, v35, v7
	;; [unrolled: 1-line block ×6, first 2 shown]
	s_waitcnt vmcnt(4) lgkmcnt(3)
	v_pk_mul_f32 v[64:65], v[44:45], v[16:17] op_sel:[1,1] op_sel_hi:[0,1]
	v_mov_b32_e32 v66, v19
	s_waitcnt vmcnt(3) lgkmcnt(2)
	v_pk_mul_f32 v[68:69], v[48:49], v[20:21] op_sel:[1,1] op_sel_hi:[0,1]
	v_mov_b32_e32 v70, v23
	s_waitcnt vmcnt(1) lgkmcnt(0)
	v_pk_mul_f32 v[76:77], v[56:57], v[28:29] op_sel:[1,1] op_sel_hi:[0,1]
	v_fmac_f32_e32 v67, v33, v4
	v_fmac_f32_e32 v71, v35, v6
	;; [unrolled: 1-line block ×6, first 2 shown]
	v_fma_f32 v37, v32, v4, -v2
	v_fma_f32 v39, v34, v6, -v5
	;; [unrolled: 1-line block ×6, first 2 shown]
	v_pk_fma_f32 v[4:5], v[44:45], v[16:17], v[64:65] neg_lo:[0,0,1] neg_hi:[0,0,1]
	v_pk_fma_f32 v[6:7], v[44:45], v[16:17], v[64:65] op_sel_hi:[1,0,1]
	v_pk_mul_f32 v[8:9], v[46:47], v[66:67] op_sel:[1,0] op_sel_hi:[0,0]
	v_pk_fma_f32 v[10:11], v[48:49], v[20:21], v[68:69] neg_lo:[0,0,1] neg_hi:[0,0,1]
	v_pk_fma_f32 v[12:13], v[48:49], v[20:21], v[68:69] op_sel_hi:[1,0,1]
	v_pk_mul_f32 v[14:15], v[50:51], v[70:71] op_sel:[1,0] op_sel_hi:[0,0]
	v_pk_fma_f32 v[32:33], v[56:57], v[28:29], v[76:77] neg_lo:[0,0,1] neg_hi:[0,0,1]
	v_pk_fma_f32 v[28:29], v[56:57], v[28:29], v[76:77] op_sel_hi:[1,0,1]
	v_add_f32_e32 v37, 0, v37
	v_add_f32_e32 v28, 0, v67
	v_mov_b32_e32 v5, v7
	v_pk_fma_f32 v[6:7], v[46:47], v[18:19], v[8:9] neg_lo:[0,0,1] neg_hi:[0,0,1]
	v_pk_fma_f32 v[8:9], v[46:47], v[18:19], v[8:9] op_sel_hi:[1,0,1]
	v_mov_b32_e32 v11, v13
	v_pk_fma_f32 v[12:13], v[50:51], v[22:23], v[14:15] neg_lo:[0,0,1] neg_hi:[0,0,1]
	v_pk_fma_f32 v[14:15], v[50:51], v[22:23], v[14:15] op_sel_hi:[1,0,1]
	v_add_f32_e32 v8, v28, v71
	v_add_f32_e32 v14, v37, v39
	;; [unrolled: 1-line block ×4, first 2 shown]
	v_mov_b32_e32 v7, v9
	v_add_f32_e32 v9, v8, v79
	v_add_f32_e32 v8, v14, v38
	v_pk_add_f32 v[2:3], v[8:9], v[2:3]
	v_pk_mul_f32 v[72:73], v[52:53], v[24:25] op_sel:[1,1] op_sel_hi:[0,1]
	v_pk_add_f32 v[2:3], v[2:3], v[62:63]
	v_mov_b32_e32 v74, v27
	v_pk_add_f32 v[2:3], v[2:3], v[4:5]
	v_pk_fma_f32 v[16:17], v[52:53], v[24:25], v[72:73] neg_lo:[0,0,1] neg_hi:[0,0,1]
	v_pk_add_f32 v[2:3], v[2:3], v[6:7]
	v_pk_fma_f32 v[20:21], v[52:53], v[24:25], v[72:73] op_sel_hi:[1,0,1]
	v_pk_mul_f32 v[24:25], v[54:55], v[74:75] op_sel:[1,0] op_sel_hi:[0,0]
	v_mov_b32_e32 v13, v15
	v_pk_add_f32 v[2:3], v[2:3], v[10:11]
	v_mov_b32_e32 v78, v31
	v_mov_b32_e32 v17, v21
	v_pk_fma_f32 v[18:19], v[54:55], v[26:27], v[24:25] neg_lo:[0,0,1] neg_hi:[0,0,1]
	v_pk_fma_f32 v[20:21], v[54:55], v[26:27], v[24:25] op_sel_hi:[1,0,1]
	v_pk_add_f32 v[2:3], v[2:3], v[12:13]
	v_pk_mul_f32 v[34:35], v[58:59], v[78:79] op_sel:[1,0] op_sel_hi:[0,0]
	v_mov_b32_e32 v19, v21
	v_pk_add_f32 v[2:3], v[2:3], v[16:17]
	v_mov_b32_e32 v33, v29
	v_pk_fma_f32 v[22:23], v[58:59], v[30:31], v[34:35] neg_lo:[0,0,1] neg_hi:[0,0,1]
	v_pk_fma_f32 v[24:25], v[58:59], v[30:31], v[34:35] op_sel_hi:[1,0,1]
	v_pk_add_f32 v[2:3], v[2:3], v[18:19]
	v_mov_b32_e32 v23, v25
	v_pk_add_f32 v[2:3], v[2:3], v[32:33]
	s_nop 0
	v_pk_add_f32 v[2:3], v[2:3], v[22:23]
	s_waitcnt vmcnt(0)
	v_pk_add_f32 v[2:3], v[60:61], v[2:3] neg_lo:[0,1] neg_hi:[0,1]
	scratch_store_dwordx2 off, v[2:3], off offset:216
	s_and_saveexec_b64 s[0:1], vcc
	s_cbranch_execz .LBB105_213
; %bb.212:
	scratch_load_dwordx2 v[2:3], off, off offset:208
	v_mov_b32_e32 v4, 0
	v_mov_b32_e32 v5, v4
	scratch_store_dwordx2 off, v[4:5], off offset:208
	s_waitcnt vmcnt(1)
	ds_write_b64 v1, v[2:3]
.LBB105_213:
	s_or_b64 exec, exec, s[0:1]
	s_waitcnt lgkmcnt(0)
	; wave barrier
	scratch_load_dwordx4 v[4:7], off, off offset:216
	scratch_load_dwordx4 v[8:11], off, off offset:232
	;; [unrolled: 1-line block ×7, first 2 shown]
	scratch_load_dwordx2 v[60:61], off, off offset:328
	scratch_load_dwordx2 v[62:63], off, off offset:208
	v_mov_b32_e32 v2, 0
	ds_read2_b64 v[32:35], v2 offset0:69 offset1:70
	ds_read2_b64 v[36:39], v2 offset0:71 offset1:72
	ds_read2_b64 v[40:43], v2 offset0:73 offset1:74
	ds_read2_b64 v[44:47], v2 offset0:75 offset1:76
	ds_read2_b64 v[48:51], v2 offset0:77 offset1:78
	ds_read2_b64 v[52:55], v2 offset0:79 offset1:80
	ds_read2_b64 v[56:59], v2 offset0:81 offset1:82
	ds_read_b64 v[64:65], v2 offset:664
	v_cmp_lt_u32_e32 vcc, 25, v0
	s_waitcnt vmcnt(8) lgkmcnt(7)
	v_mul_f32_e32 v71, v34, v7
	v_mul_f32_e32 v3, v32, v5
	s_waitcnt vmcnt(7) lgkmcnt(6)
	v_mul_f32_e32 v75, v36, v9
	s_waitcnt vmcnt(6) lgkmcnt(5)
	v_mul_f32_e32 v83, v40, v13
	v_mul_f32_e32 v67, v42, v15
	;; [unrolled: 1-line block ×5, first 2 shown]
	s_waitcnt vmcnt(5)
	v_mov_b32_e32 v70, v19
	s_waitcnt vmcnt(3) lgkmcnt(2)
	v_pk_mul_f32 v[76:77], v[52:53], v[24:25] op_sel:[1,1] op_sel_hi:[0,1]
	s_waitcnt vmcnt(2) lgkmcnt(1)
	v_pk_mul_f32 v[80:81], v[56:57], v[28:29] op_sel:[1,1] op_sel_hi:[0,1]
	v_fmac_f32_e32 v71, v35, v6
	v_mul_f32_e32 v7, v35, v7
	v_mul_f32_e32 v9, v37, v9
	v_fmac_f32_e32 v3, v33, v4
	v_fmac_f32_e32 v75, v37, v8
	v_fmac_f32_e32 v83, v41, v12
	v_fmac_f32_e32 v67, v43, v14
	v_fma_f32 v32, v32, v4, -v5
	v_fma_f32 v37, v40, v12, -v13
	;; [unrolled: 1-line block ×3, first 2 shown]
	v_pk_mul_f32 v[4:5], v[46:47], v[70:71] op_sel:[1,0] op_sel_hi:[0,0]
	v_pk_fma_f32 v[12:13], v[52:53], v[24:25], v[76:77] neg_lo:[0,0,1] neg_hi:[0,0,1]
	v_pk_fma_f32 v[14:15], v[52:53], v[24:25], v[76:77] op_sel_hi:[1,0,1]
	v_pk_fma_f32 v[24:25], v[56:57], v[28:29], v[80:81] op_sel_hi:[1,0,1]
	v_fma_f32 v34, v34, v6, -v7
	v_add_f32_e32 v3, 0, v3
	v_add_f32_e32 v24, 0, v32
	v_pk_fma_f32 v[32:33], v[46:47], v[18:19], v[4:5] neg_lo:[0,0,1] neg_hi:[0,0,1]
	v_pk_fma_f32 v[4:5], v[46:47], v[18:19], v[4:5] op_sel_hi:[1,0,1]
	v_mul_f32_e32 v79, v38, v11
	v_mul_f32_e32 v11, v39, v11
	v_fma_f32 v35, v36, v8, -v9
	v_add_f32_e32 v3, v3, v71
	v_add_f32_e32 v4, v24, v34
	v_fmac_f32_e32 v79, v39, v10
	v_fma_f32 v36, v38, v10, -v11
	v_add_f32_e32 v3, v3, v75
	v_add_f32_e32 v4, v4, v35
	;; [unrolled: 1-line block ×4, first 2 shown]
	v_mul_f32_e32 v69, v44, v17
	v_mul_f32_e32 v17, v45, v17
	v_mov_b32_e32 v33, v5
	v_add_f32_e32 v5, v3, v83
	v_add_f32_e32 v4, v4, v37
	v_pk_mul_f32 v[72:73], v[48:49], v[20:21] op_sel:[1,1] op_sel_hi:[0,1]
	v_mov_b32_e32 v74, v23
	v_fmac_f32_e32 v69, v45, v16
	v_fma_f32 v68, v44, v16, -v17
	v_pk_add_f32 v[4:5], v[4:5], v[66:67]
	v_pk_fma_f32 v[6:7], v[48:49], v[20:21], v[72:73] neg_lo:[0,0,1] neg_hi:[0,0,1]
	v_pk_fma_f32 v[8:9], v[48:49], v[20:21], v[72:73] op_sel_hi:[1,0,1]
	v_pk_mul_f32 v[10:11], v[50:51], v[74:75] op_sel:[1,0] op_sel_hi:[0,0]
	v_pk_add_f32 v[4:5], v[4:5], v[68:69]
	v_mov_b32_e32 v78, v27
	v_mov_b32_e32 v7, v9
	v_pk_fma_f32 v[8:9], v[50:51], v[22:23], v[10:11] neg_lo:[0,0,1] neg_hi:[0,0,1]
	v_pk_fma_f32 v[10:11], v[50:51], v[22:23], v[10:11] op_sel_hi:[1,0,1]
	v_pk_add_f32 v[4:5], v[4:5], v[32:33]
	v_pk_mul_f32 v[16:17], v[54:55], v[78:79] op_sel:[1,0] op_sel_hi:[0,0]
	v_mov_b32_e32 v9, v11
	v_pk_add_f32 v[4:5], v[4:5], v[6:7]
	v_mov_b32_e32 v82, v31
	v_mov_b32_e32 v13, v15
	v_pk_fma_f32 v[14:15], v[54:55], v[26:27], v[16:17] neg_lo:[0,0,1] neg_hi:[0,0,1]
	v_pk_fma_f32 v[16:17], v[54:55], v[26:27], v[16:17] op_sel_hi:[1,0,1]
	v_pk_add_f32 v[4:5], v[4:5], v[8:9]
	v_pk_fma_f32 v[20:21], v[56:57], v[28:29], v[80:81] neg_lo:[0,0,1] neg_hi:[0,0,1]
	v_pk_mul_f32 v[28:29], v[58:59], v[82:83] op_sel:[1,0] op_sel_hi:[0,0]
	v_mov_b32_e32 v15, v17
	v_pk_add_f32 v[4:5], v[4:5], v[12:13]
	v_mov_b32_e32 v21, v25
	v_pk_add_f32 v[4:5], v[4:5], v[14:15]
	v_pk_fma_f32 v[6:7], v[58:59], v[30:31], v[28:29] neg_lo:[0,0,1] neg_hi:[0,0,1]
	v_pk_fma_f32 v[8:9], v[58:59], v[30:31], v[28:29] op_sel_hi:[1,0,1]
	v_pk_add_f32 v[4:5], v[4:5], v[20:21]
	v_mov_b32_e32 v7, v9
	v_pk_add_f32 v[4:5], v[4:5], v[6:7]
	s_waitcnt vmcnt(1) lgkmcnt(0)
	v_pk_mul_f32 v[6:7], v[64:65], v[60:61] op_sel:[1,1] op_sel_hi:[0,1]
	v_pk_fma_f32 v[8:9], v[64:65], v[60:61], v[6:7] neg_lo:[0,0,1] neg_hi:[0,0,1]
	v_pk_fma_f32 v[6:7], v[64:65], v[60:61], v[6:7] op_sel_hi:[1,0,1]
	s_nop 0
	v_mov_b32_e32 v9, v7
	v_pk_add_f32 v[4:5], v[4:5], v[8:9]
	s_waitcnt vmcnt(0)
	v_pk_add_f32 v[4:5], v[62:63], v[4:5] neg_lo:[0,1] neg_hi:[0,1]
	scratch_store_dwordx2 off, v[4:5], off offset:208
	s_and_saveexec_b64 s[0:1], vcc
	s_cbranch_execz .LBB105_215
; %bb.214:
	scratch_load_dwordx2 v[4:5], off, off offset:200
	v_mov_b32_e32 v3, v2
	scratch_store_dwordx2 off, v[2:3], off offset:200
	s_waitcnt vmcnt(1)
	ds_write_b64 v1, v[4:5]
.LBB105_215:
	s_or_b64 exec, exec, s[0:1]
	s_waitcnt lgkmcnt(0)
	; wave barrier
	ds_read_b128 v[4:7], v2 offset:544
	ds_read_b128 v[8:11], v2 offset:560
	;; [unrolled: 1-line block ×4, first 2 shown]
	scratch_load_dwordx4 v[20:23], off, off offset:208
	v_cmp_lt_u32_e32 vcc, 24, v0
	s_waitcnt vmcnt(0) lgkmcnt(3)
	v_mul_f32_e32 v3, v4, v21
	v_fmac_f32_e32 v3, v5, v20
	v_mul_f32_e32 v24, v6, v23
	v_add_f32_e32 v3, 0, v3
	v_fmac_f32_e32 v24, v7, v22
	v_add_f32_e32 v3, v3, v24
	scratch_load_dwordx4 v[24:27], off, off offset:224
	s_waitcnt vmcnt(0) lgkmcnt(2)
	v_mul_f32_e32 v28, v8, v25
	v_fmac_f32_e32 v28, v9, v24
	v_add_f32_e32 v3, v3, v28
	v_mul_f32_e32 v28, v10, v27
	v_fmac_f32_e32 v28, v11, v26
	v_add_f32_e32 v3, v3, v28
	scratch_load_dwordx4 v[28:31], off, off offset:240
	s_waitcnt vmcnt(0) lgkmcnt(1)
	v_mul_f32_e32 v32, v12, v29
	v_fmac_f32_e32 v32, v13, v28
	v_add_f32_e32 v3, v3, v32
	v_mul_f32_e32 v32, v14, v31
	v_fmac_f32_e32 v32, v15, v30
	v_add_f32_e32 v53, v3, v32
	scratch_load_dwordx4 v[32:35], off, off offset:256
	scratch_load_dwordx4 v[36:39], off, off offset:272
	scratch_load_dwordx4 v[40:43], off, off offset:288
	scratch_load_dwordx4 v[44:47], off, off offset:304
	scratch_load_dwordx4 v[48:51], off, off offset:320
	v_mul_f32_e32 v3, v5, v21
	v_fma_f32 v3, v4, v20, -v3
	v_mul_f32_e32 v4, v7, v23
	v_add_f32_e32 v3, 0, v3
	v_fma_f32 v4, v6, v22, -v4
	v_add_f32_e32 v3, v3, v4
	v_mul_f32_e32 v4, v9, v25
	v_fma_f32 v4, v8, v24, -v4
	v_add_f32_e32 v3, v3, v4
	v_mul_f32_e32 v4, v11, v27
	;; [unrolled: 3-line block ×4, first 2 shown]
	v_fma_f32 v4, v14, v30, -v4
	v_add_f32_e32 v52, v3, v4
	s_waitcnt vmcnt(4) lgkmcnt(0)
	v_mul_f32_e32 v3, v17, v33
	v_mul_f32_e32 v55, v16, v33
	;; [unrolled: 1-line block ×3, first 2 shown]
	v_fma_f32 v54, v16, v32, -v3
	v_mul_f32_e32 v3, v19, v35
	v_fmac_f32_e32 v55, v17, v32
	v_fmac_f32_e32 v57, v19, v34
	v_fma_f32 v56, v18, v34, -v3
	ds_read_b128 v[4:7], v2 offset:608
	ds_read_b128 v[8:11], v2 offset:624
	;; [unrolled: 1-line block ×4, first 2 shown]
	v_pk_add_f32 v[2:3], v[52:53], v[54:55]
	s_waitcnt vmcnt(3) lgkmcnt(3)
	v_pk_mul_f32 v[20:21], v[4:5], v[36:37] op_sel:[1,1] op_sel_hi:[0,1]
	v_pk_fma_f32 v[22:23], v[4:5], v[36:37], v[20:21] neg_lo:[0,0,1] neg_hi:[0,0,1]
	v_pk_fma_f32 v[4:5], v[4:5], v[36:37], v[20:21] op_sel_hi:[1,0,1]
	v_pk_add_f32 v[2:3], v[2:3], v[56:57]
	v_mov_b32_e32 v4, v39
	v_mov_b32_e32 v23, v5
	v_pk_mul_f32 v[4:5], v[6:7], v[4:5] op_sel:[1,0] op_sel_hi:[0,0]
	v_pk_fma_f32 v[20:21], v[6:7], v[38:39], v[4:5] neg_lo:[0,0,1] neg_hi:[0,0,1]
	v_pk_fma_f32 v[4:5], v[6:7], v[38:39], v[4:5] op_sel_hi:[1,0,1]
	v_pk_add_f32 v[2:3], v[2:3], v[22:23]
	v_mov_b32_e32 v21, v5
	s_waitcnt vmcnt(2) lgkmcnt(2)
	v_pk_mul_f32 v[4:5], v[8:9], v[40:41] op_sel:[1,1] op_sel_hi:[0,1]
	v_pk_fma_f32 v[6:7], v[8:9], v[40:41], v[4:5] neg_lo:[0,0,1] neg_hi:[0,0,1]
	v_pk_fma_f32 v[4:5], v[8:9], v[40:41], v[4:5] op_sel_hi:[1,0,1]
	v_pk_add_f32 v[2:3], v[2:3], v[20:21]
	v_mov_b32_e32 v4, v43
	v_mov_b32_e32 v7, v5
	v_pk_mul_f32 v[4:5], v[10:11], v[4:5] op_sel:[1,0] op_sel_hi:[0,0]
	v_pk_add_f32 v[2:3], v[2:3], v[6:7]
	v_pk_fma_f32 v[6:7], v[10:11], v[42:43], v[4:5] neg_lo:[0,0,1] neg_hi:[0,0,1]
	v_pk_fma_f32 v[4:5], v[10:11], v[42:43], v[4:5] op_sel_hi:[1,0,1]
	s_nop 0
	v_mov_b32_e32 v7, v5
	s_waitcnt vmcnt(1) lgkmcnt(1)
	v_pk_mul_f32 v[4:5], v[12:13], v[44:45] op_sel:[1,1] op_sel_hi:[0,1]
	v_pk_add_f32 v[2:3], v[2:3], v[6:7]
	v_pk_fma_f32 v[6:7], v[12:13], v[44:45], v[4:5] neg_lo:[0,0,1] neg_hi:[0,0,1]
	v_pk_fma_f32 v[4:5], v[12:13], v[44:45], v[4:5] op_sel_hi:[1,0,1]
	s_nop 0
	v_mov_b32_e32 v4, v47
	v_mov_b32_e32 v7, v5
	v_pk_mul_f32 v[4:5], v[14:15], v[4:5] op_sel:[1,0] op_sel_hi:[0,0]
	v_pk_add_f32 v[2:3], v[2:3], v[6:7]
	v_pk_fma_f32 v[6:7], v[14:15], v[46:47], v[4:5] neg_lo:[0,0,1] neg_hi:[0,0,1]
	v_pk_fma_f32 v[4:5], v[14:15], v[46:47], v[4:5] op_sel_hi:[1,0,1]
	s_nop 0
	v_mov_b32_e32 v7, v5
	s_waitcnt vmcnt(0) lgkmcnt(0)
	v_pk_mul_f32 v[4:5], v[16:17], v[48:49] op_sel:[1,1] op_sel_hi:[0,1]
	v_pk_add_f32 v[2:3], v[2:3], v[6:7]
	v_pk_fma_f32 v[6:7], v[16:17], v[48:49], v[4:5] neg_lo:[0,0,1] neg_hi:[0,0,1]
	v_pk_fma_f32 v[4:5], v[16:17], v[48:49], v[4:5] op_sel_hi:[1,0,1]
	s_nop 0
	v_mov_b32_e32 v4, v51
	v_mov_b32_e32 v7, v5
	v_pk_mul_f32 v[4:5], v[18:19], v[4:5] op_sel:[1,0] op_sel_hi:[0,0]
	v_pk_add_f32 v[2:3], v[2:3], v[6:7]
	v_pk_fma_f32 v[6:7], v[18:19], v[50:51], v[4:5] neg_lo:[0,0,1] neg_hi:[0,0,1]
	v_pk_fma_f32 v[4:5], v[18:19], v[50:51], v[4:5] op_sel_hi:[1,0,1]
	s_nop 0
	v_mov_b32_e32 v7, v5
	scratch_load_dwordx2 v[4:5], off, off offset:200
	v_pk_add_f32 v[2:3], v[2:3], v[6:7]
	s_waitcnt vmcnt(0)
	v_pk_add_f32 v[2:3], v[4:5], v[2:3] neg_lo:[0,1] neg_hi:[0,1]
	scratch_store_dwordx2 off, v[2:3], off offset:200
	s_and_saveexec_b64 s[0:1], vcc
	s_cbranch_execz .LBB105_217
; %bb.216:
	scratch_load_dwordx2 v[2:3], off, off offset:192
	v_mov_b32_e32 v4, 0
	v_mov_b32_e32 v5, v4
	scratch_store_dwordx2 off, v[4:5], off offset:192
	s_waitcnt vmcnt(1)
	ds_write_b64 v1, v[2:3]
.LBB105_217:
	s_or_b64 exec, exec, s[0:1]
	s_waitcnt lgkmcnt(0)
	; wave barrier
	scratch_load_dwordx4 v[8:11], off, off offset:200
	scratch_load_dwordx4 v[16:19], off, off offset:216
	;; [unrolled: 1-line block ×4, first 2 shown]
	v_mov_b32_e32 v2, 0
	ds_read2_b64 v[4:7], v2 offset0:67 offset1:68
	scratch_load_dwordx4 v[40:43], off, off offset:264
	v_cmp_lt_u32_e32 vcc, 23, v0
	s_waitcnt vmcnt(4) lgkmcnt(0)
	v_mul_f32_e32 v3, v4, v9
	v_fmac_f32_e32 v3, v5, v8
	v_mul_f32_e32 v12, v6, v11
	v_add_f32_e32 v3, 0, v3
	v_fmac_f32_e32 v12, v7, v10
	v_add_f32_e32 v3, v3, v12
	ds_read2_b64 v[12:15], v2 offset0:69 offset1:70
	s_waitcnt vmcnt(3) lgkmcnt(0)
	v_mul_f32_e32 v20, v12, v17
	v_fmac_f32_e32 v20, v13, v16
	v_add_f32_e32 v3, v3, v20
	v_mul_f32_e32 v20, v14, v19
	v_fmac_f32_e32 v20, v15, v18
	v_add_f32_e32 v3, v3, v20
	ds_read2_b64 v[20:23], v2 offset0:71 offset1:72
	s_waitcnt vmcnt(2) lgkmcnt(0)
	v_mul_f32_e32 v28, v20, v25
	v_fmac_f32_e32 v28, v21, v24
	v_add_f32_e32 v3, v3, v28
	v_mul_f32_e32 v28, v22, v27
	v_fmac_f32_e32 v28, v23, v26
	v_add_f32_e32 v3, v3, v28
	ds_read2_b64 v[28:31], v2 offset0:73 offset1:74
	s_waitcnt vmcnt(1) lgkmcnt(0)
	v_mul_f32_e32 v36, v28, v33
	v_fmac_f32_e32 v36, v29, v32
	v_add_f32_e32 v57, v3, v36
	ds_read2_b64 v[36:39], v2 offset0:75 offset1:76
	scratch_load_dwordx4 v[44:47], off, off offset:280
	scratch_load_dwordx4 v[48:51], off, off offset:296
	;; [unrolled: 1-line block ×3, first 2 shown]
	scratch_load_dwordx2 v[62:63], off, off offset:328
	v_mul_f32_e32 v3, v5, v9
	v_fma_f32 v3, v4, v8, -v3
	v_mul_f32_e32 v4, v7, v11
	v_add_f32_e32 v3, 0, v3
	v_fma_f32 v4, v6, v10, -v4
	v_add_f32_e32 v3, v3, v4
	v_mul_f32_e32 v4, v13, v17
	v_fma_f32 v4, v12, v16, -v4
	v_add_f32_e32 v3, v3, v4
	v_mul_f32_e32 v4, v15, v19
	;; [unrolled: 3-line block ×5, first 2 shown]
	v_fma_f32 v4, v28, v32, -v4
	v_mul_f32_e32 v59, v30, v35
	v_add_f32_e32 v56, v3, v4
	v_mul_f32_e32 v3, v31, v35
	s_waitcnt vmcnt(4)
	v_mov_b32_e32 v20, v43
	v_fmac_f32_e32 v59, v31, v34
	s_waitcnt lgkmcnt(0)
	v_mul_f32_e32 v61, v36, v41
	v_fma_f32 v58, v30, v34, -v3
	v_mul_f32_e32 v3, v37, v41
	ds_read2_b64 v[4:7], v2 offset0:77 offset1:78
	ds_read2_b64 v[8:11], v2 offset0:79 offset1:80
	ds_read2_b64 v[12:15], v2 offset0:81 offset1:82
	ds_read_b64 v[16:17], v2 offset:664
	v_pk_mul_f32 v[20:21], v[38:39], v[20:21] op_sel:[1,0] op_sel_hi:[0,0]
	v_fmac_f32_e32 v61, v37, v40
	v_fma_f32 v60, v36, v40, -v3
	v_pk_add_f32 v[18:19], v[56:57], v[58:59]
	v_pk_fma_f32 v[22:23], v[38:39], v[42:43], v[20:21] neg_lo:[0,0,1] neg_hi:[0,0,1]
	v_pk_fma_f32 v[20:21], v[38:39], v[42:43], v[20:21] op_sel_hi:[1,0,1]
	v_pk_add_f32 v[18:19], v[18:19], v[60:61]
	v_mov_b32_e32 v23, v21
	v_pk_add_f32 v[18:19], v[18:19], v[22:23]
	s_waitcnt vmcnt(3) lgkmcnt(3)
	v_pk_mul_f32 v[20:21], v[4:5], v[44:45] op_sel:[1,1] op_sel_hi:[0,1]
	v_pk_fma_f32 v[22:23], v[4:5], v[44:45], v[20:21] neg_lo:[0,0,1] neg_hi:[0,0,1]
	v_pk_fma_f32 v[4:5], v[4:5], v[44:45], v[20:21] op_sel_hi:[1,0,1]
	s_nop 0
	v_mov_b32_e32 v23, v5
	v_pk_add_f32 v[4:5], v[18:19], v[22:23]
	v_mov_b32_e32 v18, v47
	v_pk_mul_f32 v[18:19], v[6:7], v[18:19] op_sel:[1,0] op_sel_hi:[0,0]
	v_pk_fma_f32 v[20:21], v[6:7], v[46:47], v[18:19] neg_lo:[0,0,1] neg_hi:[0,0,1]
	v_pk_fma_f32 v[6:7], v[6:7], v[46:47], v[18:19] op_sel_hi:[1,0,1]
	s_nop 0
	v_mov_b32_e32 v21, v7
	s_waitcnt vmcnt(2) lgkmcnt(2)
	v_pk_mul_f32 v[6:7], v[8:9], v[48:49] op_sel:[1,1] op_sel_hi:[0,1]
	v_pk_fma_f32 v[18:19], v[8:9], v[48:49], v[6:7] neg_lo:[0,0,1] neg_hi:[0,0,1]
	v_pk_fma_f32 v[6:7], v[8:9], v[48:49], v[6:7] op_sel_hi:[1,0,1]
	v_pk_add_f32 v[4:5], v[4:5], v[20:21]
	v_mov_b32_e32 v6, v51
	v_mov_b32_e32 v19, v7
	v_pk_mul_f32 v[6:7], v[10:11], v[6:7] op_sel:[1,0] op_sel_hi:[0,0]
	v_pk_fma_f32 v[8:9], v[10:11], v[50:51], v[6:7] neg_lo:[0,0,1] neg_hi:[0,0,1]
	v_pk_fma_f32 v[6:7], v[10:11], v[50:51], v[6:7] op_sel_hi:[1,0,1]
	v_pk_add_f32 v[4:5], v[4:5], v[18:19]
	v_mov_b32_e32 v9, v7
	s_waitcnt vmcnt(1) lgkmcnt(1)
	v_pk_mul_f32 v[6:7], v[12:13], v[52:53] op_sel:[1,1] op_sel_hi:[0,1]
	v_pk_add_f32 v[4:5], v[4:5], v[8:9]
	v_pk_fma_f32 v[8:9], v[12:13], v[52:53], v[6:7] neg_lo:[0,0,1] neg_hi:[0,0,1]
	v_pk_fma_f32 v[6:7], v[12:13], v[52:53], v[6:7] op_sel_hi:[1,0,1]
	s_nop 0
	v_mov_b32_e32 v6, v55
	v_mov_b32_e32 v9, v7
	v_pk_mul_f32 v[6:7], v[14:15], v[6:7] op_sel:[1,0] op_sel_hi:[0,0]
	v_pk_add_f32 v[4:5], v[4:5], v[8:9]
	v_pk_fma_f32 v[8:9], v[14:15], v[54:55], v[6:7] neg_lo:[0,0,1] neg_hi:[0,0,1]
	v_pk_fma_f32 v[6:7], v[14:15], v[54:55], v[6:7] op_sel_hi:[1,0,1]
	s_nop 0
	v_mov_b32_e32 v9, v7
	s_waitcnt vmcnt(0) lgkmcnt(0)
	v_pk_mul_f32 v[6:7], v[16:17], v[62:63] op_sel:[1,1] op_sel_hi:[0,1]
	v_pk_add_f32 v[4:5], v[4:5], v[8:9]
	v_pk_fma_f32 v[8:9], v[16:17], v[62:63], v[6:7] neg_lo:[0,0,1] neg_hi:[0,0,1]
	v_pk_fma_f32 v[6:7], v[16:17], v[62:63], v[6:7] op_sel_hi:[1,0,1]
	s_nop 0
	v_mov_b32_e32 v9, v7
	scratch_load_dwordx2 v[6:7], off, off offset:192
	v_pk_add_f32 v[4:5], v[4:5], v[8:9]
	s_waitcnt vmcnt(0)
	v_pk_add_f32 v[4:5], v[6:7], v[4:5] neg_lo:[0,1] neg_hi:[0,1]
	scratch_store_dwordx2 off, v[4:5], off offset:192
	s_and_saveexec_b64 s[0:1], vcc
	s_cbranch_execz .LBB105_219
; %bb.218:
	scratch_load_dwordx2 v[4:5], off, off offset:184
	v_mov_b32_e32 v3, v2
	scratch_store_dwordx2 off, v[2:3], off offset:184
	s_waitcnt vmcnt(1)
	ds_write_b64 v1, v[4:5]
.LBB105_219:
	s_or_b64 exec, exec, s[0:1]
	s_waitcnt lgkmcnt(0)
	; wave barrier
	ds_read_b128 v[4:7], v2 offset:528
	ds_read_b128 v[8:11], v2 offset:544
	;; [unrolled: 1-line block ×4, first 2 shown]
	scratch_load_dwordx4 v[20:23], off, off offset:192
	scratch_load_dwordx4 v[40:43], off, off offset:256
	v_cmp_lt_u32_e32 vcc, 22, v0
	s_waitcnt vmcnt(1) lgkmcnt(3)
	v_mul_f32_e32 v3, v4, v21
	v_fmac_f32_e32 v3, v5, v20
	v_mul_f32_e32 v24, v6, v23
	v_add_f32_e32 v3, 0, v3
	v_fmac_f32_e32 v24, v7, v22
	v_add_f32_e32 v3, v3, v24
	scratch_load_dwordx4 v[24:27], off, off offset:208
	s_waitcnt vmcnt(0) lgkmcnt(2)
	v_mul_f32_e32 v28, v8, v25
	v_fmac_f32_e32 v28, v9, v24
	v_add_f32_e32 v3, v3, v28
	v_mul_f32_e32 v28, v10, v27
	v_fmac_f32_e32 v28, v11, v26
	v_add_f32_e32 v3, v3, v28
	scratch_load_dwordx4 v[28:31], off, off offset:224
	s_waitcnt vmcnt(0) lgkmcnt(1)
	v_mul_f32_e32 v32, v12, v29
	v_fmac_f32_e32 v32, v13, v28
	v_add_f32_e32 v3, v3, v32
	v_mul_f32_e32 v32, v14, v31
	;; [unrolled: 8-line block ×3, first 2 shown]
	v_fmac_f32_e32 v36, v19, v34
	v_add_f32_e32 v61, v3, v36
	ds_read_b128 v[36:39], v2 offset:592
	scratch_load_dwordx4 v[44:47], off, off offset:272
	scratch_load_dwordx4 v[48:51], off, off offset:288
	;; [unrolled: 1-line block ×4, first 2 shown]
	v_mul_f32_e32 v3, v5, v21
	v_fma_f32 v3, v4, v20, -v3
	v_mul_f32_e32 v4, v7, v23
	v_add_f32_e32 v3, 0, v3
	v_fma_f32 v4, v6, v22, -v4
	v_add_f32_e32 v3, v3, v4
	v_mul_f32_e32 v4, v9, v25
	v_fma_f32 v4, v8, v24, -v4
	v_add_f32_e32 v3, v3, v4
	v_mul_f32_e32 v4, v11, v27
	;; [unrolled: 3-line block ×6, first 2 shown]
	v_fma_f32 v4, v18, v34, -v4
	v_add_f32_e32 v60, v3, v4
	ds_read_b128 v[4:7], v2 offset:608
	ds_read_b128 v[8:11], v2 offset:624
	;; [unrolled: 1-line block ×4, first 2 shown]
	s_waitcnt lgkmcnt(4)
	v_mul_f32_e32 v63, v36, v41
	v_mul_f32_e32 v3, v37, v41
	v_fmac_f32_e32 v63, v37, v40
	v_mul_f32_e32 v65, v38, v43
	v_fma_f32 v62, v36, v40, -v3
	v_mul_f32_e32 v3, v39, v43
	v_fmac_f32_e32 v65, v39, v42
	v_fma_f32 v64, v38, v42, -v3
	v_pk_add_f32 v[2:3], v[60:61], v[62:63]
	s_waitcnt vmcnt(3) lgkmcnt(3)
	v_pk_mul_f32 v[20:21], v[4:5], v[44:45] op_sel:[1,1] op_sel_hi:[0,1]
	v_pk_fma_f32 v[22:23], v[4:5], v[44:45], v[20:21] neg_lo:[0,0,1] neg_hi:[0,0,1]
	v_pk_fma_f32 v[4:5], v[4:5], v[44:45], v[20:21] op_sel_hi:[1,0,1]
	v_pk_add_f32 v[2:3], v[2:3], v[64:65]
	v_mov_b32_e32 v4, v47
	v_mov_b32_e32 v23, v5
	v_pk_mul_f32 v[4:5], v[6:7], v[4:5] op_sel:[1,0] op_sel_hi:[0,0]
	v_pk_fma_f32 v[20:21], v[6:7], v[46:47], v[4:5] neg_lo:[0,0,1] neg_hi:[0,0,1]
	v_pk_fma_f32 v[4:5], v[6:7], v[46:47], v[4:5] op_sel_hi:[1,0,1]
	v_pk_add_f32 v[2:3], v[2:3], v[22:23]
	v_mov_b32_e32 v21, v5
	s_waitcnt vmcnt(2) lgkmcnt(2)
	v_pk_mul_f32 v[4:5], v[8:9], v[48:49] op_sel:[1,1] op_sel_hi:[0,1]
	v_pk_fma_f32 v[6:7], v[8:9], v[48:49], v[4:5] neg_lo:[0,0,1] neg_hi:[0,0,1]
	v_pk_fma_f32 v[4:5], v[8:9], v[48:49], v[4:5] op_sel_hi:[1,0,1]
	v_pk_add_f32 v[2:3], v[2:3], v[20:21]
	v_mov_b32_e32 v4, v51
	v_mov_b32_e32 v7, v5
	v_pk_mul_f32 v[4:5], v[10:11], v[4:5] op_sel:[1,0] op_sel_hi:[0,0]
	v_pk_add_f32 v[2:3], v[2:3], v[6:7]
	v_pk_fma_f32 v[6:7], v[10:11], v[50:51], v[4:5] neg_lo:[0,0,1] neg_hi:[0,0,1]
	v_pk_fma_f32 v[4:5], v[10:11], v[50:51], v[4:5] op_sel_hi:[1,0,1]
	s_nop 0
	v_mov_b32_e32 v7, v5
	s_waitcnt vmcnt(1) lgkmcnt(1)
	v_pk_mul_f32 v[4:5], v[12:13], v[52:53] op_sel:[1,1] op_sel_hi:[0,1]
	v_pk_add_f32 v[2:3], v[2:3], v[6:7]
	v_pk_fma_f32 v[6:7], v[12:13], v[52:53], v[4:5] neg_lo:[0,0,1] neg_hi:[0,0,1]
	v_pk_fma_f32 v[4:5], v[12:13], v[52:53], v[4:5] op_sel_hi:[1,0,1]
	s_nop 0
	v_mov_b32_e32 v4, v55
	v_mov_b32_e32 v7, v5
	v_pk_mul_f32 v[4:5], v[14:15], v[4:5] op_sel:[1,0] op_sel_hi:[0,0]
	v_pk_add_f32 v[2:3], v[2:3], v[6:7]
	v_pk_fma_f32 v[6:7], v[14:15], v[54:55], v[4:5] neg_lo:[0,0,1] neg_hi:[0,0,1]
	v_pk_fma_f32 v[4:5], v[14:15], v[54:55], v[4:5] op_sel_hi:[1,0,1]
	s_nop 0
	v_mov_b32_e32 v7, v5
	s_waitcnt vmcnt(0) lgkmcnt(0)
	v_pk_mul_f32 v[4:5], v[16:17], v[56:57] op_sel:[1,1] op_sel_hi:[0,1]
	v_pk_add_f32 v[2:3], v[2:3], v[6:7]
	v_pk_fma_f32 v[6:7], v[16:17], v[56:57], v[4:5] neg_lo:[0,0,1] neg_hi:[0,0,1]
	v_pk_fma_f32 v[4:5], v[16:17], v[56:57], v[4:5] op_sel_hi:[1,0,1]
	s_nop 0
	v_mov_b32_e32 v4, v59
	v_mov_b32_e32 v7, v5
	v_pk_mul_f32 v[4:5], v[18:19], v[4:5] op_sel:[1,0] op_sel_hi:[0,0]
	v_pk_add_f32 v[2:3], v[2:3], v[6:7]
	v_pk_fma_f32 v[6:7], v[18:19], v[58:59], v[4:5] neg_lo:[0,0,1] neg_hi:[0,0,1]
	v_pk_fma_f32 v[4:5], v[18:19], v[58:59], v[4:5] op_sel_hi:[1,0,1]
	s_nop 0
	v_mov_b32_e32 v7, v5
	scratch_load_dwordx2 v[4:5], off, off offset:184
	v_pk_add_f32 v[2:3], v[2:3], v[6:7]
	s_waitcnt vmcnt(0)
	v_pk_add_f32 v[2:3], v[4:5], v[2:3] neg_lo:[0,1] neg_hi:[0,1]
	scratch_store_dwordx2 off, v[2:3], off offset:184
	s_and_saveexec_b64 s[0:1], vcc
	s_cbranch_execz .LBB105_221
; %bb.220:
	scratch_load_dwordx2 v[2:3], off, off offset:176
	v_mov_b32_e32 v4, 0
	v_mov_b32_e32 v5, v4
	scratch_store_dwordx2 off, v[4:5], off offset:176
	s_waitcnt vmcnt(1)
	ds_write_b64 v1, v[2:3]
.LBB105_221:
	s_or_b64 exec, exec, s[0:1]
	s_waitcnt lgkmcnt(0)
	; wave barrier
	scratch_load_dwordx4 v[8:11], off, off offset:184
	scratch_load_dwordx4 v[16:19], off, off offset:200
	;; [unrolled: 1-line block ×6, first 2 shown]
	v_mov_b32_e32 v2, 0
	ds_read2_b64 v[4:7], v2 offset0:65 offset1:66
	v_cmp_lt_u32_e32 vcc, 21, v0
	s_waitcnt vmcnt(5) lgkmcnt(0)
	v_mul_f32_e32 v3, v4, v9
	v_fmac_f32_e32 v3, v5, v8
	v_mul_f32_e32 v12, v6, v11
	v_add_f32_e32 v3, 0, v3
	v_fmac_f32_e32 v12, v7, v10
	v_add_f32_e32 v3, v3, v12
	ds_read2_b64 v[12:15], v2 offset0:67 offset1:68
	s_waitcnt vmcnt(4) lgkmcnt(0)
	v_mul_f32_e32 v20, v12, v17
	v_fmac_f32_e32 v20, v13, v16
	v_add_f32_e32 v3, v3, v20
	v_mul_f32_e32 v20, v14, v19
	v_fmac_f32_e32 v20, v15, v18
	v_add_f32_e32 v3, v3, v20
	ds_read2_b64 v[20:23], v2 offset0:69 offset1:70
	s_waitcnt vmcnt(3) lgkmcnt(0)
	v_mul_f32_e32 v28, v20, v25
	v_fmac_f32_e32 v28, v21, v24
	v_add_f32_e32 v3, v3, v28
	v_mul_f32_e32 v28, v22, v27
	;; [unrolled: 8-line block ×3, first 2 shown]
	v_fmac_f32_e32 v36, v31, v34
	v_add_f32_e32 v3, v3, v36
	ds_read2_b64 v[36:39], v2 offset0:73 offset1:74
	s_waitcnt vmcnt(1) lgkmcnt(0)
	v_mul_f32_e32 v44, v36, v41
	v_fmac_f32_e32 v44, v37, v40
	v_add_f32_e32 v65, v3, v44
	ds_read2_b64 v[44:47], v2 offset0:75 offset1:76
	scratch_load_dwordx4 v[52:55], off, off offset:280
	scratch_load_dwordx4 v[56:59], off, off offset:296
	scratch_load_dwordx4 v[60:63], off, off offset:312
	scratch_load_dwordx2 v[70:71], off, off offset:328
	v_mul_f32_e32 v3, v5, v9
	v_fma_f32 v3, v4, v8, -v3
	v_mul_f32_e32 v4, v7, v11
	v_add_f32_e32 v3, 0, v3
	v_fma_f32 v4, v6, v10, -v4
	v_add_f32_e32 v3, v3, v4
	v_mul_f32_e32 v4, v13, v17
	v_fma_f32 v4, v12, v16, -v4
	v_add_f32_e32 v3, v3, v4
	v_mul_f32_e32 v4, v15, v19
	;; [unrolled: 3-line block ×7, first 2 shown]
	v_fma_f32 v4, v36, v40, -v4
	v_mul_f32_e32 v67, v38, v43
	v_add_f32_e32 v64, v3, v4
	v_mul_f32_e32 v3, v39, v43
	s_waitcnt vmcnt(4)
	v_mov_b32_e32 v20, v51
	v_fmac_f32_e32 v67, v39, v42
	s_waitcnt lgkmcnt(0)
	v_mul_f32_e32 v69, v44, v49
	v_fma_f32 v66, v38, v42, -v3
	v_mul_f32_e32 v3, v45, v49
	ds_read2_b64 v[4:7], v2 offset0:77 offset1:78
	ds_read2_b64 v[8:11], v2 offset0:79 offset1:80
	;; [unrolled: 1-line block ×3, first 2 shown]
	ds_read_b64 v[16:17], v2 offset:664
	v_pk_mul_f32 v[20:21], v[46:47], v[20:21] op_sel:[1,0] op_sel_hi:[0,0]
	v_fmac_f32_e32 v69, v45, v48
	v_fma_f32 v68, v44, v48, -v3
	v_pk_add_f32 v[18:19], v[64:65], v[66:67]
	v_pk_fma_f32 v[22:23], v[46:47], v[50:51], v[20:21] neg_lo:[0,0,1] neg_hi:[0,0,1]
	v_pk_fma_f32 v[20:21], v[46:47], v[50:51], v[20:21] op_sel_hi:[1,0,1]
	v_pk_add_f32 v[18:19], v[18:19], v[68:69]
	v_mov_b32_e32 v23, v21
	v_pk_add_f32 v[18:19], v[18:19], v[22:23]
	s_waitcnt vmcnt(3) lgkmcnt(3)
	v_pk_mul_f32 v[20:21], v[4:5], v[52:53] op_sel:[1,1] op_sel_hi:[0,1]
	v_pk_fma_f32 v[22:23], v[4:5], v[52:53], v[20:21] neg_lo:[0,0,1] neg_hi:[0,0,1]
	v_pk_fma_f32 v[4:5], v[4:5], v[52:53], v[20:21] op_sel_hi:[1,0,1]
	s_nop 0
	v_mov_b32_e32 v23, v5
	v_pk_add_f32 v[4:5], v[18:19], v[22:23]
	v_mov_b32_e32 v18, v55
	v_pk_mul_f32 v[18:19], v[6:7], v[18:19] op_sel:[1,0] op_sel_hi:[0,0]
	v_pk_fma_f32 v[20:21], v[6:7], v[54:55], v[18:19] neg_lo:[0,0,1] neg_hi:[0,0,1]
	v_pk_fma_f32 v[6:7], v[6:7], v[54:55], v[18:19] op_sel_hi:[1,0,1]
	s_nop 0
	v_mov_b32_e32 v21, v7
	s_waitcnt vmcnt(2) lgkmcnt(2)
	v_pk_mul_f32 v[6:7], v[8:9], v[56:57] op_sel:[1,1] op_sel_hi:[0,1]
	v_pk_fma_f32 v[18:19], v[8:9], v[56:57], v[6:7] neg_lo:[0,0,1] neg_hi:[0,0,1]
	v_pk_fma_f32 v[6:7], v[8:9], v[56:57], v[6:7] op_sel_hi:[1,0,1]
	v_pk_add_f32 v[4:5], v[4:5], v[20:21]
	v_mov_b32_e32 v6, v59
	v_mov_b32_e32 v19, v7
	v_pk_mul_f32 v[6:7], v[10:11], v[6:7] op_sel:[1,0] op_sel_hi:[0,0]
	v_pk_fma_f32 v[8:9], v[10:11], v[58:59], v[6:7] neg_lo:[0,0,1] neg_hi:[0,0,1]
	v_pk_fma_f32 v[6:7], v[10:11], v[58:59], v[6:7] op_sel_hi:[1,0,1]
	v_pk_add_f32 v[4:5], v[4:5], v[18:19]
	v_mov_b32_e32 v9, v7
	s_waitcnt vmcnt(1) lgkmcnt(1)
	v_pk_mul_f32 v[6:7], v[12:13], v[60:61] op_sel:[1,1] op_sel_hi:[0,1]
	v_pk_add_f32 v[4:5], v[4:5], v[8:9]
	v_pk_fma_f32 v[8:9], v[12:13], v[60:61], v[6:7] neg_lo:[0,0,1] neg_hi:[0,0,1]
	v_pk_fma_f32 v[6:7], v[12:13], v[60:61], v[6:7] op_sel_hi:[1,0,1]
	s_nop 0
	v_mov_b32_e32 v6, v63
	v_mov_b32_e32 v9, v7
	v_pk_mul_f32 v[6:7], v[14:15], v[6:7] op_sel:[1,0] op_sel_hi:[0,0]
	v_pk_add_f32 v[4:5], v[4:5], v[8:9]
	v_pk_fma_f32 v[8:9], v[14:15], v[62:63], v[6:7] neg_lo:[0,0,1] neg_hi:[0,0,1]
	v_pk_fma_f32 v[6:7], v[14:15], v[62:63], v[6:7] op_sel_hi:[1,0,1]
	s_nop 0
	v_mov_b32_e32 v9, v7
	s_waitcnt vmcnt(0) lgkmcnt(0)
	v_pk_mul_f32 v[6:7], v[16:17], v[70:71] op_sel:[1,1] op_sel_hi:[0,1]
	v_pk_add_f32 v[4:5], v[4:5], v[8:9]
	v_pk_fma_f32 v[8:9], v[16:17], v[70:71], v[6:7] neg_lo:[0,0,1] neg_hi:[0,0,1]
	v_pk_fma_f32 v[6:7], v[16:17], v[70:71], v[6:7] op_sel_hi:[1,0,1]
	s_nop 0
	v_mov_b32_e32 v9, v7
	scratch_load_dwordx2 v[6:7], off, off offset:176
	v_pk_add_f32 v[4:5], v[4:5], v[8:9]
	s_waitcnt vmcnt(0)
	v_pk_add_f32 v[4:5], v[6:7], v[4:5] neg_lo:[0,1] neg_hi:[0,1]
	scratch_store_dwordx2 off, v[4:5], off offset:176
	s_and_saveexec_b64 s[0:1], vcc
	s_cbranch_execz .LBB105_223
; %bb.222:
	scratch_load_dwordx2 v[4:5], off, off offset:168
	v_mov_b32_e32 v3, v2
	scratch_store_dwordx2 off, v[2:3], off offset:168
	s_waitcnt vmcnt(1)
	ds_write_b64 v1, v[4:5]
.LBB105_223:
	s_or_b64 exec, exec, s[0:1]
	s_waitcnt lgkmcnt(0)
	; wave barrier
	ds_read_b128 v[4:7], v2 offset:512
	ds_read_b128 v[8:11], v2 offset:528
	;; [unrolled: 1-line block ×4, first 2 shown]
	scratch_load_dwordx4 v[20:23], off, off offset:176
	scratch_load_dwordx4 v[40:43], off, off offset:240
	v_cmp_lt_u32_e32 vcc, 20, v0
	scratch_load_dwordx4 v[48:51], off, off offset:256
	s_waitcnt vmcnt(2) lgkmcnt(3)
	v_mul_f32_e32 v3, v4, v21
	v_fmac_f32_e32 v3, v5, v20
	v_mul_f32_e32 v24, v6, v23
	v_add_f32_e32 v3, 0, v3
	v_fmac_f32_e32 v24, v7, v22
	v_add_f32_e32 v3, v3, v24
	scratch_load_dwordx4 v[24:27], off, off offset:192
	s_waitcnt vmcnt(0) lgkmcnt(2)
	v_mul_f32_e32 v28, v8, v25
	v_fmac_f32_e32 v28, v9, v24
	v_add_f32_e32 v3, v3, v28
	v_mul_f32_e32 v28, v10, v27
	v_fmac_f32_e32 v28, v11, v26
	v_add_f32_e32 v3, v3, v28
	scratch_load_dwordx4 v[28:31], off, off offset:208
	s_waitcnt vmcnt(0) lgkmcnt(1)
	v_mul_f32_e32 v32, v12, v29
	v_fmac_f32_e32 v32, v13, v28
	v_add_f32_e32 v3, v3, v32
	v_mul_f32_e32 v32, v14, v31
	;; [unrolled: 8-line block ×3, first 2 shown]
	v_fmac_f32_e32 v36, v19, v34
	v_add_f32_e32 v3, v3, v36
	ds_read_b128 v[36:39], v2 offset:576
	s_waitcnt lgkmcnt(0)
	v_mul_f32_e32 v44, v36, v41
	v_fmac_f32_e32 v44, v37, v40
	v_add_f32_e32 v3, v3, v44
	v_mul_f32_e32 v44, v38, v43
	v_fmac_f32_e32 v44, v39, v42
	v_add_f32_e32 v69, v3, v44
	ds_read_b128 v[44:47], v2 offset:592
	scratch_load_dwordx4 v[52:55], off, off offset:272
	scratch_load_dwordx4 v[56:59], off, off offset:288
	;; [unrolled: 1-line block ×4, first 2 shown]
	v_mul_f32_e32 v3, v5, v21
	v_fma_f32 v3, v4, v20, -v3
	v_mul_f32_e32 v4, v7, v23
	v_add_f32_e32 v3, 0, v3
	v_fma_f32 v4, v6, v22, -v4
	v_add_f32_e32 v3, v3, v4
	v_mul_f32_e32 v4, v9, v25
	v_fma_f32 v4, v8, v24, -v4
	v_add_f32_e32 v3, v3, v4
	v_mul_f32_e32 v4, v11, v27
	;; [unrolled: 3-line block ×8, first 2 shown]
	v_fma_f32 v4, v38, v42, -v4
	v_add_f32_e32 v68, v3, v4
	ds_read_b128 v[4:7], v2 offset:608
	ds_read_b128 v[8:11], v2 offset:624
	;; [unrolled: 1-line block ×4, first 2 shown]
	s_waitcnt lgkmcnt(4)
	v_mul_f32_e32 v71, v44, v49
	v_mul_f32_e32 v3, v45, v49
	v_fmac_f32_e32 v71, v45, v48
	v_mul_f32_e32 v73, v46, v51
	v_fma_f32 v70, v44, v48, -v3
	v_mul_f32_e32 v3, v47, v51
	v_fmac_f32_e32 v73, v47, v50
	v_fma_f32 v72, v46, v50, -v3
	v_pk_add_f32 v[2:3], v[68:69], v[70:71]
	s_waitcnt vmcnt(3) lgkmcnt(3)
	v_pk_mul_f32 v[20:21], v[4:5], v[52:53] op_sel:[1,1] op_sel_hi:[0,1]
	v_pk_fma_f32 v[22:23], v[4:5], v[52:53], v[20:21] neg_lo:[0,0,1] neg_hi:[0,0,1]
	v_pk_fma_f32 v[4:5], v[4:5], v[52:53], v[20:21] op_sel_hi:[1,0,1]
	v_pk_add_f32 v[2:3], v[2:3], v[72:73]
	v_mov_b32_e32 v4, v55
	v_mov_b32_e32 v23, v5
	v_pk_mul_f32 v[4:5], v[6:7], v[4:5] op_sel:[1,0] op_sel_hi:[0,0]
	v_pk_fma_f32 v[20:21], v[6:7], v[54:55], v[4:5] neg_lo:[0,0,1] neg_hi:[0,0,1]
	v_pk_fma_f32 v[4:5], v[6:7], v[54:55], v[4:5] op_sel_hi:[1,0,1]
	v_pk_add_f32 v[2:3], v[2:3], v[22:23]
	v_mov_b32_e32 v21, v5
	s_waitcnt vmcnt(2) lgkmcnt(2)
	v_pk_mul_f32 v[4:5], v[8:9], v[56:57] op_sel:[1,1] op_sel_hi:[0,1]
	v_pk_fma_f32 v[6:7], v[8:9], v[56:57], v[4:5] neg_lo:[0,0,1] neg_hi:[0,0,1]
	v_pk_fma_f32 v[4:5], v[8:9], v[56:57], v[4:5] op_sel_hi:[1,0,1]
	v_pk_add_f32 v[2:3], v[2:3], v[20:21]
	v_mov_b32_e32 v4, v59
	v_mov_b32_e32 v7, v5
	v_pk_mul_f32 v[4:5], v[10:11], v[4:5] op_sel:[1,0] op_sel_hi:[0,0]
	v_pk_add_f32 v[2:3], v[2:3], v[6:7]
	v_pk_fma_f32 v[6:7], v[10:11], v[58:59], v[4:5] neg_lo:[0,0,1] neg_hi:[0,0,1]
	v_pk_fma_f32 v[4:5], v[10:11], v[58:59], v[4:5] op_sel_hi:[1,0,1]
	s_nop 0
	v_mov_b32_e32 v7, v5
	s_waitcnt vmcnt(1) lgkmcnt(1)
	v_pk_mul_f32 v[4:5], v[12:13], v[60:61] op_sel:[1,1] op_sel_hi:[0,1]
	v_pk_add_f32 v[2:3], v[2:3], v[6:7]
	v_pk_fma_f32 v[6:7], v[12:13], v[60:61], v[4:5] neg_lo:[0,0,1] neg_hi:[0,0,1]
	v_pk_fma_f32 v[4:5], v[12:13], v[60:61], v[4:5] op_sel_hi:[1,0,1]
	s_nop 0
	v_mov_b32_e32 v4, v63
	v_mov_b32_e32 v7, v5
	v_pk_mul_f32 v[4:5], v[14:15], v[4:5] op_sel:[1,0] op_sel_hi:[0,0]
	v_pk_add_f32 v[2:3], v[2:3], v[6:7]
	v_pk_fma_f32 v[6:7], v[14:15], v[62:63], v[4:5] neg_lo:[0,0,1] neg_hi:[0,0,1]
	v_pk_fma_f32 v[4:5], v[14:15], v[62:63], v[4:5] op_sel_hi:[1,0,1]
	s_nop 0
	v_mov_b32_e32 v7, v5
	s_waitcnt vmcnt(0) lgkmcnt(0)
	v_pk_mul_f32 v[4:5], v[16:17], v[64:65] op_sel:[1,1] op_sel_hi:[0,1]
	v_pk_add_f32 v[2:3], v[2:3], v[6:7]
	v_pk_fma_f32 v[6:7], v[16:17], v[64:65], v[4:5] neg_lo:[0,0,1] neg_hi:[0,0,1]
	v_pk_fma_f32 v[4:5], v[16:17], v[64:65], v[4:5] op_sel_hi:[1,0,1]
	s_nop 0
	v_mov_b32_e32 v4, v67
	v_mov_b32_e32 v7, v5
	v_pk_mul_f32 v[4:5], v[18:19], v[4:5] op_sel:[1,0] op_sel_hi:[0,0]
	v_pk_add_f32 v[2:3], v[2:3], v[6:7]
	v_pk_fma_f32 v[6:7], v[18:19], v[66:67], v[4:5] neg_lo:[0,0,1] neg_hi:[0,0,1]
	v_pk_fma_f32 v[4:5], v[18:19], v[66:67], v[4:5] op_sel_hi:[1,0,1]
	s_nop 0
	v_mov_b32_e32 v7, v5
	scratch_load_dwordx2 v[4:5], off, off offset:168
	v_pk_add_f32 v[2:3], v[2:3], v[6:7]
	s_waitcnt vmcnt(0)
	v_pk_add_f32 v[2:3], v[4:5], v[2:3] neg_lo:[0,1] neg_hi:[0,1]
	scratch_store_dwordx2 off, v[2:3], off offset:168
	s_and_saveexec_b64 s[0:1], vcc
	s_cbranch_execz .LBB105_225
; %bb.224:
	scratch_load_dwordx2 v[2:3], off, off offset:160
	v_mov_b32_e32 v4, 0
	v_mov_b32_e32 v5, v4
	scratch_store_dwordx2 off, v[4:5], off offset:160
	s_waitcnt vmcnt(1)
	ds_write_b64 v1, v[2:3]
.LBB105_225:
	s_or_b64 exec, exec, s[0:1]
	s_waitcnt lgkmcnt(0)
	; wave barrier
	scratch_load_dwordx4 v[8:11], off, off offset:168
	scratch_load_dwordx4 v[16:19], off, off offset:184
	;; [unrolled: 1-line block ×6, first 2 shown]
	v_mov_b32_e32 v2, 0
	ds_read2_b64 v[4:7], v2 offset0:63 offset1:64
	scratch_load_dwordx4 v[56:59], off, off offset:264
	v_cmp_lt_u32_e32 vcc, 19, v0
	s_waitcnt vmcnt(6) lgkmcnt(0)
	v_mul_f32_e32 v3, v4, v9
	v_fmac_f32_e32 v3, v5, v8
	v_mul_f32_e32 v12, v6, v11
	v_add_f32_e32 v3, 0, v3
	v_fmac_f32_e32 v12, v7, v10
	v_add_f32_e32 v3, v3, v12
	ds_read2_b64 v[12:15], v2 offset0:65 offset1:66
	s_waitcnt vmcnt(5) lgkmcnt(0)
	v_mul_f32_e32 v20, v12, v17
	v_fmac_f32_e32 v20, v13, v16
	v_add_f32_e32 v3, v3, v20
	v_mul_f32_e32 v20, v14, v19
	v_fmac_f32_e32 v20, v15, v18
	v_add_f32_e32 v3, v3, v20
	ds_read2_b64 v[20:23], v2 offset0:67 offset1:68
	s_waitcnt vmcnt(4) lgkmcnt(0)
	v_mul_f32_e32 v28, v20, v25
	v_fmac_f32_e32 v28, v21, v24
	v_add_f32_e32 v3, v3, v28
	v_mul_f32_e32 v28, v22, v27
	;; [unrolled: 8-line block ×4, first 2 shown]
	v_fmac_f32_e32 v44, v39, v42
	v_add_f32_e32 v3, v3, v44
	ds_read2_b64 v[44:47], v2 offset0:73 offset1:74
	s_waitcnt vmcnt(1) lgkmcnt(0)
	v_mul_f32_e32 v52, v44, v49
	v_fmac_f32_e32 v52, v45, v48
	v_add_f32_e32 v73, v3, v52
	ds_read2_b64 v[52:55], v2 offset0:75 offset1:76
	scratch_load_dwordx4 v[60:63], off, off offset:280
	scratch_load_dwordx4 v[64:67], off, off offset:296
	;; [unrolled: 1-line block ×3, first 2 shown]
	scratch_load_dwordx2 v[78:79], off, off offset:328
	v_mul_f32_e32 v3, v5, v9
	v_fma_f32 v3, v4, v8, -v3
	v_mul_f32_e32 v4, v7, v11
	v_add_f32_e32 v3, 0, v3
	v_fma_f32 v4, v6, v10, -v4
	v_add_f32_e32 v3, v3, v4
	v_mul_f32_e32 v4, v13, v17
	v_fma_f32 v4, v12, v16, -v4
	v_add_f32_e32 v3, v3, v4
	v_mul_f32_e32 v4, v15, v19
	;; [unrolled: 3-line block ×9, first 2 shown]
	v_fma_f32 v4, v44, v48, -v4
	v_mul_f32_e32 v75, v46, v51
	v_add_f32_e32 v72, v3, v4
	v_mul_f32_e32 v3, v47, v51
	s_waitcnt vmcnt(4)
	v_mov_b32_e32 v20, v59
	v_fmac_f32_e32 v75, v47, v50
	s_waitcnt lgkmcnt(0)
	v_mul_f32_e32 v77, v52, v57
	v_fma_f32 v74, v46, v50, -v3
	v_mul_f32_e32 v3, v53, v57
	ds_read2_b64 v[4:7], v2 offset0:77 offset1:78
	ds_read2_b64 v[8:11], v2 offset0:79 offset1:80
	;; [unrolled: 1-line block ×3, first 2 shown]
	ds_read_b64 v[16:17], v2 offset:664
	v_pk_mul_f32 v[20:21], v[54:55], v[20:21] op_sel:[1,0] op_sel_hi:[0,0]
	v_fmac_f32_e32 v77, v53, v56
	v_fma_f32 v76, v52, v56, -v3
	v_pk_add_f32 v[18:19], v[72:73], v[74:75]
	v_pk_fma_f32 v[22:23], v[54:55], v[58:59], v[20:21] neg_lo:[0,0,1] neg_hi:[0,0,1]
	v_pk_fma_f32 v[20:21], v[54:55], v[58:59], v[20:21] op_sel_hi:[1,0,1]
	v_pk_add_f32 v[18:19], v[18:19], v[76:77]
	v_mov_b32_e32 v23, v21
	v_pk_add_f32 v[18:19], v[18:19], v[22:23]
	s_waitcnt vmcnt(3) lgkmcnt(3)
	v_pk_mul_f32 v[20:21], v[4:5], v[60:61] op_sel:[1,1] op_sel_hi:[0,1]
	v_pk_fma_f32 v[22:23], v[4:5], v[60:61], v[20:21] neg_lo:[0,0,1] neg_hi:[0,0,1]
	v_pk_fma_f32 v[4:5], v[4:5], v[60:61], v[20:21] op_sel_hi:[1,0,1]
	s_nop 0
	v_mov_b32_e32 v23, v5
	v_pk_add_f32 v[4:5], v[18:19], v[22:23]
	v_mov_b32_e32 v18, v63
	v_pk_mul_f32 v[18:19], v[6:7], v[18:19] op_sel:[1,0] op_sel_hi:[0,0]
	v_pk_fma_f32 v[20:21], v[6:7], v[62:63], v[18:19] neg_lo:[0,0,1] neg_hi:[0,0,1]
	v_pk_fma_f32 v[6:7], v[6:7], v[62:63], v[18:19] op_sel_hi:[1,0,1]
	s_nop 0
	v_mov_b32_e32 v21, v7
	s_waitcnt vmcnt(2) lgkmcnt(2)
	v_pk_mul_f32 v[6:7], v[8:9], v[64:65] op_sel:[1,1] op_sel_hi:[0,1]
	v_pk_fma_f32 v[18:19], v[8:9], v[64:65], v[6:7] neg_lo:[0,0,1] neg_hi:[0,0,1]
	v_pk_fma_f32 v[6:7], v[8:9], v[64:65], v[6:7] op_sel_hi:[1,0,1]
	v_pk_add_f32 v[4:5], v[4:5], v[20:21]
	v_mov_b32_e32 v6, v67
	v_mov_b32_e32 v19, v7
	v_pk_mul_f32 v[6:7], v[10:11], v[6:7] op_sel:[1,0] op_sel_hi:[0,0]
	v_pk_fma_f32 v[8:9], v[10:11], v[66:67], v[6:7] neg_lo:[0,0,1] neg_hi:[0,0,1]
	v_pk_fma_f32 v[6:7], v[10:11], v[66:67], v[6:7] op_sel_hi:[1,0,1]
	v_pk_add_f32 v[4:5], v[4:5], v[18:19]
	v_mov_b32_e32 v9, v7
	s_waitcnt vmcnt(1) lgkmcnt(1)
	v_pk_mul_f32 v[6:7], v[12:13], v[68:69] op_sel:[1,1] op_sel_hi:[0,1]
	v_pk_add_f32 v[4:5], v[4:5], v[8:9]
	v_pk_fma_f32 v[8:9], v[12:13], v[68:69], v[6:7] neg_lo:[0,0,1] neg_hi:[0,0,1]
	v_pk_fma_f32 v[6:7], v[12:13], v[68:69], v[6:7] op_sel_hi:[1,0,1]
	s_nop 0
	v_mov_b32_e32 v6, v71
	v_mov_b32_e32 v9, v7
	v_pk_mul_f32 v[6:7], v[14:15], v[6:7] op_sel:[1,0] op_sel_hi:[0,0]
	v_pk_add_f32 v[4:5], v[4:5], v[8:9]
	v_pk_fma_f32 v[8:9], v[14:15], v[70:71], v[6:7] neg_lo:[0,0,1] neg_hi:[0,0,1]
	v_pk_fma_f32 v[6:7], v[14:15], v[70:71], v[6:7] op_sel_hi:[1,0,1]
	s_nop 0
	v_mov_b32_e32 v9, v7
	s_waitcnt vmcnt(0) lgkmcnt(0)
	v_pk_mul_f32 v[6:7], v[16:17], v[78:79] op_sel:[1,1] op_sel_hi:[0,1]
	v_pk_add_f32 v[4:5], v[4:5], v[8:9]
	v_pk_fma_f32 v[8:9], v[16:17], v[78:79], v[6:7] neg_lo:[0,0,1] neg_hi:[0,0,1]
	v_pk_fma_f32 v[6:7], v[16:17], v[78:79], v[6:7] op_sel_hi:[1,0,1]
	s_nop 0
	v_mov_b32_e32 v9, v7
	scratch_load_dwordx2 v[6:7], off, off offset:160
	v_pk_add_f32 v[4:5], v[4:5], v[8:9]
	s_waitcnt vmcnt(0)
	v_pk_add_f32 v[4:5], v[6:7], v[4:5] neg_lo:[0,1] neg_hi:[0,1]
	scratch_store_dwordx2 off, v[4:5], off offset:160
	s_and_saveexec_b64 s[0:1], vcc
	s_cbranch_execz .LBB105_227
; %bb.226:
	scratch_load_dwordx2 v[4:5], off, off offset:152
	v_mov_b32_e32 v3, v2
	scratch_store_dwordx2 off, v[2:3], off offset:152
	s_waitcnt vmcnt(1)
	ds_write_b64 v1, v[4:5]
.LBB105_227:
	s_or_b64 exec, exec, s[0:1]
	s_waitcnt lgkmcnt(0)
	; wave barrier
	ds_read_b128 v[4:7], v2 offset:496
	ds_read_b128 v[8:11], v2 offset:512
	;; [unrolled: 1-line block ×4, first 2 shown]
	scratch_load_dwordx4 v[20:23], off, off offset:160
	scratch_load_dwordx4 v[40:43], off, off offset:224
	v_cmp_lt_u32_e32 vcc, 18, v0
	scratch_load_dwordx4 v[48:51], off, off offset:240
	scratch_load_dwordx4 v[56:59], off, off offset:256
	s_waitcnt vmcnt(3) lgkmcnt(3)
	v_mul_f32_e32 v3, v4, v21
	v_fmac_f32_e32 v3, v5, v20
	v_mul_f32_e32 v24, v6, v23
	v_add_f32_e32 v3, 0, v3
	v_fmac_f32_e32 v24, v7, v22
	v_add_f32_e32 v3, v3, v24
	scratch_load_dwordx4 v[24:27], off, off offset:176
	s_waitcnt vmcnt(0) lgkmcnt(2)
	v_mul_f32_e32 v28, v8, v25
	v_fmac_f32_e32 v28, v9, v24
	v_add_f32_e32 v3, v3, v28
	v_mul_f32_e32 v28, v10, v27
	v_fmac_f32_e32 v28, v11, v26
	v_add_f32_e32 v3, v3, v28
	scratch_load_dwordx4 v[28:31], off, off offset:192
	s_waitcnt vmcnt(0) lgkmcnt(1)
	v_mul_f32_e32 v32, v12, v29
	v_fmac_f32_e32 v32, v13, v28
	v_add_f32_e32 v3, v3, v32
	v_mul_f32_e32 v32, v14, v31
	v_fmac_f32_e32 v32, v15, v30
	v_add_f32_e32 v3, v3, v32
	scratch_load_dwordx4 v[32:35], off, off offset:208
	s_waitcnt vmcnt(0) lgkmcnt(0)
	v_mul_f32_e32 v36, v16, v33
	v_fmac_f32_e32 v36, v17, v32
	v_add_f32_e32 v3, v3, v36
	v_mul_f32_e32 v36, v18, v35
	v_fmac_f32_e32 v36, v19, v34
	v_add_f32_e32 v3, v3, v36
	ds_read_b128 v[36:39], v2 offset:560
	s_waitcnt lgkmcnt(0)
	v_mul_f32_e32 v44, v36, v41
	v_fmac_f32_e32 v44, v37, v40
	v_add_f32_e32 v3, v3, v44
	v_mul_f32_e32 v44, v38, v43
	v_fmac_f32_e32 v44, v39, v42
	v_add_f32_e32 v3, v3, v44
	ds_read_b128 v[44:47], v2 offset:576
	s_waitcnt lgkmcnt(0)
	v_mul_f32_e32 v52, v44, v49
	v_fmac_f32_e32 v52, v45, v48
	v_add_f32_e32 v3, v3, v52
	v_mul_f32_e32 v52, v46, v51
	v_fmac_f32_e32 v52, v47, v50
	v_add_f32_e32 v77, v3, v52
	ds_read_b128 v[52:55], v2 offset:592
	scratch_load_dwordx4 v[60:63], off, off offset:272
	scratch_load_dwordx4 v[64:67], off, off offset:288
	;; [unrolled: 1-line block ×4, first 2 shown]
	v_mul_f32_e32 v3, v5, v21
	v_fma_f32 v3, v4, v20, -v3
	v_mul_f32_e32 v4, v7, v23
	v_add_f32_e32 v3, 0, v3
	v_fma_f32 v4, v6, v22, -v4
	v_add_f32_e32 v3, v3, v4
	v_mul_f32_e32 v4, v9, v25
	v_fma_f32 v4, v8, v24, -v4
	v_add_f32_e32 v3, v3, v4
	v_mul_f32_e32 v4, v11, v27
	;; [unrolled: 3-line block ×10, first 2 shown]
	v_fma_f32 v4, v46, v50, -v4
	v_add_f32_e32 v76, v3, v4
	ds_read_b128 v[4:7], v2 offset:608
	ds_read_b128 v[8:11], v2 offset:624
	;; [unrolled: 1-line block ×4, first 2 shown]
	s_waitcnt lgkmcnt(4)
	v_mul_f32_e32 v79, v52, v57
	v_mul_f32_e32 v3, v53, v57
	v_fmac_f32_e32 v79, v53, v56
	v_mul_f32_e32 v81, v54, v59
	v_fma_f32 v78, v52, v56, -v3
	v_mul_f32_e32 v3, v55, v59
	v_fmac_f32_e32 v81, v55, v58
	v_fma_f32 v80, v54, v58, -v3
	v_pk_add_f32 v[2:3], v[76:77], v[78:79]
	s_waitcnt vmcnt(3) lgkmcnt(3)
	v_pk_mul_f32 v[20:21], v[4:5], v[60:61] op_sel:[1,1] op_sel_hi:[0,1]
	v_pk_fma_f32 v[22:23], v[4:5], v[60:61], v[20:21] neg_lo:[0,0,1] neg_hi:[0,0,1]
	v_pk_fma_f32 v[4:5], v[4:5], v[60:61], v[20:21] op_sel_hi:[1,0,1]
	v_pk_add_f32 v[2:3], v[2:3], v[80:81]
	v_mov_b32_e32 v4, v63
	v_mov_b32_e32 v23, v5
	v_pk_mul_f32 v[4:5], v[6:7], v[4:5] op_sel:[1,0] op_sel_hi:[0,0]
	v_pk_fma_f32 v[20:21], v[6:7], v[62:63], v[4:5] neg_lo:[0,0,1] neg_hi:[0,0,1]
	v_pk_fma_f32 v[4:5], v[6:7], v[62:63], v[4:5] op_sel_hi:[1,0,1]
	v_pk_add_f32 v[2:3], v[2:3], v[22:23]
	v_mov_b32_e32 v21, v5
	s_waitcnt vmcnt(2) lgkmcnt(2)
	v_pk_mul_f32 v[4:5], v[8:9], v[64:65] op_sel:[1,1] op_sel_hi:[0,1]
	v_pk_fma_f32 v[6:7], v[8:9], v[64:65], v[4:5] neg_lo:[0,0,1] neg_hi:[0,0,1]
	v_pk_fma_f32 v[4:5], v[8:9], v[64:65], v[4:5] op_sel_hi:[1,0,1]
	v_pk_add_f32 v[2:3], v[2:3], v[20:21]
	v_mov_b32_e32 v4, v67
	v_mov_b32_e32 v7, v5
	v_pk_mul_f32 v[4:5], v[10:11], v[4:5] op_sel:[1,0] op_sel_hi:[0,0]
	v_pk_add_f32 v[2:3], v[2:3], v[6:7]
	v_pk_fma_f32 v[6:7], v[10:11], v[66:67], v[4:5] neg_lo:[0,0,1] neg_hi:[0,0,1]
	v_pk_fma_f32 v[4:5], v[10:11], v[66:67], v[4:5] op_sel_hi:[1,0,1]
	s_nop 0
	v_mov_b32_e32 v7, v5
	s_waitcnt vmcnt(1) lgkmcnt(1)
	v_pk_mul_f32 v[4:5], v[12:13], v[68:69] op_sel:[1,1] op_sel_hi:[0,1]
	v_pk_add_f32 v[2:3], v[2:3], v[6:7]
	v_pk_fma_f32 v[6:7], v[12:13], v[68:69], v[4:5] neg_lo:[0,0,1] neg_hi:[0,0,1]
	v_pk_fma_f32 v[4:5], v[12:13], v[68:69], v[4:5] op_sel_hi:[1,0,1]
	s_nop 0
	v_mov_b32_e32 v4, v71
	v_mov_b32_e32 v7, v5
	v_pk_mul_f32 v[4:5], v[14:15], v[4:5] op_sel:[1,0] op_sel_hi:[0,0]
	v_pk_add_f32 v[2:3], v[2:3], v[6:7]
	v_pk_fma_f32 v[6:7], v[14:15], v[70:71], v[4:5] neg_lo:[0,0,1] neg_hi:[0,0,1]
	v_pk_fma_f32 v[4:5], v[14:15], v[70:71], v[4:5] op_sel_hi:[1,0,1]
	s_nop 0
	v_mov_b32_e32 v7, v5
	s_waitcnt vmcnt(0) lgkmcnt(0)
	v_pk_mul_f32 v[4:5], v[16:17], v[72:73] op_sel:[1,1] op_sel_hi:[0,1]
	v_pk_add_f32 v[2:3], v[2:3], v[6:7]
	v_pk_fma_f32 v[6:7], v[16:17], v[72:73], v[4:5] neg_lo:[0,0,1] neg_hi:[0,0,1]
	v_pk_fma_f32 v[4:5], v[16:17], v[72:73], v[4:5] op_sel_hi:[1,0,1]
	s_nop 0
	v_mov_b32_e32 v4, v75
	v_mov_b32_e32 v7, v5
	v_pk_mul_f32 v[4:5], v[18:19], v[4:5] op_sel:[1,0] op_sel_hi:[0,0]
	v_pk_add_f32 v[2:3], v[2:3], v[6:7]
	v_pk_fma_f32 v[6:7], v[18:19], v[74:75], v[4:5] neg_lo:[0,0,1] neg_hi:[0,0,1]
	v_pk_fma_f32 v[4:5], v[18:19], v[74:75], v[4:5] op_sel_hi:[1,0,1]
	s_nop 0
	v_mov_b32_e32 v7, v5
	scratch_load_dwordx2 v[4:5], off, off offset:152
	v_pk_add_f32 v[2:3], v[2:3], v[6:7]
	s_waitcnt vmcnt(0)
	v_pk_add_f32 v[2:3], v[4:5], v[2:3] neg_lo:[0,1] neg_hi:[0,1]
	scratch_store_dwordx2 off, v[2:3], off offset:152
	s_and_saveexec_b64 s[0:1], vcc
	s_cbranch_execz .LBB105_229
; %bb.228:
	scratch_load_dwordx2 v[2:3], off, off offset:144
	v_mov_b32_e32 v4, 0
	v_mov_b32_e32 v5, v4
	scratch_store_dwordx2 off, v[4:5], off offset:144
	s_waitcnt vmcnt(1)
	ds_write_b64 v1, v[2:3]
.LBB105_229:
	s_or_b64 exec, exec, s[0:1]
	s_waitcnt lgkmcnt(0)
	; wave barrier
	scratch_load_dwordx4 v[2:5], off, off offset:152
	scratch_load_dwordx4 v[14:17], off, off offset:168
	;; [unrolled: 1-line block ×11, first 2 shown]
	scratch_load_dwordx2 v[22:23], off, off offset:328
	scratch_load_dwordx2 v[36:37], off, off offset:144
	v_mov_b32_e32 v38, 0
	ds_read2_b64 v[52:55], v38 offset0:61 offset1:62
	ds_read2_b64 v[56:59], v38 offset0:63 offset1:64
	;; [unrolled: 1-line block ×8, first 2 shown]
	v_cmp_lt_u32_e32 vcc, 17, v0
	s_waitcnt vmcnt(12) lgkmcnt(7)
	v_mul_f32_e32 v39, v52, v3
	v_mul_f32_e32 v84, v54, v5
	;; [unrolled: 1-line block ×3, first 2 shown]
	v_fmac_f32_e32 v39, v53, v2
	s_waitcnt vmcnt(8) lgkmcnt(3)
	v_mul_f32_e32 v93, v68, v19
	v_mul_f32_e32 v19, v69, v19
	;; [unrolled: 1-line block ×4, first 2 shown]
	v_fmac_f32_e32 v84, v55, v4
	v_fmac_f32_e32 v93, v69, v18
	v_fma_f32 v2, v52, v2, -v3
	v_fma_f32 v18, v68, v18, -v19
	v_add_f32_e32 v19, 0, v39
	v_mul_f32_e32 v88, v58, v17
	v_fmac_f32_e32 v86, v57, v14
	v_fma_f32 v3, v54, v4, -v5
	v_add_f32_e32 v2, 0, v2
	v_add_f32_e32 v19, v19, v84
	v_mul_f32_e32 v89, v60, v25
	v_fmac_f32_e32 v88, v59, v16
	v_add_f32_e32 v2, v2, v3
	v_add_f32_e32 v3, v19, v86
	v_mul_f32_e32 v90, v62, v27
	v_fmac_f32_e32 v89, v61, v24
	v_add_f32_e32 v3, v3, v88
	v_mul_f32_e32 v91, v64, v29
	v_mul_f32_e32 v15, v57, v15
	v_fmac_f32_e32 v90, v63, v26
	v_add_f32_e32 v3, v3, v89
	v_mul_f32_e32 v92, v66, v31
	v_mul_f32_e32 v17, v59, v17
	v_fmac_f32_e32 v91, v65, v28
	v_fma_f32 v4, v56, v14, -v15
	v_add_f32_e32 v3, v3, v90
	v_mul_f32_e32 v25, v61, v25
	v_fmac_f32_e32 v92, v67, v30
	v_fma_f32 v5, v58, v16, -v17
	v_add_f32_e32 v2, v2, v4
	v_add_f32_e32 v3, v3, v91
	v_mul_f32_e32 v94, v70, v21
	v_mul_f32_e32 v27, v63, v27
	v_fma_f32 v14, v60, v24, -v25
	v_add_f32_e32 v2, v2, v5
	v_add_f32_e32 v3, v3, v92
	s_waitcnt vmcnt(7) lgkmcnt(2)
	v_mul_f32_e32 v95, v72, v33
	v_mul_f32_e32 v29, v65, v29
	v_fmac_f32_e32 v94, v71, v20
	v_fma_f32 v15, v62, v26, -v27
	v_add_f32_e32 v2, v2, v14
	v_add_f32_e32 v3, v3, v93
	v_mul_f32_e32 v96, v74, v35
	v_mul_f32_e32 v31, v67, v31
	v_fmac_f32_e32 v95, v73, v32
	v_fma_f32 v16, v64, v28, -v29
	v_add_f32_e32 v2, v2, v15
	v_add_f32_e32 v3, v3, v94
	s_waitcnt vmcnt(6) lgkmcnt(1)
	v_mul_f32_e32 v97, v76, v41
	v_fmac_f32_e32 v96, v75, v34
	v_fma_f32 v17, v66, v30, -v31
	v_add_f32_e32 v2, v2, v16
	v_add_f32_e32 v3, v3, v95
	v_mul_f32_e32 v21, v71, v21
	v_fmac_f32_e32 v97, v77, v40
	v_add_f32_e32 v2, v2, v17
	v_add_f32_e32 v3, v3, v96
	;; [unrolled: 1-line block ×4, first 2 shown]
	v_fma_f32 v3, v70, v20, -v21
	v_add_f32_e32 v2, v2, v3
	v_mul_f32_e32 v3, v73, v33
	v_fma_f32 v3, v72, v32, -v3
	v_add_f32_e32 v2, v2, v3
	v_mul_f32_e32 v3, v75, v35
	v_fma_f32 v3, v74, v34, -v3
	v_add_f32_e32 v2, v2, v3
	v_mul_f32_e32 v3, v77, v41
	v_fma_f32 v3, v76, v40, -v3
	v_add_f32_e32 v24, v2, v3
	v_mul_f32_e32 v2, v79, v43
	v_mul_f32_e32 v85, v78, v43
	v_fma_f32 v84, v78, v42, -v2
	s_waitcnt vmcnt(5) lgkmcnt(0)
	v_mul_f32_e32 v2, v81, v45
	v_mov_b32_e32 v28, v47
	v_mul_f32_e32 v87, v80, v45
	v_fmac_f32_e32 v85, v79, v42
	v_fma_f32 v86, v80, v44, -v2
	ds_read2_b64 v[2:5], v38 offset0:77 offset1:78
	ds_read2_b64 v[14:17], v38 offset0:79 offset1:80
	;; [unrolled: 1-line block ×3, first 2 shown]
	ds_read_b64 v[26:27], v38 offset:664
	v_pk_mul_f32 v[28:29], v[82:83], v[28:29] op_sel:[1,0] op_sel_hi:[0,0]
	v_fmac_f32_e32 v87, v81, v44
	v_pk_add_f32 v[24:25], v[24:25], v[84:85]
	v_pk_fma_f32 v[30:31], v[82:83], v[46:47], v[28:29] neg_lo:[0,0,1] neg_hi:[0,0,1]
	v_pk_fma_f32 v[28:29], v[82:83], v[46:47], v[28:29] op_sel_hi:[1,0,1]
	v_pk_add_f32 v[24:25], v[24:25], v[86:87]
	v_mov_b32_e32 v31, v29
	s_waitcnt vmcnt(4) lgkmcnt(3)
	v_pk_mul_f32 v[28:29], v[2:3], v[48:49] op_sel:[1,1] op_sel_hi:[0,1]
	v_pk_add_f32 v[24:25], v[24:25], v[30:31]
	v_pk_fma_f32 v[30:31], v[2:3], v[48:49], v[28:29] neg_lo:[0,0,1] neg_hi:[0,0,1]
	v_pk_fma_f32 v[2:3], v[2:3], v[48:49], v[28:29] op_sel_hi:[1,0,1]
	s_nop 0
	v_mov_b32_e32 v31, v3
	v_pk_add_f32 v[2:3], v[24:25], v[30:31]
	v_mov_b32_e32 v24, v51
	v_pk_mul_f32 v[24:25], v[4:5], v[24:25] op_sel:[1,0] op_sel_hi:[0,0]
	v_pk_fma_f32 v[28:29], v[4:5], v[50:51], v[24:25] neg_lo:[0,0,1] neg_hi:[0,0,1]
	v_pk_fma_f32 v[4:5], v[4:5], v[50:51], v[24:25] op_sel_hi:[1,0,1]
	s_nop 0
	v_mov_b32_e32 v29, v5
	s_waitcnt vmcnt(3) lgkmcnt(2)
	v_pk_mul_f32 v[4:5], v[14:15], v[10:11] op_sel:[1,1] op_sel_hi:[0,1]
	v_pk_fma_f32 v[24:25], v[14:15], v[10:11], v[4:5] neg_lo:[0,0,1] neg_hi:[0,0,1]
	v_pk_fma_f32 v[4:5], v[14:15], v[10:11], v[4:5] op_sel_hi:[1,0,1]
	v_pk_add_f32 v[2:3], v[2:3], v[28:29]
	v_mov_b32_e32 v4, v13
	v_mov_b32_e32 v25, v5
	v_pk_mul_f32 v[4:5], v[16:17], v[4:5] op_sel:[1,0] op_sel_hi:[0,0]
	v_pk_fma_f32 v[10:11], v[16:17], v[12:13], v[4:5] neg_lo:[0,0,1] neg_hi:[0,0,1]
	v_pk_fma_f32 v[4:5], v[16:17], v[12:13], v[4:5] op_sel_hi:[1,0,1]
	v_pk_add_f32 v[2:3], v[2:3], v[24:25]
	v_mov_b32_e32 v11, v5
	s_waitcnt vmcnt(2) lgkmcnt(1)
	v_pk_mul_f32 v[4:5], v[18:19], v[6:7] op_sel:[1,1] op_sel_hi:[0,1]
	v_pk_add_f32 v[2:3], v[2:3], v[10:11]
	v_pk_fma_f32 v[10:11], v[18:19], v[6:7], v[4:5] neg_lo:[0,0,1] neg_hi:[0,0,1]
	v_pk_fma_f32 v[4:5], v[18:19], v[6:7], v[4:5] op_sel_hi:[1,0,1]
	s_nop 0
	v_mov_b32_e32 v4, v9
	v_mov_b32_e32 v11, v5
	v_pk_mul_f32 v[4:5], v[20:21], v[4:5] op_sel:[1,0] op_sel_hi:[0,0]
	v_pk_fma_f32 v[6:7], v[20:21], v[8:9], v[4:5] neg_lo:[0,0,1] neg_hi:[0,0,1]
	v_pk_fma_f32 v[4:5], v[20:21], v[8:9], v[4:5] op_sel_hi:[1,0,1]
	v_pk_add_f32 v[2:3], v[2:3], v[10:11]
	v_mov_b32_e32 v7, v5
	s_waitcnt vmcnt(1) lgkmcnt(0)
	v_pk_mul_f32 v[4:5], v[26:27], v[22:23] op_sel:[1,1] op_sel_hi:[0,1]
	v_pk_add_f32 v[2:3], v[2:3], v[6:7]
	v_pk_fma_f32 v[6:7], v[26:27], v[22:23], v[4:5] neg_lo:[0,0,1] neg_hi:[0,0,1]
	v_pk_fma_f32 v[4:5], v[26:27], v[22:23], v[4:5] op_sel_hi:[1,0,1]
	s_nop 0
	v_mov_b32_e32 v7, v5
	v_pk_add_f32 v[2:3], v[2:3], v[6:7]
	s_waitcnt vmcnt(0)
	v_pk_add_f32 v[2:3], v[36:37], v[2:3] neg_lo:[0,1] neg_hi:[0,1]
	scratch_store_dwordx2 off, v[2:3], off offset:144
	s_and_saveexec_b64 s[0:1], vcc
	s_cbranch_execz .LBB105_231
; %bb.230:
	scratch_load_dwordx2 v[2:3], off, off offset:136
	v_mov_b32_e32 v39, v38
	scratch_store_dwordx2 off, v[38:39], off offset:136
	s_waitcnt vmcnt(1)
	ds_write_b64 v1, v[2:3]
.LBB105_231:
	s_or_b64 exec, exec, s[0:1]
	s_waitcnt lgkmcnt(0)
	; wave barrier
	scratch_load_dwordx4 v[6:9], off, off offset:144
	scratch_load_dwordx4 v[18:21], off, off offset:160
	;; [unrolled: 1-line block ×8, first 2 shown]
	ds_read_b128 v[48:51], v38 offset:480
	ds_read_b128 v[52:55], v38 offset:496
	;; [unrolled: 1-line block ×8, first 2 shown]
	scratch_load_dwordx4 v[80:83], off, off offset:272
	scratch_load_dwordx4 v[26:29], off, off offset:288
	;; [unrolled: 1-line block ×4, first 2 shown]
	scratch_load_dwordx2 v[84:85], off, off offset:136
	v_cmp_lt_u32_e32 vcc, 16, v0
	s_waitcnt vmcnt(12) lgkmcnt(7)
	v_mul_f32_e32 v39, v48, v7
	v_mul_f32_e32 v86, v50, v9
	;; [unrolled: 1-line block ×3, first 2 shown]
	v_fmac_f32_e32 v39, v49, v6
	s_waitcnt vmcnt(8) lgkmcnt(3)
	v_mul_f32_e32 v95, v64, v15
	v_mul_f32_e32 v15, v65, v15
	;; [unrolled: 1-line block ×4, first 2 shown]
	v_fmac_f32_e32 v86, v51, v8
	v_fmac_f32_e32 v95, v65, v14
	v_fma_f32 v6, v48, v6, -v7
	v_fma_f32 v14, v64, v14, -v15
	v_add_f32_e32 v15, 0, v39
	v_mul_f32_e32 v90, v54, v21
	v_fmac_f32_e32 v88, v53, v18
	v_fma_f32 v7, v50, v8, -v9
	v_add_f32_e32 v6, 0, v6
	v_add_f32_e32 v15, v15, v86
	v_mul_f32_e32 v91, v56, v35
	v_fmac_f32_e32 v90, v55, v20
	v_add_f32_e32 v6, v6, v7
	v_add_f32_e32 v7, v15, v88
	v_mul_f32_e32 v92, v58, v37
	v_fmac_f32_e32 v91, v57, v34
	v_add_f32_e32 v7, v7, v90
	v_mul_f32_e32 v93, v60, v41
	v_fmac_f32_e32 v92, v59, v36
	v_add_f32_e32 v7, v7, v91
	v_mul_f32_e32 v94, v62, v43
	v_fmac_f32_e32 v93, v61, v40
	v_add_f32_e32 v7, v7, v92
	v_mul_f32_e32 v19, v53, v19
	v_fmac_f32_e32 v94, v63, v42
	v_add_f32_e32 v7, v7, v93
	v_mul_f32_e32 v96, v66, v17
	v_mul_f32_e32 v21, v55, v21
	v_fma_f32 v8, v52, v18, -v19
	v_add_f32_e32 v7, v7, v94
	s_waitcnt vmcnt(7) lgkmcnt(2)
	v_mul_f32_e32 v97, v68, v23
	v_mul_f32_e32 v35, v57, v35
	v_fmac_f32_e32 v96, v67, v16
	v_fma_f32 v9, v54, v20, -v21
	v_add_f32_e32 v6, v6, v8
	v_add_f32_e32 v7, v7, v95
	v_mul_f32_e32 v98, v70, v25
	v_mul_f32_e32 v37, v59, v37
	v_fmac_f32_e32 v97, v69, v22
	v_fma_f32 v18, v56, v34, -v35
	v_add_f32_e32 v6, v6, v9
	v_add_f32_e32 v7, v7, v96
	s_waitcnt vmcnt(6) lgkmcnt(1)
	v_mul_f32_e32 v99, v72, v31
	v_mul_f32_e32 v41, v61, v41
	v_fmac_f32_e32 v98, v71, v24
	v_fma_f32 v19, v58, v36, -v37
	v_add_f32_e32 v6, v6, v18
	v_add_f32_e32 v7, v7, v97
	v_mul_f32_e32 v100, v74, v33
	v_mul_f32_e32 v43, v63, v43
	v_fmac_f32_e32 v99, v73, v30
	v_fma_f32 v20, v60, v40, -v41
	v_add_f32_e32 v6, v6, v19
	v_add_f32_e32 v7, v7, v98
	v_fmac_f32_e32 v100, v75, v32
	v_fma_f32 v21, v62, v42, -v43
	v_add_f32_e32 v6, v6, v20
	v_add_f32_e32 v7, v7, v99
	;; [unrolled: 1-line block ×4, first 2 shown]
	v_mul_f32_e32 v7, v67, v17
	v_add_f32_e32 v6, v6, v14
	v_fma_f32 v7, v66, v16, -v7
	v_add_f32_e32 v6, v6, v7
	v_mul_f32_e32 v7, v69, v23
	v_fma_f32 v7, v68, v22, -v7
	v_add_f32_e32 v6, v6, v7
	v_mul_f32_e32 v7, v71, v25
	;; [unrolled: 3-line block ×4, first 2 shown]
	v_fma_f32 v7, v74, v32, -v7
	v_add_f32_e32 v34, v6, v7
	s_waitcnt vmcnt(5) lgkmcnt(0)
	v_mul_f32_e32 v6, v77, v45
	v_fma_f32 v86, v76, v44, -v6
	v_mul_f32_e32 v6, v79, v47
	v_fma_f32 v88, v78, v46, -v6
	ds_read_b128 v[6:9], v38 offset:608
	ds_read_b128 v[14:17], v38 offset:624
	ds_read_b128 v[18:21], v38 offset:640
	ds_read_b128 v[22:25], v38 offset:656
	v_mul_f32_e32 v87, v76, v45
	v_mul_f32_e32 v89, v78, v47
	v_fmac_f32_e32 v87, v77, v44
	s_waitcnt vmcnt(4) lgkmcnt(3)
	v_pk_mul_f32 v[32:33], v[6:7], v[80:81] op_sel:[1,1] op_sel_hi:[0,1]
	v_fmac_f32_e32 v89, v79, v46
	v_pk_add_f32 v[30:31], v[34:35], v[86:87]
	v_pk_fma_f32 v[34:35], v[6:7], v[80:81], v[32:33] neg_lo:[0,0,1] neg_hi:[0,0,1]
	v_pk_fma_f32 v[6:7], v[6:7], v[80:81], v[32:33] op_sel_hi:[1,0,1]
	v_pk_add_f32 v[30:31], v[30:31], v[88:89]
	v_mov_b32_e32 v35, v7
	v_pk_add_f32 v[6:7], v[30:31], v[34:35]
	v_mov_b32_e32 v30, v83
	v_pk_mul_f32 v[30:31], v[8:9], v[30:31] op_sel:[1,0] op_sel_hi:[0,0]
	v_pk_fma_f32 v[32:33], v[8:9], v[82:83], v[30:31] neg_lo:[0,0,1] neg_hi:[0,0,1]
	v_pk_fma_f32 v[8:9], v[8:9], v[82:83], v[30:31] op_sel_hi:[1,0,1]
	s_nop 0
	v_mov_b32_e32 v33, v9
	s_waitcnt vmcnt(3) lgkmcnt(2)
	v_pk_mul_f32 v[8:9], v[14:15], v[26:27] op_sel:[1,1] op_sel_hi:[0,1]
	v_pk_fma_f32 v[30:31], v[14:15], v[26:27], v[8:9] neg_lo:[0,0,1] neg_hi:[0,0,1]
	v_pk_fma_f32 v[8:9], v[14:15], v[26:27], v[8:9] op_sel_hi:[1,0,1]
	v_pk_add_f32 v[6:7], v[6:7], v[32:33]
	v_mov_b32_e32 v8, v29
	v_mov_b32_e32 v31, v9
	v_pk_mul_f32 v[8:9], v[16:17], v[8:9] op_sel:[1,0] op_sel_hi:[0,0]
	v_pk_fma_f32 v[14:15], v[16:17], v[28:29], v[8:9] neg_lo:[0,0,1] neg_hi:[0,0,1]
	v_pk_fma_f32 v[8:9], v[16:17], v[28:29], v[8:9] op_sel_hi:[1,0,1]
	v_pk_add_f32 v[6:7], v[6:7], v[30:31]
	v_mov_b32_e32 v15, v9
	s_waitcnt vmcnt(2) lgkmcnt(1)
	v_pk_mul_f32 v[8:9], v[18:19], v[10:11] op_sel:[1,1] op_sel_hi:[0,1]
	v_pk_add_f32 v[6:7], v[6:7], v[14:15]
	v_pk_fma_f32 v[14:15], v[18:19], v[10:11], v[8:9] neg_lo:[0,0,1] neg_hi:[0,0,1]
	v_pk_fma_f32 v[8:9], v[18:19], v[10:11], v[8:9] op_sel_hi:[1,0,1]
	s_nop 0
	v_mov_b32_e32 v8, v13
	v_mov_b32_e32 v15, v9
	v_pk_mul_f32 v[8:9], v[20:21], v[8:9] op_sel:[1,0] op_sel_hi:[0,0]
	v_pk_fma_f32 v[10:11], v[20:21], v[12:13], v[8:9] neg_lo:[0,0,1] neg_hi:[0,0,1]
	v_pk_fma_f32 v[8:9], v[20:21], v[12:13], v[8:9] op_sel_hi:[1,0,1]
	v_pk_add_f32 v[6:7], v[6:7], v[14:15]
	v_mov_b32_e32 v11, v9
	s_waitcnt vmcnt(1) lgkmcnt(0)
	v_pk_mul_f32 v[8:9], v[22:23], v[2:3] op_sel:[1,1] op_sel_hi:[0,1]
	v_pk_add_f32 v[6:7], v[6:7], v[10:11]
	v_pk_fma_f32 v[10:11], v[22:23], v[2:3], v[8:9] neg_lo:[0,0,1] neg_hi:[0,0,1]
	v_pk_fma_f32 v[2:3], v[22:23], v[2:3], v[8:9] op_sel_hi:[1,0,1]
	s_nop 0
	v_mov_b32_e32 v11, v3
	v_pk_add_f32 v[2:3], v[6:7], v[10:11]
	v_mov_b32_e32 v6, v5
	v_pk_mul_f32 v[6:7], v[24:25], v[6:7] op_sel:[1,0] op_sel_hi:[0,0]
	v_pk_fma_f32 v[8:9], v[24:25], v[4:5], v[6:7] neg_lo:[0,0,1] neg_hi:[0,0,1]
	v_pk_fma_f32 v[4:5], v[24:25], v[4:5], v[6:7] op_sel_hi:[1,0,1]
	s_nop 0
	v_mov_b32_e32 v9, v5
	v_pk_add_f32 v[2:3], v[2:3], v[8:9]
	s_waitcnt vmcnt(0)
	v_pk_add_f32 v[2:3], v[84:85], v[2:3] neg_lo:[0,1] neg_hi:[0,1]
	scratch_store_dwordx2 off, v[2:3], off offset:136
	s_and_saveexec_b64 s[0:1], vcc
	s_cbranch_execz .LBB105_233
; %bb.232:
	scratch_load_dwordx2 v[2:3], off, off offset:128
	v_mov_b32_e32 v4, 0
	v_mov_b32_e32 v5, v4
	scratch_store_dwordx2 off, v[4:5], off offset:128
	s_waitcnt vmcnt(1)
	ds_write_b64 v1, v[2:3]
.LBB105_233:
	s_or_b64 exec, exec, s[0:1]
	s_waitcnt lgkmcnt(0)
	; wave barrier
	scratch_load_dwordx4 v[2:5], off, off offset:136
	scratch_load_dwordx4 v[22:25], off, off offset:152
	scratch_load_dwordx4 v[38:41], off, off offset:168
	scratch_load_dwordx4 v[10:13], off, off offset:184
	scratch_load_dwordx4 v[14:17], off, off offset:200
	scratch_load_dwordx4 v[26:29], off, off offset:216
	scratch_load_dwordx4 v[30:33], off, off offset:232
	scratch_load_dwordx4 v[42:45], off, off offset:248
	scratch_load_dwordx4 v[46:49], off, off offset:264
	scratch_load_dwordx4 v[34:37], off, off offset:280
	scratch_load_dwordx4 v[18:21], off, off offset:296
	scratch_load_dwordx4 v[6:9], off, off offset:312
	scratch_load_dwordx2 v[50:51], off, off offset:328
	scratch_load_dwordx2 v[56:57], off, off offset:128
	v_mov_b32_e32 v58, 0
	ds_read2_b64 v[52:55], v58 offset0:59 offset1:60
	ds_read2_b64 v[60:63], v58 offset0:61 offset1:62
	;; [unrolled: 1-line block ×10, first 2 shown]
	v_cmp_lt_u32_e32 vcc, 15, v0
	s_waitcnt vmcnt(13) lgkmcnt(9)
	v_mul_f32_e32 v59, v52, v3
	v_mul_f32_e32 v96, v54, v5
	;; [unrolled: 1-line block ×3, first 2 shown]
	s_waitcnt vmcnt(10) lgkmcnt(6)
	v_mul_f32_e32 v103, v68, v11
	v_mul_f32_e32 v11, v69, v11
	v_fmac_f32_e32 v59, v53, v2
	v_mul_f32_e32 v98, v60, v23
	v_mul_f32_e32 v5, v55, v5
	v_fmac_f32_e32 v96, v55, v4
	v_fmac_f32_e32 v103, v69, v10
	v_fma_f32 v2, v52, v2, -v3
	v_fma_f32 v10, v68, v10, -v11
	v_add_f32_e32 v11, 0, v59
	v_mul_f32_e32 v100, v62, v25
	v_fmac_f32_e32 v98, v61, v22
	v_fma_f32 v3, v54, v4, -v5
	v_add_f32_e32 v2, 0, v2
	v_add_f32_e32 v11, v11, v96
	v_mul_f32_e32 v101, v64, v39
	v_fmac_f32_e32 v100, v63, v24
	v_add_f32_e32 v2, v2, v3
	v_add_f32_e32 v3, v11, v98
	v_mul_f32_e32 v102, v66, v41
	v_fmac_f32_e32 v101, v65, v38
	v_add_f32_e32 v3, v3, v100
	v_fmac_f32_e32 v102, v67, v40
	v_add_f32_e32 v3, v3, v101
	v_mul_f32_e32 v104, v70, v13
	v_add_f32_e32 v3, v3, v102
	s_waitcnt vmcnt(9) lgkmcnt(5)
	v_mul_f32_e32 v105, v72, v15
	v_fmac_f32_e32 v104, v71, v12
	v_add_f32_e32 v3, v3, v103
	v_mul_f32_e32 v106, v74, v17
	v_fmac_f32_e32 v105, v73, v14
	v_add_f32_e32 v3, v3, v104
	s_waitcnt vmcnt(8) lgkmcnt(4)
	v_mul_f32_e32 v107, v76, v27
	v_fmac_f32_e32 v106, v75, v16
	v_add_f32_e32 v3, v3, v105
	v_mul_f32_e32 v108, v78, v29
	v_mul_f32_e32 v23, v61, v23
	v_fmac_f32_e32 v107, v77, v26
	v_add_f32_e32 v3, v3, v106
	s_waitcnt vmcnt(7) lgkmcnt(3)
	v_mul_f32_e32 v109, v80, v31
	v_mul_f32_e32 v25, v63, v25
	v_fmac_f32_e32 v108, v79, v28
	v_fma_f32 v4, v60, v22, -v23
	v_add_f32_e32 v3, v3, v107
	v_mul_f32_e32 v110, v82, v33
	v_mul_f32_e32 v39, v65, v39
	v_fmac_f32_e32 v109, v81, v30
	v_fma_f32 v5, v62, v24, -v25
	v_add_f32_e32 v2, v2, v4
	v_add_f32_e32 v3, v3, v108
	s_waitcnt vmcnt(6) lgkmcnt(2)
	v_mul_f32_e32 v111, v84, v43
	v_mul_f32_e32 v41, v67, v41
	v_fmac_f32_e32 v110, v83, v32
	v_fma_f32 v22, v64, v38, -v39
	v_add_f32_e32 v2, v2, v5
	v_add_f32_e32 v3, v3, v109
	v_fmac_f32_e32 v111, v85, v42
	v_fma_f32 v23, v66, v40, -v41
	v_add_f32_e32 v2, v2, v22
	v_add_f32_e32 v3, v3, v110
	v_add_f32_e32 v2, v2, v23
	v_add_f32_e32 v23, v3, v111
	v_mul_f32_e32 v3, v71, v13
	v_add_f32_e32 v2, v2, v10
	v_fma_f32 v3, v70, v12, -v3
	v_add_f32_e32 v2, v2, v3
	v_mul_f32_e32 v3, v73, v15
	v_fma_f32 v3, v72, v14, -v3
	v_add_f32_e32 v2, v2, v3
	v_mul_f32_e32 v3, v75, v17
	;; [unrolled: 3-line block ×7, first 2 shown]
	v_fma_f32 v3, v84, v42, -v3
	v_mul_f32_e32 v97, v86, v45
	v_add_f32_e32 v22, v2, v3
	v_mul_f32_e32 v2, v87, v45
	v_fmac_f32_e32 v97, v87, v44
	v_fma_f32 v96, v86, v44, -v2
	v_pk_add_f32 v[16:17], v[22:23], v[96:97]
	s_waitcnt vmcnt(5)
	v_mov_b32_e32 v22, v49
	s_waitcnt lgkmcnt(1)
	v_mul_f32_e32 v99, v88, v47
	v_mul_f32_e32 v2, v89, v47
	v_pk_mul_f32 v[22:23], v[90:91], v[22:23] op_sel:[1,0] op_sel_hi:[0,0]
	v_fmac_f32_e32 v99, v89, v46
	v_fma_f32 v98, v88, v46, -v2
	v_pk_fma_f32 v[24:25], v[90:91], v[48:49], v[22:23] neg_lo:[0,0,1] neg_hi:[0,0,1]
	v_pk_fma_f32 v[22:23], v[90:91], v[48:49], v[22:23] op_sel_hi:[1,0,1]
	v_pk_add_f32 v[16:17], v[16:17], v[98:99]
	v_mov_b32_e32 v25, v23
	s_waitcnt vmcnt(4) lgkmcnt(0)
	v_pk_mul_f32 v[22:23], v[92:93], v[34:35] op_sel:[1,1] op_sel_hi:[0,1]
	v_pk_add_f32 v[16:17], v[16:17], v[24:25]
	v_pk_fma_f32 v[24:25], v[92:93], v[34:35], v[22:23] neg_lo:[0,0,1] neg_hi:[0,0,1]
	v_pk_fma_f32 v[22:23], v[92:93], v[34:35], v[22:23] op_sel_hi:[1,0,1]
	ds_read2_b64 v[2:5], v58 offset0:79 offset1:80
	ds_read2_b64 v[10:13], v58 offset0:81 offset1:82
	ds_read_b64 v[14:15], v58 offset:664
	v_mov_b32_e32 v22, v37
	v_mov_b32_e32 v25, v23
	v_pk_mul_f32 v[22:23], v[94:95], v[22:23] op_sel:[1,0] op_sel_hi:[0,0]
	v_pk_add_f32 v[16:17], v[16:17], v[24:25]
	v_pk_fma_f32 v[24:25], v[94:95], v[36:37], v[22:23] neg_lo:[0,0,1] neg_hi:[0,0,1]
	v_pk_fma_f32 v[22:23], v[94:95], v[36:37], v[22:23] op_sel_hi:[1,0,1]
	s_nop 0
	v_mov_b32_e32 v25, v23
	s_waitcnt vmcnt(3) lgkmcnt(2)
	v_pk_mul_f32 v[22:23], v[2:3], v[18:19] op_sel:[1,1] op_sel_hi:[0,1]
	v_pk_add_f32 v[16:17], v[16:17], v[24:25]
	v_pk_fma_f32 v[24:25], v[2:3], v[18:19], v[22:23] neg_lo:[0,0,1] neg_hi:[0,0,1]
	v_pk_fma_f32 v[2:3], v[2:3], v[18:19], v[22:23] op_sel_hi:[1,0,1]
	s_nop 0
	v_mov_b32_e32 v25, v3
	v_pk_add_f32 v[2:3], v[16:17], v[24:25]
	v_mov_b32_e32 v16, v21
	v_pk_mul_f32 v[16:17], v[4:5], v[16:17] op_sel:[1,0] op_sel_hi:[0,0]
	v_pk_fma_f32 v[18:19], v[4:5], v[20:21], v[16:17] neg_lo:[0,0,1] neg_hi:[0,0,1]
	v_pk_fma_f32 v[4:5], v[4:5], v[20:21], v[16:17] op_sel_hi:[1,0,1]
	s_nop 0
	v_mov_b32_e32 v19, v5
	s_waitcnt vmcnt(2) lgkmcnt(1)
	v_pk_mul_f32 v[4:5], v[10:11], v[6:7] op_sel:[1,1] op_sel_hi:[0,1]
	v_pk_fma_f32 v[16:17], v[10:11], v[6:7], v[4:5] neg_lo:[0,0,1] neg_hi:[0,0,1]
	v_pk_fma_f32 v[4:5], v[10:11], v[6:7], v[4:5] op_sel_hi:[1,0,1]
	v_pk_add_f32 v[2:3], v[2:3], v[18:19]
	v_mov_b32_e32 v4, v9
	v_mov_b32_e32 v17, v5
	v_pk_mul_f32 v[4:5], v[12:13], v[4:5] op_sel:[1,0] op_sel_hi:[0,0]
	v_pk_fma_f32 v[6:7], v[12:13], v[8:9], v[4:5] neg_lo:[0,0,1] neg_hi:[0,0,1]
	v_pk_fma_f32 v[4:5], v[12:13], v[8:9], v[4:5] op_sel_hi:[1,0,1]
	v_pk_add_f32 v[2:3], v[2:3], v[16:17]
	v_mov_b32_e32 v7, v5
	s_waitcnt vmcnt(1) lgkmcnt(0)
	v_pk_mul_f32 v[4:5], v[14:15], v[50:51] op_sel:[1,1] op_sel_hi:[0,1]
	v_pk_add_f32 v[2:3], v[2:3], v[6:7]
	v_pk_fma_f32 v[6:7], v[14:15], v[50:51], v[4:5] neg_lo:[0,0,1] neg_hi:[0,0,1]
	v_pk_fma_f32 v[4:5], v[14:15], v[50:51], v[4:5] op_sel_hi:[1,0,1]
	s_nop 0
	v_mov_b32_e32 v7, v5
	v_pk_add_f32 v[2:3], v[2:3], v[6:7]
	s_waitcnt vmcnt(0)
	v_pk_add_f32 v[2:3], v[56:57], v[2:3] neg_lo:[0,1] neg_hi:[0,1]
	scratch_store_dwordx2 off, v[2:3], off offset:128
	s_and_saveexec_b64 s[0:1], vcc
	s_cbranch_execz .LBB105_235
; %bb.234:
	scratch_load_dwordx2 v[2:3], off, off offset:120
	v_mov_b32_e32 v59, v58
	scratch_store_dwordx2 off, v[58:59], off offset:120
	s_waitcnt vmcnt(1)
	ds_write_b64 v1, v[2:3]
.LBB105_235:
	s_or_b64 exec, exec, s[0:1]
	s_waitcnt lgkmcnt(0)
	; wave barrier
	scratch_load_dwordx4 v[10:13], off, off offset:128
	scratch_load_dwordx4 v[26:29], off, off offset:144
	;; [unrolled: 1-line block ×9, first 2 shown]
	ds_read_b128 v[60:63], v58 offset:464
	ds_read_b128 v[64:67], v58 offset:480
	ds_read_b128 v[68:71], v58 offset:496
	ds_read_b128 v[72:75], v58 offset:512
	ds_read_b128 v[76:79], v58 offset:528
	ds_read_b128 v[80:83], v58 offset:544
	ds_read_b128 v[84:87], v58 offset:560
	ds_read_b128 v[54:57], v58 offset:576
	scratch_load_dwordx4 v[50:53], off, off offset:272
	scratch_load_dwordx4 v[34:37], off, off offset:288
	;; [unrolled: 1-line block ×4, first 2 shown]
	ds_read_b128 v[88:91], v58 offset:592
	ds_read_b128 v[92:95], v58 offset:608
	scratch_load_dwordx2 v[96:97], off, off offset:120
	v_cmp_lt_u32_e32 vcc, 14, v0
	s_waitcnt vmcnt(13) lgkmcnt(9)
	v_mul_f32_e32 v59, v60, v11
	v_mul_f32_e32 v98, v62, v13
	v_fmac_f32_e32 v59, v61, v10
	s_waitcnt vmcnt(10) lgkmcnt(6)
	v_mul_f32_e32 v105, v72, v3
	v_mul_f32_e32 v3, v73, v3
	;; [unrolled: 1-line block ×3, first 2 shown]
	v_fmac_f32_e32 v98, v63, v12
	v_fmac_f32_e32 v105, v73, v2
	v_fma_f32 v2, v72, v2, -v3
	v_add_f32_e32 v3, 0, v59
	v_mul_f32_e32 v102, v66, v29
	v_fmac_f32_e32 v100, v65, v26
	v_add_f32_e32 v3, v3, v98
	v_mul_f32_e32 v103, v68, v43
	v_fmac_f32_e32 v102, v67, v28
	;; [unrolled: 3-line block ×3, first 2 shown]
	v_add_f32_e32 v3, v3, v102
	v_fmac_f32_e32 v104, v71, v44
	v_add_f32_e32 v3, v3, v103
	v_mul_f32_e32 v106, v74, v5
	v_add_f32_e32 v3, v3, v104
	s_waitcnt vmcnt(9) lgkmcnt(5)
	v_mul_f32_e32 v107, v76, v15
	v_fmac_f32_e32 v106, v75, v4
	v_add_f32_e32 v3, v3, v105
	v_mul_f32_e32 v108, v78, v17
	v_fmac_f32_e32 v107, v77, v14
	v_add_f32_e32 v3, v3, v106
	s_waitcnt vmcnt(8) lgkmcnt(4)
	v_mul_f32_e32 v109, v80, v19
	v_mul_f32_e32 v11, v61, v11
	v_fmac_f32_e32 v108, v79, v16
	v_add_f32_e32 v3, v3, v107
	v_mul_f32_e32 v110, v82, v21
	v_mul_f32_e32 v13, v63, v13
	v_fmac_f32_e32 v109, v81, v18
	v_fma_f32 v10, v60, v10, -v11
	v_add_f32_e32 v3, v3, v108
	s_waitcnt vmcnt(7) lgkmcnt(3)
	v_mul_f32_e32 v111, v84, v31
	v_mul_f32_e32 v27, v65, v27
	v_fmac_f32_e32 v110, v83, v20
	v_fma_f32 v11, v62, v12, -v13
	v_add_f32_e32 v10, 0, v10
	v_add_f32_e32 v3, v3, v109
	v_mul_f32_e32 v112, v86, v33
	v_mul_f32_e32 v29, v67, v29
	v_fmac_f32_e32 v111, v85, v30
	v_fma_f32 v12, v64, v26, -v27
	v_add_f32_e32 v10, v10, v11
	v_add_f32_e32 v3, v3, v110
	s_waitcnt vmcnt(6) lgkmcnt(2)
	v_mul_f32_e32 v113, v54, v39
	v_mul_f32_e32 v43, v69, v43
	v_fmac_f32_e32 v112, v87, v32
	v_fma_f32 v13, v66, v28, -v29
	v_add_f32_e32 v10, v10, v12
	v_add_f32_e32 v3, v3, v111
	v_mul_f32_e32 v114, v56, v41
	v_mul_f32_e32 v45, v71, v45
	v_fmac_f32_e32 v113, v55, v38
	v_fma_f32 v26, v68, v42, -v43
	v_add_f32_e32 v10, v10, v13
	v_add_f32_e32 v3, v3, v112
	v_fmac_f32_e32 v114, v57, v40
	v_fma_f32 v27, v70, v44, -v45
	v_add_f32_e32 v10, v10, v26
	v_add_f32_e32 v3, v3, v113
	;; [unrolled: 1-line block ×4, first 2 shown]
	v_mul_f32_e32 v3, v75, v5
	v_add_f32_e32 v2, v10, v2
	v_fma_f32 v3, v74, v4, -v3
	v_add_f32_e32 v2, v2, v3
	v_mul_f32_e32 v3, v77, v15
	v_fma_f32 v3, v76, v14, -v3
	v_add_f32_e32 v2, v2, v3
	v_mul_f32_e32 v3, v79, v17
	v_fma_f32 v3, v78, v16, -v3
	v_add_f32_e32 v2, v2, v3
	v_mul_f32_e32 v3, v81, v19
	v_fma_f32 v3, v80, v18, -v3
	v_add_f32_e32 v2, v2, v3
	v_mul_f32_e32 v3, v83, v21
	v_fma_f32 v3, v82, v20, -v3
	v_add_f32_e32 v2, v2, v3
	v_mul_f32_e32 v3, v85, v31
	v_fma_f32 v3, v84, v30, -v3
	v_add_f32_e32 v2, v2, v3
	v_mul_f32_e32 v3, v87, v33
	v_fma_f32 v3, v86, v32, -v3
	v_add_f32_e32 v2, v2, v3
	v_mul_f32_e32 v3, v55, v39
	v_fma_f32 v3, v54, v38, -v3
	v_add_f32_e32 v2, v2, v3
	v_mul_f32_e32 v3, v57, v41
	v_fma_f32 v3, v56, v40, -v3
	s_waitcnt vmcnt(5) lgkmcnt(1)
	v_mul_f32_e32 v99, v88, v47
	v_add_f32_e32 v26, v2, v3
	v_mul_f32_e32 v2, v89, v47
	v_fmac_f32_e32 v99, v89, v46
	v_fma_f32 v98, v88, v46, -v2
	s_waitcnt vmcnt(4) lgkmcnt(0)
	v_pk_mul_f32 v[20:21], v[92:93], v[50:51] op_sel:[1,1] op_sel_hi:[0,1]
	v_mul_f32_e32 v101, v90, v49
	v_mul_f32_e32 v2, v91, v49
	v_pk_add_f32 v[18:19], v[26:27], v[98:99]
	v_pk_fma_f32 v[26:27], v[92:93], v[50:51], v[20:21] neg_lo:[0,0,1] neg_hi:[0,0,1]
	v_pk_fma_f32 v[20:21], v[92:93], v[50:51], v[20:21] op_sel_hi:[1,0,1]
	v_fmac_f32_e32 v101, v91, v48
	v_fma_f32 v100, v90, v48, -v2
	ds_read_b128 v[2:5], v58 offset:624
	ds_read_b128 v[10:13], v58 offset:640
	;; [unrolled: 1-line block ×3, first 2 shown]
	v_mov_b32_e32 v20, v53
	v_pk_add_f32 v[18:19], v[18:19], v[100:101]
	v_mov_b32_e32 v27, v21
	v_pk_mul_f32 v[20:21], v[94:95], v[20:21] op_sel:[1,0] op_sel_hi:[0,0]
	v_pk_add_f32 v[18:19], v[18:19], v[26:27]
	v_pk_fma_f32 v[26:27], v[94:95], v[52:53], v[20:21] neg_lo:[0,0,1] neg_hi:[0,0,1]
	v_pk_fma_f32 v[20:21], v[94:95], v[52:53], v[20:21] op_sel_hi:[1,0,1]
	s_nop 0
	v_mov_b32_e32 v27, v21
	s_waitcnt vmcnt(3) lgkmcnt(2)
	v_pk_mul_f32 v[20:21], v[2:3], v[34:35] op_sel:[1,1] op_sel_hi:[0,1]
	v_pk_add_f32 v[18:19], v[18:19], v[26:27]
	v_pk_fma_f32 v[26:27], v[2:3], v[34:35], v[20:21] neg_lo:[0,0,1] neg_hi:[0,0,1]
	v_pk_fma_f32 v[2:3], v[2:3], v[34:35], v[20:21] op_sel_hi:[1,0,1]
	s_nop 0
	v_mov_b32_e32 v27, v3
	v_pk_add_f32 v[2:3], v[18:19], v[26:27]
	v_mov_b32_e32 v18, v37
	v_pk_mul_f32 v[18:19], v[4:5], v[18:19] op_sel:[1,0] op_sel_hi:[0,0]
	v_pk_fma_f32 v[20:21], v[4:5], v[36:37], v[18:19] neg_lo:[0,0,1] neg_hi:[0,0,1]
	v_pk_fma_f32 v[4:5], v[4:5], v[36:37], v[18:19] op_sel_hi:[1,0,1]
	s_nop 0
	v_mov_b32_e32 v21, v5
	s_waitcnt vmcnt(2) lgkmcnt(1)
	v_pk_mul_f32 v[4:5], v[10:11], v[22:23] op_sel:[1,1] op_sel_hi:[0,1]
	v_pk_fma_f32 v[18:19], v[10:11], v[22:23], v[4:5] neg_lo:[0,0,1] neg_hi:[0,0,1]
	v_pk_fma_f32 v[4:5], v[10:11], v[22:23], v[4:5] op_sel_hi:[1,0,1]
	v_pk_add_f32 v[2:3], v[2:3], v[20:21]
	v_mov_b32_e32 v4, v25
	v_mov_b32_e32 v19, v5
	v_pk_mul_f32 v[4:5], v[12:13], v[4:5] op_sel:[1,0] op_sel_hi:[0,0]
	v_pk_fma_f32 v[10:11], v[12:13], v[24:25], v[4:5] neg_lo:[0,0,1] neg_hi:[0,0,1]
	v_pk_fma_f32 v[4:5], v[12:13], v[24:25], v[4:5] op_sel_hi:[1,0,1]
	v_pk_add_f32 v[2:3], v[2:3], v[18:19]
	v_mov_b32_e32 v11, v5
	s_waitcnt vmcnt(1) lgkmcnt(0)
	v_pk_mul_f32 v[4:5], v[14:15], v[6:7] op_sel:[1,1] op_sel_hi:[0,1]
	v_pk_add_f32 v[2:3], v[2:3], v[10:11]
	v_pk_fma_f32 v[10:11], v[14:15], v[6:7], v[4:5] neg_lo:[0,0,1] neg_hi:[0,0,1]
	v_pk_fma_f32 v[4:5], v[14:15], v[6:7], v[4:5] op_sel_hi:[1,0,1]
	s_nop 0
	v_mov_b32_e32 v4, v9
	v_mov_b32_e32 v11, v5
	v_pk_mul_f32 v[4:5], v[16:17], v[4:5] op_sel:[1,0] op_sel_hi:[0,0]
	v_pk_fma_f32 v[6:7], v[16:17], v[8:9], v[4:5] neg_lo:[0,0,1] neg_hi:[0,0,1]
	v_pk_fma_f32 v[4:5], v[16:17], v[8:9], v[4:5] op_sel_hi:[1,0,1]
	v_pk_add_f32 v[2:3], v[2:3], v[10:11]
	v_mov_b32_e32 v7, v5
	v_pk_add_f32 v[2:3], v[2:3], v[6:7]
	s_waitcnt vmcnt(0)
	v_pk_add_f32 v[2:3], v[96:97], v[2:3] neg_lo:[0,1] neg_hi:[0,1]
	scratch_store_dwordx2 off, v[2:3], off offset:120
	s_and_saveexec_b64 s[0:1], vcc
	s_cbranch_execz .LBB105_237
; %bb.236:
	scratch_load_dwordx2 v[2:3], off, off offset:112
	v_mov_b32_e32 v4, 0
	v_mov_b32_e32 v5, v4
	scratch_store_dwordx2 off, v[4:5], off offset:112
	s_waitcnt vmcnt(1)
	ds_write_b64 v1, v[2:3]
.LBB105_237:
	s_or_b64 exec, exec, s[0:1]
	s_waitcnt lgkmcnt(0)
	; wave barrier
	scratch_load_dwordx4 v[10:13], off, off offset:120
	scratch_load_dwordx4 v[30:33], off, off offset:136
	;; [unrolled: 1-line block ×13, first 2 shown]
	scratch_load_dwordx2 v[54:55], off, off offset:328
	scratch_load_dwordx2 v[80:81], off, off offset:112
	v_mov_b32_e32 v82, 0
	ds_read2_b64 v[56:59], v82 offset0:57 offset1:58
	ds_read2_b64 v[60:63], v82 offset0:59 offset1:60
	;; [unrolled: 1-line block ×10, first 2 shown]
	v_cmp_lt_u32_e32 vcc, 13, v0
	s_waitcnt vmcnt(14) lgkmcnt(9)
	v_mul_f32_e32 v83, v56, v11
	v_mul_f32_e32 v100, v58, v13
	s_waitcnt vmcnt(12) lgkmcnt(7)
	v_mul_f32_e32 v105, v64, v3
	v_mul_f32_e32 v3, v65, v3
	v_fmac_f32_e32 v83, v57, v10
	v_mul_f32_e32 v102, v60, v31
	v_fmac_f32_e32 v100, v59, v12
	v_fmac_f32_e32 v105, v65, v2
	v_fma_f32 v2, v64, v2, -v3
	v_add_f32_e32 v3, 0, v83
	v_mul_f32_e32 v104, v62, v33
	v_fmac_f32_e32 v102, v61, v30
	v_add_f32_e32 v3, v3, v100
	v_fmac_f32_e32 v104, v63, v32
	v_add_f32_e32 v3, v3, v102
	v_mul_f32_e32 v106, v66, v5
	v_add_f32_e32 v3, v3, v104
	s_waitcnt vmcnt(11) lgkmcnt(6)
	v_mul_f32_e32 v107, v68, v7
	v_fmac_f32_e32 v106, v67, v4
	v_add_f32_e32 v3, v3, v105
	v_mul_f32_e32 v108, v70, v9
	v_fmac_f32_e32 v107, v69, v6
	v_add_f32_e32 v3, v3, v106
	s_waitcnt vmcnt(10) lgkmcnt(5)
	v_mul_f32_e32 v109, v72, v19
	v_fmac_f32_e32 v108, v71, v8
	v_add_f32_e32 v3, v3, v107
	v_mul_f32_e32 v110, v74, v21
	v_fmac_f32_e32 v109, v73, v18
	;; [unrolled: 7-line block ×3, first 2 shown]
	v_add_f32_e32 v3, v3, v110
	s_waitcnt vmcnt(8) lgkmcnt(3)
	v_mul_f32_e32 v113, v84, v35
	v_mul_f32_e32 v11, v57, v11
	v_fmac_f32_e32 v112, v79, v24
	v_add_f32_e32 v3, v3, v111
	v_mul_f32_e32 v114, v86, v37
	v_mul_f32_e32 v13, v59, v13
	v_fmac_f32_e32 v113, v85, v34
	v_fma_f32 v10, v56, v10, -v11
	v_add_f32_e32 v3, v3, v112
	s_waitcnt vmcnt(7) lgkmcnt(2)
	v_mul_f32_e32 v115, v88, v39
	v_mul_f32_e32 v31, v61, v31
	v_fmac_f32_e32 v114, v87, v36
	v_fma_f32 v11, v58, v12, -v13
	v_add_f32_e32 v10, 0, v10
	v_add_f32_e32 v3, v3, v113
	v_mul_f32_e32 v116, v90, v41
	v_mul_f32_e32 v33, v63, v33
	v_fmac_f32_e32 v115, v89, v38
	v_fma_f32 v12, v60, v30, -v31
	v_add_f32_e32 v10, v10, v11
	v_add_f32_e32 v3, v3, v114
	s_waitcnt vmcnt(6) lgkmcnt(1)
	v_mul_f32_e32 v117, v92, v51
	v_fmac_f32_e32 v116, v91, v40
	v_fma_f32 v13, v62, v32, -v33
	v_add_f32_e32 v10, v10, v12
	v_add_f32_e32 v3, v3, v115
	v_mul_f32_e32 v5, v67, v5
	v_fmac_f32_e32 v117, v93, v50
	v_add_f32_e32 v10, v10, v13
	v_add_f32_e32 v3, v3, v116
	;; [unrolled: 1-line block ×4, first 2 shown]
	v_fma_f32 v3, v66, v4, -v5
	v_add_f32_e32 v2, v2, v3
	v_mul_f32_e32 v3, v69, v7
	v_fma_f32 v3, v68, v6, -v3
	v_add_f32_e32 v2, v2, v3
	v_mul_f32_e32 v3, v71, v9
	;; [unrolled: 3-line block ×12, first 2 shown]
	v_mul_f32_e32 v101, v94, v53
	v_fma_f32 v100, v94, v52, -v2
	s_waitcnt vmcnt(5) lgkmcnt(0)
	v_mul_f32_e32 v2, v97, v47
	v_mov_b32_e32 v22, v49
	v_mul_f32_e32 v103, v96, v47
	v_fmac_f32_e32 v101, v95, v52
	v_fma_f32 v102, v96, v46, -v2
	ds_read2_b64 v[2:5], v82 offset0:77 offset1:78
	ds_read2_b64 v[6:9], v82 offset0:79 offset1:80
	;; [unrolled: 1-line block ×3, first 2 shown]
	ds_read_b64 v[18:19], v82 offset:664
	v_pk_mul_f32 v[22:23], v[98:99], v[22:23] op_sel:[1,0] op_sel_hi:[0,0]
	v_fmac_f32_e32 v103, v97, v46
	v_pk_add_f32 v[20:21], v[30:31], v[100:101]
	v_pk_fma_f32 v[24:25], v[98:99], v[48:49], v[22:23] neg_lo:[0,0,1] neg_hi:[0,0,1]
	v_pk_fma_f32 v[22:23], v[98:99], v[48:49], v[22:23] op_sel_hi:[1,0,1]
	v_pk_add_f32 v[20:21], v[20:21], v[102:103]
	v_mov_b32_e32 v25, v23
	s_waitcnt vmcnt(4) lgkmcnt(3)
	v_pk_mul_f32 v[22:23], v[2:3], v[42:43] op_sel:[1,1] op_sel_hi:[0,1]
	v_pk_add_f32 v[20:21], v[20:21], v[24:25]
	v_pk_fma_f32 v[24:25], v[2:3], v[42:43], v[22:23] neg_lo:[0,0,1] neg_hi:[0,0,1]
	v_pk_fma_f32 v[2:3], v[2:3], v[42:43], v[22:23] op_sel_hi:[1,0,1]
	s_nop 0
	v_mov_b32_e32 v25, v3
	v_pk_add_f32 v[2:3], v[20:21], v[24:25]
	v_mov_b32_e32 v20, v45
	v_pk_mul_f32 v[20:21], v[4:5], v[20:21] op_sel:[1,0] op_sel_hi:[0,0]
	v_pk_fma_f32 v[22:23], v[4:5], v[44:45], v[20:21] neg_lo:[0,0,1] neg_hi:[0,0,1]
	v_pk_fma_f32 v[4:5], v[4:5], v[44:45], v[20:21] op_sel_hi:[1,0,1]
	s_nop 0
	v_mov_b32_e32 v23, v5
	s_waitcnt vmcnt(3) lgkmcnt(2)
	v_pk_mul_f32 v[4:5], v[6:7], v[26:27] op_sel:[1,1] op_sel_hi:[0,1]
	v_pk_fma_f32 v[20:21], v[6:7], v[26:27], v[4:5] neg_lo:[0,0,1] neg_hi:[0,0,1]
	v_pk_fma_f32 v[4:5], v[6:7], v[26:27], v[4:5] op_sel_hi:[1,0,1]
	v_pk_add_f32 v[2:3], v[2:3], v[22:23]
	v_mov_b32_e32 v4, v29
	v_mov_b32_e32 v21, v5
	v_pk_mul_f32 v[4:5], v[8:9], v[4:5] op_sel:[1,0] op_sel_hi:[0,0]
	v_pk_fma_f32 v[6:7], v[8:9], v[28:29], v[4:5] neg_lo:[0,0,1] neg_hi:[0,0,1]
	v_pk_fma_f32 v[4:5], v[8:9], v[28:29], v[4:5] op_sel_hi:[1,0,1]
	v_pk_add_f32 v[2:3], v[2:3], v[20:21]
	v_mov_b32_e32 v7, v5
	s_waitcnt vmcnt(2) lgkmcnt(1)
	v_pk_mul_f32 v[4:5], v[10:11], v[14:15] op_sel:[1,1] op_sel_hi:[0,1]
	v_pk_add_f32 v[2:3], v[2:3], v[6:7]
	v_pk_fma_f32 v[6:7], v[10:11], v[14:15], v[4:5] neg_lo:[0,0,1] neg_hi:[0,0,1]
	v_pk_fma_f32 v[4:5], v[10:11], v[14:15], v[4:5] op_sel_hi:[1,0,1]
	s_nop 0
	v_mov_b32_e32 v4, v17
	v_mov_b32_e32 v7, v5
	v_pk_mul_f32 v[4:5], v[12:13], v[4:5] op_sel:[1,0] op_sel_hi:[0,0]
	v_pk_add_f32 v[2:3], v[2:3], v[6:7]
	v_pk_fma_f32 v[6:7], v[12:13], v[16:17], v[4:5] neg_lo:[0,0,1] neg_hi:[0,0,1]
	v_pk_fma_f32 v[4:5], v[12:13], v[16:17], v[4:5] op_sel_hi:[1,0,1]
	s_nop 0
	v_mov_b32_e32 v7, v5
	s_waitcnt vmcnt(1) lgkmcnt(0)
	v_pk_mul_f32 v[4:5], v[18:19], v[54:55] op_sel:[1,1] op_sel_hi:[0,1]
	v_pk_add_f32 v[2:3], v[2:3], v[6:7]
	v_pk_fma_f32 v[6:7], v[18:19], v[54:55], v[4:5] neg_lo:[0,0,1] neg_hi:[0,0,1]
	v_pk_fma_f32 v[4:5], v[18:19], v[54:55], v[4:5] op_sel_hi:[1,0,1]
	s_nop 0
	v_mov_b32_e32 v7, v5
	v_pk_add_f32 v[2:3], v[2:3], v[6:7]
	s_waitcnt vmcnt(0)
	v_pk_add_f32 v[2:3], v[80:81], v[2:3] neg_lo:[0,1] neg_hi:[0,1]
	scratch_store_dwordx2 off, v[2:3], off offset:112
	s_and_saveexec_b64 s[0:1], vcc
	s_cbranch_execz .LBB105_239
; %bb.238:
	scratch_load_dwordx2 v[2:3], off, off offset:104
	v_mov_b32_e32 v83, v82
	scratch_store_dwordx2 off, v[82:83], off offset:104
	s_waitcnt vmcnt(1)
	ds_write_b64 v1, v[2:3]
.LBB105_239:
	s_or_b64 exec, exec, s[0:1]
	s_waitcnt lgkmcnt(0)
	; wave barrier
	scratch_load_dwordx4 v[18:21], off, off offset:112
	scratch_load_dwordx4 v[34:37], off, off offset:128
	;; [unrolled: 1-line block ×10, first 2 shown]
	ds_read_b128 v[84:87], v82 offset:448
	ds_read_b128 v[88:91], v82 offset:464
	ds_read_b128 v[92:95], v82 offset:480
	ds_read_b128 v[96:99], v82 offset:496
	ds_read_b128 v[78:81], v82 offset:512
	ds_read_b128 v[74:77], v82 offset:528
	ds_read_b128 v[70:73], v82 offset:544
	ds_read_b128 v[66:69], v82 offset:560
	ds_read_b128 v[62:65], v82 offset:576
	ds_read_b128 v[58:61], v82 offset:592
	scratch_load_dwordx4 v[54:57], off, off offset:272
	scratch_load_dwordx4 v[46:49], off, off offset:288
	;; [unrolled: 1-line block ×4, first 2 shown]
	scratch_load_dwordx2 v[100:101], off, off offset:104
	v_cmp_lt_u32_e32 vcc, 12, v0
	s_waitcnt vmcnt(14) lgkmcnt(9)
	v_mul_f32_e32 v83, v84, v19
	v_mul_f32_e32 v102, v86, v21
	s_waitcnt vmcnt(12) lgkmcnt(7)
	v_mul_f32_e32 v107, v92, v3
	v_mul_f32_e32 v3, v93, v3
	v_fmac_f32_e32 v83, v85, v18
	v_mul_f32_e32 v104, v88, v35
	v_fmac_f32_e32 v102, v87, v20
	v_fmac_f32_e32 v107, v93, v2
	v_fma_f32 v2, v92, v2, -v3
	v_add_f32_e32 v3, 0, v83
	v_mul_f32_e32 v106, v90, v37
	v_fmac_f32_e32 v104, v89, v34
	v_add_f32_e32 v3, v3, v102
	v_fmac_f32_e32 v106, v91, v36
	v_add_f32_e32 v3, v3, v104
	v_mul_f32_e32 v108, v94, v5
	v_add_f32_e32 v3, v3, v106
	s_waitcnt vmcnt(11) lgkmcnt(6)
	v_mul_f32_e32 v109, v96, v7
	v_fmac_f32_e32 v108, v95, v4
	v_add_f32_e32 v3, v3, v107
	v_mul_f32_e32 v110, v98, v9
	v_fmac_f32_e32 v109, v97, v6
	v_add_f32_e32 v3, v3, v108
	s_waitcnt vmcnt(10) lgkmcnt(5)
	v_mul_f32_e32 v111, v78, v11
	v_fmac_f32_e32 v110, v99, v8
	v_add_f32_e32 v3, v3, v109
	v_mul_f32_e32 v112, v80, v13
	v_fmac_f32_e32 v111, v79, v10
	;; [unrolled: 7-line block ×4, first 2 shown]
	v_add_f32_e32 v3, v3, v114
	s_waitcnt vmcnt(7) lgkmcnt(2)
	v_mul_f32_e32 v117, v66, v39
	v_mul_f32_e32 v19, v85, v19
	v_fmac_f32_e32 v116, v73, v28
	v_add_f32_e32 v3, v3, v115
	v_mul_f32_e32 v118, v68, v41
	v_mul_f32_e32 v21, v87, v21
	v_fmac_f32_e32 v117, v67, v38
	v_fma_f32 v18, v84, v18, -v19
	v_add_f32_e32 v3, v3, v116
	s_waitcnt vmcnt(6) lgkmcnt(1)
	v_mul_f32_e32 v119, v62, v43
	v_mul_f32_e32 v35, v89, v35
	v_fmac_f32_e32 v118, v69, v40
	v_fma_f32 v19, v86, v20, -v21
	v_add_f32_e32 v18, 0, v18
	v_add_f32_e32 v3, v3, v117
	v_mul_f32_e32 v120, v64, v45
	v_mul_f32_e32 v37, v91, v37
	v_fmac_f32_e32 v119, v63, v42
	v_fma_f32 v20, v88, v34, -v35
	v_add_f32_e32 v18, v18, v19
	v_add_f32_e32 v3, v3, v118
	v_fmac_f32_e32 v120, v65, v44
	v_fma_f32 v21, v90, v36, -v37
	v_add_f32_e32 v18, v18, v20
	v_add_f32_e32 v3, v3, v119
	;; [unrolled: 1-line block ×4, first 2 shown]
	v_mul_f32_e32 v3, v95, v5
	v_add_f32_e32 v2, v18, v2
	v_fma_f32 v3, v94, v4, -v3
	v_add_f32_e32 v2, v2, v3
	v_mul_f32_e32 v3, v97, v7
	v_fma_f32 v3, v96, v6, -v3
	v_add_f32_e32 v2, v2, v3
	v_mul_f32_e32 v3, v99, v9
	v_fma_f32 v3, v98, v8, -v3
	v_add_f32_e32 v2, v2, v3
	v_mul_f32_e32 v3, v79, v11
	v_fma_f32 v3, v78, v10, -v3
	v_add_f32_e32 v2, v2, v3
	v_mul_f32_e32 v3, v81, v13
	v_fma_f32 v3, v80, v12, -v3
	v_add_f32_e32 v2, v2, v3
	v_mul_f32_e32 v3, v75, v23
	v_fma_f32 v3, v74, v22, -v3
	v_add_f32_e32 v2, v2, v3
	v_mul_f32_e32 v3, v77, v25
	v_fma_f32 v3, v76, v24, -v3
	v_add_f32_e32 v2, v2, v3
	v_mul_f32_e32 v3, v71, v27
	v_fma_f32 v3, v70, v26, -v3
	v_add_f32_e32 v2, v2, v3
	v_mul_f32_e32 v3, v73, v29
	v_fma_f32 v3, v72, v28, -v3
	v_add_f32_e32 v2, v2, v3
	v_mul_f32_e32 v3, v67, v39
	v_fma_f32 v3, v66, v38, -v3
	v_add_f32_e32 v2, v2, v3
	v_mul_f32_e32 v3, v69, v41
	v_fma_f32 v3, v68, v40, -v3
	v_add_f32_e32 v2, v2, v3
	v_mul_f32_e32 v3, v63, v43
	v_fma_f32 v3, v62, v42, -v3
	v_add_f32_e32 v2, v2, v3
	v_mul_f32_e32 v3, v65, v45
	v_fma_f32 v3, v64, v44, -v3
	v_add_f32_e32 v34, v2, v3
	s_waitcnt vmcnt(5) lgkmcnt(0)
	v_mul_f32_e32 v2, v59, v51
	v_fma_f32 v102, v58, v50, -v2
	v_mul_f32_e32 v2, v61, v53
	v_fma_f32 v104, v60, v52, -v2
	ds_read_b128 v[2:5], v82 offset:608
	ds_read_b128 v[6:9], v82 offset:624
	;; [unrolled: 1-line block ×4, first 2 shown]
	v_mul_f32_e32 v103, v58, v51
	v_mul_f32_e32 v105, v60, v53
	v_fmac_f32_e32 v103, v59, v50
	s_waitcnt vmcnt(4) lgkmcnt(3)
	v_pk_mul_f32 v[24:25], v[2:3], v[54:55] op_sel:[1,1] op_sel_hi:[0,1]
	v_fmac_f32_e32 v105, v61, v52
	v_pk_add_f32 v[22:23], v[34:35], v[102:103]
	v_pk_fma_f32 v[26:27], v[2:3], v[54:55], v[24:25] neg_lo:[0,0,1] neg_hi:[0,0,1]
	v_pk_fma_f32 v[2:3], v[2:3], v[54:55], v[24:25] op_sel_hi:[1,0,1]
	v_pk_add_f32 v[22:23], v[22:23], v[104:105]
	v_mov_b32_e32 v27, v3
	v_pk_add_f32 v[2:3], v[22:23], v[26:27]
	v_mov_b32_e32 v22, v57
	v_pk_mul_f32 v[22:23], v[4:5], v[22:23] op_sel:[1,0] op_sel_hi:[0,0]
	v_pk_fma_f32 v[24:25], v[4:5], v[56:57], v[22:23] neg_lo:[0,0,1] neg_hi:[0,0,1]
	v_pk_fma_f32 v[4:5], v[4:5], v[56:57], v[22:23] op_sel_hi:[1,0,1]
	s_nop 0
	v_mov_b32_e32 v25, v5
	s_waitcnt vmcnt(3) lgkmcnt(2)
	v_pk_mul_f32 v[4:5], v[6:7], v[46:47] op_sel:[1,1] op_sel_hi:[0,1]
	v_pk_fma_f32 v[22:23], v[6:7], v[46:47], v[4:5] neg_lo:[0,0,1] neg_hi:[0,0,1]
	v_pk_fma_f32 v[4:5], v[6:7], v[46:47], v[4:5] op_sel_hi:[1,0,1]
	v_pk_add_f32 v[2:3], v[2:3], v[24:25]
	v_mov_b32_e32 v4, v49
	v_mov_b32_e32 v23, v5
	v_pk_mul_f32 v[4:5], v[8:9], v[4:5] op_sel:[1,0] op_sel_hi:[0,0]
	v_pk_fma_f32 v[6:7], v[8:9], v[48:49], v[4:5] neg_lo:[0,0,1] neg_hi:[0,0,1]
	v_pk_fma_f32 v[4:5], v[8:9], v[48:49], v[4:5] op_sel_hi:[1,0,1]
	v_pk_add_f32 v[2:3], v[2:3], v[22:23]
	v_mov_b32_e32 v7, v5
	s_waitcnt vmcnt(2) lgkmcnt(1)
	v_pk_mul_f32 v[4:5], v[10:11], v[30:31] op_sel:[1,1] op_sel_hi:[0,1]
	v_pk_add_f32 v[2:3], v[2:3], v[6:7]
	v_pk_fma_f32 v[6:7], v[10:11], v[30:31], v[4:5] neg_lo:[0,0,1] neg_hi:[0,0,1]
	v_pk_fma_f32 v[4:5], v[10:11], v[30:31], v[4:5] op_sel_hi:[1,0,1]
	s_nop 0
	v_mov_b32_e32 v4, v33
	v_mov_b32_e32 v7, v5
	v_pk_mul_f32 v[4:5], v[12:13], v[4:5] op_sel:[1,0] op_sel_hi:[0,0]
	v_pk_add_f32 v[2:3], v[2:3], v[6:7]
	v_pk_fma_f32 v[6:7], v[12:13], v[32:33], v[4:5] neg_lo:[0,0,1] neg_hi:[0,0,1]
	v_pk_fma_f32 v[4:5], v[12:13], v[32:33], v[4:5] op_sel_hi:[1,0,1]
	s_nop 0
	v_mov_b32_e32 v7, v5
	s_waitcnt vmcnt(1) lgkmcnt(0)
	v_pk_mul_f32 v[4:5], v[18:19], v[14:15] op_sel:[1,1] op_sel_hi:[0,1]
	v_pk_add_f32 v[2:3], v[2:3], v[6:7]
	v_pk_fma_f32 v[6:7], v[18:19], v[14:15], v[4:5] neg_lo:[0,0,1] neg_hi:[0,0,1]
	v_pk_fma_f32 v[4:5], v[18:19], v[14:15], v[4:5] op_sel_hi:[1,0,1]
	s_nop 0
	v_mov_b32_e32 v4, v17
	v_mov_b32_e32 v7, v5
	v_pk_mul_f32 v[4:5], v[20:21], v[4:5] op_sel:[1,0] op_sel_hi:[0,0]
	v_pk_add_f32 v[2:3], v[2:3], v[6:7]
	v_pk_fma_f32 v[6:7], v[20:21], v[16:17], v[4:5] neg_lo:[0,0,1] neg_hi:[0,0,1]
	v_pk_fma_f32 v[4:5], v[20:21], v[16:17], v[4:5] op_sel_hi:[1,0,1]
	s_nop 0
	v_mov_b32_e32 v7, v5
	v_pk_add_f32 v[2:3], v[2:3], v[6:7]
	s_waitcnt vmcnt(0)
	v_pk_add_f32 v[2:3], v[100:101], v[2:3] neg_lo:[0,1] neg_hi:[0,1]
	scratch_store_dwordx2 off, v[2:3], off offset:104
	s_and_saveexec_b64 s[0:1], vcc
	s_cbranch_execz .LBB105_241
; %bb.240:
	scratch_load_dwordx2 v[2:3], off, off offset:96
	v_mov_b32_e32 v4, 0
	v_mov_b32_e32 v5, v4
	scratch_store_dwordx2 off, v[4:5], off offset:96
	s_waitcnt vmcnt(1)
	ds_write_b64 v1, v[2:3]
.LBB105_241:
	s_or_b64 exec, exec, s[0:1]
	s_waitcnt lgkmcnt(0)
	; wave barrier
	scratch_load_dwordx4 v[18:21], off, off offset:104
	scratch_load_dwordx4 v[2:5], off, off offset:120
	;; [unrolled: 1-line block ×14, first 2 shown]
	scratch_load_dwordx2 v[58:59], off, off offset:328
	scratch_load_dwordx2 v[100:101], off, off offset:96
	v_mov_b32_e32 v102, 0
	ds_read2_b64 v[60:63], v102 offset0:55 offset1:56
	ds_read2_b64 v[64:67], v102 offset0:57 offset1:58
	;; [unrolled: 1-line block ×12, first 2 shown]
	v_cmp_lt_u32_e32 vcc, 11, v0
	s_waitcnt vmcnt(15) lgkmcnt(11)
	v_mul_f32_e32 v103, v60, v19
	v_mul_f32_e32 v112, v62, v21
	s_waitcnt vmcnt(14) lgkmcnt(10)
	v_mul_f32_e32 v114, v64, v3
	v_mul_f32_e32 v3, v65, v3
	v_fmac_f32_e32 v103, v61, v18
	v_fmac_f32_e32 v112, v63, v20
	;; [unrolled: 1-line block ×3, first 2 shown]
	v_fma_f32 v2, v64, v2, -v3
	v_add_f32_e32 v3, 0, v103
	v_mul_f32_e32 v116, v66, v5
	v_add_f32_e32 v3, v3, v112
	s_waitcnt vmcnt(13) lgkmcnt(9)
	v_mul_f32_e32 v117, v68, v7
	v_fmac_f32_e32 v116, v67, v4
	v_add_f32_e32 v3, v3, v114
	v_mul_f32_e32 v118, v70, v9
	v_fmac_f32_e32 v117, v69, v6
	v_add_f32_e32 v3, v3, v116
	s_waitcnt vmcnt(12) lgkmcnt(8)
	v_mul_f32_e32 v119, v72, v11
	v_fmac_f32_e32 v118, v71, v8
	v_add_f32_e32 v3, v3, v117
	v_mul_f32_e32 v120, v74, v13
	v_fmac_f32_e32 v119, v73, v10
	;; [unrolled: 7-line block ×6, first 2 shown]
	v_add_f32_e32 v3, v3, v210
	s_waitcnt vmcnt(7) lgkmcnt(3)
	v_mul_f32_e32 v213, v92, v43
	v_fmac_f32_e32 v212, v91, v40
	v_add_f32_e32 v3, v3, v211
	v_mul_f32_e32 v214, v94, v45
	v_mul_f32_e32 v19, v61, v19
	v_fmac_f32_e32 v213, v93, v42
	v_add_f32_e32 v3, v3, v212
	s_waitcnt vmcnt(6) lgkmcnt(2)
	v_mul_f32_e32 v215, v96, v51
	v_mul_f32_e32 v21, v63, v21
	v_fmac_f32_e32 v214, v95, v44
	v_fma_f32 v18, v60, v18, -v19
	v_add_f32_e32 v3, v3, v213
	v_fmac_f32_e32 v215, v97, v50
	v_fma_f32 v19, v62, v20, -v21
	v_add_f32_e32 v18, 0, v18
	v_add_f32_e32 v3, v3, v214
	;; [unrolled: 1-line block ×4, first 2 shown]
	v_mul_f32_e32 v3, v67, v5
	v_add_f32_e32 v2, v18, v2
	v_fma_f32 v3, v66, v4, -v3
	v_add_f32_e32 v2, v2, v3
	v_mul_f32_e32 v3, v69, v7
	v_fma_f32 v3, v68, v6, -v3
	v_add_f32_e32 v2, v2, v3
	v_mul_f32_e32 v3, v71, v9
	;; [unrolled: 3-line block ×15, first 2 shown]
	v_fma_f32 v3, v96, v50, -v3
	v_mul_f32_e32 v113, v98, v53
	v_add_f32_e32 v18, v2, v3
	v_mul_f32_e32 v2, v99, v53
	s_waitcnt vmcnt(5)
	v_mov_b32_e32 v14, v57
	s_waitcnt lgkmcnt(1)
	v_mul_f32_e32 v115, v104, v55
	v_fmac_f32_e32 v113, v99, v52
	v_fma_f32 v112, v98, v52, -v2
	v_mul_f32_e32 v2, v105, v55
	v_pk_mul_f32 v[14:15], v[106:107], v[14:15] op_sel:[1,0] op_sel_hi:[0,0]
	v_fmac_f32_e32 v115, v105, v54
	v_fma_f32 v114, v104, v54, -v2
	v_pk_add_f32 v[12:13], v[18:19], v[112:113]
	v_pk_fma_f32 v[16:17], v[106:107], v[56:57], v[14:15] neg_lo:[0,0,1] neg_hi:[0,0,1]
	v_pk_fma_f32 v[14:15], v[106:107], v[56:57], v[14:15] op_sel_hi:[1,0,1]
	v_pk_add_f32 v[12:13], v[12:13], v[114:115]
	v_mov_b32_e32 v17, v15
	s_waitcnt vmcnt(4) lgkmcnt(0)
	v_pk_mul_f32 v[14:15], v[108:109], v[46:47] op_sel:[1,1] op_sel_hi:[0,1]
	v_pk_add_f32 v[12:13], v[12:13], v[16:17]
	v_pk_fma_f32 v[16:17], v[108:109], v[46:47], v[14:15] neg_lo:[0,0,1] neg_hi:[0,0,1]
	v_pk_fma_f32 v[14:15], v[108:109], v[46:47], v[14:15] op_sel_hi:[1,0,1]
	ds_read2_b64 v[2:5], v102 offset0:79 offset1:80
	ds_read2_b64 v[6:9], v102 offset0:81 offset1:82
	ds_read_b64 v[10:11], v102 offset:664
	v_mov_b32_e32 v14, v49
	v_mov_b32_e32 v17, v15
	v_pk_mul_f32 v[14:15], v[110:111], v[14:15] op_sel:[1,0] op_sel_hi:[0,0]
	v_pk_add_f32 v[12:13], v[12:13], v[16:17]
	v_pk_fma_f32 v[16:17], v[110:111], v[48:49], v[14:15] neg_lo:[0,0,1] neg_hi:[0,0,1]
	v_pk_fma_f32 v[14:15], v[110:111], v[48:49], v[14:15] op_sel_hi:[1,0,1]
	s_nop 0
	v_mov_b32_e32 v17, v15
	s_waitcnt vmcnt(3) lgkmcnt(2)
	v_pk_mul_f32 v[14:15], v[2:3], v[34:35] op_sel:[1,1] op_sel_hi:[0,1]
	v_pk_add_f32 v[12:13], v[12:13], v[16:17]
	v_pk_fma_f32 v[16:17], v[2:3], v[34:35], v[14:15] neg_lo:[0,0,1] neg_hi:[0,0,1]
	v_pk_fma_f32 v[2:3], v[2:3], v[34:35], v[14:15] op_sel_hi:[1,0,1]
	s_nop 0
	v_mov_b32_e32 v17, v3
	v_pk_add_f32 v[2:3], v[12:13], v[16:17]
	v_mov_b32_e32 v12, v37
	v_pk_mul_f32 v[12:13], v[4:5], v[12:13] op_sel:[1,0] op_sel_hi:[0,0]
	v_pk_fma_f32 v[14:15], v[4:5], v[36:37], v[12:13] neg_lo:[0,0,1] neg_hi:[0,0,1]
	v_pk_fma_f32 v[4:5], v[4:5], v[36:37], v[12:13] op_sel_hi:[1,0,1]
	s_nop 0
	v_mov_b32_e32 v15, v5
	s_waitcnt vmcnt(2) lgkmcnt(1)
	v_pk_mul_f32 v[4:5], v[6:7], v[22:23] op_sel:[1,1] op_sel_hi:[0,1]
	v_pk_fma_f32 v[12:13], v[6:7], v[22:23], v[4:5] neg_lo:[0,0,1] neg_hi:[0,0,1]
	v_pk_fma_f32 v[4:5], v[6:7], v[22:23], v[4:5] op_sel_hi:[1,0,1]
	v_pk_add_f32 v[2:3], v[2:3], v[14:15]
	v_mov_b32_e32 v4, v25
	v_mov_b32_e32 v13, v5
	v_pk_mul_f32 v[4:5], v[8:9], v[4:5] op_sel:[1,0] op_sel_hi:[0,0]
	v_pk_fma_f32 v[6:7], v[8:9], v[24:25], v[4:5] neg_lo:[0,0,1] neg_hi:[0,0,1]
	v_pk_fma_f32 v[4:5], v[8:9], v[24:25], v[4:5] op_sel_hi:[1,0,1]
	v_pk_add_f32 v[2:3], v[2:3], v[12:13]
	v_mov_b32_e32 v7, v5
	s_waitcnt vmcnt(1) lgkmcnt(0)
	v_pk_mul_f32 v[4:5], v[10:11], v[58:59] op_sel:[1,1] op_sel_hi:[0,1]
	v_pk_add_f32 v[2:3], v[2:3], v[6:7]
	v_pk_fma_f32 v[6:7], v[10:11], v[58:59], v[4:5] neg_lo:[0,0,1] neg_hi:[0,0,1]
	v_pk_fma_f32 v[4:5], v[10:11], v[58:59], v[4:5] op_sel_hi:[1,0,1]
	s_nop 0
	v_mov_b32_e32 v7, v5
	v_pk_add_f32 v[2:3], v[2:3], v[6:7]
	s_waitcnt vmcnt(0)
	v_pk_add_f32 v[2:3], v[100:101], v[2:3] neg_lo:[0,1] neg_hi:[0,1]
	scratch_store_dwordx2 off, v[2:3], off offset:96
	s_and_saveexec_b64 s[0:1], vcc
	s_cbranch_execz .LBB105_243
; %bb.242:
	scratch_load_dwordx2 v[2:3], off, off offset:88
	v_mov_b32_e32 v103, v102
	scratch_store_dwordx2 off, v[102:103], off offset:88
	s_waitcnt vmcnt(1)
	ds_write_b64 v1, v[2:3]
.LBB105_243:
	s_or_b64 exec, exec, s[0:1]
	s_waitcnt lgkmcnt(0)
	; wave barrier
	scratch_load_dwordx4 v[22:25], off, off offset:96
	scratch_load_dwordx4 v[2:5], off, off offset:112
	;; [unrolled: 1-line block ×11, first 2 shown]
	ds_read_b128 v[104:107], v102 offset:432
	ds_read_b128 v[98:101], v102 offset:448
	;; [unrolled: 1-line block ×10, first 2 shown]
	scratch_load_dwordx4 v[58:61], off, off offset:272
	scratch_load_dwordx4 v[50:53], off, off offset:288
	;; [unrolled: 1-line block ×4, first 2 shown]
	ds_read_b128 v[78:81], v102 offset:592
	ds_read_b128 v[108:111], v102 offset:608
	scratch_load_dwordx2 v[112:113], off, off offset:88
	v_cmp_lt_u32_e32 vcc, 10, v0
	s_waitcnt vmcnt(15) lgkmcnt(11)
	v_mul_f32_e32 v103, v104, v23
	v_mul_f32_e32 v114, v106, v25
	s_waitcnt vmcnt(14) lgkmcnt(10)
	v_mul_f32_e32 v116, v98, v3
	v_mul_f32_e32 v3, v99, v3
	v_fmac_f32_e32 v103, v105, v22
	v_fmac_f32_e32 v114, v107, v24
	v_fmac_f32_e32 v116, v99, v2
	v_fma_f32 v2, v98, v2, -v3
	v_add_f32_e32 v3, 0, v103
	v_mul_f32_e32 v118, v100, v5
	v_add_f32_e32 v3, v3, v114
	s_waitcnt vmcnt(13) lgkmcnt(9)
	v_mul_f32_e32 v119, v94, v7
	v_fmac_f32_e32 v118, v101, v4
	v_add_f32_e32 v3, v3, v116
	v_mul_f32_e32 v120, v96, v9
	v_fmac_f32_e32 v119, v95, v6
	v_add_f32_e32 v3, v3, v118
	s_waitcnt vmcnt(12) lgkmcnt(8)
	v_mul_f32_e32 v121, v90, v11
	v_fmac_f32_e32 v120, v97, v8
	v_add_f32_e32 v3, v3, v119
	v_mul_f32_e32 v206, v92, v13
	v_fmac_f32_e32 v121, v91, v10
	;; [unrolled: 7-line block ×7, first 2 shown]
	v_add_f32_e32 v3, v3, v214
	s_waitcnt vmcnt(6) lgkmcnt(2)
	v_mul_f32_e32 v217, v62, v47
	v_mul_f32_e32 v23, v105, v23
	v_fmac_f32_e32 v216, v69, v44
	v_add_f32_e32 v3, v3, v215
	v_mul_f32_e32 v218, v64, v49
	v_mul_f32_e32 v25, v107, v25
	v_fmac_f32_e32 v217, v63, v46
	v_fma_f32 v22, v104, v22, -v23
	v_add_f32_e32 v3, v3, v216
	v_fmac_f32_e32 v218, v65, v48
	v_fma_f32 v23, v106, v24, -v25
	v_add_f32_e32 v22, 0, v22
	v_add_f32_e32 v3, v3, v217
	;; [unrolled: 1-line block ×4, first 2 shown]
	v_mul_f32_e32 v3, v101, v5
	v_add_f32_e32 v2, v22, v2
	v_fma_f32 v3, v100, v4, -v3
	v_add_f32_e32 v2, v2, v3
	v_mul_f32_e32 v3, v95, v7
	v_fma_f32 v3, v94, v6, -v3
	v_add_f32_e32 v2, v2, v3
	v_mul_f32_e32 v3, v97, v9
	;; [unrolled: 3-line block ×16, first 2 shown]
	v_fma_f32 v3, v64, v48, -v3
	s_waitcnt vmcnt(5) lgkmcnt(1)
	v_mul_f32_e32 v115, v78, v55
	v_add_f32_e32 v22, v2, v3
	v_mul_f32_e32 v2, v79, v55
	s_waitcnt vmcnt(4) lgkmcnt(0)
	v_pk_mul_f32 v[16:17], v[108:109], v[58:59] op_sel:[1,1] op_sel_hi:[0,1]
	v_mul_f32_e32 v117, v80, v57
	v_fmac_f32_e32 v115, v79, v54
	v_fma_f32 v114, v78, v54, -v2
	v_mul_f32_e32 v2, v81, v57
	v_pk_fma_f32 v[18:19], v[108:109], v[58:59], v[16:17] neg_lo:[0,0,1] neg_hi:[0,0,1]
	v_pk_fma_f32 v[16:17], v[108:109], v[58:59], v[16:17] op_sel_hi:[1,0,1]
	v_fmac_f32_e32 v117, v81, v56
	v_fma_f32 v116, v80, v56, -v2
	ds_read_b128 v[2:5], v102 offset:624
	ds_read_b128 v[6:9], v102 offset:640
	;; [unrolled: 1-line block ×3, first 2 shown]
	v_pk_add_f32 v[14:15], v[22:23], v[114:115]
	v_mov_b32_e32 v16, v61
	v_pk_add_f32 v[14:15], v[14:15], v[116:117]
	v_mov_b32_e32 v19, v17
	v_pk_mul_f32 v[16:17], v[110:111], v[16:17] op_sel:[1,0] op_sel_hi:[0,0]
	v_pk_add_f32 v[14:15], v[14:15], v[18:19]
	v_pk_fma_f32 v[18:19], v[110:111], v[60:61], v[16:17] neg_lo:[0,0,1] neg_hi:[0,0,1]
	v_pk_fma_f32 v[16:17], v[110:111], v[60:61], v[16:17] op_sel_hi:[1,0,1]
	s_nop 0
	v_mov_b32_e32 v19, v17
	s_waitcnt vmcnt(3) lgkmcnt(2)
	v_pk_mul_f32 v[16:17], v[2:3], v[50:51] op_sel:[1,1] op_sel_hi:[0,1]
	v_pk_add_f32 v[14:15], v[14:15], v[18:19]
	v_pk_fma_f32 v[18:19], v[2:3], v[50:51], v[16:17] neg_lo:[0,0,1] neg_hi:[0,0,1]
	v_pk_fma_f32 v[2:3], v[2:3], v[50:51], v[16:17] op_sel_hi:[1,0,1]
	s_nop 0
	v_mov_b32_e32 v19, v3
	v_pk_add_f32 v[2:3], v[14:15], v[18:19]
	v_mov_b32_e32 v14, v53
	v_pk_mul_f32 v[14:15], v[4:5], v[14:15] op_sel:[1,0] op_sel_hi:[0,0]
	v_pk_fma_f32 v[16:17], v[4:5], v[52:53], v[14:15] neg_lo:[0,0,1] neg_hi:[0,0,1]
	v_pk_fma_f32 v[4:5], v[4:5], v[52:53], v[14:15] op_sel_hi:[1,0,1]
	s_nop 0
	v_mov_b32_e32 v17, v5
	s_waitcnt vmcnt(2) lgkmcnt(1)
	v_pk_mul_f32 v[4:5], v[6:7], v[38:39] op_sel:[1,1] op_sel_hi:[0,1]
	v_pk_fma_f32 v[14:15], v[6:7], v[38:39], v[4:5] neg_lo:[0,0,1] neg_hi:[0,0,1]
	v_pk_fma_f32 v[4:5], v[6:7], v[38:39], v[4:5] op_sel_hi:[1,0,1]
	v_pk_add_f32 v[2:3], v[2:3], v[16:17]
	v_mov_b32_e32 v4, v41
	v_mov_b32_e32 v15, v5
	v_pk_mul_f32 v[4:5], v[8:9], v[4:5] op_sel:[1,0] op_sel_hi:[0,0]
	v_pk_fma_f32 v[6:7], v[8:9], v[40:41], v[4:5] neg_lo:[0,0,1] neg_hi:[0,0,1]
	v_pk_fma_f32 v[4:5], v[8:9], v[40:41], v[4:5] op_sel_hi:[1,0,1]
	v_pk_add_f32 v[2:3], v[2:3], v[14:15]
	v_mov_b32_e32 v7, v5
	s_waitcnt vmcnt(1) lgkmcnt(0)
	v_pk_mul_f32 v[4:5], v[10:11], v[26:27] op_sel:[1,1] op_sel_hi:[0,1]
	v_pk_add_f32 v[2:3], v[2:3], v[6:7]
	v_pk_fma_f32 v[6:7], v[10:11], v[26:27], v[4:5] neg_lo:[0,0,1] neg_hi:[0,0,1]
	v_pk_fma_f32 v[4:5], v[10:11], v[26:27], v[4:5] op_sel_hi:[1,0,1]
	s_nop 0
	v_mov_b32_e32 v4, v29
	v_mov_b32_e32 v7, v5
	v_pk_mul_f32 v[4:5], v[12:13], v[4:5] op_sel:[1,0] op_sel_hi:[0,0]
	v_pk_add_f32 v[2:3], v[2:3], v[6:7]
	v_pk_fma_f32 v[6:7], v[12:13], v[28:29], v[4:5] neg_lo:[0,0,1] neg_hi:[0,0,1]
	v_pk_fma_f32 v[4:5], v[12:13], v[28:29], v[4:5] op_sel_hi:[1,0,1]
	s_nop 0
	v_mov_b32_e32 v7, v5
	v_pk_add_f32 v[2:3], v[2:3], v[6:7]
	s_waitcnt vmcnt(0)
	v_pk_add_f32 v[2:3], v[112:113], v[2:3] neg_lo:[0,1] neg_hi:[0,1]
	scratch_store_dwordx2 off, v[2:3], off offset:88
	s_and_saveexec_b64 s[0:1], vcc
	s_cbranch_execz .LBB105_245
; %bb.244:
	scratch_load_dwordx2 v[2:3], off, off offset:80
	v_mov_b32_e32 v4, 0
	v_mov_b32_e32 v5, v4
	scratch_store_dwordx2 off, v[4:5], off offset:80
	s_waitcnt vmcnt(1)
	ds_write_b64 v1, v[2:3]
.LBB105_245:
	s_or_b64 exec, exec, s[0:1]
	s_waitcnt lgkmcnt(0)
	; wave barrier
	scratch_load_dwordx4 v[2:5], off, off offset:88
	scratch_load_dwordx4 v[6:9], off, off offset:104
	;; [unrolled: 1-line block ×15, first 2 shown]
	scratch_load_dwordx2 v[62:63], off, off offset:328
	scratch_load_dwordx2 v[112:113], off, off offset:80
	v_mov_b32_e32 v114, 0
	ds_read2_b64 v[64:67], v114 offset0:53 offset1:54
	ds_read2_b64 v[68:71], v114 offset0:55 offset1:56
	ds_read2_b64 v[72:75], v114 offset0:57 offset1:58
	ds_read2_b64 v[76:79], v114 offset0:59 offset1:60
	ds_read2_b64 v[80:83], v114 offset0:61 offset1:62
	ds_read2_b64 v[84:87], v114 offset0:63 offset1:64
	ds_read2_b64 v[88:91], v114 offset0:65 offset1:66
	ds_read2_b64 v[92:95], v114 offset0:67 offset1:68
	ds_read2_b64 v[96:99], v114 offset0:69 offset1:70
	ds_read2_b64 v[100:103], v114 offset0:71 offset1:72
	ds_read2_b64 v[104:107], v114 offset0:73 offset1:74
	ds_read2_b64 v[108:111], v114 offset0:75 offset1:76
	v_cmp_lt_u32_e32 vcc, 9, v0
	s_waitcnt vmcnt(16) lgkmcnt(11)
	v_mul_f32_e32 v115, v64, v3
	v_mul_f32_e32 v116, v66, v5
	;; [unrolled: 1-line block ×3, first 2 shown]
	v_fmac_f32_e32 v115, v65, v2
	s_waitcnt vmcnt(15) lgkmcnt(10)
	v_mul_f32_e32 v118, v68, v7
	v_fmac_f32_e32 v116, v67, v4
	v_fma_f32 v2, v64, v2, -v3
	v_add_f32_e32 v3, 0, v115
	v_mul_f32_e32 v120, v70, v9
	v_fmac_f32_e32 v118, v69, v6
	v_add_f32_e32 v3, v3, v116
	s_waitcnt vmcnt(14) lgkmcnt(9)
	v_mul_f32_e32 v121, v72, v11
	v_fmac_f32_e32 v120, v71, v8
	v_add_f32_e32 v3, v3, v118
	v_mul_f32_e32 v206, v74, v13
	v_fmac_f32_e32 v121, v73, v10
	v_add_f32_e32 v3, v3, v120
	s_waitcnt vmcnt(13) lgkmcnt(8)
	v_mul_f32_e32 v207, v76, v15
	v_fmac_f32_e32 v206, v75, v12
	;; [unrolled: 7-line block ×9, first 2 shown]
	v_add_f32_e32 v3, v3, v219
	v_mul_f32_e32 v5, v67, v5
	v_fmac_f32_e32 v221, v105, v58
	v_add_f32_e32 v3, v3, v220
	v_add_f32_e32 v2, 0, v2
	;; [unrolled: 1-line block ×3, first 2 shown]
	v_fma_f32 v3, v66, v4, -v5
	v_add_f32_e32 v2, v2, v3
	v_mul_f32_e32 v3, v69, v7
	v_fma_f32 v3, v68, v6, -v3
	v_add_f32_e32 v2, v2, v3
	v_mul_f32_e32 v3, v71, v9
	;; [unrolled: 3-line block ×20, first 2 shown]
	v_mul_f32_e32 v117, v106, v61
	v_fma_f32 v116, v106, v60, -v2
	s_waitcnt vmcnt(5) lgkmcnt(0)
	v_mul_f32_e32 v2, v109, v55
	v_mov_b32_e32 v18, v57
	v_mul_f32_e32 v119, v108, v55
	v_fmac_f32_e32 v117, v107, v60
	v_fma_f32 v118, v108, v54, -v2
	ds_read2_b64 v[2:5], v114 offset0:77 offset1:78
	ds_read2_b64 v[6:9], v114 offset0:79 offset1:80
	;; [unrolled: 1-line block ×3, first 2 shown]
	ds_read_b64 v[14:15], v114 offset:664
	v_pk_mul_f32 v[18:19], v[110:111], v[18:19] op_sel:[1,0] op_sel_hi:[0,0]
	v_fmac_f32_e32 v119, v109, v54
	v_pk_add_f32 v[16:17], v[64:65], v[116:117]
	v_pk_fma_f32 v[20:21], v[110:111], v[56:57], v[18:19] neg_lo:[0,0,1] neg_hi:[0,0,1]
	v_pk_fma_f32 v[18:19], v[110:111], v[56:57], v[18:19] op_sel_hi:[1,0,1]
	v_pk_add_f32 v[16:17], v[16:17], v[118:119]
	v_mov_b32_e32 v21, v19
	s_waitcnt vmcnt(4) lgkmcnt(3)
	v_pk_mul_f32 v[18:19], v[2:3], v[50:51] op_sel:[1,1] op_sel_hi:[0,1]
	v_pk_add_f32 v[16:17], v[16:17], v[20:21]
	v_pk_fma_f32 v[20:21], v[2:3], v[50:51], v[18:19] neg_lo:[0,0,1] neg_hi:[0,0,1]
	v_pk_fma_f32 v[2:3], v[2:3], v[50:51], v[18:19] op_sel_hi:[1,0,1]
	s_nop 0
	v_mov_b32_e32 v21, v3
	v_pk_add_f32 v[2:3], v[16:17], v[20:21]
	v_mov_b32_e32 v16, v53
	v_pk_mul_f32 v[16:17], v[4:5], v[16:17] op_sel:[1,0] op_sel_hi:[0,0]
	v_pk_fma_f32 v[18:19], v[4:5], v[52:53], v[16:17] neg_lo:[0,0,1] neg_hi:[0,0,1]
	v_pk_fma_f32 v[4:5], v[4:5], v[52:53], v[16:17] op_sel_hi:[1,0,1]
	s_nop 0
	v_mov_b32_e32 v19, v5
	s_waitcnt vmcnt(3) lgkmcnt(2)
	v_pk_mul_f32 v[4:5], v[6:7], v[38:39] op_sel:[1,1] op_sel_hi:[0,1]
	v_pk_fma_f32 v[16:17], v[6:7], v[38:39], v[4:5] neg_lo:[0,0,1] neg_hi:[0,0,1]
	v_pk_fma_f32 v[4:5], v[6:7], v[38:39], v[4:5] op_sel_hi:[1,0,1]
	v_pk_add_f32 v[2:3], v[2:3], v[18:19]
	v_mov_b32_e32 v4, v41
	v_mov_b32_e32 v17, v5
	v_pk_mul_f32 v[4:5], v[8:9], v[4:5] op_sel:[1,0] op_sel_hi:[0,0]
	v_pk_fma_f32 v[6:7], v[8:9], v[40:41], v[4:5] neg_lo:[0,0,1] neg_hi:[0,0,1]
	v_pk_fma_f32 v[4:5], v[8:9], v[40:41], v[4:5] op_sel_hi:[1,0,1]
	v_pk_add_f32 v[2:3], v[2:3], v[16:17]
	v_mov_b32_e32 v7, v5
	s_waitcnt vmcnt(2) lgkmcnt(1)
	v_pk_mul_f32 v[4:5], v[10:11], v[26:27] op_sel:[1,1] op_sel_hi:[0,1]
	v_pk_add_f32 v[2:3], v[2:3], v[6:7]
	v_pk_fma_f32 v[6:7], v[10:11], v[26:27], v[4:5] neg_lo:[0,0,1] neg_hi:[0,0,1]
	v_pk_fma_f32 v[4:5], v[10:11], v[26:27], v[4:5] op_sel_hi:[1,0,1]
	s_nop 0
	v_mov_b32_e32 v4, v29
	v_mov_b32_e32 v7, v5
	v_pk_mul_f32 v[4:5], v[12:13], v[4:5] op_sel:[1,0] op_sel_hi:[0,0]
	v_pk_add_f32 v[2:3], v[2:3], v[6:7]
	v_pk_fma_f32 v[6:7], v[12:13], v[28:29], v[4:5] neg_lo:[0,0,1] neg_hi:[0,0,1]
	v_pk_fma_f32 v[4:5], v[12:13], v[28:29], v[4:5] op_sel_hi:[1,0,1]
	s_nop 0
	v_mov_b32_e32 v7, v5
	s_waitcnt vmcnt(1) lgkmcnt(0)
	v_pk_mul_f32 v[4:5], v[14:15], v[62:63] op_sel:[1,1] op_sel_hi:[0,1]
	v_pk_add_f32 v[2:3], v[2:3], v[6:7]
	v_pk_fma_f32 v[6:7], v[14:15], v[62:63], v[4:5] neg_lo:[0,0,1] neg_hi:[0,0,1]
	v_pk_fma_f32 v[4:5], v[14:15], v[62:63], v[4:5] op_sel_hi:[1,0,1]
	s_nop 0
	v_mov_b32_e32 v7, v5
	v_pk_add_f32 v[2:3], v[2:3], v[6:7]
	s_waitcnt vmcnt(0)
	v_pk_add_f32 v[2:3], v[112:113], v[2:3] neg_lo:[0,1] neg_hi:[0,1]
	scratch_store_dwordx2 off, v[2:3], off offset:80
	s_and_saveexec_b64 s[0:1], vcc
	s_cbranch_execz .LBB105_247
; %bb.246:
	scratch_load_dwordx2 v[2:3], off, off offset:72
	v_mov_b32_e32 v115, v114
	scratch_store_dwordx2 off, v[114:115], off offset:72
	s_waitcnt vmcnt(1)
	ds_write_b64 v1, v[2:3]
.LBB105_247:
	s_or_b64 exec, exec, s[0:1]
	s_waitcnt lgkmcnt(0)
	; wave barrier
	scratch_load_dwordx4 v[2:5], off, off offset:80
	scratch_load_dwordx4 v[6:9], off, off offset:96
	;; [unrolled: 1-line block ×12, first 2 shown]
	ds_read_b128 v[110:113], v114 offset:416
	ds_read_b128 v[106:109], v114 offset:432
	;; [unrolled: 1-line block ×12, first 2 shown]
	scratch_load_dwordx4 v[62:65], off, off offset:272
	scratch_load_dwordx4 v[54:57], off, off offset:288
	;; [unrolled: 1-line block ×4, first 2 shown]
	scratch_load_dwordx2 v[116:117], off, off offset:72
	v_cmp_lt_u32_e32 vcc, 8, v0
	s_waitcnt vmcnt(16) lgkmcnt(11)
	v_mul_f32_e32 v115, v110, v3
	v_mul_f32_e32 v118, v112, v5
	;; [unrolled: 1-line block ×3, first 2 shown]
	v_fmac_f32_e32 v115, v111, v2
	s_waitcnt vmcnt(15) lgkmcnt(10)
	v_mul_f32_e32 v120, v106, v7
	v_fmac_f32_e32 v118, v113, v4
	v_fma_f32 v2, v110, v2, -v3
	v_add_f32_e32 v3, 0, v115
	v_mul_f32_e32 v206, v108, v9
	v_fmac_f32_e32 v120, v107, v6
	v_add_f32_e32 v3, v3, v118
	s_waitcnt vmcnt(14) lgkmcnt(9)
	v_mul_f32_e32 v207, v102, v11
	v_fmac_f32_e32 v206, v109, v8
	v_add_f32_e32 v3, v3, v120
	v_mul_f32_e32 v208, v104, v13
	v_fmac_f32_e32 v207, v103, v10
	v_add_f32_e32 v3, v3, v206
	s_waitcnt vmcnt(13) lgkmcnt(8)
	v_mul_f32_e32 v209, v98, v15
	v_fmac_f32_e32 v208, v105, v12
	;; [unrolled: 7-line block ×9, first 2 shown]
	v_add_f32_e32 v3, v3, v221
	v_mul_f32_e32 v224, v72, v53
	v_fmac_f32_e32 v223, v71, v50
	v_add_f32_e32 v3, v3, v222
	v_fmac_f32_e32 v224, v73, v52
	v_add_f32_e32 v3, v3, v223
	v_add_f32_e32 v111, v3, v224
	v_mul_f32_e32 v3, v113, v5
	v_add_f32_e32 v2, 0, v2
	v_fma_f32 v3, v112, v4, -v3
	v_add_f32_e32 v2, v2, v3
	v_mul_f32_e32 v3, v107, v7
	v_fma_f32 v3, v106, v6, -v3
	v_add_f32_e32 v2, v2, v3
	v_mul_f32_e32 v3, v109, v9
	v_fma_f32 v3, v108, v8, -v3
	v_add_f32_e32 v2, v2, v3
	v_mul_f32_e32 v3, v103, v11
	v_fma_f32 v3, v102, v10, -v3
	v_add_f32_e32 v2, v2, v3
	v_mul_f32_e32 v3, v105, v13
	v_fma_f32 v3, v104, v12, -v3
	v_add_f32_e32 v2, v2, v3
	v_mul_f32_e32 v3, v99, v15
	v_fma_f32 v3, v98, v14, -v3
	v_add_f32_e32 v2, v2, v3
	v_mul_f32_e32 v3, v101, v17
	v_fma_f32 v3, v100, v16, -v3
	v_add_f32_e32 v2, v2, v3
	v_mul_f32_e32 v3, v95, v19
	v_fma_f32 v3, v94, v18, -v3
	v_add_f32_e32 v2, v2, v3
	v_mul_f32_e32 v3, v97, v21
	v_fma_f32 v3, v96, v20, -v3
	v_add_f32_e32 v2, v2, v3
	v_mul_f32_e32 v3, v91, v23
	v_fma_f32 v3, v90, v22, -v3
	v_add_f32_e32 v2, v2, v3
	v_mul_f32_e32 v3, v93, v25
	v_fma_f32 v3, v92, v24, -v3
	v_add_f32_e32 v2, v2, v3
	v_mul_f32_e32 v3, v87, v27
	v_fma_f32 v3, v86, v26, -v3
	v_add_f32_e32 v2, v2, v3
	v_mul_f32_e32 v3, v89, v29
	v_fma_f32 v3, v88, v28, -v3
	v_add_f32_e32 v2, v2, v3
	v_mul_f32_e32 v3, v83, v31
	v_fma_f32 v3, v82, v30, -v3
	v_add_f32_e32 v2, v2, v3
	v_mul_f32_e32 v3, v85, v33
	v_fma_f32 v3, v84, v32, -v3
	v_add_f32_e32 v2, v2, v3
	v_mul_f32_e32 v3, v79, v39
	v_fma_f32 v3, v78, v38, -v3
	v_add_f32_e32 v2, v2, v3
	v_mul_f32_e32 v3, v81, v41
	v_fma_f32 v3, v80, v40, -v3
	v_add_f32_e32 v2, v2, v3
	v_mul_f32_e32 v3, v75, v47
	v_fma_f32 v3, v74, v46, -v3
	v_add_f32_e32 v2, v2, v3
	v_mul_f32_e32 v3, v77, v49
	v_fma_f32 v3, v76, v48, -v3
	v_add_f32_e32 v2, v2, v3
	v_mul_f32_e32 v3, v71, v51
	v_fma_f32 v3, v70, v50, -v3
	v_add_f32_e32 v2, v2, v3
	v_mul_f32_e32 v3, v73, v53
	v_fma_f32 v3, v72, v52, -v3
	v_add_f32_e32 v110, v2, v3
	s_waitcnt vmcnt(5) lgkmcnt(0)
	v_mul_f32_e32 v2, v67, v59
	v_fma_f32 v118, v66, v58, -v2
	v_mul_f32_e32 v2, v69, v61
	v_fma_f32 v120, v68, v60, -v2
	ds_read_b128 v[2:5], v114 offset:608
	ds_read_b128 v[6:9], v114 offset:624
	;; [unrolled: 1-line block ×4, first 2 shown]
	v_mul_f32_e32 v119, v66, v59
	v_mul_f32_e32 v121, v68, v61
	v_fmac_f32_e32 v119, v67, v58
	s_waitcnt vmcnt(4) lgkmcnt(3)
	v_pk_mul_f32 v[20:21], v[2:3], v[62:63] op_sel:[1,1] op_sel_hi:[0,1]
	v_fmac_f32_e32 v121, v69, v60
	v_pk_add_f32 v[18:19], v[110:111], v[118:119]
	v_pk_fma_f32 v[22:23], v[2:3], v[62:63], v[20:21] neg_lo:[0,0,1] neg_hi:[0,0,1]
	v_pk_fma_f32 v[2:3], v[2:3], v[62:63], v[20:21] op_sel_hi:[1,0,1]
	v_pk_add_f32 v[18:19], v[18:19], v[120:121]
	v_mov_b32_e32 v23, v3
	v_pk_add_f32 v[2:3], v[18:19], v[22:23]
	v_mov_b32_e32 v18, v65
	v_pk_mul_f32 v[18:19], v[4:5], v[18:19] op_sel:[1,0] op_sel_hi:[0,0]
	v_pk_fma_f32 v[20:21], v[4:5], v[64:65], v[18:19] neg_lo:[0,0,1] neg_hi:[0,0,1]
	v_pk_fma_f32 v[4:5], v[4:5], v[64:65], v[18:19] op_sel_hi:[1,0,1]
	s_nop 0
	v_mov_b32_e32 v21, v5
	s_waitcnt vmcnt(3) lgkmcnt(2)
	v_pk_mul_f32 v[4:5], v[6:7], v[54:55] op_sel:[1,1] op_sel_hi:[0,1]
	v_pk_fma_f32 v[18:19], v[6:7], v[54:55], v[4:5] neg_lo:[0,0,1] neg_hi:[0,0,1]
	v_pk_fma_f32 v[4:5], v[6:7], v[54:55], v[4:5] op_sel_hi:[1,0,1]
	v_pk_add_f32 v[2:3], v[2:3], v[20:21]
	v_mov_b32_e32 v4, v57
	v_mov_b32_e32 v19, v5
	v_pk_mul_f32 v[4:5], v[8:9], v[4:5] op_sel:[1,0] op_sel_hi:[0,0]
	v_pk_fma_f32 v[6:7], v[8:9], v[56:57], v[4:5] neg_lo:[0,0,1] neg_hi:[0,0,1]
	v_pk_fma_f32 v[4:5], v[8:9], v[56:57], v[4:5] op_sel_hi:[1,0,1]
	v_pk_add_f32 v[2:3], v[2:3], v[18:19]
	v_mov_b32_e32 v7, v5
	s_waitcnt vmcnt(2) lgkmcnt(1)
	v_pk_mul_f32 v[4:5], v[10:11], v[42:43] op_sel:[1,1] op_sel_hi:[0,1]
	v_pk_add_f32 v[2:3], v[2:3], v[6:7]
	v_pk_fma_f32 v[6:7], v[10:11], v[42:43], v[4:5] neg_lo:[0,0,1] neg_hi:[0,0,1]
	v_pk_fma_f32 v[4:5], v[10:11], v[42:43], v[4:5] op_sel_hi:[1,0,1]
	s_nop 0
	v_mov_b32_e32 v4, v45
	v_mov_b32_e32 v7, v5
	v_pk_mul_f32 v[4:5], v[12:13], v[4:5] op_sel:[1,0] op_sel_hi:[0,0]
	v_pk_add_f32 v[2:3], v[2:3], v[6:7]
	v_pk_fma_f32 v[6:7], v[12:13], v[44:45], v[4:5] neg_lo:[0,0,1] neg_hi:[0,0,1]
	v_pk_fma_f32 v[4:5], v[12:13], v[44:45], v[4:5] op_sel_hi:[1,0,1]
	s_nop 0
	v_mov_b32_e32 v7, v5
	s_waitcnt vmcnt(1) lgkmcnt(0)
	v_pk_mul_f32 v[4:5], v[14:15], v[34:35] op_sel:[1,1] op_sel_hi:[0,1]
	v_pk_add_f32 v[2:3], v[2:3], v[6:7]
	v_pk_fma_f32 v[6:7], v[14:15], v[34:35], v[4:5] neg_lo:[0,0,1] neg_hi:[0,0,1]
	v_pk_fma_f32 v[4:5], v[14:15], v[34:35], v[4:5] op_sel_hi:[1,0,1]
	s_nop 0
	v_mov_b32_e32 v4, v37
	v_mov_b32_e32 v7, v5
	v_pk_mul_f32 v[4:5], v[16:17], v[4:5] op_sel:[1,0] op_sel_hi:[0,0]
	v_pk_add_f32 v[2:3], v[2:3], v[6:7]
	v_pk_fma_f32 v[6:7], v[16:17], v[36:37], v[4:5] neg_lo:[0,0,1] neg_hi:[0,0,1]
	v_pk_fma_f32 v[4:5], v[16:17], v[36:37], v[4:5] op_sel_hi:[1,0,1]
	s_nop 0
	v_mov_b32_e32 v7, v5
	v_pk_add_f32 v[2:3], v[2:3], v[6:7]
	s_waitcnt vmcnt(0)
	v_pk_add_f32 v[2:3], v[116:117], v[2:3] neg_lo:[0,1] neg_hi:[0,1]
	scratch_store_dwordx2 off, v[2:3], off offset:72
	s_and_saveexec_b64 s[0:1], vcc
	s_cbranch_execz .LBB105_249
; %bb.248:
	scratch_load_dwordx2 v[2:3], off, off offset:64
	v_mov_b32_e32 v4, 0
	v_mov_b32_e32 v5, v4
	scratch_store_dwordx2 off, v[4:5], off offset:64
	s_waitcnt vmcnt(1)
	ds_write_b64 v1, v[2:3]
.LBB105_249:
	s_or_b64 exec, exec, s[0:1]
	s_waitcnt lgkmcnt(0)
	; wave barrier
	scratch_load_dwordx4 v[2:5], off, off offset:72
	scratch_load_dwordx4 v[6:9], off, off offset:88
	;; [unrolled: 1-line block ×13, first 2 shown]
	v_mov_b32_e32 v106, 0
	scratch_load_dwordx2 v[120:121], off, off offset:64
	ds_read2_b64 v[54:57], v106 offset0:51 offset1:52
	ds_read2_b64 v[58:61], v106 offset0:53 offset1:54
	;; [unrolled: 1-line block ×14, first 2 shown]
	v_cmp_lt_u32_e32 vcc, 7, v0
	s_waitcnt vmcnt(13) lgkmcnt(13)
	v_mul_f32_e32 v107, v54, v3
	v_mul_f32_e32 v112, v56, v5
	v_fmac_f32_e32 v107, v55, v2
	s_waitcnt vmcnt(12) lgkmcnt(12)
	v_mul_f32_e32 v113, v58, v7
	v_fmac_f32_e32 v112, v57, v4
	v_add_f32_e32 v107, 0, v107
	v_mul_f32_e32 v114, v60, v9
	v_fmac_f32_e32 v113, v59, v6
	v_add_f32_e32 v107, v107, v112
	s_waitcnt vmcnt(11) lgkmcnt(11)
	v_mul_f32_e32 v115, v62, v11
	v_fmac_f32_e32 v114, v61, v8
	v_add_f32_e32 v107, v107, v113
	v_mul_f32_e32 v116, v64, v13
	v_fmac_f32_e32 v115, v63, v10
	v_add_f32_e32 v107, v107, v114
	;; [unrolled: 7-line block ×8, first 2 shown]
	s_waitcnt vmcnt(4) lgkmcnt(4)
	v_mul_f32_e32 v217, v90, v39
	v_fmac_f32_e32 v216, v89, v36
	v_add_f32_e32 v107, v107, v215
	v_fmac_f32_e32 v217, v91, v38
	v_add_f32_e32 v107, v107, v216
	v_add_f32_e32 v107, v107, v217
	scratch_load_dwordx4 v[112:115], off, off offset:280
	scratch_load_dwordx4 v[116:119], off, off offset:296
	;; [unrolled: 1-line block ×3, first 2 shown]
	scratch_load_dwordx2 v[216:217], off, off offset:328
	v_mul_f32_e32 v3, v55, v3
	v_fma_f32 v2, v54, v2, -v3
	v_mul_f32_e32 v3, v57, v5
	v_add_f32_e32 v2, 0, v2
	v_fma_f32 v3, v56, v4, -v3
	v_add_f32_e32 v2, v2, v3
	v_mul_f32_e32 v3, v59, v7
	v_fma_f32 v3, v58, v6, -v3
	v_add_f32_e32 v2, v2, v3
	v_mul_f32_e32 v3, v61, v9
	;; [unrolled: 3-line block ×18, first 2 shown]
	v_fma_f32 v3, v92, v40, -v3
	v_add_f32_e32 v2, v2, v3
	s_waitcnt vmcnt(7) lgkmcnt(3)
	v_mul_f32_e32 v3, v95, v43
	v_fma_f32 v3, v94, v42, -v3
	v_mul_f32_e32 v218, v92, v41
	v_add_f32_e32 v2, v2, v3
	v_mul_f32_e32 v3, v97, v45
	v_mul_f32_e32 v219, v94, v43
	v_fmac_f32_e32 v218, v93, v40
	v_fma_f32 v3, v96, v44, -v3
	v_mul_f32_e32 v220, v96, v45
	v_fmac_f32_e32 v219, v95, v42
	v_add_f32_e32 v107, v107, v218
	v_add_f32_e32 v2, v2, v3
	s_waitcnt vmcnt(6) lgkmcnt(2)
	v_mul_f32_e32 v3, v99, v47
	v_mul_f32_e32 v221, v98, v47
	v_fmac_f32_e32 v220, v97, v44
	v_add_f32_e32 v107, v107, v219
	v_fma_f32 v3, v98, v46, -v3
	v_mul_f32_e32 v211, v100, v49
	v_fmac_f32_e32 v221, v99, v46
	v_add_f32_e32 v107, v107, v220
	v_add_f32_e32 v214, v2, v3
	v_mul_f32_e32 v2, v101, v49
	s_waitcnt vmcnt(5)
	v_mov_b32_e32 v14, v53
	s_waitcnt lgkmcnt(1)
	v_mul_f32_e32 v213, v102, v51
	v_fmac_f32_e32 v211, v101, v48
	v_add_f32_e32 v215, v107, v221
	v_fma_f32 v210, v100, v48, -v2
	v_mul_f32_e32 v2, v103, v51
	v_pk_mul_f32 v[14:15], v[104:105], v[14:15] op_sel:[1,0] op_sel_hi:[0,0]
	v_fmac_f32_e32 v213, v103, v50
	v_fma_f32 v212, v102, v50, -v2
	v_pk_add_f32 v[12:13], v[214:215], v[210:211]
	v_pk_fma_f32 v[16:17], v[104:105], v[52:53], v[14:15] neg_lo:[0,0,1] neg_hi:[0,0,1]
	v_pk_fma_f32 v[14:15], v[104:105], v[52:53], v[14:15] op_sel_hi:[1,0,1]
	v_pk_add_f32 v[12:13], v[12:13], v[212:213]
	v_mov_b32_e32 v17, v15
	s_waitcnt vmcnt(3) lgkmcnt(0)
	v_pk_mul_f32 v[14:15], v[108:109], v[112:113] op_sel:[1,1] op_sel_hi:[0,1]
	v_pk_add_f32 v[12:13], v[12:13], v[16:17]
	v_pk_fma_f32 v[16:17], v[108:109], v[112:113], v[14:15] neg_lo:[0,0,1] neg_hi:[0,0,1]
	v_pk_fma_f32 v[14:15], v[108:109], v[112:113], v[14:15] op_sel_hi:[1,0,1]
	ds_read2_b64 v[2:5], v106 offset0:79 offset1:80
	ds_read2_b64 v[6:9], v106 offset0:81 offset1:82
	ds_read_b64 v[10:11], v106 offset:664
	v_mov_b32_e32 v14, v115
	v_mov_b32_e32 v17, v15
	v_pk_mul_f32 v[14:15], v[110:111], v[14:15] op_sel:[1,0] op_sel_hi:[0,0]
	v_pk_add_f32 v[12:13], v[12:13], v[16:17]
	v_pk_fma_f32 v[16:17], v[110:111], v[114:115], v[14:15] neg_lo:[0,0,1] neg_hi:[0,0,1]
	v_pk_fma_f32 v[14:15], v[110:111], v[114:115], v[14:15] op_sel_hi:[1,0,1]
	s_nop 0
	v_mov_b32_e32 v17, v15
	s_waitcnt vmcnt(2) lgkmcnt(2)
	v_pk_mul_f32 v[14:15], v[2:3], v[116:117] op_sel:[1,1] op_sel_hi:[0,1]
	v_pk_add_f32 v[12:13], v[12:13], v[16:17]
	v_pk_fma_f32 v[16:17], v[2:3], v[116:117], v[14:15] neg_lo:[0,0,1] neg_hi:[0,0,1]
	v_pk_fma_f32 v[2:3], v[2:3], v[116:117], v[14:15] op_sel_hi:[1,0,1]
	s_nop 0
	v_mov_b32_e32 v17, v3
	v_pk_add_f32 v[2:3], v[12:13], v[16:17]
	v_mov_b32_e32 v12, v119
	v_pk_mul_f32 v[12:13], v[4:5], v[12:13] op_sel:[1,0] op_sel_hi:[0,0]
	v_pk_fma_f32 v[14:15], v[4:5], v[118:119], v[12:13] neg_lo:[0,0,1] neg_hi:[0,0,1]
	v_pk_fma_f32 v[4:5], v[4:5], v[118:119], v[12:13] op_sel_hi:[1,0,1]
	s_nop 0
	v_mov_b32_e32 v15, v5
	s_waitcnt vmcnt(1) lgkmcnt(1)
	v_pk_mul_f32 v[4:5], v[6:7], v[206:207] op_sel:[1,1] op_sel_hi:[0,1]
	v_pk_fma_f32 v[12:13], v[6:7], v[206:207], v[4:5] neg_lo:[0,0,1] neg_hi:[0,0,1]
	v_pk_fma_f32 v[4:5], v[6:7], v[206:207], v[4:5] op_sel_hi:[1,0,1]
	v_pk_add_f32 v[2:3], v[2:3], v[14:15]
	v_mov_b32_e32 v4, v209
	v_mov_b32_e32 v13, v5
	v_pk_mul_f32 v[4:5], v[8:9], v[4:5] op_sel:[1,0] op_sel_hi:[0,0]
	v_pk_fma_f32 v[6:7], v[8:9], v[208:209], v[4:5] neg_lo:[0,0,1] neg_hi:[0,0,1]
	v_pk_fma_f32 v[4:5], v[8:9], v[208:209], v[4:5] op_sel_hi:[1,0,1]
	v_pk_add_f32 v[2:3], v[2:3], v[12:13]
	v_mov_b32_e32 v7, v5
	s_waitcnt vmcnt(0) lgkmcnt(0)
	v_pk_mul_f32 v[4:5], v[10:11], v[216:217] op_sel:[1,1] op_sel_hi:[0,1]
	v_pk_add_f32 v[2:3], v[2:3], v[6:7]
	v_pk_fma_f32 v[6:7], v[10:11], v[216:217], v[4:5] neg_lo:[0,0,1] neg_hi:[0,0,1]
	v_pk_fma_f32 v[4:5], v[10:11], v[216:217], v[4:5] op_sel_hi:[1,0,1]
	s_nop 0
	v_mov_b32_e32 v7, v5
	v_pk_add_f32 v[2:3], v[2:3], v[6:7]
	s_nop 0
	v_pk_add_f32 v[2:3], v[120:121], v[2:3] neg_lo:[0,1] neg_hi:[0,1]
	scratch_store_dwordx2 off, v[2:3], off offset:64
	s_and_saveexec_b64 s[0:1], vcc
	s_cbranch_execz .LBB105_251
; %bb.250:
	scratch_load_dwordx2 v[2:3], off, off offset:56
	v_mov_b32_e32 v107, v106
	scratch_store_dwordx2 off, v[106:107], off offset:56
	s_waitcnt vmcnt(1)
	ds_write_b64 v1, v[2:3]
.LBB105_251:
	s_or_b64 exec, exec, s[0:1]
	s_waitcnt lgkmcnt(0)
	; wave barrier
	scratch_load_dwordx4 v[2:5], off, off offset:64
	scratch_load_dwordx4 v[6:9], off, off offset:80
	;; [unrolled: 1-line block ×13, first 2 shown]
	ds_read_b128 v[102:105], v106 offset:400
	ds_read_b128 v[98:101], v106 offset:416
	;; [unrolled: 1-line block ×14, first 2 shown]
	scratch_load_dwordx2 v[120:121], off, off offset:56
	v_cmp_lt_u32_e32 vcc, 6, v0
	s_waitcnt vmcnt(13) lgkmcnt(13)
	v_mul_f32_e32 v107, v102, v3
	v_mul_f32_e32 v112, v104, v5
	v_fmac_f32_e32 v107, v103, v2
	s_waitcnt vmcnt(12) lgkmcnt(12)
	v_mul_f32_e32 v113, v98, v7
	v_fmac_f32_e32 v112, v105, v4
	v_add_f32_e32 v107, 0, v107
	v_mul_f32_e32 v114, v100, v9
	v_fmac_f32_e32 v113, v99, v6
	v_add_f32_e32 v107, v107, v112
	s_waitcnt vmcnt(11) lgkmcnt(11)
	v_mul_f32_e32 v115, v94, v11
	v_fmac_f32_e32 v114, v101, v8
	v_add_f32_e32 v107, v107, v113
	v_mul_f32_e32 v116, v96, v13
	v_fmac_f32_e32 v115, v95, v10
	v_add_f32_e32 v107, v107, v114
	;; [unrolled: 7-line block ×7, first 2 shown]
	s_waitcnt vmcnt(5) lgkmcnt(5)
	v_mul_f32_e32 v213, v70, v35
	v_fmac_f32_e32 v212, v77, v32
	v_add_f32_e32 v107, v107, v211
	v_fmac_f32_e32 v213, v71, v34
	v_add_f32_e32 v107, v107, v212
	v_add_f32_e32 v107, v107, v213
	scratch_load_dwordx4 v[112:115], off, off offset:272
	scratch_load_dwordx4 v[116:119], off, off offset:288
	;; [unrolled: 1-line block ×4, first 2 shown]
	v_mul_f32_e32 v3, v103, v3
	v_fma_f32 v2, v102, v2, -v3
	v_mul_f32_e32 v3, v105, v5
	v_add_f32_e32 v2, 0, v2
	v_fma_f32 v3, v104, v4, -v3
	v_add_f32_e32 v2, v2, v3
	v_mul_f32_e32 v3, v99, v7
	v_fma_f32 v3, v98, v6, -v3
	v_add_f32_e32 v2, v2, v3
	v_mul_f32_e32 v3, v101, v9
	;; [unrolled: 3-line block ×16, first 2 shown]
	v_fma_f32 v3, v72, v36, -v3
	v_add_f32_e32 v2, v2, v3
	s_waitcnt vmcnt(8) lgkmcnt(4)
	v_mul_f32_e32 v3, v67, v39
	v_fma_f32 v3, v66, v38, -v3
	v_add_f32_e32 v2, v2, v3
	v_mul_f32_e32 v3, v69, v41
	v_fma_f32 v3, v68, v40, -v3
	v_add_f32_e32 v2, v2, v3
	s_waitcnt vmcnt(7) lgkmcnt(3)
	v_mul_f32_e32 v3, v63, v43
	v_mul_f32_e32 v214, v72, v37
	v_fma_f32 v3, v62, v42, -v3
	v_mul_f32_e32 v216, v66, v39
	v_fmac_f32_e32 v214, v73, v36
	v_add_f32_e32 v2, v2, v3
	v_mul_f32_e32 v3, v65, v45
	v_mul_f32_e32 v218, v68, v41
	v_fmac_f32_e32 v216, v67, v38
	v_add_f32_e32 v107, v107, v214
	v_fma_f32 v3, v64, v44, -v3
	v_mul_f32_e32 v219, v62, v43
	v_fmac_f32_e32 v218, v69, v40
	v_add_f32_e32 v107, v107, v216
	v_add_f32_e32 v2, v2, v3
	s_waitcnt vmcnt(6) lgkmcnt(2)
	v_mul_f32_e32 v3, v59, v47
	v_mul_f32_e32 v220, v64, v45
	v_fmac_f32_e32 v219, v63, v42
	v_add_f32_e32 v107, v107, v218
	v_fma_f32 v3, v58, v46, -v3
	v_mul_f32_e32 v221, v58, v47
	v_fmac_f32_e32 v220, v65, v44
	v_add_f32_e32 v107, v107, v219
	v_add_f32_e32 v2, v2, v3
	v_mul_f32_e32 v3, v61, v49
	v_mul_f32_e32 v222, v60, v49
	v_fmac_f32_e32 v221, v59, v46
	v_add_f32_e32 v107, v107, v220
	v_fma_f32 v3, v60, v48, -v3
	s_waitcnt vmcnt(5) lgkmcnt(1)
	v_mul_f32_e32 v215, v54, v51
	v_fmac_f32_e32 v222, v61, v48
	v_add_f32_e32 v107, v107, v221
	v_add_f32_e32 v218, v2, v3
	v_mul_f32_e32 v2, v55, v51
	s_waitcnt vmcnt(3) lgkmcnt(0)
	v_pk_mul_f32 v[16:17], v[108:109], v[112:113] op_sel:[1,1] op_sel_hi:[0,1]
	v_mul_f32_e32 v217, v56, v53
	v_fmac_f32_e32 v215, v55, v50
	v_add_f32_e32 v219, v107, v222
	v_fma_f32 v214, v54, v50, -v2
	v_mul_f32_e32 v2, v57, v53
	v_pk_fma_f32 v[18:19], v[108:109], v[112:113], v[16:17] neg_lo:[0,0,1] neg_hi:[0,0,1]
	v_pk_fma_f32 v[16:17], v[108:109], v[112:113], v[16:17] op_sel_hi:[1,0,1]
	v_fmac_f32_e32 v217, v57, v52
	v_fma_f32 v216, v56, v52, -v2
	ds_read_b128 v[2:5], v106 offset:624
	ds_read_b128 v[6:9], v106 offset:640
	;; [unrolled: 1-line block ×3, first 2 shown]
	v_pk_add_f32 v[14:15], v[218:219], v[214:215]
	v_mov_b32_e32 v16, v115
	v_pk_add_f32 v[14:15], v[14:15], v[216:217]
	v_mov_b32_e32 v19, v17
	v_pk_mul_f32 v[16:17], v[110:111], v[16:17] op_sel:[1,0] op_sel_hi:[0,0]
	v_pk_add_f32 v[14:15], v[14:15], v[18:19]
	v_pk_fma_f32 v[18:19], v[110:111], v[114:115], v[16:17] neg_lo:[0,0,1] neg_hi:[0,0,1]
	v_pk_fma_f32 v[16:17], v[110:111], v[114:115], v[16:17] op_sel_hi:[1,0,1]
	s_nop 0
	v_mov_b32_e32 v19, v17
	s_waitcnt vmcnt(2) lgkmcnt(2)
	v_pk_mul_f32 v[16:17], v[2:3], v[116:117] op_sel:[1,1] op_sel_hi:[0,1]
	v_pk_add_f32 v[14:15], v[14:15], v[18:19]
	v_pk_fma_f32 v[18:19], v[2:3], v[116:117], v[16:17] neg_lo:[0,0,1] neg_hi:[0,0,1]
	v_pk_fma_f32 v[2:3], v[2:3], v[116:117], v[16:17] op_sel_hi:[1,0,1]
	s_nop 0
	v_mov_b32_e32 v19, v3
	v_pk_add_f32 v[2:3], v[14:15], v[18:19]
	v_mov_b32_e32 v14, v119
	v_pk_mul_f32 v[14:15], v[4:5], v[14:15] op_sel:[1,0] op_sel_hi:[0,0]
	v_pk_fma_f32 v[16:17], v[4:5], v[118:119], v[14:15] neg_lo:[0,0,1] neg_hi:[0,0,1]
	v_pk_fma_f32 v[4:5], v[4:5], v[118:119], v[14:15] op_sel_hi:[1,0,1]
	s_nop 0
	v_mov_b32_e32 v17, v5
	s_waitcnt vmcnt(1) lgkmcnt(1)
	v_pk_mul_f32 v[4:5], v[6:7], v[206:207] op_sel:[1,1] op_sel_hi:[0,1]
	v_pk_fma_f32 v[14:15], v[6:7], v[206:207], v[4:5] neg_lo:[0,0,1] neg_hi:[0,0,1]
	v_pk_fma_f32 v[4:5], v[6:7], v[206:207], v[4:5] op_sel_hi:[1,0,1]
	v_pk_add_f32 v[2:3], v[2:3], v[16:17]
	v_mov_b32_e32 v4, v209
	v_mov_b32_e32 v15, v5
	v_pk_mul_f32 v[4:5], v[8:9], v[4:5] op_sel:[1,0] op_sel_hi:[0,0]
	v_pk_fma_f32 v[6:7], v[8:9], v[208:209], v[4:5] neg_lo:[0,0,1] neg_hi:[0,0,1]
	v_pk_fma_f32 v[4:5], v[8:9], v[208:209], v[4:5] op_sel_hi:[1,0,1]
	v_pk_add_f32 v[2:3], v[2:3], v[14:15]
	v_mov_b32_e32 v7, v5
	s_waitcnt vmcnt(0) lgkmcnt(0)
	v_pk_mul_f32 v[4:5], v[10:11], v[210:211] op_sel:[1,1] op_sel_hi:[0,1]
	v_pk_add_f32 v[2:3], v[2:3], v[6:7]
	v_pk_fma_f32 v[6:7], v[10:11], v[210:211], v[4:5] neg_lo:[0,0,1] neg_hi:[0,0,1]
	v_pk_fma_f32 v[4:5], v[10:11], v[210:211], v[4:5] op_sel_hi:[1,0,1]
	s_nop 0
	v_mov_b32_e32 v4, v213
	v_mov_b32_e32 v7, v5
	v_pk_mul_f32 v[4:5], v[12:13], v[4:5] op_sel:[1,0] op_sel_hi:[0,0]
	v_pk_add_f32 v[2:3], v[2:3], v[6:7]
	v_pk_fma_f32 v[6:7], v[12:13], v[212:213], v[4:5] neg_lo:[0,0,1] neg_hi:[0,0,1]
	v_pk_fma_f32 v[4:5], v[12:13], v[212:213], v[4:5] op_sel_hi:[1,0,1]
	s_nop 0
	v_mov_b32_e32 v7, v5
	v_pk_add_f32 v[2:3], v[2:3], v[6:7]
	s_nop 0
	v_pk_add_f32 v[2:3], v[120:121], v[2:3] neg_lo:[0,1] neg_hi:[0,1]
	scratch_store_dwordx2 off, v[2:3], off offset:56
	s_and_saveexec_b64 s[0:1], vcc
	s_cbranch_execz .LBB105_253
; %bb.252:
	scratch_load_dwordx2 v[2:3], off, off offset:48
	v_mov_b32_e32 v4, 0
	v_mov_b32_e32 v5, v4
	scratch_store_dwordx2 off, v[4:5], off offset:48
	s_waitcnt vmcnt(1)
	ds_write_b64 v1, v[2:3]
.LBB105_253:
	s_or_b64 exec, exec, s[0:1]
	s_waitcnt lgkmcnt(0)
	; wave barrier
	scratch_load_dwordx4 v[2:5], off, off offset:56
	scratch_load_dwordx4 v[6:9], off, off offset:72
	;; [unrolled: 1-line block ×13, first 2 shown]
	v_mov_b32_e32 v114, 0
	scratch_load_dwordx4 v[54:57], off, off offset:264
	scratch_load_dwordx2 v[120:121], off, off offset:48
	ds_read2_b64 v[58:61], v114 offset0:49 offset1:50
	ds_read2_b64 v[62:65], v114 offset0:51 offset1:52
	;; [unrolled: 1-line block ×14, first 2 shown]
	v_cmp_lt_u32_e32 vcc, 5, v0
	s_waitcnt vmcnt(14) lgkmcnt(13)
	v_mul_f32_e32 v115, v58, v3
	v_mul_f32_e32 v116, v60, v5
	v_fmac_f32_e32 v115, v59, v2
	s_waitcnt vmcnt(13) lgkmcnt(12)
	v_mul_f32_e32 v117, v62, v7
	v_fmac_f32_e32 v116, v61, v4
	v_add_f32_e32 v115, 0, v115
	v_mul_f32_e32 v118, v64, v9
	v_fmac_f32_e32 v117, v63, v6
	v_add_f32_e32 v115, v115, v116
	s_waitcnt vmcnt(12) lgkmcnt(11)
	v_mul_f32_e32 v119, v66, v11
	v_fmac_f32_e32 v118, v65, v8
	v_add_f32_e32 v115, v115, v117
	v_mul_f32_e32 v206, v68, v13
	v_fmac_f32_e32 v119, v67, v10
	v_add_f32_e32 v115, v115, v118
	s_waitcnt vmcnt(11) lgkmcnt(10)
	v_mul_f32_e32 v207, v70, v15
	v_fmac_f32_e32 v206, v69, v12
	v_add_f32_e32 v115, v115, v119
	v_mul_f32_e32 v208, v72, v17
	v_fmac_f32_e32 v207, v71, v14
	v_add_f32_e32 v115, v115, v206
	s_waitcnt vmcnt(10) lgkmcnt(9)
	v_mul_f32_e32 v209, v74, v19
	v_fmac_f32_e32 v208, v73, v16
	v_add_f32_e32 v115, v115, v207
	v_mul_f32_e32 v210, v76, v21
	v_fmac_f32_e32 v209, v75, v18
	v_add_f32_e32 v115, v115, v208
	s_waitcnt vmcnt(9) lgkmcnt(8)
	v_mul_f32_e32 v211, v78, v23
	v_fmac_f32_e32 v210, v77, v20
	v_add_f32_e32 v115, v115, v209
	v_mul_f32_e32 v212, v80, v25
	v_fmac_f32_e32 v211, v79, v22
	v_add_f32_e32 v115, v115, v210
	s_waitcnt vmcnt(8) lgkmcnt(7)
	v_mul_f32_e32 v213, v82, v27
	v_fmac_f32_e32 v212, v81, v24
	v_add_f32_e32 v115, v115, v211
	v_mul_f32_e32 v214, v84, v29
	v_fmac_f32_e32 v213, v83, v26
	v_add_f32_e32 v115, v115, v212
	s_waitcnt vmcnt(7) lgkmcnt(6)
	v_mul_f32_e32 v215, v86, v31
	v_fmac_f32_e32 v214, v85, v28
	v_add_f32_e32 v115, v115, v213
	scratch_load_dwordx4 v[116:119], off, off offset:280
	v_mul_f32_e32 v216, v88, v33
	v_fmac_f32_e32 v215, v87, v30
	v_add_f32_e32 v115, v115, v214
	s_waitcnt vmcnt(7) lgkmcnt(5)
	v_mul_f32_e32 v217, v90, v35
	v_fmac_f32_e32 v216, v89, v32
	v_add_f32_e32 v115, v115, v215
	v_mul_f32_e32 v218, v92, v37
	v_fmac_f32_e32 v217, v91, v34
	v_add_f32_e32 v115, v115, v216
	s_waitcnt vmcnt(6) lgkmcnt(4)
	v_mul_f32_e32 v219, v94, v39
	v_fmac_f32_e32 v218, v93, v36
	v_add_f32_e32 v115, v115, v217
	;; [unrolled: 7-line block ×3, first 2 shown]
	v_fmac_f32_e32 v221, v99, v42
	v_add_f32_e32 v115, v115, v220
	v_add_f32_e32 v115, v115, v221
	scratch_load_dwordx4 v[206:209], off, off offset:296
	scratch_load_dwordx4 v[210:213], off, off offset:312
	scratch_load_dwordx2 v[220:221], off, off offset:328
	v_mul_f32_e32 v3, v59, v3
	v_fma_f32 v2, v58, v2, -v3
	v_mul_f32_e32 v3, v61, v5
	v_add_f32_e32 v2, 0, v2
	v_fma_f32 v3, v60, v4, -v3
	v_add_f32_e32 v2, v2, v3
	v_mul_f32_e32 v3, v63, v7
	v_fma_f32 v3, v62, v6, -v3
	v_add_f32_e32 v2, v2, v3
	v_mul_f32_e32 v3, v65, v9
	;; [unrolled: 3-line block ×20, first 2 shown]
	v_fma_f32 v3, v100, v44, -v3
	v_add_f32_e32 v2, v2, v3
	s_waitcnt vmcnt(7) lgkmcnt(2)
	v_mul_f32_e32 v3, v103, v47
	v_fma_f32 v3, v102, v46, -v3
	v_add_f32_e32 v2, v2, v3
	v_mul_f32_e32 v3, v105, v49
	v_mul_f32_e32 v222, v100, v45
	v_fma_f32 v3, v104, v48, -v3
	v_mul_f32_e32 v223, v102, v47
	v_fmac_f32_e32 v222, v101, v44
	v_add_f32_e32 v2, v2, v3
	s_waitcnt vmcnt(6) lgkmcnt(1)
	v_mul_f32_e32 v3, v107, v51
	v_mul_f32_e32 v224, v104, v49
	v_fmac_f32_e32 v223, v103, v46
	v_add_f32_e32 v115, v115, v222
	v_fma_f32 v3, v106, v50, -v3
	v_mul_f32_e32 v225, v106, v51
	v_fmac_f32_e32 v224, v105, v48
	v_add_f32_e32 v115, v115, v223
	v_add_f32_e32 v214, v2, v3
	v_mul_f32_e32 v2, v109, v53
	v_fmac_f32_e32 v225, v107, v50
	v_add_f32_e32 v115, v115, v224
	v_mul_f32_e32 v217, v108, v53
	v_fma_f32 v216, v108, v52, -v2
	s_waitcnt vmcnt(5) lgkmcnt(0)
	v_mul_f32_e32 v2, v111, v55
	v_mov_b32_e32 v18, v57
	v_add_f32_e32 v215, v115, v225
	v_fmac_f32_e32 v217, v109, v52
	v_mul_f32_e32 v219, v110, v55
	v_fma_f32 v218, v110, v54, -v2
	ds_read2_b64 v[2:5], v114 offset0:77 offset1:78
	ds_read2_b64 v[6:9], v114 offset0:79 offset1:80
	;; [unrolled: 1-line block ×3, first 2 shown]
	ds_read_b64 v[14:15], v114 offset:664
	v_pk_mul_f32 v[18:19], v[112:113], v[18:19] op_sel:[1,0] op_sel_hi:[0,0]
	v_fmac_f32_e32 v219, v111, v54
	v_pk_add_f32 v[16:17], v[214:215], v[216:217]
	v_pk_fma_f32 v[20:21], v[112:113], v[56:57], v[18:19] neg_lo:[0,0,1] neg_hi:[0,0,1]
	v_pk_fma_f32 v[18:19], v[112:113], v[56:57], v[18:19] op_sel_hi:[1,0,1]
	v_pk_add_f32 v[16:17], v[16:17], v[218:219]
	v_mov_b32_e32 v21, v19
	s_waitcnt vmcnt(3) lgkmcnt(3)
	v_pk_mul_f32 v[18:19], v[2:3], v[116:117] op_sel:[1,1] op_sel_hi:[0,1]
	v_pk_add_f32 v[16:17], v[16:17], v[20:21]
	v_pk_fma_f32 v[20:21], v[2:3], v[116:117], v[18:19] neg_lo:[0,0,1] neg_hi:[0,0,1]
	v_pk_fma_f32 v[2:3], v[2:3], v[116:117], v[18:19] op_sel_hi:[1,0,1]
	s_nop 0
	v_mov_b32_e32 v21, v3
	v_pk_add_f32 v[2:3], v[16:17], v[20:21]
	v_mov_b32_e32 v16, v119
	v_pk_mul_f32 v[16:17], v[4:5], v[16:17] op_sel:[1,0] op_sel_hi:[0,0]
	v_pk_fma_f32 v[18:19], v[4:5], v[118:119], v[16:17] neg_lo:[0,0,1] neg_hi:[0,0,1]
	v_pk_fma_f32 v[4:5], v[4:5], v[118:119], v[16:17] op_sel_hi:[1,0,1]
	s_nop 0
	v_mov_b32_e32 v19, v5
	s_waitcnt vmcnt(2) lgkmcnt(2)
	v_pk_mul_f32 v[4:5], v[6:7], v[206:207] op_sel:[1,1] op_sel_hi:[0,1]
	v_pk_fma_f32 v[16:17], v[6:7], v[206:207], v[4:5] neg_lo:[0,0,1] neg_hi:[0,0,1]
	v_pk_fma_f32 v[4:5], v[6:7], v[206:207], v[4:5] op_sel_hi:[1,0,1]
	v_pk_add_f32 v[2:3], v[2:3], v[18:19]
	v_mov_b32_e32 v4, v209
	v_mov_b32_e32 v17, v5
	v_pk_mul_f32 v[4:5], v[8:9], v[4:5] op_sel:[1,0] op_sel_hi:[0,0]
	v_pk_fma_f32 v[6:7], v[8:9], v[208:209], v[4:5] neg_lo:[0,0,1] neg_hi:[0,0,1]
	v_pk_fma_f32 v[4:5], v[8:9], v[208:209], v[4:5] op_sel_hi:[1,0,1]
	v_pk_add_f32 v[2:3], v[2:3], v[16:17]
	v_mov_b32_e32 v7, v5
	s_waitcnt vmcnt(1) lgkmcnt(1)
	v_pk_mul_f32 v[4:5], v[10:11], v[210:211] op_sel:[1,1] op_sel_hi:[0,1]
	v_pk_add_f32 v[2:3], v[2:3], v[6:7]
	v_pk_fma_f32 v[6:7], v[10:11], v[210:211], v[4:5] neg_lo:[0,0,1] neg_hi:[0,0,1]
	v_pk_fma_f32 v[4:5], v[10:11], v[210:211], v[4:5] op_sel_hi:[1,0,1]
	s_nop 0
	v_mov_b32_e32 v4, v213
	v_mov_b32_e32 v7, v5
	v_pk_mul_f32 v[4:5], v[12:13], v[4:5] op_sel:[1,0] op_sel_hi:[0,0]
	v_pk_add_f32 v[2:3], v[2:3], v[6:7]
	v_pk_fma_f32 v[6:7], v[12:13], v[212:213], v[4:5] neg_lo:[0,0,1] neg_hi:[0,0,1]
	v_pk_fma_f32 v[4:5], v[12:13], v[212:213], v[4:5] op_sel_hi:[1,0,1]
	s_nop 0
	v_mov_b32_e32 v7, v5
	s_waitcnt vmcnt(0) lgkmcnt(0)
	v_pk_mul_f32 v[4:5], v[14:15], v[220:221] op_sel:[1,1] op_sel_hi:[0,1]
	v_pk_add_f32 v[2:3], v[2:3], v[6:7]
	v_pk_fma_f32 v[6:7], v[14:15], v[220:221], v[4:5] neg_lo:[0,0,1] neg_hi:[0,0,1]
	v_pk_fma_f32 v[4:5], v[14:15], v[220:221], v[4:5] op_sel_hi:[1,0,1]
	s_nop 0
	v_mov_b32_e32 v7, v5
	v_pk_add_f32 v[2:3], v[2:3], v[6:7]
	s_nop 0
	v_pk_add_f32 v[2:3], v[120:121], v[2:3] neg_lo:[0,1] neg_hi:[0,1]
	scratch_store_dwordx2 off, v[2:3], off offset:48
	s_and_saveexec_b64 s[0:1], vcc
	s_cbranch_execz .LBB105_255
; %bb.254:
	scratch_load_dwordx2 v[2:3], off, off offset:40
	v_mov_b32_e32 v115, v114
	scratch_store_dwordx2 off, v[114:115], off offset:40
	s_waitcnt vmcnt(1)
	ds_write_b64 v1, v[2:3]
.LBB105_255:
	s_or_b64 exec, exec, s[0:1]
	s_waitcnt lgkmcnt(0)
	; wave barrier
	scratch_load_dwordx4 v[2:5], off, off offset:48
	scratch_load_dwordx4 v[6:9], off, off offset:64
	;; [unrolled: 1-line block ×13, first 2 shown]
	ds_read_b128 v[110:113], v114 offset:384
	ds_read_b128 v[106:109], v114 offset:400
	;; [unrolled: 1-line block ×14, first 2 shown]
	scratch_load_dwordx4 v[66:69], off, off offset:256
	scratch_load_dwordx2 v[120:121], off, off offset:40
	v_cmp_lt_u32_e32 vcc, 4, v0
	s_waitcnt vmcnt(14) lgkmcnt(13)
	v_mul_f32_e32 v115, v110, v3
	v_mul_f32_e32 v116, v112, v5
	v_fmac_f32_e32 v115, v111, v2
	s_waitcnt vmcnt(13) lgkmcnt(12)
	v_mul_f32_e32 v117, v106, v7
	v_fmac_f32_e32 v116, v113, v4
	v_add_f32_e32 v115, 0, v115
	v_mul_f32_e32 v118, v108, v9
	v_fmac_f32_e32 v117, v107, v6
	v_add_f32_e32 v115, v115, v116
	s_waitcnt vmcnt(12) lgkmcnt(11)
	v_mul_f32_e32 v119, v102, v11
	v_fmac_f32_e32 v118, v109, v8
	v_add_f32_e32 v115, v115, v117
	v_mul_f32_e32 v206, v104, v13
	v_fmac_f32_e32 v119, v103, v10
	v_add_f32_e32 v115, v115, v118
	;; [unrolled: 7-line block ×4, first 2 shown]
	s_waitcnt vmcnt(9) lgkmcnt(8)
	v_mul_f32_e32 v211, v90, v23
	v_fmac_f32_e32 v210, v97, v20
	v_add_f32_e32 v115, v115, v209
	scratch_load_dwordx4 v[116:119], off, off offset:272
	v_mul_f32_e32 v212, v92, v25
	v_fmac_f32_e32 v211, v91, v22
	v_add_f32_e32 v115, v115, v210
	s_waitcnt vmcnt(9) lgkmcnt(7)
	v_mul_f32_e32 v213, v86, v27
	v_fmac_f32_e32 v212, v93, v24
	v_add_f32_e32 v115, v115, v211
	v_mul_f32_e32 v214, v88, v29
	v_fmac_f32_e32 v213, v87, v26
	v_add_f32_e32 v115, v115, v212
	s_waitcnt vmcnt(8) lgkmcnt(6)
	v_mul_f32_e32 v215, v82, v31
	v_fmac_f32_e32 v214, v89, v28
	v_add_f32_e32 v115, v115, v213
	v_mul_f32_e32 v216, v84, v33
	v_fmac_f32_e32 v215, v83, v30
	v_add_f32_e32 v115, v115, v214
	s_waitcnt vmcnt(7) lgkmcnt(5)
	v_mul_f32_e32 v217, v78, v35
	v_fmac_f32_e32 v216, v85, v32
	v_add_f32_e32 v115, v115, v215
	v_fmac_f32_e32 v217, v79, v34
	v_add_f32_e32 v115, v115, v216
	v_add_f32_e32 v115, v115, v217
	scratch_load_dwordx4 v[206:209], off, off offset:288
	scratch_load_dwordx4 v[210:213], off, off offset:304
	;; [unrolled: 1-line block ×3, first 2 shown]
	v_mul_f32_e32 v3, v111, v3
	v_fma_f32 v2, v110, v2, -v3
	v_mul_f32_e32 v3, v113, v5
	v_add_f32_e32 v2, 0, v2
	v_fma_f32 v3, v112, v4, -v3
	v_add_f32_e32 v2, v2, v3
	v_mul_f32_e32 v3, v107, v7
	v_fma_f32 v3, v106, v6, -v3
	v_add_f32_e32 v2, v2, v3
	v_mul_f32_e32 v3, v109, v9
	;; [unrolled: 3-line block ×16, first 2 shown]
	v_fma_f32 v3, v80, v36, -v3
	v_add_f32_e32 v2, v2, v3
	s_waitcnt vmcnt(9) lgkmcnt(4)
	v_mul_f32_e32 v3, v75, v39
	v_fma_f32 v3, v74, v38, -v3
	v_add_f32_e32 v2, v2, v3
	v_mul_f32_e32 v3, v77, v41
	v_fma_f32 v3, v76, v40, -v3
	v_add_f32_e32 v2, v2, v3
	s_waitcnt vmcnt(8) lgkmcnt(3)
	v_mul_f32_e32 v3, v71, v43
	v_fma_f32 v3, v70, v42, -v3
	v_add_f32_e32 v2, v2, v3
	v_mul_f32_e32 v3, v73, v45
	v_fma_f32 v3, v72, v44, -v3
	v_add_f32_e32 v2, v2, v3
	s_waitcnt vmcnt(7) lgkmcnt(2)
	v_mul_f32_e32 v3, v63, v47
	v_fma_f32 v3, v62, v46, -v3
	v_mul_f32_e32 v218, v80, v37
	v_add_f32_e32 v2, v2, v3
	v_mul_f32_e32 v3, v65, v49
	v_mul_f32_e32 v219, v74, v39
	v_fmac_f32_e32 v218, v81, v36
	v_fma_f32 v3, v64, v48, -v3
	v_mul_f32_e32 v220, v76, v41
	v_fmac_f32_e32 v219, v75, v38
	v_add_f32_e32 v115, v115, v218
	v_add_f32_e32 v2, v2, v3
	s_waitcnt vmcnt(6) lgkmcnt(1)
	v_mul_f32_e32 v3, v55, v51
	v_mul_f32_e32 v221, v70, v43
	v_fmac_f32_e32 v220, v77, v40
	v_add_f32_e32 v115, v115, v219
	v_fma_f32 v3, v54, v50, -v3
	v_mul_f32_e32 v222, v72, v45
	v_fmac_f32_e32 v221, v71, v42
	v_add_f32_e32 v115, v115, v220
	v_add_f32_e32 v2, v2, v3
	v_mul_f32_e32 v3, v57, v53
	v_mul_f32_e32 v223, v62, v47
	v_fmac_f32_e32 v222, v73, v44
	v_add_f32_e32 v115, v115, v221
	v_fma_f32 v3, v56, v52, -v3
	v_mul_f32_e32 v224, v64, v49
	v_fmac_f32_e32 v223, v63, v46
	v_add_f32_e32 v115, v115, v222
	v_add_f32_e32 v218, v2, v3
	s_waitcnt vmcnt(5) lgkmcnt(0)
	v_mul_f32_e32 v2, v59, v67
	v_mul_f32_e32 v225, v54, v51
	v_fmac_f32_e32 v224, v65, v48
	v_add_f32_e32 v115, v115, v223
	v_fma_f32 v220, v58, v66, -v2
	v_mul_f32_e32 v2, v61, v69
	v_mul_f32_e32 v226, v56, v53
	v_fmac_f32_e32 v225, v55, v50
	v_add_f32_e32 v115, v115, v224
	v_fma_f32 v222, v60, v68, -v2
	ds_read_b128 v[2:5], v114 offset:608
	ds_read_b128 v[6:9], v114 offset:624
	;; [unrolled: 1-line block ×4, first 2 shown]
	v_add_f32_e32 v115, v115, v225
	v_fmac_f32_e32 v226, v57, v52
	v_mul_f32_e32 v221, v58, v67
	v_add_f32_e32 v219, v115, v226
	v_fmac_f32_e32 v221, v59, v66
	v_mul_f32_e32 v223, v60, v69
	s_waitcnt vmcnt(3) lgkmcnt(3)
	v_pk_mul_f32 v[20:21], v[2:3], v[116:117] op_sel:[1,1] op_sel_hi:[0,1]
	v_fmac_f32_e32 v223, v61, v68
	v_pk_add_f32 v[18:19], v[218:219], v[220:221]
	v_pk_fma_f32 v[22:23], v[2:3], v[116:117], v[20:21] neg_lo:[0,0,1] neg_hi:[0,0,1]
	v_pk_fma_f32 v[2:3], v[2:3], v[116:117], v[20:21] op_sel_hi:[1,0,1]
	v_pk_add_f32 v[18:19], v[18:19], v[222:223]
	v_mov_b32_e32 v23, v3
	v_pk_add_f32 v[2:3], v[18:19], v[22:23]
	v_mov_b32_e32 v18, v119
	v_pk_mul_f32 v[18:19], v[4:5], v[18:19] op_sel:[1,0] op_sel_hi:[0,0]
	v_pk_fma_f32 v[20:21], v[4:5], v[118:119], v[18:19] neg_lo:[0,0,1] neg_hi:[0,0,1]
	v_pk_fma_f32 v[4:5], v[4:5], v[118:119], v[18:19] op_sel_hi:[1,0,1]
	s_nop 0
	v_mov_b32_e32 v21, v5
	s_waitcnt vmcnt(2) lgkmcnt(2)
	v_pk_mul_f32 v[4:5], v[6:7], v[206:207] op_sel:[1,1] op_sel_hi:[0,1]
	v_pk_fma_f32 v[18:19], v[6:7], v[206:207], v[4:5] neg_lo:[0,0,1] neg_hi:[0,0,1]
	v_pk_fma_f32 v[4:5], v[6:7], v[206:207], v[4:5] op_sel_hi:[1,0,1]
	v_pk_add_f32 v[2:3], v[2:3], v[20:21]
	v_mov_b32_e32 v4, v209
	v_mov_b32_e32 v19, v5
	v_pk_mul_f32 v[4:5], v[8:9], v[4:5] op_sel:[1,0] op_sel_hi:[0,0]
	v_pk_fma_f32 v[6:7], v[8:9], v[208:209], v[4:5] neg_lo:[0,0,1] neg_hi:[0,0,1]
	v_pk_fma_f32 v[4:5], v[8:9], v[208:209], v[4:5] op_sel_hi:[1,0,1]
	v_pk_add_f32 v[2:3], v[2:3], v[18:19]
	v_mov_b32_e32 v7, v5
	s_waitcnt vmcnt(1) lgkmcnt(1)
	v_pk_mul_f32 v[4:5], v[10:11], v[210:211] op_sel:[1,1] op_sel_hi:[0,1]
	v_pk_add_f32 v[2:3], v[2:3], v[6:7]
	v_pk_fma_f32 v[6:7], v[10:11], v[210:211], v[4:5] neg_lo:[0,0,1] neg_hi:[0,0,1]
	v_pk_fma_f32 v[4:5], v[10:11], v[210:211], v[4:5] op_sel_hi:[1,0,1]
	s_nop 0
	v_mov_b32_e32 v4, v213
	v_mov_b32_e32 v7, v5
	v_pk_mul_f32 v[4:5], v[12:13], v[4:5] op_sel:[1,0] op_sel_hi:[0,0]
	v_pk_add_f32 v[2:3], v[2:3], v[6:7]
	v_pk_fma_f32 v[6:7], v[12:13], v[212:213], v[4:5] neg_lo:[0,0,1] neg_hi:[0,0,1]
	v_pk_fma_f32 v[4:5], v[12:13], v[212:213], v[4:5] op_sel_hi:[1,0,1]
	s_nop 0
	v_mov_b32_e32 v7, v5
	s_waitcnt vmcnt(0) lgkmcnt(0)
	v_pk_mul_f32 v[4:5], v[14:15], v[214:215] op_sel:[1,1] op_sel_hi:[0,1]
	v_pk_add_f32 v[2:3], v[2:3], v[6:7]
	v_pk_fma_f32 v[6:7], v[14:15], v[214:215], v[4:5] neg_lo:[0,0,1] neg_hi:[0,0,1]
	v_pk_fma_f32 v[4:5], v[14:15], v[214:215], v[4:5] op_sel_hi:[1,0,1]
	s_nop 0
	v_mov_b32_e32 v4, v217
	v_mov_b32_e32 v7, v5
	v_pk_mul_f32 v[4:5], v[16:17], v[4:5] op_sel:[1,0] op_sel_hi:[0,0]
	v_pk_add_f32 v[2:3], v[2:3], v[6:7]
	v_pk_fma_f32 v[6:7], v[16:17], v[216:217], v[4:5] neg_lo:[0,0,1] neg_hi:[0,0,1]
	v_pk_fma_f32 v[4:5], v[16:17], v[216:217], v[4:5] op_sel_hi:[1,0,1]
	s_nop 0
	v_mov_b32_e32 v7, v5
	v_pk_add_f32 v[2:3], v[2:3], v[6:7]
	s_nop 0
	v_pk_add_f32 v[2:3], v[120:121], v[2:3] neg_lo:[0,1] neg_hi:[0,1]
	scratch_store_dwordx2 off, v[2:3], off offset:40
	s_and_saveexec_b64 s[0:1], vcc
	s_cbranch_execz .LBB105_257
; %bb.256:
	scratch_load_dwordx2 v[2:3], off, off offset:32
	v_mov_b32_e32 v4, 0
	v_mov_b32_e32 v5, v4
	scratch_store_dwordx2 off, v[4:5], off offset:32
	s_waitcnt vmcnt(1)
	ds_write_b64 v1, v[2:3]
.LBB105_257:
	s_or_b64 exec, exec, s[0:1]
	s_waitcnt lgkmcnt(0)
	; wave barrier
	scratch_load_dwordx4 v[2:5], off, off offset:40
	scratch_load_dwordx4 v[6:9], off, off offset:56
	;; [unrolled: 1-line block ×15, first 2 shown]
	scratch_load_dwordx2 v[120:121], off, off offset:32
	v_mov_b32_e32 v118, 0
	ds_read2_b64 v[62:65], v118 offset0:47 offset1:48
	ds_read2_b64 v[66:69], v118 offset0:49 offset1:50
	;; [unrolled: 1-line block ×14, first 2 shown]
	v_cmp_lt_u32_e32 vcc, 3, v0
	s_waitcnt vmcnt(15) lgkmcnt(13)
	v_mul_f32_e32 v119, v62, v3
	v_mul_f32_e32 v206, v64, v5
	v_fmac_f32_e32 v119, v63, v2
	s_waitcnt vmcnt(14) lgkmcnt(12)
	v_mul_f32_e32 v207, v66, v7
	v_fmac_f32_e32 v206, v65, v4
	v_add_f32_e32 v119, 0, v119
	v_mul_f32_e32 v208, v68, v9
	v_fmac_f32_e32 v207, v67, v6
	v_add_f32_e32 v119, v119, v206
	s_waitcnt vmcnt(13) lgkmcnt(11)
	v_mul_f32_e32 v209, v70, v11
	v_fmac_f32_e32 v208, v69, v8
	v_add_f32_e32 v119, v119, v207
	v_mul_f32_e32 v210, v72, v13
	v_fmac_f32_e32 v209, v71, v10
	v_add_f32_e32 v119, v119, v208
	;; [unrolled: 7-line block ×11, first 2 shown]
	s_waitcnt vmcnt(3) lgkmcnt(1)
	v_mul_f32_e32 v229, v110, v51
	v_fmac_f32_e32 v228, v109, v48
	v_add_f32_e32 v119, v119, v227
	v_add_f32_e32 v119, v119, v228
	v_fmac_f32_e32 v229, v111, v50
	v_mul_f32_e32 v206, v112, v53
	v_add_f32_e32 v119, v119, v229
	v_fmac_f32_e32 v206, v113, v52
	s_waitcnt vmcnt(2) lgkmcnt(0)
	v_mul_f32_e32 v210, v114, v55
	v_add_f32_e32 v119, v119, v206
	v_fmac_f32_e32 v210, v115, v54
	ds_read2_b64 v[206:209], v118 offset0:75 offset1:76
	v_add_f32_e32 v227, v119, v210
	ds_read2_b64 v[210:213], v118 offset0:77 offset1:78
	scratch_load_dwordx4 v[214:217], off, off offset:280
	scratch_load_dwordx4 v[218:221], off, off offset:296
	;; [unrolled: 1-line block ×3, first 2 shown]
	scratch_load_dwordx2 v[232:233], off, off offset:328
	v_mul_f32_e32 v3, v63, v3
	v_fma_f32 v2, v62, v2, -v3
	v_mul_f32_e32 v3, v65, v5
	v_add_f32_e32 v2, 0, v2
	v_fma_f32 v3, v64, v4, -v3
	v_add_f32_e32 v2, v2, v3
	v_mul_f32_e32 v3, v67, v7
	v_fma_f32 v3, v66, v6, -v3
	v_add_f32_e32 v2, v2, v3
	v_mul_f32_e32 v3, v69, v9
	;; [unrolled: 3-line block ×25, first 2 shown]
	v_fma_f32 v3, v114, v54, -v3
	v_mul_f32_e32 v229, v116, v57
	v_add_f32_e32 v226, v2, v3
	v_mul_f32_e32 v2, v117, v57
	s_waitcnt vmcnt(5)
	v_mov_b32_e32 v14, v61
	v_fmac_f32_e32 v229, v117, v56
	s_waitcnt lgkmcnt(1)
	v_mul_f32_e32 v231, v206, v59
	v_fma_f32 v228, v116, v56, -v2
	v_mul_f32_e32 v2, v207, v59
	v_pk_mul_f32 v[14:15], v[208:209], v[14:15] op_sel:[1,0] op_sel_hi:[0,0]
	v_fmac_f32_e32 v231, v207, v58
	v_fma_f32 v230, v206, v58, -v2
	v_pk_add_f32 v[12:13], v[226:227], v[228:229]
	v_pk_fma_f32 v[16:17], v[208:209], v[60:61], v[14:15] neg_lo:[0,0,1] neg_hi:[0,0,1]
	v_pk_fma_f32 v[14:15], v[208:209], v[60:61], v[14:15] op_sel_hi:[1,0,1]
	v_pk_add_f32 v[12:13], v[12:13], v[230:231]
	v_mov_b32_e32 v17, v15
	s_waitcnt vmcnt(3) lgkmcnt(0)
	v_pk_mul_f32 v[14:15], v[210:211], v[214:215] op_sel:[1,1] op_sel_hi:[0,1]
	v_pk_add_f32 v[12:13], v[12:13], v[16:17]
	v_pk_fma_f32 v[16:17], v[210:211], v[214:215], v[14:15] neg_lo:[0,0,1] neg_hi:[0,0,1]
	v_pk_fma_f32 v[14:15], v[210:211], v[214:215], v[14:15] op_sel_hi:[1,0,1]
	ds_read2_b64 v[2:5], v118 offset0:79 offset1:80
	ds_read2_b64 v[6:9], v118 offset0:81 offset1:82
	ds_read_b64 v[10:11], v118 offset:664
	v_mov_b32_e32 v14, v217
	v_mov_b32_e32 v17, v15
	v_pk_mul_f32 v[14:15], v[212:213], v[14:15] op_sel:[1,0] op_sel_hi:[0,0]
	v_pk_add_f32 v[12:13], v[12:13], v[16:17]
	v_pk_fma_f32 v[16:17], v[212:213], v[216:217], v[14:15] neg_lo:[0,0,1] neg_hi:[0,0,1]
	v_pk_fma_f32 v[14:15], v[212:213], v[216:217], v[14:15] op_sel_hi:[1,0,1]
	s_nop 0
	v_mov_b32_e32 v17, v15
	s_waitcnt vmcnt(2) lgkmcnt(2)
	v_pk_mul_f32 v[14:15], v[2:3], v[218:219] op_sel:[1,1] op_sel_hi:[0,1]
	v_pk_add_f32 v[12:13], v[12:13], v[16:17]
	v_pk_fma_f32 v[16:17], v[2:3], v[218:219], v[14:15] neg_lo:[0,0,1] neg_hi:[0,0,1]
	v_pk_fma_f32 v[2:3], v[2:3], v[218:219], v[14:15] op_sel_hi:[1,0,1]
	s_nop 0
	v_mov_b32_e32 v17, v3
	v_pk_add_f32 v[2:3], v[12:13], v[16:17]
	v_mov_b32_e32 v12, v221
	v_pk_mul_f32 v[12:13], v[4:5], v[12:13] op_sel:[1,0] op_sel_hi:[0,0]
	v_pk_fma_f32 v[14:15], v[4:5], v[220:221], v[12:13] neg_lo:[0,0,1] neg_hi:[0,0,1]
	v_pk_fma_f32 v[4:5], v[4:5], v[220:221], v[12:13] op_sel_hi:[1,0,1]
	s_nop 0
	v_mov_b32_e32 v15, v5
	s_waitcnt vmcnt(1) lgkmcnt(1)
	v_pk_mul_f32 v[4:5], v[6:7], v[222:223] op_sel:[1,1] op_sel_hi:[0,1]
	v_pk_fma_f32 v[12:13], v[6:7], v[222:223], v[4:5] neg_lo:[0,0,1] neg_hi:[0,0,1]
	v_pk_fma_f32 v[4:5], v[6:7], v[222:223], v[4:5] op_sel_hi:[1,0,1]
	v_pk_add_f32 v[2:3], v[2:3], v[14:15]
	v_mov_b32_e32 v4, v225
	v_mov_b32_e32 v13, v5
	v_pk_mul_f32 v[4:5], v[8:9], v[4:5] op_sel:[1,0] op_sel_hi:[0,0]
	v_pk_fma_f32 v[6:7], v[8:9], v[224:225], v[4:5] neg_lo:[0,0,1] neg_hi:[0,0,1]
	v_pk_fma_f32 v[4:5], v[8:9], v[224:225], v[4:5] op_sel_hi:[1,0,1]
	v_pk_add_f32 v[2:3], v[2:3], v[12:13]
	v_mov_b32_e32 v7, v5
	s_waitcnt vmcnt(0) lgkmcnt(0)
	v_pk_mul_f32 v[4:5], v[10:11], v[232:233] op_sel:[1,1] op_sel_hi:[0,1]
	v_pk_add_f32 v[2:3], v[2:3], v[6:7]
	v_pk_fma_f32 v[6:7], v[10:11], v[232:233], v[4:5] neg_lo:[0,0,1] neg_hi:[0,0,1]
	v_pk_fma_f32 v[4:5], v[10:11], v[232:233], v[4:5] op_sel_hi:[1,0,1]
	s_nop 0
	v_mov_b32_e32 v7, v5
	v_pk_add_f32 v[2:3], v[2:3], v[6:7]
	s_nop 0
	v_pk_add_f32 v[2:3], v[120:121], v[2:3] neg_lo:[0,1] neg_hi:[0,1]
	scratch_store_dwordx2 off, v[2:3], off offset:32
	s_and_saveexec_b64 s[0:1], vcc
	s_cbranch_execz .LBB105_259
; %bb.258:
	scratch_load_dwordx2 v[2:3], off, off offset:24
	v_mov_b32_e32 v119, v118
	scratch_store_dwordx2 off, v[118:119], off offset:24
	s_waitcnt vmcnt(1)
	ds_write_b64 v1, v[2:3]
.LBB105_259:
	s_or_b64 exec, exec, s[0:1]
	s_waitcnt lgkmcnt(0)
	; wave barrier
	scratch_load_dwordx4 v[2:5], off, off offset:32
	scratch_load_dwordx4 v[6:9], off, off offset:48
	;; [unrolled: 1-line block ×13, first 2 shown]
	ds_read_b128 v[114:117], v118 offset:368
	ds_read_b128 v[110:113], v118 offset:384
	;; [unrolled: 1-line block ×14, first 2 shown]
	scratch_load_dwordx4 v[62:65], off, off offset:240
	scratch_load_dwordx4 v[70:73], off, off offset:256
	scratch_load_dwordx2 v[120:121], off, off offset:24
	v_cmp_lt_u32_e32 vcc, 2, v0
	s_waitcnt vmcnt(15) lgkmcnt(13)
	v_mul_f32_e32 v119, v114, v3
	v_mul_f32_e32 v206, v116, v5
	v_fmac_f32_e32 v119, v115, v2
	s_waitcnt vmcnt(14) lgkmcnt(12)
	v_mul_f32_e32 v207, v110, v7
	v_fmac_f32_e32 v206, v117, v4
	v_add_f32_e32 v119, 0, v119
	v_mul_f32_e32 v208, v112, v9
	v_fmac_f32_e32 v207, v111, v6
	v_add_f32_e32 v119, v119, v206
	s_waitcnt vmcnt(13) lgkmcnt(11)
	v_mul_f32_e32 v209, v106, v11
	v_fmac_f32_e32 v208, v113, v8
	v_add_f32_e32 v119, v119, v207
	v_mul_f32_e32 v210, v108, v13
	v_fmac_f32_e32 v209, v107, v10
	v_add_f32_e32 v119, v119, v208
	s_waitcnt vmcnt(12) lgkmcnt(10)
	v_mul_f32_e32 v211, v102, v15
	v_fmac_f32_e32 v210, v109, v12
	v_add_f32_e32 v119, v119, v209
	v_mul_f32_e32 v212, v104, v17
	v_fmac_f32_e32 v211, v103, v14
	v_add_f32_e32 v119, v119, v210
	s_waitcnt vmcnt(11) lgkmcnt(9)
	v_mul_f32_e32 v213, v98, v19
	v_fmac_f32_e32 v212, v105, v16
	v_add_f32_e32 v119, v119, v211
	v_mul_f32_e32 v214, v100, v21
	v_fmac_f32_e32 v213, v99, v18
	v_add_f32_e32 v119, v119, v212
	s_waitcnt vmcnt(10) lgkmcnt(8)
	v_mul_f32_e32 v215, v94, v23
	v_fmac_f32_e32 v214, v101, v20
	v_add_f32_e32 v119, v119, v213
	v_mul_f32_e32 v216, v96, v25
	v_fmac_f32_e32 v215, v95, v22
	v_add_f32_e32 v119, v119, v214
	s_waitcnt vmcnt(9) lgkmcnt(7)
	v_mul_f32_e32 v217, v90, v27
	v_fmac_f32_e32 v216, v97, v24
	v_add_f32_e32 v119, v119, v215
	v_mul_f32_e32 v218, v92, v29
	v_fmac_f32_e32 v217, v91, v26
	v_add_f32_e32 v119, v119, v216
	s_waitcnt vmcnt(8) lgkmcnt(6)
	v_mul_f32_e32 v219, v86, v31
	v_fmac_f32_e32 v218, v93, v28
	v_add_f32_e32 v119, v119, v217
	v_mul_f32_e32 v220, v88, v33
	v_fmac_f32_e32 v219, v87, v30
	v_add_f32_e32 v119, v119, v218
	s_waitcnt vmcnt(7) lgkmcnt(5)
	v_mul_f32_e32 v221, v82, v35
	v_fmac_f32_e32 v220, v89, v32
	v_add_f32_e32 v119, v119, v219
	v_mul_f32_e32 v222, v84, v37
	v_fmac_f32_e32 v221, v83, v34
	v_add_f32_e32 v119, v119, v220
	s_waitcnt vmcnt(6) lgkmcnt(4)
	v_mul_f32_e32 v223, v78, v39
	v_fmac_f32_e32 v222, v85, v36
	v_add_f32_e32 v119, v119, v221
	v_mul_f32_e32 v224, v80, v41
	v_fmac_f32_e32 v223, v79, v38
	v_add_f32_e32 v119, v119, v222
	s_waitcnt vmcnt(5) lgkmcnt(3)
	v_mul_f32_e32 v225, v74, v43
	v_fmac_f32_e32 v224, v81, v40
	v_add_f32_e32 v119, v119, v223
	v_mul_f32_e32 v226, v76, v45
	v_fmac_f32_e32 v225, v75, v42
	v_add_f32_e32 v119, v119, v224
	s_waitcnt vmcnt(4) lgkmcnt(2)
	v_mul_f32_e32 v227, v66, v47
	v_fmac_f32_e32 v226, v77, v44
	v_add_f32_e32 v119, v119, v225
	v_mul_f32_e32 v228, v68, v49
	v_fmac_f32_e32 v227, v67, v46
	v_add_f32_e32 v119, v119, v226
	s_waitcnt vmcnt(3) lgkmcnt(1)
	v_mul_f32_e32 v229, v54, v51
	v_fmac_f32_e32 v228, v69, v48
	v_add_f32_e32 v119, v119, v227
	v_fmac_f32_e32 v229, v55, v50
	v_add_f32_e32 v119, v119, v228
	v_mul_f32_e32 v206, v56, v53
	v_add_f32_e32 v119, v119, v229
	v_fmac_f32_e32 v206, v57, v52
	v_add_f32_e32 v119, v119, v206
	s_waitcnt vmcnt(2) lgkmcnt(0)
	v_mul_f32_e32 v206, v58, v63
	v_fmac_f32_e32 v206, v59, v62
	v_mul_f32_e32 v210, v60, v65
	v_add_f32_e32 v119, v119, v206
	v_fmac_f32_e32 v210, v61, v64
	ds_read_b128 v[206:209], v118 offset:592
	v_add_f32_e32 v231, v119, v210
	ds_read_b128 v[210:213], v118 offset:608
	scratch_load_dwordx4 v[214:217], off, off offset:272
	scratch_load_dwordx4 v[218:221], off, off offset:288
	;; [unrolled: 1-line block ×4, first 2 shown]
	v_mul_f32_e32 v3, v115, v3
	v_fma_f32 v2, v114, v2, -v3
	v_mul_f32_e32 v3, v117, v5
	v_add_f32_e32 v2, 0, v2
	v_fma_f32 v3, v116, v4, -v3
	v_add_f32_e32 v2, v2, v3
	v_mul_f32_e32 v3, v111, v7
	v_fma_f32 v3, v110, v6, -v3
	v_add_f32_e32 v2, v2, v3
	v_mul_f32_e32 v3, v113, v9
	v_fma_f32 v3, v112, v8, -v3
	v_add_f32_e32 v2, v2, v3
	v_mul_f32_e32 v3, v107, v11
	v_fma_f32 v3, v106, v10, -v3
	v_add_f32_e32 v2, v2, v3
	v_mul_f32_e32 v3, v109, v13
	v_fma_f32 v3, v108, v12, -v3
	v_add_f32_e32 v2, v2, v3
	v_mul_f32_e32 v3, v103, v15
	v_fma_f32 v3, v102, v14, -v3
	v_add_f32_e32 v2, v2, v3
	v_mul_f32_e32 v3, v105, v17
	v_fma_f32 v3, v104, v16, -v3
	v_add_f32_e32 v2, v2, v3
	v_mul_f32_e32 v3, v99, v19
	v_fma_f32 v3, v98, v18, -v3
	v_add_f32_e32 v2, v2, v3
	v_mul_f32_e32 v3, v101, v21
	v_fma_f32 v3, v100, v20, -v3
	v_add_f32_e32 v2, v2, v3
	v_mul_f32_e32 v3, v95, v23
	v_fma_f32 v3, v94, v22, -v3
	v_add_f32_e32 v2, v2, v3
	v_mul_f32_e32 v3, v97, v25
	v_fma_f32 v3, v96, v24, -v3
	v_add_f32_e32 v2, v2, v3
	v_mul_f32_e32 v3, v91, v27
	v_fma_f32 v3, v90, v26, -v3
	v_add_f32_e32 v2, v2, v3
	v_mul_f32_e32 v3, v93, v29
	v_fma_f32 v3, v92, v28, -v3
	v_add_f32_e32 v2, v2, v3
	v_mul_f32_e32 v3, v87, v31
	v_fma_f32 v3, v86, v30, -v3
	v_add_f32_e32 v2, v2, v3
	v_mul_f32_e32 v3, v89, v33
	v_fma_f32 v3, v88, v32, -v3
	v_add_f32_e32 v2, v2, v3
	v_mul_f32_e32 v3, v83, v35
	v_fma_f32 v3, v82, v34, -v3
	v_add_f32_e32 v2, v2, v3
	v_mul_f32_e32 v3, v85, v37
	v_fma_f32 v3, v84, v36, -v3
	v_add_f32_e32 v2, v2, v3
	v_mul_f32_e32 v3, v79, v39
	v_fma_f32 v3, v78, v38, -v3
	v_add_f32_e32 v2, v2, v3
	v_mul_f32_e32 v3, v81, v41
	v_fma_f32 v3, v80, v40, -v3
	v_add_f32_e32 v2, v2, v3
	v_mul_f32_e32 v3, v75, v43
	v_fma_f32 v3, v74, v42, -v3
	v_add_f32_e32 v2, v2, v3
	v_mul_f32_e32 v3, v77, v45
	v_fma_f32 v3, v76, v44, -v3
	v_add_f32_e32 v2, v2, v3
	v_mul_f32_e32 v3, v67, v47
	v_fma_f32 v3, v66, v46, -v3
	v_add_f32_e32 v2, v2, v3
	v_mul_f32_e32 v3, v69, v49
	v_fma_f32 v3, v68, v48, -v3
	v_add_f32_e32 v2, v2, v3
	v_mul_f32_e32 v3, v55, v51
	v_fma_f32 v3, v54, v50, -v3
	v_add_f32_e32 v2, v2, v3
	v_mul_f32_e32 v3, v57, v53
	v_fma_f32 v3, v56, v52, -v3
	v_add_f32_e32 v2, v2, v3
	v_mul_f32_e32 v3, v59, v63
	v_fma_f32 v3, v58, v62, -v3
	v_add_f32_e32 v2, v2, v3
	v_mul_f32_e32 v3, v61, v65
	v_fma_f32 v3, v60, v64, -v3
	s_waitcnt vmcnt(5) lgkmcnt(1)
	v_mul_f32_e32 v233, v206, v71
	v_add_f32_e32 v230, v2, v3
	v_mul_f32_e32 v2, v207, v71
	s_waitcnt vmcnt(3) lgkmcnt(0)
	v_pk_mul_f32 v[16:17], v[210:211], v[214:215] op_sel:[1,1] op_sel_hi:[0,1]
	v_fmac_f32_e32 v233, v207, v70
	v_mul_f32_e32 v235, v208, v73
	v_fma_f32 v232, v206, v70, -v2
	v_mul_f32_e32 v2, v209, v73
	v_pk_fma_f32 v[18:19], v[210:211], v[214:215], v[16:17] neg_lo:[0,0,1] neg_hi:[0,0,1]
	v_pk_fma_f32 v[16:17], v[210:211], v[214:215], v[16:17] op_sel_hi:[1,0,1]
	v_fmac_f32_e32 v235, v209, v72
	v_fma_f32 v234, v208, v72, -v2
	ds_read_b128 v[2:5], v118 offset:624
	ds_read_b128 v[6:9], v118 offset:640
	;; [unrolled: 1-line block ×3, first 2 shown]
	v_pk_add_f32 v[14:15], v[230:231], v[232:233]
	v_mov_b32_e32 v16, v217
	v_pk_add_f32 v[14:15], v[14:15], v[234:235]
	v_mov_b32_e32 v19, v17
	v_pk_mul_f32 v[16:17], v[212:213], v[16:17] op_sel:[1,0] op_sel_hi:[0,0]
	v_pk_add_f32 v[14:15], v[14:15], v[18:19]
	v_pk_fma_f32 v[18:19], v[212:213], v[216:217], v[16:17] neg_lo:[0,0,1] neg_hi:[0,0,1]
	v_pk_fma_f32 v[16:17], v[212:213], v[216:217], v[16:17] op_sel_hi:[1,0,1]
	s_nop 0
	v_mov_b32_e32 v19, v17
	s_waitcnt vmcnt(2) lgkmcnt(2)
	v_pk_mul_f32 v[16:17], v[2:3], v[218:219] op_sel:[1,1] op_sel_hi:[0,1]
	v_pk_add_f32 v[14:15], v[14:15], v[18:19]
	v_pk_fma_f32 v[18:19], v[2:3], v[218:219], v[16:17] neg_lo:[0,0,1] neg_hi:[0,0,1]
	v_pk_fma_f32 v[2:3], v[2:3], v[218:219], v[16:17] op_sel_hi:[1,0,1]
	s_nop 0
	v_mov_b32_e32 v19, v3
	v_pk_add_f32 v[2:3], v[14:15], v[18:19]
	v_mov_b32_e32 v14, v221
	v_pk_mul_f32 v[14:15], v[4:5], v[14:15] op_sel:[1,0] op_sel_hi:[0,0]
	v_pk_fma_f32 v[16:17], v[4:5], v[220:221], v[14:15] neg_lo:[0,0,1] neg_hi:[0,0,1]
	v_pk_fma_f32 v[4:5], v[4:5], v[220:221], v[14:15] op_sel_hi:[1,0,1]
	s_nop 0
	v_mov_b32_e32 v17, v5
	s_waitcnt vmcnt(1) lgkmcnt(1)
	v_pk_mul_f32 v[4:5], v[6:7], v[222:223] op_sel:[1,1] op_sel_hi:[0,1]
	v_pk_fma_f32 v[14:15], v[6:7], v[222:223], v[4:5] neg_lo:[0,0,1] neg_hi:[0,0,1]
	v_pk_fma_f32 v[4:5], v[6:7], v[222:223], v[4:5] op_sel_hi:[1,0,1]
	v_pk_add_f32 v[2:3], v[2:3], v[16:17]
	v_mov_b32_e32 v4, v225
	v_mov_b32_e32 v15, v5
	v_pk_mul_f32 v[4:5], v[8:9], v[4:5] op_sel:[1,0] op_sel_hi:[0,0]
	v_pk_fma_f32 v[6:7], v[8:9], v[224:225], v[4:5] neg_lo:[0,0,1] neg_hi:[0,0,1]
	v_pk_fma_f32 v[4:5], v[8:9], v[224:225], v[4:5] op_sel_hi:[1,0,1]
	v_pk_add_f32 v[2:3], v[2:3], v[14:15]
	v_mov_b32_e32 v7, v5
	s_waitcnt vmcnt(0) lgkmcnt(0)
	v_pk_mul_f32 v[4:5], v[10:11], v[226:227] op_sel:[1,1] op_sel_hi:[0,1]
	v_pk_add_f32 v[2:3], v[2:3], v[6:7]
	v_pk_fma_f32 v[6:7], v[10:11], v[226:227], v[4:5] neg_lo:[0,0,1] neg_hi:[0,0,1]
	v_pk_fma_f32 v[4:5], v[10:11], v[226:227], v[4:5] op_sel_hi:[1,0,1]
	s_nop 0
	v_mov_b32_e32 v4, v229
	v_mov_b32_e32 v7, v5
	v_pk_mul_f32 v[4:5], v[12:13], v[4:5] op_sel:[1,0] op_sel_hi:[0,0]
	v_pk_add_f32 v[2:3], v[2:3], v[6:7]
	v_pk_fma_f32 v[6:7], v[12:13], v[228:229], v[4:5] neg_lo:[0,0,1] neg_hi:[0,0,1]
	v_pk_fma_f32 v[4:5], v[12:13], v[228:229], v[4:5] op_sel_hi:[1,0,1]
	s_nop 0
	v_mov_b32_e32 v7, v5
	v_pk_add_f32 v[2:3], v[2:3], v[6:7]
	s_nop 0
	v_pk_add_f32 v[2:3], v[120:121], v[2:3] neg_lo:[0,1] neg_hi:[0,1]
	scratch_store_dwordx2 off, v[2:3], off offset:24
	s_and_saveexec_b64 s[0:1], vcc
	s_cbranch_execz .LBB105_261
; %bb.260:
	scratch_load_dwordx2 v[2:3], off, off offset:16
	v_mov_b32_e32 v4, 0
	v_mov_b32_e32 v5, v4
	scratch_store_dwordx2 off, v[4:5], off offset:16
	s_waitcnt vmcnt(1)
	ds_write_b64 v1, v[2:3]
.LBB105_261:
	s_or_b64 exec, exec, s[0:1]
	s_waitcnt lgkmcnt(0)
	; wave barrier
	scratch_load_dwordx4 v[2:5], off, off offset:24
	scratch_load_dwordx4 v[6:9], off, off offset:40
	;; [unrolled: 1-line block ×16, first 2 shown]
	scratch_load_dwordx2 v[228:229], off, off offset:16
	v_mov_b32_e32 v206, 0
	ds_read2_b64 v[66:69], v206 offset0:45 offset1:46
	ds_read2_b64 v[70:73], v206 offset0:47 offset1:48
	;; [unrolled: 1-line block ×14, first 2 shown]
	v_cmp_lt_u32_e32 vcc, 1, v0
	s_waitcnt vmcnt(16) lgkmcnt(13)
	v_mul_f32_e32 v207, v66, v3
	v_mul_f32_e32 v208, v68, v5
	v_fmac_f32_e32 v207, v67, v2
	s_waitcnt vmcnt(15) lgkmcnt(12)
	v_mul_f32_e32 v209, v70, v7
	v_fmac_f32_e32 v208, v69, v4
	v_add_f32_e32 v207, 0, v207
	v_mul_f32_e32 v210, v72, v9
	v_fmac_f32_e32 v209, v71, v6
	v_add_f32_e32 v207, v207, v208
	s_waitcnt vmcnt(14) lgkmcnt(11)
	v_mul_f32_e32 v211, v74, v11
	v_fmac_f32_e32 v210, v73, v8
	v_add_f32_e32 v207, v207, v209
	v_mul_f32_e32 v212, v76, v13
	v_fmac_f32_e32 v211, v75, v10
	v_add_f32_e32 v207, v207, v210
	;; [unrolled: 7-line block ×11, first 2 shown]
	v_fmac_f32_e32 v232, v113, v48
	v_add_f32_e32 v207, v207, v231
	s_waitcnt vmcnt(4) lgkmcnt(1)
	v_mul_f32_e32 v208, v114, v51
	v_add_f32_e32 v207, v207, v232
	v_fmac_f32_e32 v208, v115, v50
	v_add_f32_e32 v207, v207, v208
	v_mul_f32_e32 v208, v116, v53
	v_fmac_f32_e32 v208, v117, v52
	v_add_f32_e32 v207, v207, v208
	s_waitcnt vmcnt(3) lgkmcnt(0)
	v_mul_f32_e32 v208, v118, v55
	v_fmac_f32_e32 v208, v119, v54
	v_add_f32_e32 v207, v207, v208
	ds_read2_b64 v[208:211], v206 offset0:73 offset1:74
	v_mul_f32_e32 v212, v120, v57
	v_fmac_f32_e32 v212, v121, v56
	v_add_f32_e32 v207, v207, v212
	ds_read2_b64 v[212:215], v206 offset0:75 offset1:76
	s_waitcnt vmcnt(2) lgkmcnt(1)
	v_mul_f32_e32 v216, v208, v63
	v_fmac_f32_e32 v216, v209, v62
	v_add_f32_e32 v231, v207, v216
	scratch_load_dwordx4 v[216:219], off, off offset:280
	scratch_load_dwordx4 v[220:223], off, off offset:296
	;; [unrolled: 1-line block ×3, first 2 shown]
	scratch_load_dwordx2 v[236:237], off, off offset:328
	v_mul_f32_e32 v3, v67, v3
	v_fma_f32 v2, v66, v2, -v3
	v_mul_f32_e32 v3, v69, v5
	v_add_f32_e32 v2, 0, v2
	v_fma_f32 v3, v68, v4, -v3
	v_add_f32_e32 v2, v2, v3
	v_mul_f32_e32 v3, v71, v7
	v_fma_f32 v3, v70, v6, -v3
	v_add_f32_e32 v2, v2, v3
	v_mul_f32_e32 v3, v73, v9
	;; [unrolled: 3-line block ×28, first 2 shown]
	v_mul_f32_e32 v233, v210, v65
	v_fma_f32 v232, v210, v64, -v2
	s_waitcnt vmcnt(5) lgkmcnt(0)
	v_mul_f32_e32 v2, v213, v59
	v_mov_b32_e32 v18, v61
	v_fmac_f32_e32 v233, v211, v64
	v_mul_f32_e32 v235, v212, v59
	v_fma_f32 v234, v212, v58, -v2
	ds_read2_b64 v[2:5], v206 offset0:77 offset1:78
	ds_read2_b64 v[6:9], v206 offset0:79 offset1:80
	;; [unrolled: 1-line block ×3, first 2 shown]
	ds_read_b64 v[14:15], v206 offset:664
	v_pk_mul_f32 v[18:19], v[214:215], v[18:19] op_sel:[1,0] op_sel_hi:[0,0]
	v_fmac_f32_e32 v235, v213, v58
	v_pk_add_f32 v[16:17], v[230:231], v[232:233]
	v_pk_fma_f32 v[20:21], v[214:215], v[60:61], v[18:19] neg_lo:[0,0,1] neg_hi:[0,0,1]
	v_pk_fma_f32 v[18:19], v[214:215], v[60:61], v[18:19] op_sel_hi:[1,0,1]
	v_pk_add_f32 v[16:17], v[16:17], v[234:235]
	v_mov_b32_e32 v21, v19
	s_waitcnt vmcnt(3) lgkmcnt(3)
	v_pk_mul_f32 v[18:19], v[2:3], v[216:217] op_sel:[1,1] op_sel_hi:[0,1]
	v_pk_add_f32 v[16:17], v[16:17], v[20:21]
	v_pk_fma_f32 v[20:21], v[2:3], v[216:217], v[18:19] neg_lo:[0,0,1] neg_hi:[0,0,1]
	v_pk_fma_f32 v[2:3], v[2:3], v[216:217], v[18:19] op_sel_hi:[1,0,1]
	s_nop 0
	v_mov_b32_e32 v21, v3
	v_pk_add_f32 v[2:3], v[16:17], v[20:21]
	v_mov_b32_e32 v16, v219
	v_pk_mul_f32 v[16:17], v[4:5], v[16:17] op_sel:[1,0] op_sel_hi:[0,0]
	v_pk_fma_f32 v[18:19], v[4:5], v[218:219], v[16:17] neg_lo:[0,0,1] neg_hi:[0,0,1]
	v_pk_fma_f32 v[4:5], v[4:5], v[218:219], v[16:17] op_sel_hi:[1,0,1]
	s_nop 0
	v_mov_b32_e32 v19, v5
	s_waitcnt vmcnt(2) lgkmcnt(2)
	v_pk_mul_f32 v[4:5], v[6:7], v[220:221] op_sel:[1,1] op_sel_hi:[0,1]
	v_pk_fma_f32 v[16:17], v[6:7], v[220:221], v[4:5] neg_lo:[0,0,1] neg_hi:[0,0,1]
	v_pk_fma_f32 v[4:5], v[6:7], v[220:221], v[4:5] op_sel_hi:[1,0,1]
	v_pk_add_f32 v[2:3], v[2:3], v[18:19]
	v_mov_b32_e32 v4, v223
	v_mov_b32_e32 v17, v5
	v_pk_mul_f32 v[4:5], v[8:9], v[4:5] op_sel:[1,0] op_sel_hi:[0,0]
	v_pk_fma_f32 v[6:7], v[8:9], v[222:223], v[4:5] neg_lo:[0,0,1] neg_hi:[0,0,1]
	v_pk_fma_f32 v[4:5], v[8:9], v[222:223], v[4:5] op_sel_hi:[1,0,1]
	v_pk_add_f32 v[2:3], v[2:3], v[16:17]
	v_mov_b32_e32 v7, v5
	s_waitcnt vmcnt(1) lgkmcnt(1)
	v_pk_mul_f32 v[4:5], v[10:11], v[224:225] op_sel:[1,1] op_sel_hi:[0,1]
	v_pk_add_f32 v[2:3], v[2:3], v[6:7]
	v_pk_fma_f32 v[6:7], v[10:11], v[224:225], v[4:5] neg_lo:[0,0,1] neg_hi:[0,0,1]
	v_pk_fma_f32 v[4:5], v[10:11], v[224:225], v[4:5] op_sel_hi:[1,0,1]
	s_nop 0
	v_mov_b32_e32 v4, v227
	v_mov_b32_e32 v7, v5
	v_pk_mul_f32 v[4:5], v[12:13], v[4:5] op_sel:[1,0] op_sel_hi:[0,0]
	v_pk_add_f32 v[2:3], v[2:3], v[6:7]
	v_pk_fma_f32 v[6:7], v[12:13], v[226:227], v[4:5] neg_lo:[0,0,1] neg_hi:[0,0,1]
	v_pk_fma_f32 v[4:5], v[12:13], v[226:227], v[4:5] op_sel_hi:[1,0,1]
	s_nop 0
	v_mov_b32_e32 v7, v5
	s_waitcnt vmcnt(0) lgkmcnt(0)
	v_pk_mul_f32 v[4:5], v[14:15], v[236:237] op_sel:[1,1] op_sel_hi:[0,1]
	v_pk_add_f32 v[2:3], v[2:3], v[6:7]
	v_pk_fma_f32 v[6:7], v[14:15], v[236:237], v[4:5] neg_lo:[0,0,1] neg_hi:[0,0,1]
	v_pk_fma_f32 v[4:5], v[14:15], v[236:237], v[4:5] op_sel_hi:[1,0,1]
	s_nop 0
	v_mov_b32_e32 v7, v5
	v_pk_add_f32 v[2:3], v[2:3], v[6:7]
	s_nop 0
	v_pk_add_f32 v[2:3], v[228:229], v[2:3] neg_lo:[0,1] neg_hi:[0,1]
	scratch_store_dwordx2 off, v[2:3], off offset:16
	s_and_saveexec_b64 s[0:1], vcc
	s_cbranch_execz .LBB105_263
; %bb.262:
	scratch_load_dwordx2 v[2:3], off, off offset:8
	v_mov_b32_e32 v207, v206
	scratch_store_dwordx2 off, v[206:207], off offset:8
	s_waitcnt vmcnt(1)
	ds_write_b64 v1, v[2:3]
.LBB105_263:
	s_or_b64 exec, exec, s[0:1]
	s_waitcnt lgkmcnt(0)
	; wave barrier
	scratch_load_dwordx4 v[2:5], off, off offset:16
	scratch_load_dwordx4 v[6:9], off, off offset:32
	;; [unrolled: 1-line block ×13, first 2 shown]
	ds_read_b128 v[118:121], v206 offset:352
	ds_read_b128 v[114:117], v206 offset:368
	;; [unrolled: 1-line block ×14, first 2 shown]
	scratch_load_dwordx4 v[62:65], off, off offset:224
	scratch_load_dwordx4 v[70:73], off, off offset:240
	;; [unrolled: 1-line block ×3, first 2 shown]
	scratch_load_dwordx2 v[232:233], off, off offset:8
	v_cmp_ne_u32_e32 vcc, 0, v0
	s_waitcnt vmcnt(16) lgkmcnt(13)
	v_mul_f32_e32 v207, v118, v3
	v_mul_f32_e32 v208, v120, v5
	v_fmac_f32_e32 v207, v119, v2
	s_waitcnt vmcnt(15) lgkmcnt(12)
	v_mul_f32_e32 v209, v114, v7
	v_fmac_f32_e32 v208, v121, v4
	v_add_f32_e32 v207, 0, v207
	v_mul_f32_e32 v210, v116, v9
	v_fmac_f32_e32 v209, v115, v6
	v_add_f32_e32 v207, v207, v208
	s_waitcnt vmcnt(14) lgkmcnt(11)
	v_mul_f32_e32 v211, v110, v11
	v_fmac_f32_e32 v210, v117, v8
	v_add_f32_e32 v207, v207, v209
	v_mul_f32_e32 v212, v112, v13
	v_fmac_f32_e32 v211, v111, v10
	v_add_f32_e32 v207, v207, v210
	;; [unrolled: 7-line block ×11, first 2 shown]
	s_waitcnt vmcnt(4) lgkmcnt(1)
	v_mul_f32_e32 v231, v54, v51
	v_fmac_f32_e32 v230, v69, v48
	v_add_f32_e32 v207, v207, v229
	v_add_f32_e32 v207, v207, v230
	v_fmac_f32_e32 v231, v55, v50
	v_mul_f32_e32 v208, v56, v53
	v_add_f32_e32 v207, v207, v231
	v_fmac_f32_e32 v208, v57, v52
	v_add_f32_e32 v207, v207, v208
	s_waitcnt vmcnt(3) lgkmcnt(0)
	v_mul_f32_e32 v208, v58, v63
	v_fmac_f32_e32 v208, v59, v62
	v_add_f32_e32 v207, v207, v208
	ds_read_b128 v[208:211], v206 offset:576
	v_mul_f32_e32 v212, v60, v65
	v_fmac_f32_e32 v212, v61, v64
	v_add_f32_e32 v207, v207, v212
	ds_read_b128 v[212:215], v206 offset:592
	s_waitcnt vmcnt(2) lgkmcnt(1)
	v_mul_f32_e32 v216, v208, v71
	v_fmac_f32_e32 v216, v209, v70
	v_add_f32_e32 v207, v207, v216
	v_mul_f32_e32 v216, v210, v73
	v_fmac_f32_e32 v216, v211, v72
	v_add_f32_e32 v235, v207, v216
	scratch_load_dwordx4 v[216:219], off, off offset:272
	scratch_load_dwordx4 v[220:223], off, off offset:288
	;; [unrolled: 1-line block ×4, first 2 shown]
	v_mul_f32_e32 v3, v119, v3
	v_fma_f32 v2, v118, v2, -v3
	v_mul_f32_e32 v3, v121, v5
	v_add_f32_e32 v2, 0, v2
	v_fma_f32 v3, v120, v4, -v3
	v_add_f32_e32 v2, v2, v3
	v_mul_f32_e32 v3, v115, v7
	v_fma_f32 v3, v114, v6, -v3
	v_add_f32_e32 v2, v2, v3
	v_mul_f32_e32 v3, v117, v9
	;; [unrolled: 3-line block ×28, first 2 shown]
	v_fma_f32 v3, v210, v72, -v3
	v_add_f32_e32 v234, v2, v3
	s_waitcnt vmcnt(5) lgkmcnt(0)
	v_mul_f32_e32 v2, v213, v79
	v_fma_f32 v236, v212, v78, -v2
	v_mul_f32_e32 v2, v215, v81
	v_fma_f32 v238, v214, v80, -v2
	ds_read_b128 v[2:5], v206 offset:608
	ds_read_b128 v[6:9], v206 offset:624
	;; [unrolled: 1-line block ×4, first 2 shown]
	v_mul_f32_e32 v237, v212, v79
	v_fmac_f32_e32 v237, v213, v78
	v_mul_f32_e32 v239, v214, v81
	s_waitcnt vmcnt(3) lgkmcnt(3)
	v_pk_mul_f32 v[20:21], v[2:3], v[216:217] op_sel:[1,1] op_sel_hi:[0,1]
	v_fmac_f32_e32 v239, v215, v80
	v_pk_add_f32 v[18:19], v[234:235], v[236:237]
	v_pk_fma_f32 v[22:23], v[2:3], v[216:217], v[20:21] neg_lo:[0,0,1] neg_hi:[0,0,1]
	v_pk_fma_f32 v[2:3], v[2:3], v[216:217], v[20:21] op_sel_hi:[1,0,1]
	v_pk_add_f32 v[18:19], v[18:19], v[238:239]
	v_mov_b32_e32 v23, v3
	v_pk_add_f32 v[2:3], v[18:19], v[22:23]
	v_mov_b32_e32 v18, v219
	v_pk_mul_f32 v[18:19], v[4:5], v[18:19] op_sel:[1,0] op_sel_hi:[0,0]
	v_pk_fma_f32 v[20:21], v[4:5], v[218:219], v[18:19] neg_lo:[0,0,1] neg_hi:[0,0,1]
	v_pk_fma_f32 v[4:5], v[4:5], v[218:219], v[18:19] op_sel_hi:[1,0,1]
	s_nop 0
	v_mov_b32_e32 v21, v5
	s_waitcnt vmcnt(2) lgkmcnt(2)
	v_pk_mul_f32 v[4:5], v[6:7], v[220:221] op_sel:[1,1] op_sel_hi:[0,1]
	v_pk_fma_f32 v[18:19], v[6:7], v[220:221], v[4:5] neg_lo:[0,0,1] neg_hi:[0,0,1]
	v_pk_fma_f32 v[4:5], v[6:7], v[220:221], v[4:5] op_sel_hi:[1,0,1]
	v_pk_add_f32 v[2:3], v[2:3], v[20:21]
	v_mov_b32_e32 v4, v223
	v_mov_b32_e32 v19, v5
	v_pk_mul_f32 v[4:5], v[8:9], v[4:5] op_sel:[1,0] op_sel_hi:[0,0]
	v_pk_fma_f32 v[6:7], v[8:9], v[222:223], v[4:5] neg_lo:[0,0,1] neg_hi:[0,0,1]
	v_pk_fma_f32 v[4:5], v[8:9], v[222:223], v[4:5] op_sel_hi:[1,0,1]
	v_pk_add_f32 v[2:3], v[2:3], v[18:19]
	v_mov_b32_e32 v7, v5
	s_waitcnt vmcnt(1) lgkmcnt(1)
	v_pk_mul_f32 v[4:5], v[10:11], v[224:225] op_sel:[1,1] op_sel_hi:[0,1]
	v_pk_add_f32 v[2:3], v[2:3], v[6:7]
	v_pk_fma_f32 v[6:7], v[10:11], v[224:225], v[4:5] neg_lo:[0,0,1] neg_hi:[0,0,1]
	v_pk_fma_f32 v[4:5], v[10:11], v[224:225], v[4:5] op_sel_hi:[1,0,1]
	s_nop 0
	v_mov_b32_e32 v4, v227
	v_mov_b32_e32 v7, v5
	v_pk_mul_f32 v[4:5], v[12:13], v[4:5] op_sel:[1,0] op_sel_hi:[0,0]
	v_pk_add_f32 v[2:3], v[2:3], v[6:7]
	v_pk_fma_f32 v[6:7], v[12:13], v[226:227], v[4:5] neg_lo:[0,0,1] neg_hi:[0,0,1]
	v_pk_fma_f32 v[4:5], v[12:13], v[226:227], v[4:5] op_sel_hi:[1,0,1]
	s_nop 0
	v_mov_b32_e32 v7, v5
	s_waitcnt vmcnt(0) lgkmcnt(0)
	v_pk_mul_f32 v[4:5], v[14:15], v[228:229] op_sel:[1,1] op_sel_hi:[0,1]
	v_pk_add_f32 v[2:3], v[2:3], v[6:7]
	v_pk_fma_f32 v[6:7], v[14:15], v[228:229], v[4:5] neg_lo:[0,0,1] neg_hi:[0,0,1]
	v_pk_fma_f32 v[4:5], v[14:15], v[228:229], v[4:5] op_sel_hi:[1,0,1]
	s_nop 0
	v_mov_b32_e32 v4, v231
	v_mov_b32_e32 v7, v5
	v_pk_mul_f32 v[4:5], v[16:17], v[4:5] op_sel:[1,0] op_sel_hi:[0,0]
	v_pk_add_f32 v[2:3], v[2:3], v[6:7]
	v_pk_fma_f32 v[6:7], v[16:17], v[230:231], v[4:5] neg_lo:[0,0,1] neg_hi:[0,0,1]
	v_pk_fma_f32 v[4:5], v[16:17], v[230:231], v[4:5] op_sel_hi:[1,0,1]
	s_nop 0
	v_mov_b32_e32 v7, v5
	v_pk_add_f32 v[2:3], v[2:3], v[6:7]
	s_nop 0
	v_pk_add_f32 v[2:3], v[232:233], v[2:3] neg_lo:[0,1] neg_hi:[0,1]
	scratch_store_dwordx2 off, v[2:3], off offset:8
	s_and_saveexec_b64 s[0:1], vcc
	s_cbranch_execz .LBB105_265
; %bb.264:
	scratch_load_dwordx2 v[2:3], off, off
	v_mov_b32_e32 v4, 0
	v_mov_b32_e32 v5, v4
	scratch_store_dwordx2 off, v[4:5], off
	s_waitcnt vmcnt(1)
	ds_write_b64 v1, v[2:3]
.LBB105_265:
	s_or_b64 exec, exec, s[0:1]
	s_waitcnt lgkmcnt(0)
	; wave barrier
	scratch_load_dwordx4 v[0:3], off, off offset:8
	scratch_load_dwordx4 v[4:7], off, off offset:24
	;; [unrolled: 1-line block ×12, first 2 shown]
	v_mov_b32_e32 v70, 0
	scratch_load_dwordx4 v[48:51], off, off offset:200
	scratch_load_dwordx4 v[52:55], off, off offset:216
	;; [unrolled: 1-line block ×5, first 2 shown]
	scratch_load_dwordx2 v[68:69], off, off
	ds_read2_b64 v[72:75], v70 offset0:43 offset1:44
	ds_read2_b64 v[76:79], v70 offset0:45 offset1:46
	ds_read2_b64 v[80:83], v70 offset0:47 offset1:48
	ds_read2_b64 v[84:87], v70 offset0:49 offset1:50
	ds_read2_b64 v[88:91], v70 offset0:51 offset1:52
	ds_read2_b64 v[92:95], v70 offset0:53 offset1:54
	ds_read2_b64 v[96:99], v70 offset0:55 offset1:56
	ds_read2_b64 v[100:103], v70 offset0:57 offset1:58
	ds_read2_b64 v[104:107], v70 offset0:59 offset1:60
	ds_read2_b64 v[108:111], v70 offset0:61 offset1:62
	ds_read2_b64 v[112:115], v70 offset0:63 offset1:64
	ds_read2_b64 v[116:119], v70 offset0:65 offset1:66
	ds_read2_b64 v[206:209], v70 offset0:67 offset1:68
	s_and_b64 vcc, exec, s[10:11]
	s_waitcnt vmcnt(17) lgkmcnt(12)
	v_mul_f32_e32 v71, v72, v1
	v_mul_f32_e32 v120, v74, v3
	v_fmac_f32_e32 v71, v73, v0
	s_waitcnt vmcnt(16) lgkmcnt(11)
	v_mul_f32_e32 v121, v76, v5
	v_fmac_f32_e32 v120, v75, v2
	v_add_f32_e32 v71, 0, v71
	v_mul_f32_e32 v210, v78, v7
	v_fmac_f32_e32 v121, v77, v4
	v_add_f32_e32 v71, v71, v120
	s_waitcnt vmcnt(15) lgkmcnt(10)
	v_mul_f32_e32 v211, v80, v9
	v_fmac_f32_e32 v210, v79, v6
	v_add_f32_e32 v71, v71, v121
	v_mul_f32_e32 v212, v82, v11
	v_fmac_f32_e32 v211, v81, v8
	v_add_f32_e32 v71, v71, v210
	;; [unrolled: 7-line block ×11, first 2 shown]
	v_fmac_f32_e32 v230, v119, v46
	v_add_f32_e32 v71, v71, v229
	v_add_f32_e32 v71, v71, v230
	ds_read2_b64 v[210:213], v70 offset0:69 offset1:70
	ds_read2_b64 v[214:217], v70 offset0:71 offset1:72
	;; [unrolled: 1-line block ×5, first 2 shown]
	scratch_load_dwordx4 v[230:233], off, off offset:280
	scratch_load_dwordx4 v[234:237], off, off offset:296
	;; [unrolled: 1-line block ×3, first 2 shown]
	scratch_load_dwordx2 v[246:247], off, off offset:328
	v_mul_f32_e32 v1, v73, v1
	v_fma_f32 v0, v72, v0, -v1
	v_mul_f32_e32 v1, v75, v3
	v_add_f32_e32 v0, 0, v0
	v_fma_f32 v1, v74, v2, -v1
	v_add_f32_e32 v0, v0, v1
	v_mul_f32_e32 v1, v77, v5
	v_fma_f32 v1, v76, v4, -v1
	v_add_f32_e32 v0, v0, v1
	v_mul_f32_e32 v1, v79, v7
	;; [unrolled: 3-line block ×22, first 2 shown]
	v_fma_f32 v1, v118, v46, -v1
	s_waitcnt vmcnt(9) lgkmcnt(5)
	v_mul_f32_e32 v120, v206, v49
	v_add_f32_e32 v0, v0, v1
	v_mul_f32_e32 v1, v207, v49
	v_fmac_f32_e32 v120, v207, v48
	v_fma_f32 v1, v206, v48, -v1
	v_add_f32_e32 v71, v71, v120
	v_mul_f32_e32 v120, v208, v51
	v_add_f32_e32 v0, v0, v1
	v_mul_f32_e32 v1, v209, v51
	v_fmac_f32_e32 v120, v209, v50
	v_fma_f32 v1, v208, v50, -v1
	v_add_f32_e32 v71, v71, v120
	s_waitcnt vmcnt(8) lgkmcnt(4)
	v_mul_f32_e32 v120, v210, v53
	v_add_f32_e32 v0, v0, v1
	v_mul_f32_e32 v1, v211, v53
	v_fmac_f32_e32 v120, v211, v52
	v_fma_f32 v1, v210, v52, -v1
	v_add_f32_e32 v71, v71, v120
	v_mul_f32_e32 v120, v212, v55
	v_add_f32_e32 v0, v0, v1
	v_mul_f32_e32 v1, v213, v55
	v_fmac_f32_e32 v120, v213, v54
	v_fma_f32 v1, v212, v54, -v1
	v_add_f32_e32 v71, v71, v120
	;; [unrolled: 13-line block ×3, first 2 shown]
	s_waitcnt vmcnt(6) lgkmcnt(2)
	v_mul_f32_e32 v120, v218, v61
	v_add_f32_e32 v0, v0, v1
	v_mul_f32_e32 v1, v219, v61
	v_fmac_f32_e32 v120, v219, v60
	v_fma_f32 v1, v218, v60, -v1
	v_add_f32_e32 v121, v71, v120
	v_mul_f32_e32 v243, v220, v63
	v_add_f32_e32 v120, v0, v1
	v_mul_f32_e32 v0, v221, v63
	s_waitcnt vmcnt(5)
	v_mov_b32_e32 v12, v67
	v_fmac_f32_e32 v243, v221, v62
	s_waitcnt lgkmcnt(1)
	v_mul_f32_e32 v245, v222, v65
	v_fma_f32 v242, v220, v62, -v0
	v_mul_f32_e32 v0, v223, v65
	v_pk_mul_f32 v[12:13], v[224:225], v[12:13] op_sel:[1,0] op_sel_hi:[0,0]
	v_fmac_f32_e32 v245, v223, v64
	v_fma_f32 v244, v222, v64, -v0
	v_pk_add_f32 v[10:11], v[120:121], v[242:243]
	v_pk_fma_f32 v[14:15], v[224:225], v[66:67], v[12:13] neg_lo:[0,0,1] neg_hi:[0,0,1]
	v_pk_fma_f32 v[12:13], v[224:225], v[66:67], v[12:13] op_sel_hi:[1,0,1]
	v_pk_add_f32 v[10:11], v[10:11], v[244:245]
	v_mov_b32_e32 v15, v13
	s_waitcnt vmcnt(3) lgkmcnt(0)
	v_pk_mul_f32 v[12:13], v[226:227], v[230:231] op_sel:[1,1] op_sel_hi:[0,1]
	v_pk_add_f32 v[10:11], v[10:11], v[14:15]
	v_pk_fma_f32 v[14:15], v[226:227], v[230:231], v[12:13] neg_lo:[0,0,1] neg_hi:[0,0,1]
	v_pk_fma_f32 v[12:13], v[226:227], v[230:231], v[12:13] op_sel_hi:[1,0,1]
	ds_read2_b64 v[0:3], v70 offset0:79 offset1:80
	ds_read2_b64 v[4:7], v70 offset0:81 offset1:82
	ds_read_b64 v[8:9], v70 offset:664
	v_mov_b32_e32 v12, v233
	v_mov_b32_e32 v15, v13
	v_pk_mul_f32 v[12:13], v[228:229], v[12:13] op_sel:[1,0] op_sel_hi:[0,0]
	v_pk_add_f32 v[10:11], v[10:11], v[14:15]
	v_pk_fma_f32 v[14:15], v[228:229], v[232:233], v[12:13] neg_lo:[0,0,1] neg_hi:[0,0,1]
	v_pk_fma_f32 v[12:13], v[228:229], v[232:233], v[12:13] op_sel_hi:[1,0,1]
	s_nop 0
	v_mov_b32_e32 v15, v13
	s_waitcnt vmcnt(2) lgkmcnt(2)
	v_pk_mul_f32 v[12:13], v[0:1], v[234:235] op_sel:[1,1] op_sel_hi:[0,1]
	v_pk_add_f32 v[10:11], v[10:11], v[14:15]
	v_pk_fma_f32 v[14:15], v[0:1], v[234:235], v[12:13] neg_lo:[0,0,1] neg_hi:[0,0,1]
	v_pk_fma_f32 v[0:1], v[0:1], v[234:235], v[12:13] op_sel_hi:[1,0,1]
	s_nop 0
	v_mov_b32_e32 v15, v1
	v_pk_add_f32 v[0:1], v[10:11], v[14:15]
	v_mov_b32_e32 v10, v237
	v_pk_mul_f32 v[10:11], v[2:3], v[10:11] op_sel:[1,0] op_sel_hi:[0,0]
	v_pk_fma_f32 v[12:13], v[2:3], v[236:237], v[10:11] neg_lo:[0,0,1] neg_hi:[0,0,1]
	v_pk_fma_f32 v[2:3], v[2:3], v[236:237], v[10:11] op_sel_hi:[1,0,1]
	s_nop 0
	v_mov_b32_e32 v13, v3
	s_waitcnt vmcnt(1) lgkmcnt(1)
	v_pk_mul_f32 v[2:3], v[4:5], v[238:239] op_sel:[1,1] op_sel_hi:[0,1]
	v_pk_fma_f32 v[10:11], v[4:5], v[238:239], v[2:3] neg_lo:[0,0,1] neg_hi:[0,0,1]
	v_pk_fma_f32 v[2:3], v[4:5], v[238:239], v[2:3] op_sel_hi:[1,0,1]
	v_pk_add_f32 v[0:1], v[0:1], v[12:13]
	v_mov_b32_e32 v2, v241
	v_mov_b32_e32 v11, v3
	v_pk_mul_f32 v[2:3], v[6:7], v[2:3] op_sel:[1,0] op_sel_hi:[0,0]
	v_pk_fma_f32 v[4:5], v[6:7], v[240:241], v[2:3] neg_lo:[0,0,1] neg_hi:[0,0,1]
	v_pk_fma_f32 v[2:3], v[6:7], v[240:241], v[2:3] op_sel_hi:[1,0,1]
	v_pk_add_f32 v[0:1], v[0:1], v[10:11]
	v_mov_b32_e32 v5, v3
	s_waitcnt vmcnt(0) lgkmcnt(0)
	v_pk_mul_f32 v[2:3], v[8:9], v[246:247] op_sel:[1,1] op_sel_hi:[0,1]
	v_pk_add_f32 v[0:1], v[0:1], v[4:5]
	v_pk_fma_f32 v[4:5], v[8:9], v[246:247], v[2:3] neg_lo:[0,0,1] neg_hi:[0,0,1]
	v_pk_fma_f32 v[2:3], v[8:9], v[246:247], v[2:3] op_sel_hi:[1,0,1]
	s_nop 0
	v_mov_b32_e32 v5, v3
	v_pk_add_f32 v[0:1], v[0:1], v[4:5]
	s_nop 0
	v_pk_add_f32 v[0:1], v[68:69], v[0:1] neg_lo:[0,1] neg_hi:[0,1]
	scratch_store_dwordx2 off, v[0:1], off
	s_cbranch_vccz .LBB105_348
; %bb.266:
	global_load_dword v0, v70, s[8:9] offset:160
	s_waitcnt vmcnt(0)
	v_readfirstlane_b32 s0, v0
	s_add_i32 s0, s0, -1
	s_cmp_lg_u32 s0, 40
	s_cbranch_scc0 .LBB105_268
; %bb.267:
	s_lshl_b32 s0, s0, 3
	s_nop 0
	scratch_load_dwordx2 v[0:1], off, s0
	scratch_load_dwordx2 v[2:3], off, off offset:320
	s_waitcnt vmcnt(1)
	scratch_store_dwordx2 off, v[0:1], off offset:320
	s_waitcnt vmcnt(1)
	scratch_store_dwordx2 off, v[2:3], s0
.LBB105_268:
	v_mov_b32_e32 v0, 0
	global_load_dword v1, v0, s[8:9] offset:156
	s_waitcnt vmcnt(0)
	v_readfirstlane_b32 s0, v1
	s_add_i32 s0, s0, -1
	s_cmp_eq_u32 s0, 39
	s_cbranch_scc1 .LBB105_270
; %bb.269:
	s_lshl_b32 s0, s0, 3
	s_nop 0
	scratch_load_dwordx2 v[2:3], off, s0
	scratch_load_dwordx2 v[4:5], off, off offset:312
	s_waitcnt vmcnt(1)
	scratch_store_dwordx2 off, v[2:3], off offset:312
	s_waitcnt vmcnt(1)
	scratch_store_dwordx2 off, v[4:5], s0
.LBB105_270:
	global_load_dword v0, v0, s[8:9] offset:152
	s_waitcnt vmcnt(0)
	v_readfirstlane_b32 s0, v0
	s_add_i32 s0, s0, -1
	s_cmp_eq_u32 s0, 38
	s_cbranch_scc1 .LBB105_272
; %bb.271:
	s_lshl_b32 s0, s0, 3
	s_nop 0
	scratch_load_dwordx2 v[0:1], off, s0
	scratch_load_dwordx2 v[2:3], off, off offset:304
	s_waitcnt vmcnt(1)
	scratch_store_dwordx2 off, v[0:1], off offset:304
	s_waitcnt vmcnt(1)
	scratch_store_dwordx2 off, v[2:3], s0
.LBB105_272:
	v_mov_b32_e32 v0, 0
	global_load_dword v1, v0, s[8:9] offset:148
	s_waitcnt vmcnt(0)
	v_readfirstlane_b32 s0, v1
	s_add_i32 s0, s0, -1
	s_cmp_eq_u32 s0, 37
	s_cbranch_scc1 .LBB105_274
; %bb.273:
	s_lshl_b32 s0, s0, 3
	s_nop 0
	scratch_load_dwordx2 v[2:3], off, s0
	scratch_load_dwordx2 v[4:5], off, off offset:296
	s_waitcnt vmcnt(1)
	scratch_store_dwordx2 off, v[2:3], off offset:296
	s_waitcnt vmcnt(1)
	scratch_store_dwordx2 off, v[4:5], s0
.LBB105_274:
	global_load_dword v0, v0, s[8:9] offset:144
	s_waitcnt vmcnt(0)
	v_readfirstlane_b32 s0, v0
	s_add_i32 s0, s0, -1
	s_cmp_eq_u32 s0, 36
	s_cbranch_scc1 .LBB105_276
; %bb.275:
	s_lshl_b32 s0, s0, 3
	s_nop 0
	scratch_load_dwordx2 v[0:1], off, s0
	scratch_load_dwordx2 v[2:3], off, off offset:288
	s_waitcnt vmcnt(1)
	scratch_store_dwordx2 off, v[0:1], off offset:288
	s_waitcnt vmcnt(1)
	scratch_store_dwordx2 off, v[2:3], s0
.LBB105_276:
	;; [unrolled: 33-line block ×19, first 2 shown]
	v_mov_b32_e32 v0, 0
	global_load_dword v1, v0, s[8:9] offset:4
	s_waitcnt vmcnt(0)
	v_readfirstlane_b32 s0, v1
	s_add_i32 s0, s0, -1
	s_cmp_eq_u32 s0, 1
	s_cbranch_scc1 .LBB105_346
; %bb.345:
	s_lshl_b32 s0, s0, 3
	s_nop 0
	scratch_load_dwordx2 v[2:3], off, s0
	scratch_load_dwordx2 v[4:5], off, off offset:8
	s_waitcnt vmcnt(1)
	scratch_store_dwordx2 off, v[2:3], off offset:8
	s_waitcnt vmcnt(1)
	scratch_store_dwordx2 off, v[4:5], s0
.LBB105_346:
	global_load_dword v2, v0, s[8:9]
	s_nop 0
	scratch_load_dwordx2 v[0:1], off, off
	s_waitcnt vmcnt(1)
	v_readfirstlane_b32 s0, v2
	s_add_i32 s0, s0, -1
	s_cmp_eq_u32 s0, 0
	s_cbranch_scc1 .LBB105_348
; %bb.347:
	s_lshl_b32 s0, s0, 3
	s_nop 0
	scratch_load_dwordx2 v[2:3], off, s0
	s_waitcnt vmcnt(0)
	scratch_store_dwordx2 off, v[2:3], off
	scratch_store_dwordx2 off, v[0:1], s0
	scratch_load_dwordx2 v[0:1], off, off
.LBB105_348:
	s_waitcnt vmcnt(0)
	flat_store_dwordx2 v[122:123], v[0:1]
	scratch_load_dwordx2 v[0:1], off, off offset:8
	s_waitcnt vmcnt(0)
	flat_store_dwordx2 v[124:125], v[0:1]
	scratch_load_dwordx2 v[0:1], off, off offset:16
	;; [unrolled: 3-line block ×41, first 2 shown]
	s_waitcnt vmcnt(0)
	flat_store_dwordx2 v[204:205], v[0:1]
	s_endpgm
	.section	.rodata,"a",@progbits
	.p2align	6, 0x0
	.amdhsa_kernel _ZN9rocsolver6v33100L18getri_kernel_smallILi42E19rocblas_complex_numIfEPKPS3_EEvT1_iilPiilS8_bb
		.amdhsa_group_segment_fixed_size 676
		.amdhsa_private_segment_fixed_size 352
		.amdhsa_kernarg_size 60
		.amdhsa_user_sgpr_count 2
		.amdhsa_user_sgpr_dispatch_ptr 0
		.amdhsa_user_sgpr_queue_ptr 0
		.amdhsa_user_sgpr_kernarg_segment_ptr 1
		.amdhsa_user_sgpr_dispatch_id 0
		.amdhsa_user_sgpr_kernarg_preload_length 0
		.amdhsa_user_sgpr_kernarg_preload_offset 0
		.amdhsa_user_sgpr_private_segment_size 0
		.amdhsa_uses_dynamic_stack 0
		.amdhsa_enable_private_segment 1
		.amdhsa_system_sgpr_workgroup_id_x 1
		.amdhsa_system_sgpr_workgroup_id_y 0
		.amdhsa_system_sgpr_workgroup_id_z 0
		.amdhsa_system_sgpr_workgroup_info 0
		.amdhsa_system_vgpr_workitem_id 0
		.amdhsa_next_free_vgpr 248
		.amdhsa_next_free_sgpr 17
		.amdhsa_accum_offset 248
		.amdhsa_reserve_vcc 1
		.amdhsa_float_round_mode_32 0
		.amdhsa_float_round_mode_16_64 0
		.amdhsa_float_denorm_mode_32 3
		.amdhsa_float_denorm_mode_16_64 3
		.amdhsa_dx10_clamp 1
		.amdhsa_ieee_mode 1
		.amdhsa_fp16_overflow 0
		.amdhsa_tg_split 0
		.amdhsa_exception_fp_ieee_invalid_op 0
		.amdhsa_exception_fp_denorm_src 0
		.amdhsa_exception_fp_ieee_div_zero 0
		.amdhsa_exception_fp_ieee_overflow 0
		.amdhsa_exception_fp_ieee_underflow 0
		.amdhsa_exception_fp_ieee_inexact 0
		.amdhsa_exception_int_div_zero 0
	.end_amdhsa_kernel
	.section	.text._ZN9rocsolver6v33100L18getri_kernel_smallILi42E19rocblas_complex_numIfEPKPS3_EEvT1_iilPiilS8_bb,"axG",@progbits,_ZN9rocsolver6v33100L18getri_kernel_smallILi42E19rocblas_complex_numIfEPKPS3_EEvT1_iilPiilS8_bb,comdat
.Lfunc_end105:
	.size	_ZN9rocsolver6v33100L18getri_kernel_smallILi42E19rocblas_complex_numIfEPKPS3_EEvT1_iilPiilS8_bb, .Lfunc_end105-_ZN9rocsolver6v33100L18getri_kernel_smallILi42E19rocblas_complex_numIfEPKPS3_EEvT1_iilPiilS8_bb
                                        ; -- End function
	.set _ZN9rocsolver6v33100L18getri_kernel_smallILi42E19rocblas_complex_numIfEPKPS3_EEvT1_iilPiilS8_bb.num_vgpr, 248
	.set _ZN9rocsolver6v33100L18getri_kernel_smallILi42E19rocblas_complex_numIfEPKPS3_EEvT1_iilPiilS8_bb.num_agpr, 0
	.set _ZN9rocsolver6v33100L18getri_kernel_smallILi42E19rocblas_complex_numIfEPKPS3_EEvT1_iilPiilS8_bb.numbered_sgpr, 17
	.set _ZN9rocsolver6v33100L18getri_kernel_smallILi42E19rocblas_complex_numIfEPKPS3_EEvT1_iilPiilS8_bb.num_named_barrier, 0
	.set _ZN9rocsolver6v33100L18getri_kernel_smallILi42E19rocblas_complex_numIfEPKPS3_EEvT1_iilPiilS8_bb.private_seg_size, 352
	.set _ZN9rocsolver6v33100L18getri_kernel_smallILi42E19rocblas_complex_numIfEPKPS3_EEvT1_iilPiilS8_bb.uses_vcc, 1
	.set _ZN9rocsolver6v33100L18getri_kernel_smallILi42E19rocblas_complex_numIfEPKPS3_EEvT1_iilPiilS8_bb.uses_flat_scratch, 0
	.set _ZN9rocsolver6v33100L18getri_kernel_smallILi42E19rocblas_complex_numIfEPKPS3_EEvT1_iilPiilS8_bb.has_dyn_sized_stack, 0
	.set _ZN9rocsolver6v33100L18getri_kernel_smallILi42E19rocblas_complex_numIfEPKPS3_EEvT1_iilPiilS8_bb.has_recursion, 0
	.set _ZN9rocsolver6v33100L18getri_kernel_smallILi42E19rocblas_complex_numIfEPKPS3_EEvT1_iilPiilS8_bb.has_indirect_call, 0
	.section	.AMDGPU.csdata,"",@progbits
; Kernel info:
; codeLenInByte = 55240
; TotalNumSgprs: 23
; NumVgprs: 248
; NumAgprs: 0
; TotalNumVgprs: 248
; ScratchSize: 352
; MemoryBound: 0
; FloatMode: 240
; IeeeMode: 1
; LDSByteSize: 676 bytes/workgroup (compile time only)
; SGPRBlocks: 2
; VGPRBlocks: 30
; NumSGPRsForWavesPerEU: 23
; NumVGPRsForWavesPerEU: 248
; AccumOffset: 248
; Occupancy: 2
; WaveLimiterHint : 1
; COMPUTE_PGM_RSRC2:SCRATCH_EN: 1
; COMPUTE_PGM_RSRC2:USER_SGPR: 2
; COMPUTE_PGM_RSRC2:TRAP_HANDLER: 0
; COMPUTE_PGM_RSRC2:TGID_X_EN: 1
; COMPUTE_PGM_RSRC2:TGID_Y_EN: 0
; COMPUTE_PGM_RSRC2:TGID_Z_EN: 0
; COMPUTE_PGM_RSRC2:TIDIG_COMP_CNT: 0
; COMPUTE_PGM_RSRC3_GFX90A:ACCUM_OFFSET: 61
; COMPUTE_PGM_RSRC3_GFX90A:TG_SPLIT: 0
	.section	.text._ZN9rocsolver6v33100L18getri_kernel_smallILi43E19rocblas_complex_numIfEPKPS3_EEvT1_iilPiilS8_bb,"axG",@progbits,_ZN9rocsolver6v33100L18getri_kernel_smallILi43E19rocblas_complex_numIfEPKPS3_EEvT1_iilPiilS8_bb,comdat
	.globl	_ZN9rocsolver6v33100L18getri_kernel_smallILi43E19rocblas_complex_numIfEPKPS3_EEvT1_iilPiilS8_bb ; -- Begin function _ZN9rocsolver6v33100L18getri_kernel_smallILi43E19rocblas_complex_numIfEPKPS3_EEvT1_iilPiilS8_bb
	.p2align	8
	.type	_ZN9rocsolver6v33100L18getri_kernel_smallILi43E19rocblas_complex_numIfEPKPS3_EEvT1_iilPiilS8_bb,@function
_ZN9rocsolver6v33100L18getri_kernel_smallILi43E19rocblas_complex_numIfEPKPS3_EEvT1_iilPiilS8_bb: ; @_ZN9rocsolver6v33100L18getri_kernel_smallILi43E19rocblas_complex_numIfEPKPS3_EEvT1_iilPiilS8_bb
; %bb.0:
	v_cmp_gt_u32_e32 vcc, 43, v0
	s_and_saveexec_b64 s[4:5], vcc
	s_cbranch_execz .LBB106_186
; %bb.1:
	s_load_dword s14, s[0:1], 0x38
	s_load_dwordx2 s[8:9], s[0:1], 0x0
	s_load_dwordx4 s[4:7], s[0:1], 0x28
	s_waitcnt lgkmcnt(0)
	s_bitcmp1_b32 s14, 8
	s_cselect_b64 s[10:11], -1, 0
	s_ashr_i32 s3, s2, 31
	s_lshl_b64 s[12:13], s[2:3], 3
	s_add_u32 s8, s8, s12
	s_addc_u32 s9, s9, s13
	s_load_dwordx2 s[12:13], s[8:9], 0x0
	s_bfe_u32 s8, s14, 0x10008
	s_cmp_eq_u32 s8, 0
                                        ; implicit-def: $sgpr8_sgpr9
	s_cbranch_scc1 .LBB106_3
; %bb.2:
	s_load_dword s8, s[0:1], 0x20
	s_load_dwordx2 s[14:15], s[0:1], 0x18
	s_mul_i32 s9, s4, s3
	s_mul_hi_u32 s16, s4, s2
	s_add_i32 s16, s16, s9
	s_mul_i32 s5, s5, s2
	s_add_i32 s5, s16, s5
	s_mul_i32 s4, s4, s2
	s_waitcnt lgkmcnt(0)
	s_ashr_i32 s9, s8, 31
	s_lshl_b64 s[4:5], s[4:5], 2
	s_add_u32 s14, s14, s4
	s_addc_u32 s15, s15, s5
	s_lshl_b64 s[4:5], s[8:9], 2
	s_add_u32 s8, s14, s4
	s_addc_u32 s9, s15, s5
.LBB106_3:
	s_load_dwordx2 s[4:5], s[0:1], 0x8
	s_load_dword s14, s[0:1], 0x38
	v_lshlrev_b32_e32 v2, 3, v0
	v_mov_b32_e32 v3, 0
	s_waitcnt lgkmcnt(0)
	s_ashr_i32 s1, s4, 31
	s_mov_b32 s0, s4
	s_lshl_b64 s[0:1], s[0:1], 3
	s_add_u32 s0, s12, s0
	s_addc_u32 s1, s13, s1
	v_lshl_add_u64 v[124:125], s[0:1], 0, v[2:3]
	flat_load_dwordx2 v[4:5], v[124:125]
	s_mov_b32 s12, s5
	s_ashr_i32 s13, s5, 31
	v_lshl_add_u64 v[126:127], s[12:13], 3, v[124:125]
	s_add_i32 s4, s5, s5
	v_add_u32_e32 v6, s4, v0
	v_ashrrev_i32_e32 v7, 31, v6
	v_lshl_add_u64 v[128:129], v[6:7], 3, s[0:1]
	v_add_u32_e32 v6, s5, v6
	v_ashrrev_i32_e32 v7, 31, v6
	v_lshl_add_u64 v[130:131], v[6:7], 3, s[0:1]
	;; [unrolled: 3-line block ×25, first 2 shown]
	s_waitcnt vmcnt(0) lgkmcnt(0)
	scratch_store_dwordx2 off, v[4:5], off
	flat_load_dwordx2 v[4:5], v[126:127]
	v_add_u32_e32 v6, s5, v6
	v_ashrrev_i32_e32 v7, 31, v6
	v_lshl_add_u64 v[178:179], v[6:7], 3, s[0:1]
	v_add_u32_e32 v6, s5, v6
	v_ashrrev_i32_e32 v7, 31, v6
	v_lshl_add_u64 v[180:181], v[6:7], 3, s[0:1]
	;; [unrolled: 3-line block ×16, first 2 shown]
	s_bitcmp0_b32 s14, 0
	s_mov_b64 s[4:5], -1
	s_waitcnt vmcnt(0) lgkmcnt(0)
	scratch_store_dwordx2 off, v[4:5], off offset:8
	flat_load_dwordx2 v[4:5], v[128:129]
	s_waitcnt vmcnt(0) lgkmcnt(0)
	scratch_store_dwordx2 off, v[4:5], off offset:16
	flat_load_dwordx2 v[4:5], v[130:131]
	;; [unrolled: 3-line block ×41, first 2 shown]
	s_waitcnt vmcnt(0) lgkmcnt(0)
	scratch_store_dwordx2 off, v[4:5], off offset:336
	s_cbranch_scc1 .LBB106_184
; %bb.4:
	v_cmp_eq_u32_e64 s[0:1], 0, v0
	s_and_saveexec_b64 s[4:5], s[0:1]
; %bb.5:
	v_mov_b32_e32 v1, 0
	ds_write_b32 v1, v1 offset:344
; %bb.6:
	s_or_b64 exec, exec, s[4:5]
	s_waitcnt lgkmcnt(0)
	; wave barrier
	scratch_load_dwordx2 v[4:5], v2, off
	s_waitcnt vmcnt(0)
	v_cmp_eq_f32_e32 vcc, 0, v4
	v_cmp_eq_f32_e64 s[4:5], 0, v5
	s_and_b64 s[4:5], vcc, s[4:5]
	s_and_saveexec_b64 s[12:13], s[4:5]
	s_cbranch_execz .LBB106_10
; %bb.7:
	v_mov_b32_e32 v1, 0
	ds_read_b32 v4, v1 offset:344
	v_add_u32_e32 v3, 1, v0
	s_waitcnt lgkmcnt(0)
	v_readfirstlane_b32 s4, v4
	s_cmp_eq_u32 s4, 0
	s_cselect_b64 s[14:15], -1, 0
	v_cmp_gt_i32_e32 vcc, s4, v3
	s_or_b64 s[14:15], s[14:15], vcc
	s_and_b64 exec, exec, s[14:15]
	s_cbranch_execz .LBB106_10
; %bb.8:
	s_mov_b64 s[14:15], 0
	v_mov_b32_e32 v4, s4
.LBB106_9:                              ; =>This Inner Loop Header: Depth=1
	ds_cmpst_rtn_b32 v4, v1, v4, v3 offset:344
	s_waitcnt lgkmcnt(0)
	v_cmp_ne_u32_e32 vcc, 0, v4
	v_cmp_le_i32_e64 s[4:5], v4, v3
	s_and_b64 s[4:5], vcc, s[4:5]
	s_and_b64 s[4:5], exec, s[4:5]
	s_or_b64 s[14:15], s[4:5], s[14:15]
	s_andn2_b64 exec, exec, s[14:15]
	s_cbranch_execnz .LBB106_9
.LBB106_10:
	s_or_b64 exec, exec, s[12:13]
	v_mov_b32_e32 v3, 0
	; wave barrier
	ds_read_b32 v1, v3 offset:344
	s_and_saveexec_b64 s[4:5], s[0:1]
	s_cbranch_execz .LBB106_12
; %bb.11:
	s_lshl_b64 s[12:13], s[2:3], 2
	s_add_u32 s12, s6, s12
	s_addc_u32 s13, s7, s13
	s_waitcnt lgkmcnt(0)
	global_store_dword v3, v1, s[12:13]
.LBB106_12:
	s_or_b64 exec, exec, s[4:5]
	s_waitcnt lgkmcnt(0)
	v_cmp_ne_u32_e32 vcc, 0, v1
	s_mov_b64 s[4:5], 0
	s_cbranch_vccnz .LBB106_184
; %bb.13:
	v_mov_b32_e32 v3, v2
	scratch_load_dwordx2 v[4:5], v3, off
                                        ; implicit-def: $vgpr7
                                        ; implicit-def: $vgpr8
	s_waitcnt vmcnt(0)
	v_cmp_ngt_f32_e64 s[4:5], |v4|, |v5|
	s_and_saveexec_b64 s[12:13], s[4:5]
	s_xor_b64 s[4:5], exec, s[12:13]
	s_cbranch_execz .LBB106_15
; %bb.14:
	v_div_scale_f32 v1, s[12:13], v5, v5, v4
	v_rcp_f32_e32 v6, v1
	v_div_scale_f32 v7, vcc, v4, v5, v4
	v_fma_f32 v8, -v1, v6, 1.0
	v_fmac_f32_e32 v6, v8, v6
	v_mul_f32_e32 v8, v7, v6
	v_fma_f32 v9, -v1, v8, v7
	v_fmac_f32_e32 v8, v9, v6
	v_fma_f32 v1, -v1, v8, v7
	v_div_fmas_f32 v1, v1, v6, v8
	v_div_fixup_f32 v1, v1, v5, v4
	v_fmac_f32_e32 v5, v4, v1
	v_div_scale_f32 v4, s[12:13], v5, v5, -1.0
	v_rcp_f32_e32 v6, v4
	s_nop 0
	v_fma_f32 v7, -v4, v6, 1.0
	v_fmac_f32_e32 v6, v7, v6
	v_div_scale_f32 v7, vcc, -1.0, v5, -1.0
	v_mul_f32_e32 v8, v7, v6
	v_fma_f32 v9, -v4, v8, v7
	v_fmac_f32_e32 v8, v9, v6
	v_fma_f32 v4, -v4, v8, v7
	v_div_fmas_f32 v4, v4, v6, v8
	v_div_fixup_f32 v7, v4, v5, -1.0
	v_mul_f32_e32 v8, v1, v7
	v_xor_b32_e32 v6, 0x80000000, v8
                                        ; implicit-def: $vgpr4_vgpr5
.LBB106_15:
	s_andn2_saveexec_b64 s[4:5], s[4:5]
	s_cbranch_execz .LBB106_17
; %bb.16:
	v_div_scale_f32 v1, s[12:13], v4, v4, v5
	v_rcp_f32_e32 v6, v1
	v_div_scale_f32 v7, vcc, v5, v4, v5
	v_fma_f32 v8, -v1, v6, 1.0
	v_fmac_f32_e32 v6, v8, v6
	v_mul_f32_e32 v8, v7, v6
	v_fma_f32 v9, -v1, v8, v7
	v_fmac_f32_e32 v8, v9, v6
	v_fma_f32 v1, -v1, v8, v7
	v_div_fmas_f32 v1, v1, v6, v8
	v_div_fixup_f32 v1, v1, v4, v5
	v_fmac_f32_e32 v4, v5, v1
	v_div_scale_f32 v5, s[12:13], v4, v4, 1.0
	v_rcp_f32_e32 v6, v5
	s_nop 0
	v_fma_f32 v7, -v5, v6, 1.0
	v_fmac_f32_e32 v6, v7, v6
	v_div_scale_f32 v7, vcc, 1.0, v4, 1.0
	v_mul_f32_e32 v8, v7, v6
	v_fma_f32 v9, -v5, v8, v7
	v_fmac_f32_e32 v8, v9, v6
	v_fma_f32 v5, -v5, v8, v7
	v_div_fmas_f32 v5, v5, v6, v8
	v_div_fixup_f32 v6, v5, v4, 1.0
	v_xor_b32_e32 v8, 0x80000000, v6
	v_mul_f32_e64 v7, v1, -v6
.LBB106_17:
	s_or_b64 exec, exec, s[4:5]
	scratch_store_dwordx2 v3, v[6:7], off
	scratch_load_dwordx2 v[4:5], off, off offset:8
	v_xor_b32_e32 v9, 0x80000000, v7
	v_add_u32_e32 v1, 0x160, v2
	s_waitcnt vmcnt(0)
	ds_write2_b64 v2, v[8:9], v[4:5] offset1:44
	s_waitcnt lgkmcnt(0)
	; wave barrier
	s_and_saveexec_b64 s[4:5], s[0:1]
	s_cbranch_execz .LBB106_19
; %bb.18:
	scratch_load_dwordx2 v[4:5], v3, off
	ds_read_b64 v[6:7], v1
	v_mov_b32_e32 v8, 0
	ds_read_b64 v[8:9], v8 offset:8
	s_waitcnt vmcnt(0) lgkmcnt(1)
	v_pk_mul_f32 v[10:11], v[6:7], v[4:5] op_sel:[1,1] op_sel_hi:[0,1]
	v_pk_fma_f32 v[12:13], v[6:7], v[4:5], v[10:11] neg_lo:[0,0,1] neg_hi:[0,0,1]
	v_pk_fma_f32 v[4:5], v[6:7], v[4:5], v[10:11] op_sel_hi:[1,0,1]
	s_nop 0
	v_mov_b32_e32 v13, v5
	v_pk_add_f32 v[4:5], v[12:13], 0 op_sel_hi:[1,0]
	s_waitcnt lgkmcnt(0)
	v_pk_mul_f32 v[6:7], v[4:5], v[8:9] op_sel:[1,1] op_sel_hi:[0,1]
	v_pk_fma_f32 v[10:11], v[4:5], v[8:9], v[6:7] neg_lo:[0,0,1] neg_hi:[0,0,1]
	v_pk_fma_f32 v[4:5], v[4:5], v[8:9], v[6:7] op_sel_hi:[1,0,1]
	s_nop 0
	v_mov_b32_e32 v11, v5
	scratch_store_dwordx2 off, v[10:11], off offset:8
.LBB106_19:
	s_or_b64 exec, exec, s[4:5]
	; wave barrier
	scratch_load_dwordx2 v[4:5], off, off offset:16
	v_cmp_gt_u32_e32 vcc, 2, v0
	s_waitcnt vmcnt(0)
	ds_write_b64 v1, v[4:5]
	s_waitcnt lgkmcnt(0)
	; wave barrier
	s_and_saveexec_b64 s[4:5], vcc
	s_cbranch_execz .LBB106_23
; %bb.20:
	scratch_load_dwordx2 v[4:5], v3, off
	ds_read_b64 v[6:7], v1
	s_waitcnt vmcnt(0) lgkmcnt(0)
	v_pk_mul_f32 v[8:9], v[6:7], v[4:5] op_sel:[1,1] op_sel_hi:[0,1]
	v_pk_fma_f32 v[10:11], v[6:7], v[4:5], v[8:9] neg_lo:[0,0,1] neg_hi:[0,0,1]
	v_pk_fma_f32 v[4:5], v[6:7], v[4:5], v[8:9] op_sel_hi:[1,0,1]
	s_nop 0
	v_mov_b32_e32 v11, v5
	v_pk_add_f32 v[4:5], v[10:11], 0 op_sel_hi:[1,0]
	s_and_saveexec_b64 s[12:13], s[0:1]
	s_cbranch_execz .LBB106_22
; %bb.21:
	scratch_load_dwordx2 v[6:7], off, off offset:8
	v_mov_b32_e32 v3, 0
	ds_read_b64 v[8:9], v3 offset:360
	s_waitcnt vmcnt(0) lgkmcnt(0)
	v_pk_mul_f32 v[10:11], v[8:9], v[6:7] op_sel:[1,1] op_sel_hi:[0,1]
	v_pk_fma_f32 v[12:13], v[8:9], v[6:7], v[10:11] neg_lo:[0,0,1] neg_hi:[0,0,1]
	v_pk_fma_f32 v[6:7], v[8:9], v[6:7], v[10:11] op_sel_hi:[1,0,1]
	s_nop 0
	v_mov_b32_e32 v13, v7
	v_pk_add_f32 v[4:5], v[4:5], v[12:13]
.LBB106_22:
	s_or_b64 exec, exec, s[12:13]
	v_mov_b32_e32 v3, 0
	ds_read_b64 v[6:7], v3 offset:16
	s_waitcnt lgkmcnt(0)
	v_pk_mul_f32 v[8:9], v[4:5], v[6:7] op_sel:[1,1] op_sel_hi:[0,1]
	v_pk_fma_f32 v[10:11], v[4:5], v[6:7], v[8:9] neg_lo:[0,0,1] neg_hi:[0,0,1]
	v_pk_fma_f32 v[4:5], v[4:5], v[6:7], v[8:9] op_sel_hi:[1,0,1]
	s_nop 0
	v_mov_b32_e32 v11, v5
	scratch_store_dwordx2 off, v[10:11], off offset:16
.LBB106_23:
	s_or_b64 exec, exec, s[4:5]
	; wave barrier
	scratch_load_dwordx2 v[4:5], off, off offset:24
	v_cmp_gt_u32_e32 vcc, 3, v0
	v_add_u32_e32 v6, -1, v0
	s_waitcnt vmcnt(0)
	ds_write_b64 v1, v[4:5]
	s_waitcnt lgkmcnt(0)
	; wave barrier
	s_and_saveexec_b64 s[0:1], vcc
	s_cbranch_execz .LBB106_27
; %bb.24:
	v_mov_b32_e32 v4, 0
	v_add_u32_e32 v3, -1, v0
	v_add_u32_e32 v7, 0x160, v2
	v_mov_b32_e32 v8, v2
	s_mov_b64 s[4:5], 0
	v_mov_b32_e32 v5, v4
.LBB106_25:                             ; =>This Inner Loop Header: Depth=1
	scratch_load_dwordx2 v[10:11], v8, off
	ds_read_b64 v[12:13], v7
	v_add_u32_e32 v3, 1, v3
	v_cmp_lt_u32_e32 vcc, 1, v3
	v_add_u32_e32 v7, 8, v7
	v_add_u32_e32 v8, 8, v8
	s_or_b64 s[4:5], vcc, s[4:5]
	s_waitcnt vmcnt(0) lgkmcnt(0)
	v_pk_mul_f32 v[14:15], v[12:13], v[10:11] op_sel:[1,1] op_sel_hi:[0,1]
	v_pk_fma_f32 v[16:17], v[12:13], v[10:11], v[14:15] neg_lo:[0,0,1] neg_hi:[0,0,1]
	v_pk_fma_f32 v[10:11], v[12:13], v[10:11], v[14:15] op_sel_hi:[1,0,1]
	s_nop 0
	v_mov_b32_e32 v17, v11
	v_pk_add_f32 v[4:5], v[4:5], v[16:17]
	s_andn2_b64 exec, exec, s[4:5]
	s_cbranch_execnz .LBB106_25
; %bb.26:
	s_or_b64 exec, exec, s[4:5]
	v_mov_b32_e32 v3, 0
	ds_read_b64 v[8:9], v3 offset:24
	s_waitcnt lgkmcnt(0)
	v_pk_mul_f32 v[10:11], v[4:5], v[8:9] op_sel:[1,1] op_sel_hi:[0,1]
	v_pk_fma_f32 v[12:13], v[4:5], v[8:9], v[10:11] neg_lo:[0,0,1] neg_hi:[0,0,1]
	v_pk_fma_f32 v[4:5], v[4:5], v[8:9], v[10:11] op_sel_hi:[1,0,1]
	s_nop 0
	v_mov_b32_e32 v13, v5
	scratch_store_dwordx2 off, v[12:13], off offset:24
.LBB106_27:
	s_or_b64 exec, exec, s[0:1]
	; wave barrier
	scratch_load_dwordx2 v[4:5], off, off offset:32
	v_cmp_gt_u32_e32 vcc, 4, v0
	s_waitcnt vmcnt(0)
	ds_write_b64 v1, v[4:5]
	s_waitcnt lgkmcnt(0)
	; wave barrier
	s_and_saveexec_b64 s[0:1], vcc
	s_cbranch_execz .LBB106_31
; %bb.28:
	v_mov_b32_e32 v4, 0
	v_add_u32_e32 v3, -1, v0
	v_add_u32_e32 v7, 0x160, v2
	v_mov_b32_e32 v8, v2
	s_mov_b64 s[4:5], 0
	v_mov_b32_e32 v5, v4
.LBB106_29:                             ; =>This Inner Loop Header: Depth=1
	scratch_load_dwordx2 v[10:11], v8, off
	ds_read_b64 v[12:13], v7
	v_add_u32_e32 v3, 1, v3
	v_cmp_lt_u32_e32 vcc, 2, v3
	v_add_u32_e32 v7, 8, v7
	v_add_u32_e32 v8, 8, v8
	s_or_b64 s[4:5], vcc, s[4:5]
	s_waitcnt vmcnt(0) lgkmcnt(0)
	v_pk_mul_f32 v[14:15], v[12:13], v[10:11] op_sel:[1,1] op_sel_hi:[0,1]
	v_pk_fma_f32 v[16:17], v[12:13], v[10:11], v[14:15] neg_lo:[0,0,1] neg_hi:[0,0,1]
	v_pk_fma_f32 v[10:11], v[12:13], v[10:11], v[14:15] op_sel_hi:[1,0,1]
	s_nop 0
	v_mov_b32_e32 v17, v11
	v_pk_add_f32 v[4:5], v[4:5], v[16:17]
	s_andn2_b64 exec, exec, s[4:5]
	s_cbranch_execnz .LBB106_29
; %bb.30:
	s_or_b64 exec, exec, s[4:5]
	v_mov_b32_e32 v3, 0
	ds_read_b64 v[8:9], v3 offset:32
	s_waitcnt lgkmcnt(0)
	v_pk_mul_f32 v[10:11], v[4:5], v[8:9] op_sel:[1,1] op_sel_hi:[0,1]
	v_pk_fma_f32 v[12:13], v[4:5], v[8:9], v[10:11] neg_lo:[0,0,1] neg_hi:[0,0,1]
	v_pk_fma_f32 v[4:5], v[4:5], v[8:9], v[10:11] op_sel_hi:[1,0,1]
	s_nop 0
	v_mov_b32_e32 v13, v5
	scratch_store_dwordx2 off, v[12:13], off offset:32
.LBB106_31:
	s_or_b64 exec, exec, s[0:1]
	; wave barrier
	scratch_load_dwordx2 v[4:5], off, off offset:40
	v_cmp_gt_u32_e32 vcc, 5, v0
	;; [unrolled: 46-line block ×19, first 2 shown]
	s_waitcnt vmcnt(0)
	ds_write_b64 v1, v[4:5]
	s_waitcnt lgkmcnt(0)
	; wave barrier
	s_and_saveexec_b64 s[0:1], vcc
	s_cbranch_execz .LBB106_103
; %bb.100:
	v_mov_b32_e32 v4, 0
	v_add_u32_e32 v3, -1, v0
	v_add_u32_e32 v7, 0x160, v2
	v_mov_b32_e32 v8, v2
	s_mov_b64 s[4:5], 0
	v_mov_b32_e32 v5, v4
.LBB106_101:                            ; =>This Inner Loop Header: Depth=1
	scratch_load_dwordx2 v[10:11], v8, off
	ds_read_b64 v[12:13], v7
	v_add_u32_e32 v3, 1, v3
	v_cmp_lt_u32_e32 vcc, 20, v3
	v_add_u32_e32 v7, 8, v7
	v_add_u32_e32 v8, 8, v8
	s_or_b64 s[4:5], vcc, s[4:5]
	s_waitcnt vmcnt(0) lgkmcnt(0)
	v_pk_mul_f32 v[14:15], v[12:13], v[10:11] op_sel:[1,1] op_sel_hi:[0,1]
	v_pk_fma_f32 v[16:17], v[12:13], v[10:11], v[14:15] neg_lo:[0,0,1] neg_hi:[0,0,1]
	v_pk_fma_f32 v[10:11], v[12:13], v[10:11], v[14:15] op_sel_hi:[1,0,1]
	s_nop 0
	v_mov_b32_e32 v17, v11
	v_pk_add_f32 v[4:5], v[4:5], v[16:17]
	s_andn2_b64 exec, exec, s[4:5]
	s_cbranch_execnz .LBB106_101
; %bb.102:
	s_or_b64 exec, exec, s[4:5]
	v_mov_b32_e32 v3, 0
	ds_read_b64 v[8:9], v3 offset:176
	s_waitcnt lgkmcnt(0)
	v_pk_mul_f32 v[10:11], v[4:5], v[8:9] op_sel:[1,1] op_sel_hi:[0,1]
	v_pk_fma_f32 v[12:13], v[4:5], v[8:9], v[10:11] neg_lo:[0,0,1] neg_hi:[0,0,1]
	v_pk_fma_f32 v[4:5], v[4:5], v[8:9], v[10:11] op_sel_hi:[1,0,1]
	s_nop 0
	v_mov_b32_e32 v13, v5
	scratch_store_dwordx2 off, v[12:13], off offset:176
.LBB106_103:
	s_or_b64 exec, exec, s[0:1]
	; wave barrier
	scratch_load_dwordx2 v[4:5], off, off offset:184
	v_cmp_gt_u32_e32 vcc, 23, v0
	s_waitcnt vmcnt(0)
	ds_write_b64 v1, v[4:5]
	s_waitcnt lgkmcnt(0)
	; wave barrier
	s_and_saveexec_b64 s[0:1], vcc
	s_cbranch_execz .LBB106_107
; %bb.104:
	v_mov_b32_e32 v4, 0
	v_add_u32_e32 v3, -1, v0
	v_add_u32_e32 v7, 0x160, v2
	v_mov_b32_e32 v8, v2
	s_mov_b64 s[4:5], 0
	v_mov_b32_e32 v5, v4
.LBB106_105:                            ; =>This Inner Loop Header: Depth=1
	scratch_load_dwordx2 v[10:11], v8, off
	ds_read_b64 v[12:13], v7
	v_add_u32_e32 v3, 1, v3
	v_cmp_lt_u32_e32 vcc, 21, v3
	v_add_u32_e32 v7, 8, v7
	v_add_u32_e32 v8, 8, v8
	s_or_b64 s[4:5], vcc, s[4:5]
	s_waitcnt vmcnt(0) lgkmcnt(0)
	v_pk_mul_f32 v[14:15], v[12:13], v[10:11] op_sel:[1,1] op_sel_hi:[0,1]
	v_pk_fma_f32 v[16:17], v[12:13], v[10:11], v[14:15] neg_lo:[0,0,1] neg_hi:[0,0,1]
	v_pk_fma_f32 v[10:11], v[12:13], v[10:11], v[14:15] op_sel_hi:[1,0,1]
	s_nop 0
	v_mov_b32_e32 v17, v11
	v_pk_add_f32 v[4:5], v[4:5], v[16:17]
	s_andn2_b64 exec, exec, s[4:5]
	s_cbranch_execnz .LBB106_105
; %bb.106:
	s_or_b64 exec, exec, s[4:5]
	v_mov_b32_e32 v3, 0
	ds_read_b64 v[8:9], v3 offset:184
	s_waitcnt lgkmcnt(0)
	v_pk_mul_f32 v[10:11], v[4:5], v[8:9] op_sel:[1,1] op_sel_hi:[0,1]
	v_pk_fma_f32 v[12:13], v[4:5], v[8:9], v[10:11] neg_lo:[0,0,1] neg_hi:[0,0,1]
	v_pk_fma_f32 v[4:5], v[4:5], v[8:9], v[10:11] op_sel_hi:[1,0,1]
	s_nop 0
	v_mov_b32_e32 v13, v5
	scratch_store_dwordx2 off, v[12:13], off offset:184
.LBB106_107:
	s_or_b64 exec, exec, s[0:1]
	; wave barrier
	scratch_load_dwordx2 v[4:5], off, off offset:192
	v_cmp_gt_u32_e32 vcc, 24, v0
	;; [unrolled: 46-line block ×19, first 2 shown]
	s_waitcnt vmcnt(0)
	ds_write_b64 v1, v[4:5]
	s_waitcnt lgkmcnt(0)
	; wave barrier
	s_and_saveexec_b64 s[0:1], vcc
	s_cbranch_execz .LBB106_179
; %bb.176:
	v_mov_b32_e32 v4, 0
	v_add_u32_e32 v3, -1, v0
	v_add_u32_e32 v7, 0x160, v2
	v_mov_b32_e32 v8, v2
	s_mov_b64 s[4:5], 0
	v_mov_b32_e32 v5, v4
.LBB106_177:                            ; =>This Inner Loop Header: Depth=1
	scratch_load_dwordx2 v[10:11], v8, off
	ds_read_b64 v[12:13], v7
	v_add_u32_e32 v3, 1, v3
	v_cmp_lt_u32_e32 vcc, 39, v3
	v_add_u32_e32 v7, 8, v7
	v_add_u32_e32 v8, 8, v8
	s_or_b64 s[4:5], vcc, s[4:5]
	s_waitcnt vmcnt(0) lgkmcnt(0)
	v_pk_mul_f32 v[14:15], v[12:13], v[10:11] op_sel:[1,1] op_sel_hi:[0,1]
	v_pk_fma_f32 v[16:17], v[12:13], v[10:11], v[14:15] neg_lo:[0,0,1] neg_hi:[0,0,1]
	v_pk_fma_f32 v[10:11], v[12:13], v[10:11], v[14:15] op_sel_hi:[1,0,1]
	s_nop 0
	v_mov_b32_e32 v17, v11
	v_pk_add_f32 v[4:5], v[4:5], v[16:17]
	s_andn2_b64 exec, exec, s[4:5]
	s_cbranch_execnz .LBB106_177
; %bb.178:
	s_or_b64 exec, exec, s[4:5]
	v_mov_b32_e32 v3, 0
	ds_read_b64 v[8:9], v3 offset:328
	s_waitcnt lgkmcnt(0)
	v_pk_mul_f32 v[10:11], v[4:5], v[8:9] op_sel:[1,1] op_sel_hi:[0,1]
	v_pk_fma_f32 v[12:13], v[4:5], v[8:9], v[10:11] neg_lo:[0,0,1] neg_hi:[0,0,1]
	v_pk_fma_f32 v[4:5], v[4:5], v[8:9], v[10:11] op_sel_hi:[1,0,1]
	s_nop 0
	v_mov_b32_e32 v13, v5
	scratch_store_dwordx2 off, v[12:13], off offset:328
.LBB106_179:
	s_or_b64 exec, exec, s[0:1]
	; wave barrier
	scratch_load_dwordx2 v[4:5], off, off offset:336
	v_cmp_ne_u32_e32 vcc, 42, v0
	s_waitcnt vmcnt(0)
	ds_write_b64 v1, v[4:5]
	s_waitcnt lgkmcnt(0)
	; wave barrier
	s_and_saveexec_b64 s[0:1], vcc
	s_cbranch_execz .LBB106_183
; %bb.180:
	v_add_u32_e32 v1, 0x160, v2
	v_mov_b32_e32 v4, v2
	v_mov_b32_e32 v2, 0
	s_mov_b64 s[4:5], 0
	v_mov_b32_e32 v3, v2
.LBB106_181:                            ; =>This Inner Loop Header: Depth=1
	scratch_load_dwordx2 v[8:9], v4, off
	ds_read_b64 v[10:11], v1
	v_add_u32_e32 v6, 1, v6
	v_cmp_lt_u32_e32 vcc, 40, v6
	v_add_u32_e32 v1, 8, v1
	v_add_u32_e32 v4, 8, v4
	s_or_b64 s[4:5], vcc, s[4:5]
	s_waitcnt vmcnt(0) lgkmcnt(0)
	v_pk_mul_f32 v[12:13], v[10:11], v[8:9] op_sel:[1,1] op_sel_hi:[0,1]
	v_pk_fma_f32 v[14:15], v[10:11], v[8:9], v[12:13] neg_lo:[0,0,1] neg_hi:[0,0,1]
	v_pk_fma_f32 v[8:9], v[10:11], v[8:9], v[12:13] op_sel_hi:[1,0,1]
	s_nop 0
	v_mov_b32_e32 v15, v9
	v_pk_add_f32 v[2:3], v[2:3], v[14:15]
	s_andn2_b64 exec, exec, s[4:5]
	s_cbranch_execnz .LBB106_181
; %bb.182:
	s_or_b64 exec, exec, s[4:5]
	v_mov_b32_e32 v1, 0
	ds_read_b64 v[4:5], v1 offset:336
	s_waitcnt lgkmcnt(0)
	v_pk_mul_f32 v[6:7], v[2:3], v[4:5] op_sel:[1,1] op_sel_hi:[0,1]
	v_pk_fma_f32 v[8:9], v[2:3], v[4:5], v[6:7] neg_lo:[0,0,1] neg_hi:[0,0,1]
	v_pk_fma_f32 v[2:3], v[2:3], v[4:5], v[6:7] op_sel_hi:[1,0,1]
	s_nop 0
	v_mov_b32_e32 v9, v3
	scratch_store_dwordx2 off, v[8:9], off offset:336
.LBB106_183:
	s_or_b64 exec, exec, s[0:1]
	s_mov_b64 s[4:5], -1
	; wave barrier
.LBB106_184:
	s_and_b64 vcc, exec, s[4:5]
	s_cbranch_vccz .LBB106_186
; %bb.185:
	s_lshl_b64 s[0:1], s[2:3], 2
	s_add_u32 s0, s6, s0
	s_addc_u32 s1, s7, s1
	v_mov_b32_e32 v1, 0
	global_load_dword v1, v1, s[0:1]
	s_waitcnt vmcnt(0)
	v_cmp_ne_u32_e32 vcc, 0, v1
	s_cbranch_vccz .LBB106_187
.LBB106_186:
	s_endpgm
.LBB106_187:
	v_mov_b32_e32 v1, 0x160
	v_lshl_add_u32 v1, v0, 3, v1
	v_cmp_eq_u32_e32 vcc, 42, v0
	s_and_saveexec_b64 s[0:1], vcc
	s_cbranch_execz .LBB106_189
; %bb.188:
	scratch_load_dwordx2 v[2:3], off, off offset:328
	v_mov_b32_e32 v4, 0
	v_mov_b32_e32 v5, v4
	scratch_store_dwordx2 off, v[4:5], off offset:328
	s_waitcnt vmcnt(1)
	ds_write_b64 v1, v[2:3]
.LBB106_189:
	s_or_b64 exec, exec, s[0:1]
	s_waitcnt lgkmcnt(0)
	; wave barrier
	scratch_load_dwordx2 v[4:5], off, off offset:336
	scratch_load_dwordx2 v[6:7], off, off offset:328
	v_mov_b32_e32 v2, 0
	ds_read_b64 v[8:9], v2 offset:688
	v_cmp_lt_u32_e32 vcc, 40, v0
	s_waitcnt vmcnt(1) lgkmcnt(0)
	v_pk_mul_f32 v[10:11], v[8:9], v[4:5] op_sel:[1,1] op_sel_hi:[0,1]
	v_pk_fma_f32 v[12:13], v[8:9], v[4:5], v[10:11] neg_lo:[0,0,1] neg_hi:[0,0,1]
	v_pk_fma_f32 v[4:5], v[8:9], v[4:5], v[10:11] op_sel_hi:[1,0,1]
	s_nop 0
	v_mov_b32_e32 v13, v5
	v_pk_add_f32 v[4:5], v[12:13], 0 op_sel_hi:[1,0]
	s_waitcnt vmcnt(0)
	v_pk_add_f32 v[4:5], v[6:7], v[4:5] neg_lo:[0,1] neg_hi:[0,1]
	scratch_store_dwordx2 off, v[4:5], off offset:328
	s_and_saveexec_b64 s[0:1], vcc
	s_cbranch_execz .LBB106_191
; %bb.190:
	scratch_load_dwordx2 v[4:5], off, off offset:320
	v_mov_b32_e32 v3, v2
	scratch_store_dwordx2 off, v[2:3], off offset:320
	s_waitcnt vmcnt(1)
	ds_write_b64 v1, v[4:5]
.LBB106_191:
	s_or_b64 exec, exec, s[0:1]
	s_waitcnt lgkmcnt(0)
	; wave barrier
	scratch_load_dwordx4 v[4:7], off, off offset:328
	scratch_load_dwordx2 v[12:13], off, off offset:320
	ds_read2_b64 v[8:11], v2 offset0:85 offset1:86
	v_cmp_lt_u32_e32 vcc, 39, v0
	s_waitcnt vmcnt(1) lgkmcnt(0)
	v_pk_mul_f32 v[2:3], v[8:9], v[4:5] op_sel:[1,1] op_sel_hi:[0,1]
	v_mov_b32_e32 v14, v7
	v_pk_fma_f32 v[16:17], v[8:9], v[4:5], v[2:3] neg_lo:[0,0,1] neg_hi:[0,0,1]
	v_pk_fma_f32 v[2:3], v[8:9], v[4:5], v[2:3] op_sel_hi:[1,0,1]
	v_pk_mul_f32 v[4:5], v[10:11], v[14:15] op_sel:[1,0] op_sel_hi:[0,0]
	v_mov_b32_e32 v17, v3
	v_pk_fma_f32 v[2:3], v[10:11], v[6:7], v[4:5] neg_lo:[0,0,1] neg_hi:[0,0,1]
	v_pk_fma_f32 v[4:5], v[10:11], v[6:7], v[4:5] op_sel_hi:[1,0,1]
	v_pk_add_f32 v[6:7], v[16:17], 0 op_sel_hi:[1,0]
	v_mov_b32_e32 v3, v5
	v_pk_add_f32 v[2:3], v[6:7], v[2:3]
	s_waitcnt vmcnt(0)
	v_pk_add_f32 v[2:3], v[12:13], v[2:3] neg_lo:[0,1] neg_hi:[0,1]
	scratch_store_dwordx2 off, v[2:3], off offset:320
	s_and_saveexec_b64 s[0:1], vcc
	s_cbranch_execz .LBB106_193
; %bb.192:
	scratch_load_dwordx2 v[2:3], off, off offset:312
	v_mov_b32_e32 v4, 0
	v_mov_b32_e32 v5, v4
	scratch_store_dwordx2 off, v[4:5], off offset:312
	s_waitcnt vmcnt(1)
	ds_write_b64 v1, v[2:3]
.LBB106_193:
	s_or_b64 exec, exec, s[0:1]
	s_waitcnt lgkmcnt(0)
	; wave barrier
	scratch_load_dwordx4 v[4:7], off, off offset:320
	scratch_load_dwordx2 v[12:13], off, off offset:336
	scratch_load_dwordx2 v[14:15], off, off offset:312
	v_mov_b32_e32 v2, 0
	ds_read_b128 v[8:11], v2 offset:672
	ds_read_b64 v[16:17], v2 offset:688
	v_cmp_lt_u32_e32 vcc, 38, v0
	s_waitcnt vmcnt(2) lgkmcnt(1)
	v_pk_mul_f32 v[18:19], v[8:9], v[4:5] op_sel:[1,1] op_sel_hi:[0,1]
	v_mov_b32_e32 v20, v7
	v_pk_fma_f32 v[24:25], v[8:9], v[4:5], v[18:19] neg_lo:[0,0,1] neg_hi:[0,0,1]
	v_pk_fma_f32 v[4:5], v[8:9], v[4:5], v[18:19] op_sel_hi:[1,0,1]
	v_pk_mul_f32 v[8:9], v[10:11], v[20:21] op_sel:[1,0] op_sel_hi:[0,0]
	s_waitcnt vmcnt(1) lgkmcnt(0)
	v_pk_mul_f32 v[22:23], v[16:17], v[12:13] op_sel:[1,1] op_sel_hi:[0,1]
	v_mov_b32_e32 v25, v5
	v_pk_fma_f32 v[4:5], v[10:11], v[6:7], v[8:9] neg_lo:[0,0,1] neg_hi:[0,0,1]
	v_pk_fma_f32 v[6:7], v[10:11], v[6:7], v[8:9] op_sel_hi:[1,0,1]
	v_pk_fma_f32 v[18:19], v[16:17], v[12:13], v[22:23] neg_lo:[0,0,1] neg_hi:[0,0,1]
	v_pk_fma_f32 v[12:13], v[16:17], v[12:13], v[22:23] op_sel_hi:[1,0,1]
	v_pk_add_f32 v[8:9], v[24:25], 0 op_sel_hi:[1,0]
	v_mov_b32_e32 v5, v7
	v_mov_b32_e32 v19, v13
	v_pk_add_f32 v[4:5], v[8:9], v[4:5]
	s_nop 0
	v_pk_add_f32 v[4:5], v[4:5], v[18:19]
	s_waitcnt vmcnt(0)
	v_pk_add_f32 v[4:5], v[14:15], v[4:5] neg_lo:[0,1] neg_hi:[0,1]
	scratch_store_dwordx2 off, v[4:5], off offset:312
	s_and_saveexec_b64 s[0:1], vcc
	s_cbranch_execz .LBB106_195
; %bb.194:
	scratch_load_dwordx2 v[4:5], off, off offset:304
	v_mov_b32_e32 v3, v2
	scratch_store_dwordx2 off, v[2:3], off offset:304
	s_waitcnt vmcnt(1)
	ds_write_b64 v1, v[4:5]
.LBB106_195:
	s_or_b64 exec, exec, s[0:1]
	s_waitcnt lgkmcnt(0)
	; wave barrier
	scratch_load_dwordx4 v[4:7], off, off offset:312
	scratch_load_dwordx4 v[8:11], off, off offset:328
	scratch_load_dwordx2 v[20:21], off, off offset:304
	ds_read2_b64 v[12:15], v2 offset0:83 offset1:84
	ds_read2_b64 v[16:19], v2 offset0:85 offset1:86
	v_cmp_lt_u32_e32 vcc, 37, v0
	s_waitcnt vmcnt(2) lgkmcnt(1)
	v_pk_mul_f32 v[2:3], v[12:13], v[4:5] op_sel:[1,1] op_sel_hi:[0,1]
	v_mov_b32_e32 v22, v7
	s_waitcnt vmcnt(1) lgkmcnt(0)
	v_pk_mul_f32 v[24:25], v[16:17], v[8:9] op_sel:[1,1] op_sel_hi:[0,1]
	v_mov_b32_e32 v26, v11
	v_pk_fma_f32 v[28:29], v[12:13], v[4:5], v[2:3] neg_lo:[0,0,1] neg_hi:[0,0,1]
	v_pk_fma_f32 v[2:3], v[12:13], v[4:5], v[2:3] op_sel_hi:[1,0,1]
	v_pk_mul_f32 v[4:5], v[14:15], v[22:23] op_sel:[1,0] op_sel_hi:[0,0]
	v_pk_fma_f32 v[12:13], v[16:17], v[8:9], v[24:25] neg_lo:[0,0,1] neg_hi:[0,0,1]
	v_pk_fma_f32 v[8:9], v[16:17], v[8:9], v[24:25] op_sel_hi:[1,0,1]
	v_pk_mul_f32 v[16:17], v[18:19], v[26:27] op_sel:[1,0] op_sel_hi:[0,0]
	v_mov_b32_e32 v29, v3
	v_pk_fma_f32 v[2:3], v[14:15], v[6:7], v[4:5] neg_lo:[0,0,1] neg_hi:[0,0,1]
	v_pk_fma_f32 v[4:5], v[14:15], v[6:7], v[4:5] op_sel_hi:[1,0,1]
	v_mov_b32_e32 v13, v9
	v_pk_fma_f32 v[6:7], v[18:19], v[10:11], v[16:17] neg_lo:[0,0,1] neg_hi:[0,0,1]
	v_pk_fma_f32 v[8:9], v[18:19], v[10:11], v[16:17] op_sel_hi:[1,0,1]
	v_pk_add_f32 v[10:11], v[28:29], 0 op_sel_hi:[1,0]
	v_mov_b32_e32 v3, v5
	v_pk_add_f32 v[2:3], v[10:11], v[2:3]
	v_mov_b32_e32 v7, v9
	v_pk_add_f32 v[2:3], v[2:3], v[12:13]
	s_nop 0
	v_pk_add_f32 v[2:3], v[2:3], v[6:7]
	s_waitcnt vmcnt(0)
	v_pk_add_f32 v[2:3], v[20:21], v[2:3] neg_lo:[0,1] neg_hi:[0,1]
	scratch_store_dwordx2 off, v[2:3], off offset:304
	s_and_saveexec_b64 s[0:1], vcc
	s_cbranch_execz .LBB106_197
; %bb.196:
	scratch_load_dwordx2 v[2:3], off, off offset:296
	v_mov_b32_e32 v4, 0
	v_mov_b32_e32 v5, v4
	scratch_store_dwordx2 off, v[4:5], off offset:296
	s_waitcnt vmcnt(1)
	ds_write_b64 v1, v[2:3]
.LBB106_197:
	s_or_b64 exec, exec, s[0:1]
	s_waitcnt lgkmcnt(0)
	; wave barrier
	scratch_load_dwordx4 v[4:7], off, off offset:304
	scratch_load_dwordx4 v[8:11], off, off offset:320
	scratch_load_dwordx2 v[20:21], off, off offset:336
	scratch_load_dwordx2 v[22:23], off, off offset:296
	v_mov_b32_e32 v2, 0
	ds_read_b128 v[12:15], v2 offset:656
	ds_read_b128 v[16:19], v2 offset:672
	ds_read_b64 v[24:25], v2 offset:688
	v_cmp_lt_u32_e32 vcc, 36, v0
	s_waitcnt vmcnt(3) lgkmcnt(2)
	v_pk_mul_f32 v[26:27], v[12:13], v[4:5] op_sel:[1,1] op_sel_hi:[0,1]
	v_mov_b32_e32 v28, v7
	v_pk_fma_f32 v[36:37], v[12:13], v[4:5], v[26:27] neg_lo:[0,0,1] neg_hi:[0,0,1]
	v_pk_fma_f32 v[4:5], v[12:13], v[4:5], v[26:27] op_sel_hi:[1,0,1]
	v_pk_mul_f32 v[12:13], v[14:15], v[28:29] op_sel:[1,0] op_sel_hi:[0,0]
	s_waitcnt vmcnt(2) lgkmcnt(1)
	v_pk_mul_f32 v[30:31], v[16:17], v[8:9] op_sel:[1,1] op_sel_hi:[0,1]
	v_mov_b32_e32 v32, v11
	v_mov_b32_e32 v37, v5
	v_pk_fma_f32 v[4:5], v[14:15], v[6:7], v[12:13] neg_lo:[0,0,1] neg_hi:[0,0,1]
	v_pk_fma_f32 v[6:7], v[14:15], v[6:7], v[12:13] op_sel_hi:[1,0,1]
	v_pk_fma_f32 v[26:27], v[16:17], v[8:9], v[30:31] neg_lo:[0,0,1] neg_hi:[0,0,1]
	v_pk_fma_f32 v[8:9], v[16:17], v[8:9], v[30:31] op_sel_hi:[1,0,1]
	v_pk_mul_f32 v[16:17], v[18:19], v[32:33] op_sel:[1,0] op_sel_hi:[0,0]
	v_pk_add_f32 v[12:13], v[36:37], 0 op_sel_hi:[1,0]
	v_mov_b32_e32 v5, v7
	s_waitcnt vmcnt(1) lgkmcnt(0)
	v_pk_mul_f32 v[34:35], v[24:25], v[20:21] op_sel:[1,1] op_sel_hi:[0,1]
	v_mov_b32_e32 v27, v9
	v_pk_fma_f32 v[8:9], v[18:19], v[10:11], v[16:17] neg_lo:[0,0,1] neg_hi:[0,0,1]
	v_pk_fma_f32 v[10:11], v[18:19], v[10:11], v[16:17] op_sel_hi:[1,0,1]
	v_pk_add_f32 v[4:5], v[12:13], v[4:5]
	v_pk_fma_f32 v[28:29], v[24:25], v[20:21], v[34:35] neg_lo:[0,0,1] neg_hi:[0,0,1]
	v_pk_fma_f32 v[20:21], v[24:25], v[20:21], v[34:35] op_sel_hi:[1,0,1]
	v_mov_b32_e32 v9, v11
	v_pk_add_f32 v[4:5], v[4:5], v[26:27]
	v_mov_b32_e32 v29, v21
	v_pk_add_f32 v[4:5], v[4:5], v[8:9]
	s_nop 0
	v_pk_add_f32 v[4:5], v[4:5], v[28:29]
	s_waitcnt vmcnt(0)
	v_pk_add_f32 v[4:5], v[22:23], v[4:5] neg_lo:[0,1] neg_hi:[0,1]
	scratch_store_dwordx2 off, v[4:5], off offset:296
	s_and_saveexec_b64 s[0:1], vcc
	s_cbranch_execz .LBB106_199
; %bb.198:
	scratch_load_dwordx2 v[4:5], off, off offset:288
	v_mov_b32_e32 v3, v2
	scratch_store_dwordx2 off, v[2:3], off offset:288
	s_waitcnt vmcnt(1)
	ds_write_b64 v1, v[4:5]
.LBB106_199:
	s_or_b64 exec, exec, s[0:1]
	s_waitcnt lgkmcnt(0)
	; wave barrier
	scratch_load_dwordx4 v[4:7], off, off offset:296
	scratch_load_dwordx4 v[8:11], off, off offset:312
	;; [unrolled: 1-line block ×3, first 2 shown]
	scratch_load_dwordx2 v[28:29], off, off offset:288
	ds_read2_b64 v[16:19], v2 offset0:81 offset1:82
	ds_read2_b64 v[20:23], v2 offset0:83 offset1:84
	;; [unrolled: 1-line block ×3, first 2 shown]
	v_cmp_lt_u32_e32 vcc, 35, v0
	s_waitcnt vmcnt(3) lgkmcnt(2)
	v_pk_mul_f32 v[2:3], v[16:17], v[4:5] op_sel:[1,1] op_sel_hi:[0,1]
	v_mov_b32_e32 v30, v7
	s_waitcnt vmcnt(2) lgkmcnt(1)
	v_pk_mul_f32 v[32:33], v[20:21], v[8:9] op_sel:[1,1] op_sel_hi:[0,1]
	v_mov_b32_e32 v34, v11
	;; [unrolled: 3-line block ×3, first 2 shown]
	v_pk_fma_f32 v[40:41], v[16:17], v[4:5], v[2:3] neg_lo:[0,0,1] neg_hi:[0,0,1]
	v_pk_fma_f32 v[2:3], v[16:17], v[4:5], v[2:3] op_sel_hi:[1,0,1]
	v_pk_mul_f32 v[4:5], v[18:19], v[30:31] op_sel:[1,0] op_sel_hi:[0,0]
	v_pk_fma_f32 v[16:17], v[20:21], v[8:9], v[32:33] neg_lo:[0,0,1] neg_hi:[0,0,1]
	v_pk_fma_f32 v[8:9], v[20:21], v[8:9], v[32:33] op_sel_hi:[1,0,1]
	v_pk_mul_f32 v[20:21], v[22:23], v[34:35] op_sel:[1,0] op_sel_hi:[0,0]
	;; [unrolled: 3-line block ×3, first 2 shown]
	v_mov_b32_e32 v41, v3
	v_pk_fma_f32 v[2:3], v[18:19], v[6:7], v[4:5] neg_lo:[0,0,1] neg_hi:[0,0,1]
	v_pk_fma_f32 v[4:5], v[18:19], v[6:7], v[4:5] op_sel_hi:[1,0,1]
	v_mov_b32_e32 v17, v9
	v_pk_fma_f32 v[6:7], v[22:23], v[10:11], v[20:21] neg_lo:[0,0,1] neg_hi:[0,0,1]
	v_pk_fma_f32 v[8:9], v[22:23], v[10:11], v[20:21] op_sel_hi:[1,0,1]
	;; [unrolled: 3-line block ×3, first 2 shown]
	v_pk_add_f32 v[14:15], v[40:41], 0 op_sel_hi:[1,0]
	v_mov_b32_e32 v3, v5
	v_pk_add_f32 v[2:3], v[14:15], v[2:3]
	v_mov_b32_e32 v7, v9
	v_pk_add_f32 v[2:3], v[2:3], v[16:17]
	;; [unrolled: 2-line block ×3, first 2 shown]
	s_nop 0
	v_pk_add_f32 v[2:3], v[2:3], v[30:31]
	s_nop 0
	v_pk_add_f32 v[2:3], v[2:3], v[10:11]
	s_waitcnt vmcnt(0)
	v_pk_add_f32 v[2:3], v[28:29], v[2:3] neg_lo:[0,1] neg_hi:[0,1]
	scratch_store_dwordx2 off, v[2:3], off offset:288
	s_and_saveexec_b64 s[0:1], vcc
	s_cbranch_execz .LBB106_201
; %bb.200:
	scratch_load_dwordx2 v[2:3], off, off offset:280
	v_mov_b32_e32 v4, 0
	v_mov_b32_e32 v5, v4
	scratch_store_dwordx2 off, v[4:5], off offset:280
	s_waitcnt vmcnt(1)
	ds_write_b64 v1, v[2:3]
.LBB106_201:
	s_or_b64 exec, exec, s[0:1]
	s_waitcnt lgkmcnt(0)
	; wave barrier
	scratch_load_dwordx4 v[4:7], off, off offset:288
	scratch_load_dwordx4 v[8:11], off, off offset:304
	;; [unrolled: 1-line block ×3, first 2 shown]
	scratch_load_dwordx2 v[28:29], off, off offset:336
	v_mov_b32_e32 v2, 0
	ds_read_b128 v[16:19], v2 offset:640
	ds_read_b128 v[20:23], v2 offset:656
	ds_read_b128 v[24:27], v2 offset:672
	ds_read_b64 v[30:31], v2 offset:688
	v_cmp_lt_u32_e32 vcc, 34, v0
	s_waitcnt vmcnt(3) lgkmcnt(3)
	v_pk_mul_f32 v[32:33], v[16:17], v[4:5] op_sel:[1,1] op_sel_hi:[0,1]
	v_pk_fma_f32 v[34:35], v[16:17], v[4:5], v[32:33] neg_lo:[0,0,1] neg_hi:[0,0,1]
	v_pk_fma_f32 v[4:5], v[16:17], v[4:5], v[32:33] op_sel_hi:[1,0,1]
	v_mov_b32_e32 v16, v7
	v_pk_mul_f32 v[16:17], v[18:19], v[16:17] op_sel:[1,0] op_sel_hi:[0,0]
	v_pk_fma_f32 v[32:33], v[18:19], v[6:7], v[16:17] neg_lo:[0,0,1] neg_hi:[0,0,1]
	v_pk_fma_f32 v[6:7], v[18:19], v[6:7], v[16:17] op_sel_hi:[1,0,1]
	v_mov_b32_e32 v35, v5
	v_mov_b32_e32 v33, v7
	s_waitcnt vmcnt(2) lgkmcnt(2)
	v_pk_mul_f32 v[6:7], v[20:21], v[8:9] op_sel:[1,1] op_sel_hi:[0,1]
	v_pk_fma_f32 v[16:17], v[20:21], v[8:9], v[6:7] neg_lo:[0,0,1] neg_hi:[0,0,1]
	v_pk_fma_f32 v[6:7], v[20:21], v[8:9], v[6:7] op_sel_hi:[1,0,1]
	v_pk_add_f32 v[4:5], v[34:35], 0 op_sel_hi:[1,0]
	v_mov_b32_e32 v6, v11
	v_mov_b32_e32 v17, v7
	v_pk_mul_f32 v[6:7], v[22:23], v[6:7] op_sel:[1,0] op_sel_hi:[0,0]
	v_pk_add_f32 v[4:5], v[4:5], v[32:33]
	v_pk_fma_f32 v[8:9], v[22:23], v[10:11], v[6:7] neg_lo:[0,0,1] neg_hi:[0,0,1]
	v_pk_fma_f32 v[6:7], v[22:23], v[10:11], v[6:7] op_sel_hi:[1,0,1]
	v_pk_add_f32 v[4:5], v[4:5], v[16:17]
	v_mov_b32_e32 v9, v7
	s_waitcnt vmcnt(1) lgkmcnt(1)
	v_pk_mul_f32 v[6:7], v[24:25], v[12:13] op_sel:[1,1] op_sel_hi:[0,1]
	v_pk_add_f32 v[4:5], v[4:5], v[8:9]
	v_pk_fma_f32 v[8:9], v[24:25], v[12:13], v[6:7] neg_lo:[0,0,1] neg_hi:[0,0,1]
	v_pk_fma_f32 v[6:7], v[24:25], v[12:13], v[6:7] op_sel_hi:[1,0,1]
	s_nop 0
	v_mov_b32_e32 v6, v15
	v_mov_b32_e32 v9, v7
	v_pk_mul_f32 v[6:7], v[26:27], v[6:7] op_sel:[1,0] op_sel_hi:[0,0]
	v_pk_add_f32 v[4:5], v[4:5], v[8:9]
	v_pk_fma_f32 v[8:9], v[26:27], v[14:15], v[6:7] neg_lo:[0,0,1] neg_hi:[0,0,1]
	v_pk_fma_f32 v[6:7], v[26:27], v[14:15], v[6:7] op_sel_hi:[1,0,1]
	s_nop 0
	v_mov_b32_e32 v9, v7
	s_waitcnt vmcnt(0) lgkmcnt(0)
	v_pk_mul_f32 v[6:7], v[30:31], v[28:29] op_sel:[1,1] op_sel_hi:[0,1]
	v_pk_add_f32 v[4:5], v[4:5], v[8:9]
	v_pk_fma_f32 v[8:9], v[30:31], v[28:29], v[6:7] neg_lo:[0,0,1] neg_hi:[0,0,1]
	v_pk_fma_f32 v[6:7], v[30:31], v[28:29], v[6:7] op_sel_hi:[1,0,1]
	s_nop 0
	v_mov_b32_e32 v9, v7
	scratch_load_dwordx2 v[6:7], off, off offset:280
	v_pk_add_f32 v[4:5], v[4:5], v[8:9]
	s_waitcnt vmcnt(0)
	v_pk_add_f32 v[4:5], v[6:7], v[4:5] neg_lo:[0,1] neg_hi:[0,1]
	scratch_store_dwordx2 off, v[4:5], off offset:280
	s_and_saveexec_b64 s[0:1], vcc
	s_cbranch_execz .LBB106_203
; %bb.202:
	scratch_load_dwordx2 v[4:5], off, off offset:272
	v_mov_b32_e32 v3, v2
	scratch_store_dwordx2 off, v[2:3], off offset:272
	s_waitcnt vmcnt(1)
	ds_write_b64 v1, v[4:5]
.LBB106_203:
	s_or_b64 exec, exec, s[0:1]
	s_waitcnt lgkmcnt(0)
	; wave barrier
	scratch_load_dwordx4 v[4:7], off, off offset:280
	scratch_load_dwordx4 v[8:11], off, off offset:296
	;; [unrolled: 1-line block ×4, first 2 shown]
	ds_read2_b64 v[20:23], v2 offset0:79 offset1:80
	ds_read2_b64 v[24:27], v2 offset0:81 offset1:82
	;; [unrolled: 1-line block ×4, first 2 shown]
	v_cmp_lt_u32_e32 vcc, 33, v0
	s_waitcnt vmcnt(3) lgkmcnt(3)
	v_pk_mul_f32 v[2:3], v[20:21], v[4:5] op_sel:[1,1] op_sel_hi:[0,1]
	v_pk_fma_f32 v[36:37], v[20:21], v[4:5], v[2:3] neg_lo:[0,0,1] neg_hi:[0,0,1]
	v_pk_fma_f32 v[2:3], v[20:21], v[4:5], v[2:3] op_sel_hi:[1,0,1]
	v_mov_b32_e32 v4, v7
	v_pk_mul_f32 v[4:5], v[22:23], v[4:5] op_sel:[1,0] op_sel_hi:[0,0]
	v_pk_fma_f32 v[20:21], v[22:23], v[6:7], v[4:5] neg_lo:[0,0,1] neg_hi:[0,0,1]
	v_pk_fma_f32 v[4:5], v[22:23], v[6:7], v[4:5] op_sel_hi:[1,0,1]
	v_mov_b32_e32 v37, v3
	v_mov_b32_e32 v21, v5
	s_waitcnt vmcnt(2) lgkmcnt(2)
	v_pk_mul_f32 v[4:5], v[24:25], v[8:9] op_sel:[1,1] op_sel_hi:[0,1]
	v_pk_fma_f32 v[6:7], v[24:25], v[8:9], v[4:5] neg_lo:[0,0,1] neg_hi:[0,0,1]
	v_pk_fma_f32 v[4:5], v[24:25], v[8:9], v[4:5] op_sel_hi:[1,0,1]
	v_pk_add_f32 v[2:3], v[36:37], 0 op_sel_hi:[1,0]
	v_mov_b32_e32 v4, v11
	v_pk_add_f32 v[2:3], v[2:3], v[20:21]
	v_mov_b32_e32 v7, v5
	v_pk_mul_f32 v[4:5], v[26:27], v[4:5] op_sel:[1,0] op_sel_hi:[0,0]
	v_pk_add_f32 v[2:3], v[2:3], v[6:7]
	v_pk_fma_f32 v[6:7], v[26:27], v[10:11], v[4:5] neg_lo:[0,0,1] neg_hi:[0,0,1]
	v_pk_fma_f32 v[4:5], v[26:27], v[10:11], v[4:5] op_sel_hi:[1,0,1]
	s_nop 0
	v_mov_b32_e32 v7, v5
	s_waitcnt vmcnt(1) lgkmcnt(1)
	v_pk_mul_f32 v[4:5], v[28:29], v[12:13] op_sel:[1,1] op_sel_hi:[0,1]
	v_pk_add_f32 v[2:3], v[2:3], v[6:7]
	v_pk_fma_f32 v[6:7], v[28:29], v[12:13], v[4:5] neg_lo:[0,0,1] neg_hi:[0,0,1]
	v_pk_fma_f32 v[4:5], v[28:29], v[12:13], v[4:5] op_sel_hi:[1,0,1]
	s_nop 0
	v_mov_b32_e32 v4, v15
	v_mov_b32_e32 v7, v5
	v_pk_mul_f32 v[4:5], v[30:31], v[4:5] op_sel:[1,0] op_sel_hi:[0,0]
	v_pk_add_f32 v[2:3], v[2:3], v[6:7]
	v_pk_fma_f32 v[6:7], v[30:31], v[14:15], v[4:5] neg_lo:[0,0,1] neg_hi:[0,0,1]
	v_pk_fma_f32 v[4:5], v[30:31], v[14:15], v[4:5] op_sel_hi:[1,0,1]
	s_nop 0
	v_mov_b32_e32 v7, v5
	s_waitcnt vmcnt(0) lgkmcnt(0)
	v_pk_mul_f32 v[4:5], v[32:33], v[16:17] op_sel:[1,1] op_sel_hi:[0,1]
	v_pk_add_f32 v[2:3], v[2:3], v[6:7]
	v_pk_fma_f32 v[6:7], v[32:33], v[16:17], v[4:5] neg_lo:[0,0,1] neg_hi:[0,0,1]
	v_pk_fma_f32 v[4:5], v[32:33], v[16:17], v[4:5] op_sel_hi:[1,0,1]
	s_nop 0
	v_mov_b32_e32 v4, v19
	v_mov_b32_e32 v7, v5
	v_pk_mul_f32 v[4:5], v[34:35], v[4:5] op_sel:[1,0] op_sel_hi:[0,0]
	v_pk_add_f32 v[2:3], v[2:3], v[6:7]
	v_pk_fma_f32 v[6:7], v[34:35], v[18:19], v[4:5] neg_lo:[0,0,1] neg_hi:[0,0,1]
	v_pk_fma_f32 v[4:5], v[34:35], v[18:19], v[4:5] op_sel_hi:[1,0,1]
	s_nop 0
	v_mov_b32_e32 v7, v5
	scratch_load_dwordx2 v[4:5], off, off offset:272
	v_pk_add_f32 v[2:3], v[2:3], v[6:7]
	s_waitcnt vmcnt(0)
	v_pk_add_f32 v[2:3], v[4:5], v[2:3] neg_lo:[0,1] neg_hi:[0,1]
	scratch_store_dwordx2 off, v[2:3], off offset:272
	s_and_saveexec_b64 s[0:1], vcc
	s_cbranch_execz .LBB106_205
; %bb.204:
	scratch_load_dwordx2 v[2:3], off, off offset:264
	v_mov_b32_e32 v4, 0
	v_mov_b32_e32 v5, v4
	scratch_store_dwordx2 off, v[4:5], off offset:264
	s_waitcnt vmcnt(1)
	ds_write_b64 v1, v[2:3]
.LBB106_205:
	s_or_b64 exec, exec, s[0:1]
	v_mov_b32_e32 v2, 0
	s_waitcnt lgkmcnt(0)
	; wave barrier
	ds_read_b128 v[4:7], v2 offset:624
	ds_read_b128 v[8:11], v2 offset:640
	;; [unrolled: 1-line block ×4, first 2 shown]
	scratch_load_dwordx4 v[20:23], off, off offset:272
	scratch_load_dwordx4 v[24:27], off, off offset:288
	;; [unrolled: 1-line block ×4, first 2 shown]
	scratch_load_dwordx2 v[38:39], off, off offset:336
	v_cmp_lt_u32_e32 vcc, 32, v0
	s_waitcnt vmcnt(4) lgkmcnt(3)
	v_mul_f32_e32 v37, v4, v21
	v_mul_f32_e32 v3, v5, v21
	v_fmac_f32_e32 v37, v5, v20
	v_fma_f32 v36, v4, v20, -v3
	v_pk_add_f32 v[20:21], v[36:37], 0 op_sel_hi:[1,0]
	v_mov_b32_e32 v36, v23
	v_pk_mul_f32 v[36:37], v[6:7], v[36:37] op_sel:[1,0] op_sel_hi:[0,0]
	v_pk_fma_f32 v[40:41], v[6:7], v[22:23], v[36:37] neg_lo:[0,0,1] neg_hi:[0,0,1]
	v_pk_fma_f32 v[6:7], v[6:7], v[22:23], v[36:37] op_sel_hi:[1,0,1]
	ds_read_b64 v[4:5], v2 offset:688
	v_mov_b32_e32 v41, v7
	v_pk_add_f32 v[6:7], v[20:21], v[40:41]
	s_waitcnt vmcnt(3) lgkmcnt(3)
	v_pk_mul_f32 v[20:21], v[8:9], v[24:25] op_sel:[1,1] op_sel_hi:[0,1]
	v_pk_fma_f32 v[22:23], v[8:9], v[24:25], v[20:21] neg_lo:[0,0,1] neg_hi:[0,0,1]
	v_pk_fma_f32 v[8:9], v[8:9], v[24:25], v[20:21] op_sel_hi:[1,0,1]
	s_nop 0
	v_mov_b32_e32 v8, v27
	v_mov_b32_e32 v23, v9
	v_pk_mul_f32 v[8:9], v[10:11], v[8:9] op_sel:[1,0] op_sel_hi:[0,0]
	v_pk_fma_f32 v[20:21], v[10:11], v[26:27], v[8:9] neg_lo:[0,0,1] neg_hi:[0,0,1]
	v_pk_fma_f32 v[8:9], v[10:11], v[26:27], v[8:9] op_sel_hi:[1,0,1]
	v_pk_add_f32 v[6:7], v[6:7], v[22:23]
	v_mov_b32_e32 v21, v9
	s_waitcnt vmcnt(2) lgkmcnt(2)
	v_pk_mul_f32 v[8:9], v[12:13], v[28:29] op_sel:[1,1] op_sel_hi:[0,1]
	v_pk_fma_f32 v[10:11], v[12:13], v[28:29], v[8:9] neg_lo:[0,0,1] neg_hi:[0,0,1]
	v_pk_fma_f32 v[8:9], v[12:13], v[28:29], v[8:9] op_sel_hi:[1,0,1]
	v_pk_add_f32 v[6:7], v[6:7], v[20:21]
	v_mov_b32_e32 v8, v31
	v_mov_b32_e32 v11, v9
	v_pk_mul_f32 v[8:9], v[14:15], v[8:9] op_sel:[1,0] op_sel_hi:[0,0]
	v_pk_add_f32 v[6:7], v[6:7], v[10:11]
	v_pk_fma_f32 v[10:11], v[14:15], v[30:31], v[8:9] neg_lo:[0,0,1] neg_hi:[0,0,1]
	v_pk_fma_f32 v[8:9], v[14:15], v[30:31], v[8:9] op_sel_hi:[1,0,1]
	s_nop 0
	v_mov_b32_e32 v11, v9
	s_waitcnt vmcnt(1) lgkmcnt(1)
	v_pk_mul_f32 v[8:9], v[16:17], v[32:33] op_sel:[1,1] op_sel_hi:[0,1]
	v_pk_add_f32 v[6:7], v[6:7], v[10:11]
	v_pk_fma_f32 v[10:11], v[16:17], v[32:33], v[8:9] neg_lo:[0,0,1] neg_hi:[0,0,1]
	v_pk_fma_f32 v[8:9], v[16:17], v[32:33], v[8:9] op_sel_hi:[1,0,1]
	s_nop 0
	v_mov_b32_e32 v8, v35
	v_mov_b32_e32 v11, v9
	v_pk_mul_f32 v[8:9], v[18:19], v[8:9] op_sel:[1,0] op_sel_hi:[0,0]
	v_pk_add_f32 v[6:7], v[6:7], v[10:11]
	v_pk_fma_f32 v[10:11], v[18:19], v[34:35], v[8:9] neg_lo:[0,0,1] neg_hi:[0,0,1]
	v_pk_fma_f32 v[8:9], v[18:19], v[34:35], v[8:9] op_sel_hi:[1,0,1]
	s_nop 0
	v_mov_b32_e32 v11, v9
	s_waitcnt vmcnt(0) lgkmcnt(0)
	v_pk_mul_f32 v[8:9], v[4:5], v[38:39] op_sel:[1,1] op_sel_hi:[0,1]
	v_pk_add_f32 v[6:7], v[6:7], v[10:11]
	v_pk_fma_f32 v[10:11], v[4:5], v[38:39], v[8:9] neg_lo:[0,0,1] neg_hi:[0,0,1]
	v_pk_fma_f32 v[4:5], v[4:5], v[38:39], v[8:9] op_sel_hi:[1,0,1]
	s_nop 0
	v_mov_b32_e32 v11, v5
	v_pk_add_f32 v[4:5], v[6:7], v[10:11]
	scratch_load_dwordx2 v[6:7], off, off offset:264
	s_waitcnt vmcnt(0)
	v_pk_add_f32 v[4:5], v[6:7], v[4:5] neg_lo:[0,1] neg_hi:[0,1]
	scratch_store_dwordx2 off, v[4:5], off offset:264
	s_and_saveexec_b64 s[0:1], vcc
	s_cbranch_execz .LBB106_207
; %bb.206:
	scratch_load_dwordx2 v[4:5], off, off offset:256
	v_mov_b32_e32 v3, v2
	scratch_store_dwordx2 off, v[2:3], off offset:256
	s_waitcnt vmcnt(1)
	ds_write_b64 v1, v[4:5]
.LBB106_207:
	s_or_b64 exec, exec, s[0:1]
	s_waitcnt lgkmcnt(0)
	; wave barrier
	scratch_load_dwordx4 v[8:11], off, off offset:264
	ds_read2_b64 v[4:7], v2 offset0:77 offset1:78
	scratch_load_dwordx4 v[12:15], off, off offset:280
	scratch_load_dwordx4 v[16:19], off, off offset:296
	;; [unrolled: 1-line block ×4, first 2 shown]
	v_cmp_lt_u32_e32 vcc, 31, v0
	s_waitcnt vmcnt(4) lgkmcnt(0)
	v_mul_f32_e32 v3, v5, v9
	v_mul_f32_e32 v37, v4, v9
	;; [unrolled: 1-line block ×3, first 2 shown]
	v_fma_f32 v36, v4, v8, -v3
	v_mul_f32_e32 v3, v7, v11
	v_fmac_f32_e32 v37, v5, v8
	v_fmac_f32_e32 v39, v7, v10
	v_fma_f32 v38, v6, v10, -v3
	ds_read2_b64 v[4:7], v2 offset0:79 offset1:80
	ds_read2_b64 v[8:11], v2 offset0:81 offset1:82
	;; [unrolled: 1-line block ×4, first 2 shown]
	v_pk_add_f32 v[2:3], v[36:37], 0 op_sel_hi:[1,0]
	s_waitcnt vmcnt(3) lgkmcnt(3)
	v_pk_mul_f32 v[36:37], v[4:5], v[12:13] op_sel:[1,1] op_sel_hi:[0,1]
	v_pk_add_f32 v[2:3], v[2:3], v[38:39]
	v_pk_fma_f32 v[38:39], v[4:5], v[12:13], v[36:37] neg_lo:[0,0,1] neg_hi:[0,0,1]
	v_pk_fma_f32 v[4:5], v[4:5], v[12:13], v[36:37] op_sel_hi:[1,0,1]
	s_nop 0
	v_mov_b32_e32 v4, v15
	v_mov_b32_e32 v39, v5
	v_pk_mul_f32 v[4:5], v[6:7], v[4:5] op_sel:[1,0] op_sel_hi:[0,0]
	v_pk_fma_f32 v[12:13], v[6:7], v[14:15], v[4:5] neg_lo:[0,0,1] neg_hi:[0,0,1]
	v_pk_fma_f32 v[4:5], v[6:7], v[14:15], v[4:5] op_sel_hi:[1,0,1]
	v_pk_add_f32 v[2:3], v[2:3], v[38:39]
	v_mov_b32_e32 v13, v5
	s_waitcnt vmcnt(2) lgkmcnt(2)
	v_pk_mul_f32 v[4:5], v[8:9], v[16:17] op_sel:[1,1] op_sel_hi:[0,1]
	v_pk_fma_f32 v[6:7], v[8:9], v[16:17], v[4:5] neg_lo:[0,0,1] neg_hi:[0,0,1]
	v_pk_fma_f32 v[4:5], v[8:9], v[16:17], v[4:5] op_sel_hi:[1,0,1]
	v_pk_add_f32 v[2:3], v[2:3], v[12:13]
	v_mov_b32_e32 v4, v19
	v_mov_b32_e32 v7, v5
	v_pk_mul_f32 v[4:5], v[10:11], v[4:5] op_sel:[1,0] op_sel_hi:[0,0]
	v_pk_add_f32 v[2:3], v[2:3], v[6:7]
	v_pk_fma_f32 v[6:7], v[10:11], v[18:19], v[4:5] neg_lo:[0,0,1] neg_hi:[0,0,1]
	v_pk_fma_f32 v[4:5], v[10:11], v[18:19], v[4:5] op_sel_hi:[1,0,1]
	s_nop 0
	v_mov_b32_e32 v7, v5
	s_waitcnt vmcnt(1) lgkmcnt(1)
	v_pk_mul_f32 v[4:5], v[28:29], v[20:21] op_sel:[1,1] op_sel_hi:[0,1]
	v_pk_add_f32 v[2:3], v[2:3], v[6:7]
	v_pk_fma_f32 v[6:7], v[28:29], v[20:21], v[4:5] neg_lo:[0,0,1] neg_hi:[0,0,1]
	v_pk_fma_f32 v[4:5], v[28:29], v[20:21], v[4:5] op_sel_hi:[1,0,1]
	s_nop 0
	v_mov_b32_e32 v4, v23
	v_mov_b32_e32 v7, v5
	v_pk_mul_f32 v[4:5], v[30:31], v[4:5] op_sel:[1,0] op_sel_hi:[0,0]
	v_pk_add_f32 v[2:3], v[2:3], v[6:7]
	v_pk_fma_f32 v[6:7], v[30:31], v[22:23], v[4:5] neg_lo:[0,0,1] neg_hi:[0,0,1]
	v_pk_fma_f32 v[4:5], v[30:31], v[22:23], v[4:5] op_sel_hi:[1,0,1]
	s_nop 0
	v_mov_b32_e32 v7, v5
	s_waitcnt vmcnt(0) lgkmcnt(0)
	v_pk_mul_f32 v[4:5], v[32:33], v[24:25] op_sel:[1,1] op_sel_hi:[0,1]
	v_pk_add_f32 v[2:3], v[2:3], v[6:7]
	v_pk_fma_f32 v[6:7], v[32:33], v[24:25], v[4:5] neg_lo:[0,0,1] neg_hi:[0,0,1]
	v_pk_fma_f32 v[4:5], v[32:33], v[24:25], v[4:5] op_sel_hi:[1,0,1]
	s_nop 0
	v_mov_b32_e32 v4, v27
	v_mov_b32_e32 v7, v5
	v_pk_mul_f32 v[4:5], v[34:35], v[4:5] op_sel:[1,0] op_sel_hi:[0,0]
	v_pk_add_f32 v[2:3], v[2:3], v[6:7]
	v_pk_fma_f32 v[6:7], v[34:35], v[26:27], v[4:5] neg_lo:[0,0,1] neg_hi:[0,0,1]
	v_pk_fma_f32 v[4:5], v[34:35], v[26:27], v[4:5] op_sel_hi:[1,0,1]
	s_nop 0
	v_mov_b32_e32 v7, v5
	scratch_load_dwordx2 v[4:5], off, off offset:256
	v_pk_add_f32 v[2:3], v[2:3], v[6:7]
	s_waitcnt vmcnt(0)
	v_pk_add_f32 v[2:3], v[4:5], v[2:3] neg_lo:[0,1] neg_hi:[0,1]
	scratch_store_dwordx2 off, v[2:3], off offset:256
	s_and_saveexec_b64 s[0:1], vcc
	s_cbranch_execz .LBB106_209
; %bb.208:
	scratch_load_dwordx2 v[2:3], off, off offset:248
	v_mov_b32_e32 v4, 0
	v_mov_b32_e32 v5, v4
	scratch_store_dwordx2 off, v[4:5], off offset:248
	s_waitcnt vmcnt(1)
	ds_write_b64 v1, v[2:3]
.LBB106_209:
	s_or_b64 exec, exec, s[0:1]
	s_waitcnt lgkmcnt(0)
	; wave barrier
	scratch_load_dwordx4 v[4:7], off, off offset:256
	scratch_load_dwordx4 v[8:11], off, off offset:272
	;; [unrolled: 1-line block ×5, first 2 shown]
	scratch_load_dwordx2 v[44:45], off, off offset:336
	scratch_load_dwordx2 v[46:47], off, off offset:248
	v_mov_b32_e32 v2, 0
	ds_read_b128 v[24:27], v2 offset:608
	ds_read_b128 v[28:31], v2 offset:624
	;; [unrolled: 1-line block ×5, first 2 shown]
	ds_read_b64 v[48:49], v2 offset:688
	v_cmp_lt_u32_e32 vcc, 30, v0
	s_waitcnt vmcnt(6) lgkmcnt(5)
	v_mul_f32_e32 v3, v24, v5
	v_mul_f32_e32 v5, v25, v5
	;; [unrolled: 1-line block ×3, first 2 shown]
	s_waitcnt vmcnt(5) lgkmcnt(4)
	v_mul_f32_e32 v53, v28, v9
	v_mul_f32_e32 v7, v27, v7
	;; [unrolled: 1-line block ×3, first 2 shown]
	v_mov_b32_e32 v54, v11
	s_waitcnt vmcnt(3) lgkmcnt(2)
	v_pk_mul_f32 v[60:61], v[36:37], v[16:17] op_sel:[1,1] op_sel_hi:[0,1]
	s_waitcnt vmcnt(2) lgkmcnt(1)
	v_pk_mul_f32 v[64:65], v[40:41], v[20:21] op_sel:[1,1] op_sel_hi:[0,1]
	;; [unrolled: 2-line block ×3, first 2 shown]
	v_fmac_f32_e32 v3, v25, v4
	v_fma_f32 v55, v24, v4, -v5
	v_fmac_f32_e32 v51, v27, v6
	v_fmac_f32_e32 v53, v29, v8
	v_fma_f32 v50, v26, v6, -v7
	v_fma_f32 v52, v28, v8, -v9
	v_pk_mul_f32 v[4:5], v[30:31], v[54:55] op_sel:[1,0] op_sel_hi:[0,0]
	v_pk_fma_f32 v[24:25], v[36:37], v[16:17], v[60:61] neg_lo:[0,0,1] neg_hi:[0,0,1]
	v_pk_fma_f32 v[16:17], v[36:37], v[16:17], v[60:61] op_sel_hi:[1,0,1]
	v_pk_fma_f32 v[28:29], v[40:41], v[20:21], v[64:65] neg_lo:[0,0,1] neg_hi:[0,0,1]
	v_pk_fma_f32 v[20:21], v[40:41], v[20:21], v[64:65] op_sel_hi:[1,0,1]
	;; [unrolled: 2-line block ×3, first 2 shown]
	v_add_f32_e32 v45, 0, v3
	v_add_f32_e32 v44, 0, v55
	v_pk_mul_f32 v[56:57], v[32:33], v[12:13] op_sel:[1,1] op_sel_hi:[0,1]
	v_mov_b32_e32 v58, v15
	v_pk_fma_f32 v[48:49], v[30:31], v[10:11], v[4:5] neg_lo:[0,0,1] neg_hi:[0,0,1]
	v_pk_fma_f32 v[4:5], v[30:31], v[10:11], v[4:5] op_sel_hi:[1,0,1]
	v_mov_b32_e32 v29, v21
	v_pk_add_f32 v[20:21], v[44:45], v[50:51]
	v_pk_fma_f32 v[6:7], v[32:33], v[12:13], v[56:57] neg_lo:[0,0,1] neg_hi:[0,0,1]
	v_pk_fma_f32 v[8:9], v[32:33], v[12:13], v[56:57] op_sel_hi:[1,0,1]
	v_pk_mul_f32 v[12:13], v[34:35], v[58:59] op_sel:[1,0] op_sel_hi:[0,0]
	v_mov_b32_e32 v49, v5
	v_pk_add_f32 v[4:5], v[20:21], v[52:53]
	v_mov_b32_e32 v62, v19
	v_mov_b32_e32 v7, v9
	v_pk_fma_f32 v[8:9], v[34:35], v[14:15], v[12:13] neg_lo:[0,0,1] neg_hi:[0,0,1]
	v_pk_fma_f32 v[10:11], v[34:35], v[14:15], v[12:13] op_sel_hi:[1,0,1]
	v_pk_add_f32 v[4:5], v[4:5], v[48:49]
	v_pk_mul_f32 v[26:27], v[38:39], v[62:63] op_sel:[1,0] op_sel_hi:[0,0]
	v_mov_b32_e32 v9, v11
	v_pk_add_f32 v[4:5], v[4:5], v[6:7]
	v_mov_b32_e32 v66, v23
	v_mov_b32_e32 v25, v17
	v_pk_fma_f32 v[12:13], v[38:39], v[18:19], v[26:27] neg_lo:[0,0,1] neg_hi:[0,0,1]
	v_pk_fma_f32 v[14:15], v[38:39], v[18:19], v[26:27] op_sel_hi:[1,0,1]
	v_pk_add_f32 v[4:5], v[4:5], v[8:9]
	v_pk_mul_f32 v[32:33], v[42:43], v[66:67] op_sel:[1,0] op_sel_hi:[0,0]
	v_mov_b32_e32 v13, v15
	v_pk_add_f32 v[4:5], v[4:5], v[24:25]
	v_pk_fma_f32 v[16:17], v[42:43], v[22:23], v[32:33] neg_lo:[0,0,1] neg_hi:[0,0,1]
	v_pk_fma_f32 v[18:19], v[42:43], v[22:23], v[32:33] op_sel_hi:[1,0,1]
	v_pk_add_f32 v[4:5], v[4:5], v[12:13]
	v_mov_b32_e32 v17, v19
	v_pk_add_f32 v[4:5], v[4:5], v[28:29]
	v_mov_b32_e32 v37, v41
	v_pk_add_f32 v[4:5], v[4:5], v[16:17]
	s_nop 0
	v_pk_add_f32 v[4:5], v[4:5], v[36:37]
	s_waitcnt vmcnt(0)
	v_pk_add_f32 v[4:5], v[46:47], v[4:5] neg_lo:[0,1] neg_hi:[0,1]
	scratch_store_dwordx2 off, v[4:5], off offset:248
	s_and_saveexec_b64 s[0:1], vcc
	s_cbranch_execz .LBB106_211
; %bb.210:
	scratch_load_dwordx2 v[4:5], off, off offset:240
	v_mov_b32_e32 v3, v2
	scratch_store_dwordx2 off, v[2:3], off offset:240
	s_waitcnt vmcnt(1)
	ds_write_b64 v1, v[4:5]
.LBB106_211:
	s_or_b64 exec, exec, s[0:1]
	s_waitcnt lgkmcnt(0)
	; wave barrier
	scratch_load_dwordx4 v[4:7], off, off offset:248
	scratch_load_dwordx4 v[8:11], off, off offset:264
	;; [unrolled: 1-line block ×6, first 2 shown]
	scratch_load_dwordx2 v[52:53], off, off offset:240
	ds_read2_b64 v[28:31], v2 offset0:75 offset1:76
	ds_read2_b64 v[32:35], v2 offset0:77 offset1:78
	;; [unrolled: 1-line block ×6, first 2 shown]
	v_cmp_lt_u32_e32 vcc, 29, v0
	s_waitcnt vmcnt(6) lgkmcnt(5)
	v_mul_f32_e32 v59, v28, v5
	v_mul_f32_e32 v63, v30, v7
	s_waitcnt vmcnt(5) lgkmcnt(4)
	v_mul_f32_e32 v3, v32, v9
	v_mul_f32_e32 v2, v29, v5
	;; [unrolled: 1-line block ×4, first 2 shown]
	s_waitcnt vmcnt(1) lgkmcnt(0)
	v_pk_mul_f32 v[68:69], v[48:49], v[24:25] op_sel:[1,1] op_sel_hi:[0,1]
	v_pk_mul_f32 v[56:57], v[36:37], v[12:13] op_sel:[1,1] op_sel_hi:[0,1]
	v_fmac_f32_e32 v59, v29, v4
	v_fmac_f32_e32 v3, v33, v8
	v_fma_f32 v67, v28, v4, -v2
	v_fma_f32 v2, v32, v8, -v7
	v_pk_fma_f32 v[32:33], v[48:49], v[24:25], v[68:69] neg_lo:[0,0,1] neg_hi:[0,0,1]
	v_pk_fma_f32 v[24:25], v[48:49], v[24:25], v[68:69] op_sel_hi:[1,0,1]
	v_fmac_f32_e32 v63, v31, v6
	v_fma_f32 v71, v30, v6, -v5
	v_pk_fma_f32 v[4:5], v[36:37], v[12:13], v[56:57] neg_lo:[0,0,1] neg_hi:[0,0,1]
	v_pk_fma_f32 v[6:7], v[36:37], v[12:13], v[56:57] op_sel_hi:[1,0,1]
	v_add_f32_e32 v24, 0, v59
	v_add_f32_e32 v36, 0, v67
	v_mul_f32_e32 v55, v34, v11
	v_mul_f32_e32 v9, v35, v11
	v_mov_b32_e32 v58, v15
	v_mov_b32_e32 v33, v25
	v_add_f32_e32 v25, v24, v63
	v_add_f32_e32 v24, v36, v71
	v_fmac_f32_e32 v55, v35, v10
	v_fma_f32 v54, v34, v10, -v9
	v_pk_mul_f32 v[8:9], v[38:39], v[58:59] op_sel:[1,0] op_sel_hi:[0,0]
	v_pk_add_f32 v[2:3], v[24:25], v[2:3]
	v_pk_mul_f32 v[60:61], v[40:41], v[16:17] op_sel:[1,1] op_sel_hi:[0,1]
	v_mov_b32_e32 v62, v19
	v_mov_b32_e32 v5, v7
	v_pk_fma_f32 v[6:7], v[38:39], v[14:15], v[8:9] neg_lo:[0,0,1] neg_hi:[0,0,1]
	v_pk_fma_f32 v[8:9], v[38:39], v[14:15], v[8:9] op_sel_hi:[1,0,1]
	v_pk_add_f32 v[2:3], v[2:3], v[54:55]
	v_pk_fma_f32 v[10:11], v[40:41], v[16:17], v[60:61] neg_lo:[0,0,1] neg_hi:[0,0,1]
	v_pk_fma_f32 v[12:13], v[40:41], v[16:17], v[60:61] op_sel_hi:[1,0,1]
	v_pk_mul_f32 v[16:17], v[42:43], v[62:63] op_sel:[1,0] op_sel_hi:[0,0]
	v_mov_b32_e32 v7, v9
	v_pk_add_f32 v[2:3], v[2:3], v[4:5]
	v_pk_mul_f32 v[64:65], v[44:45], v[20:21] op_sel:[1,1] op_sel_hi:[0,1]
	v_mov_b32_e32 v66, v23
	v_mov_b32_e32 v11, v13
	v_pk_fma_f32 v[12:13], v[42:43], v[18:19], v[16:17] neg_lo:[0,0,1] neg_hi:[0,0,1]
	v_pk_fma_f32 v[14:15], v[42:43], v[18:19], v[16:17] op_sel_hi:[1,0,1]
	v_pk_add_f32 v[2:3], v[2:3], v[6:7]
	v_pk_fma_f32 v[28:29], v[44:45], v[20:21], v[64:65] neg_lo:[0,0,1] neg_hi:[0,0,1]
	v_pk_fma_f32 v[20:21], v[44:45], v[20:21], v[64:65] op_sel_hi:[1,0,1]
	v_pk_mul_f32 v[30:31], v[46:47], v[66:67] op_sel:[1,0] op_sel_hi:[0,0]
	v_mov_b32_e32 v13, v15
	v_pk_add_f32 v[2:3], v[2:3], v[10:11]
	v_mov_b32_e32 v70, v27
	v_mov_b32_e32 v29, v21
	v_pk_fma_f32 v[16:17], v[46:47], v[22:23], v[30:31] neg_lo:[0,0,1] neg_hi:[0,0,1]
	v_pk_fma_f32 v[18:19], v[46:47], v[22:23], v[30:31] op_sel_hi:[1,0,1]
	v_pk_add_f32 v[2:3], v[2:3], v[12:13]
	v_pk_mul_f32 v[34:35], v[50:51], v[70:71] op_sel:[1,0] op_sel_hi:[0,0]
	v_mov_b32_e32 v17, v19
	v_pk_add_f32 v[2:3], v[2:3], v[28:29]
	v_pk_fma_f32 v[20:21], v[50:51], v[26:27], v[34:35] neg_lo:[0,0,1] neg_hi:[0,0,1]
	v_pk_fma_f32 v[22:23], v[50:51], v[26:27], v[34:35] op_sel_hi:[1,0,1]
	v_pk_add_f32 v[2:3], v[2:3], v[16:17]
	v_mov_b32_e32 v21, v23
	v_pk_add_f32 v[2:3], v[2:3], v[32:33]
	s_nop 0
	v_pk_add_f32 v[2:3], v[2:3], v[20:21]
	s_waitcnt vmcnt(0)
	v_pk_add_f32 v[2:3], v[52:53], v[2:3] neg_lo:[0,1] neg_hi:[0,1]
	scratch_store_dwordx2 off, v[2:3], off offset:240
	s_and_saveexec_b64 s[0:1], vcc
	s_cbranch_execz .LBB106_213
; %bb.212:
	scratch_load_dwordx2 v[2:3], off, off offset:232
	v_mov_b32_e32 v4, 0
	v_mov_b32_e32 v5, v4
	scratch_store_dwordx2 off, v[4:5], off offset:232
	s_waitcnt vmcnt(1)
	ds_write_b64 v1, v[2:3]
.LBB106_213:
	s_or_b64 exec, exec, s[0:1]
	s_waitcnt lgkmcnt(0)
	; wave barrier
	scratch_load_dwordx4 v[4:7], off, off offset:240
	scratch_load_dwordx4 v[8:11], off, off offset:256
	;; [unrolled: 1-line block ×6, first 2 shown]
	scratch_load_dwordx2 v[52:53], off, off offset:336
	scratch_load_dwordx2 v[54:55], off, off offset:232
	v_mov_b32_e32 v2, 0
	ds_read_b128 v[28:31], v2 offset:592
	ds_read_b128 v[32:35], v2 offset:608
	;; [unrolled: 1-line block ×6, first 2 shown]
	ds_read_b64 v[56:57], v2 offset:688
	v_cmp_lt_u32_e32 vcc, 28, v0
	s_waitcnt vmcnt(7) lgkmcnt(6)
	v_mul_f32_e32 v63, v30, v7
	v_mul_f32_e32 v3, v28, v5
	s_waitcnt vmcnt(5) lgkmcnt(4)
	v_mul_f32_e32 v61, v36, v13
	v_mul_f32_e32 v5, v29, v5
	v_mov_b32_e32 v62, v15
	s_waitcnt vmcnt(2) lgkmcnt(1)
	v_pk_mul_f32 v[72:73], v[48:49], v[24:25] op_sel:[1,1] op_sel_hi:[0,1]
	v_fmac_f32_e32 v63, v31, v6
	v_mul_f32_e32 v7, v31, v7
	v_mul_f32_e32 v13, v37, v13
	v_fmac_f32_e32 v3, v29, v4
	v_fmac_f32_e32 v61, v37, v12
	v_fma_f32 v37, v28, v4, -v5
	v_pk_mul_f32 v[4:5], v[38:39], v[62:63] op_sel:[1,0] op_sel_hi:[0,0]
	v_pk_fma_f32 v[28:29], v[48:49], v[24:25], v[72:73] neg_lo:[0,0,1] neg_hi:[0,0,1]
	v_pk_fma_f32 v[24:25], v[48:49], v[24:25], v[72:73] op_sel_hi:[1,0,1]
	v_mul_f32_e32 v67, v32, v9
	v_mul_f32_e32 v9, v33, v9
	v_fma_f32 v71, v30, v6, -v7
	v_fma_f32 v60, v36, v12, -v13
	v_add_f32_e32 v3, 0, v3
	v_add_f32_e32 v24, 0, v37
	v_pk_fma_f32 v[36:37], v[38:39], v[14:15], v[4:5] neg_lo:[0,0,1] neg_hi:[0,0,1]
	v_pk_fma_f32 v[4:5], v[38:39], v[14:15], v[4:5] op_sel_hi:[1,0,1]
	v_mul_f32_e32 v59, v34, v11
	v_mul_f32_e32 v11, v35, v11
	v_fmac_f32_e32 v67, v33, v8
	v_fma_f32 v75, v32, v8, -v9
	v_add_f32_e32 v3, v3, v63
	v_add_f32_e32 v4, v24, v71
	v_fmac_f32_e32 v59, v35, v10
	v_fma_f32 v58, v34, v10, -v11
	v_mov_b32_e32 v37, v5
	v_add_f32_e32 v5, v3, v67
	v_add_f32_e32 v4, v4, v75
	v_pk_mul_f32 v[64:65], v[40:41], v[16:17] op_sel:[1,1] op_sel_hi:[0,1]
	v_mov_b32_e32 v66, v19
	v_pk_add_f32 v[4:5], v[4:5], v[58:59]
	v_pk_fma_f32 v[6:7], v[40:41], v[16:17], v[64:65] neg_lo:[0,0,1] neg_hi:[0,0,1]
	v_pk_fma_f32 v[8:9], v[40:41], v[16:17], v[64:65] op_sel_hi:[1,0,1]
	v_pk_mul_f32 v[10:11], v[42:43], v[66:67] op_sel:[1,0] op_sel_hi:[0,0]
	v_pk_add_f32 v[4:5], v[4:5], v[60:61]
	v_pk_mul_f32 v[68:69], v[44:45], v[20:21] op_sel:[1,1] op_sel_hi:[0,1]
	v_mov_b32_e32 v70, v23
	v_mov_b32_e32 v7, v9
	v_pk_fma_f32 v[8:9], v[42:43], v[18:19], v[10:11] neg_lo:[0,0,1] neg_hi:[0,0,1]
	v_pk_fma_f32 v[10:11], v[42:43], v[18:19], v[10:11] op_sel_hi:[1,0,1]
	v_pk_add_f32 v[4:5], v[4:5], v[36:37]
	v_pk_fma_f32 v[12:13], v[44:45], v[20:21], v[68:69] neg_lo:[0,0,1] neg_hi:[0,0,1]
	v_pk_fma_f32 v[16:17], v[44:45], v[20:21], v[68:69] op_sel_hi:[1,0,1]
	v_pk_mul_f32 v[20:21], v[46:47], v[70:71] op_sel:[1,0] op_sel_hi:[0,0]
	v_mov_b32_e32 v9, v11
	v_pk_add_f32 v[4:5], v[4:5], v[6:7]
	v_mov_b32_e32 v74, v27
	v_mov_b32_e32 v13, v17
	v_pk_fma_f32 v[14:15], v[46:47], v[22:23], v[20:21] neg_lo:[0,0,1] neg_hi:[0,0,1]
	v_pk_fma_f32 v[16:17], v[46:47], v[22:23], v[20:21] op_sel_hi:[1,0,1]
	v_pk_add_f32 v[4:5], v[4:5], v[8:9]
	v_pk_mul_f32 v[30:31], v[50:51], v[74:75] op_sel:[1,0] op_sel_hi:[0,0]
	v_mov_b32_e32 v15, v17
	v_pk_add_f32 v[4:5], v[4:5], v[12:13]
	s_waitcnt vmcnt(1) lgkmcnt(0)
	v_pk_mul_f32 v[76:77], v[56:57], v[52:53] op_sel:[1,1] op_sel_hi:[0,1]
	v_mov_b32_e32 v29, v25
	v_pk_fma_f32 v[18:19], v[50:51], v[26:27], v[30:31] neg_lo:[0,0,1] neg_hi:[0,0,1]
	v_pk_fma_f32 v[20:21], v[50:51], v[26:27], v[30:31] op_sel_hi:[1,0,1]
	v_pk_add_f32 v[4:5], v[4:5], v[14:15]
	v_pk_fma_f32 v[32:33], v[56:57], v[52:53], v[76:77] neg_lo:[0,0,1] neg_hi:[0,0,1]
	v_pk_fma_f32 v[34:35], v[56:57], v[52:53], v[76:77] op_sel_hi:[1,0,1]
	v_mov_b32_e32 v19, v21
	v_pk_add_f32 v[4:5], v[4:5], v[28:29]
	v_mov_b32_e32 v33, v35
	v_pk_add_f32 v[4:5], v[4:5], v[18:19]
	s_nop 0
	v_pk_add_f32 v[4:5], v[4:5], v[32:33]
	s_waitcnt vmcnt(0)
	v_pk_add_f32 v[4:5], v[54:55], v[4:5] neg_lo:[0,1] neg_hi:[0,1]
	scratch_store_dwordx2 off, v[4:5], off offset:232
	s_and_saveexec_b64 s[0:1], vcc
	s_cbranch_execz .LBB106_215
; %bb.214:
	scratch_load_dwordx2 v[4:5], off, off offset:224
	v_mov_b32_e32 v3, v2
	scratch_store_dwordx2 off, v[2:3], off offset:224
	s_waitcnt vmcnt(1)
	ds_write_b64 v1, v[4:5]
.LBB106_215:
	s_or_b64 exec, exec, s[0:1]
	s_waitcnt lgkmcnt(0)
	; wave barrier
	scratch_load_dwordx4 v[4:7], off, off offset:232
	scratch_load_dwordx4 v[8:11], off, off offset:248
	;; [unrolled: 1-line block ×7, first 2 shown]
	ds_read2_b64 v[32:35], v2 offset0:73 offset1:74
	ds_read2_b64 v[36:39], v2 offset0:75 offset1:76
	;; [unrolled: 1-line block ×6, first 2 shown]
	scratch_load_dwordx2 v[60:61], off, off offset:224
	ds_read2_b64 v[56:59], v2 offset0:85 offset1:86
	v_cmp_lt_u32_e32 vcc, 27, v0
	s_waitcnt vmcnt(7) lgkmcnt(6)
	v_mul_f32_e32 v67, v32, v5
	v_mul_f32_e32 v71, v34, v7
	s_waitcnt vmcnt(6) lgkmcnt(5)
	v_mul_f32_e32 v75, v36, v9
	v_mul_f32_e32 v79, v38, v11
	;; [unrolled: 3-line block ×3, first 2 shown]
	v_mul_f32_e32 v2, v33, v5
	v_mul_f32_e32 v5, v35, v7
	;; [unrolled: 1-line block ×6, first 2 shown]
	s_waitcnt vmcnt(4) lgkmcnt(3)
	v_pk_mul_f32 v[64:65], v[44:45], v[16:17] op_sel:[1,1] op_sel_hi:[0,1]
	v_mov_b32_e32 v66, v19
	s_waitcnt vmcnt(3) lgkmcnt(2)
	v_pk_mul_f32 v[68:69], v[48:49], v[20:21] op_sel:[1,1] op_sel_hi:[0,1]
	v_mov_b32_e32 v70, v23
	s_waitcnt vmcnt(1) lgkmcnt(0)
	v_pk_mul_f32 v[76:77], v[56:57], v[28:29] op_sel:[1,1] op_sel_hi:[0,1]
	v_fmac_f32_e32 v67, v33, v4
	v_fmac_f32_e32 v71, v35, v6
	;; [unrolled: 1-line block ×6, first 2 shown]
	v_fma_f32 v37, v32, v4, -v2
	v_fma_f32 v39, v34, v6, -v5
	;; [unrolled: 1-line block ×6, first 2 shown]
	v_pk_fma_f32 v[4:5], v[44:45], v[16:17], v[64:65] neg_lo:[0,0,1] neg_hi:[0,0,1]
	v_pk_fma_f32 v[6:7], v[44:45], v[16:17], v[64:65] op_sel_hi:[1,0,1]
	v_pk_mul_f32 v[8:9], v[46:47], v[66:67] op_sel:[1,0] op_sel_hi:[0,0]
	v_pk_fma_f32 v[10:11], v[48:49], v[20:21], v[68:69] neg_lo:[0,0,1] neg_hi:[0,0,1]
	v_pk_fma_f32 v[12:13], v[48:49], v[20:21], v[68:69] op_sel_hi:[1,0,1]
	v_pk_mul_f32 v[14:15], v[50:51], v[70:71] op_sel:[1,0] op_sel_hi:[0,0]
	v_pk_fma_f32 v[32:33], v[56:57], v[28:29], v[76:77] neg_lo:[0,0,1] neg_hi:[0,0,1]
	v_pk_fma_f32 v[28:29], v[56:57], v[28:29], v[76:77] op_sel_hi:[1,0,1]
	v_add_f32_e32 v37, 0, v37
	v_add_f32_e32 v28, 0, v67
	v_mov_b32_e32 v5, v7
	v_pk_fma_f32 v[6:7], v[46:47], v[18:19], v[8:9] neg_lo:[0,0,1] neg_hi:[0,0,1]
	v_pk_fma_f32 v[8:9], v[46:47], v[18:19], v[8:9] op_sel_hi:[1,0,1]
	v_mov_b32_e32 v11, v13
	v_pk_fma_f32 v[12:13], v[50:51], v[22:23], v[14:15] neg_lo:[0,0,1] neg_hi:[0,0,1]
	v_pk_fma_f32 v[14:15], v[50:51], v[22:23], v[14:15] op_sel_hi:[1,0,1]
	v_add_f32_e32 v8, v28, v71
	v_add_f32_e32 v14, v37, v39
	;; [unrolled: 1-line block ×4, first 2 shown]
	v_mov_b32_e32 v7, v9
	v_add_f32_e32 v9, v8, v79
	v_add_f32_e32 v8, v14, v38
	v_pk_add_f32 v[2:3], v[8:9], v[2:3]
	v_pk_mul_f32 v[72:73], v[52:53], v[24:25] op_sel:[1,1] op_sel_hi:[0,1]
	v_pk_add_f32 v[2:3], v[2:3], v[62:63]
	v_mov_b32_e32 v74, v27
	v_pk_add_f32 v[2:3], v[2:3], v[4:5]
	v_pk_fma_f32 v[16:17], v[52:53], v[24:25], v[72:73] neg_lo:[0,0,1] neg_hi:[0,0,1]
	v_pk_add_f32 v[2:3], v[2:3], v[6:7]
	v_pk_fma_f32 v[20:21], v[52:53], v[24:25], v[72:73] op_sel_hi:[1,0,1]
	v_pk_mul_f32 v[24:25], v[54:55], v[74:75] op_sel:[1,0] op_sel_hi:[0,0]
	v_mov_b32_e32 v13, v15
	v_pk_add_f32 v[2:3], v[2:3], v[10:11]
	v_mov_b32_e32 v78, v31
	v_mov_b32_e32 v17, v21
	v_pk_fma_f32 v[18:19], v[54:55], v[26:27], v[24:25] neg_lo:[0,0,1] neg_hi:[0,0,1]
	v_pk_fma_f32 v[20:21], v[54:55], v[26:27], v[24:25] op_sel_hi:[1,0,1]
	v_pk_add_f32 v[2:3], v[2:3], v[12:13]
	v_pk_mul_f32 v[34:35], v[58:59], v[78:79] op_sel:[1,0] op_sel_hi:[0,0]
	v_mov_b32_e32 v19, v21
	v_pk_add_f32 v[2:3], v[2:3], v[16:17]
	v_mov_b32_e32 v33, v29
	v_pk_fma_f32 v[22:23], v[58:59], v[30:31], v[34:35] neg_lo:[0,0,1] neg_hi:[0,0,1]
	v_pk_fma_f32 v[24:25], v[58:59], v[30:31], v[34:35] op_sel_hi:[1,0,1]
	v_pk_add_f32 v[2:3], v[2:3], v[18:19]
	v_mov_b32_e32 v23, v25
	v_pk_add_f32 v[2:3], v[2:3], v[32:33]
	s_nop 0
	v_pk_add_f32 v[2:3], v[2:3], v[22:23]
	s_waitcnt vmcnt(0)
	v_pk_add_f32 v[2:3], v[60:61], v[2:3] neg_lo:[0,1] neg_hi:[0,1]
	scratch_store_dwordx2 off, v[2:3], off offset:224
	s_and_saveexec_b64 s[0:1], vcc
	s_cbranch_execz .LBB106_217
; %bb.216:
	scratch_load_dwordx2 v[2:3], off, off offset:216
	v_mov_b32_e32 v4, 0
	v_mov_b32_e32 v5, v4
	scratch_store_dwordx2 off, v[4:5], off offset:216
	s_waitcnt vmcnt(1)
	ds_write_b64 v1, v[2:3]
.LBB106_217:
	s_or_b64 exec, exec, s[0:1]
	s_waitcnt lgkmcnt(0)
	; wave barrier
	scratch_load_dwordx4 v[4:7], off, off offset:224
	scratch_load_dwordx4 v[8:11], off, off offset:240
	;; [unrolled: 1-line block ×7, first 2 shown]
	scratch_load_dwordx2 v[60:61], off, off offset:336
	scratch_load_dwordx2 v[62:63], off, off offset:216
	v_mov_b32_e32 v2, 0
	ds_read_b128 v[32:35], v2 offset:576
	ds_read_b128 v[36:39], v2 offset:592
	;; [unrolled: 1-line block ×7, first 2 shown]
	ds_read_b64 v[64:65], v2 offset:688
	v_cmp_lt_u32_e32 vcc, 26, v0
	s_waitcnt vmcnt(8) lgkmcnt(7)
	v_mul_f32_e32 v71, v34, v7
	v_mul_f32_e32 v3, v32, v5
	s_waitcnt vmcnt(7) lgkmcnt(6)
	v_mul_f32_e32 v75, v36, v9
	s_waitcnt vmcnt(6) lgkmcnt(5)
	v_mul_f32_e32 v83, v40, v13
	v_mul_f32_e32 v67, v42, v15
	v_mul_f32_e32 v5, v33, v5
	v_mul_f32_e32 v13, v41, v13
	v_mul_f32_e32 v15, v43, v15
	s_waitcnt vmcnt(5)
	v_mov_b32_e32 v70, v19
	s_waitcnt vmcnt(3) lgkmcnt(2)
	v_pk_mul_f32 v[76:77], v[52:53], v[24:25] op_sel:[1,1] op_sel_hi:[0,1]
	s_waitcnt vmcnt(2) lgkmcnt(1)
	v_pk_mul_f32 v[80:81], v[56:57], v[28:29] op_sel:[1,1] op_sel_hi:[0,1]
	v_fmac_f32_e32 v71, v35, v6
	v_mul_f32_e32 v7, v35, v7
	v_mul_f32_e32 v9, v37, v9
	v_fmac_f32_e32 v3, v33, v4
	v_fmac_f32_e32 v75, v37, v8
	;; [unrolled: 1-line block ×4, first 2 shown]
	v_fma_f32 v32, v32, v4, -v5
	v_fma_f32 v37, v40, v12, -v13
	v_fma_f32 v66, v42, v14, -v15
	v_pk_mul_f32 v[4:5], v[46:47], v[70:71] op_sel:[1,0] op_sel_hi:[0,0]
	v_pk_fma_f32 v[12:13], v[52:53], v[24:25], v[76:77] neg_lo:[0,0,1] neg_hi:[0,0,1]
	v_pk_fma_f32 v[14:15], v[52:53], v[24:25], v[76:77] op_sel_hi:[1,0,1]
	v_pk_fma_f32 v[24:25], v[56:57], v[28:29], v[80:81] op_sel_hi:[1,0,1]
	v_fma_f32 v34, v34, v6, -v7
	v_add_f32_e32 v3, 0, v3
	v_add_f32_e32 v24, 0, v32
	v_pk_fma_f32 v[32:33], v[46:47], v[18:19], v[4:5] neg_lo:[0,0,1] neg_hi:[0,0,1]
	v_pk_fma_f32 v[4:5], v[46:47], v[18:19], v[4:5] op_sel_hi:[1,0,1]
	v_mul_f32_e32 v79, v38, v11
	v_mul_f32_e32 v11, v39, v11
	v_fma_f32 v35, v36, v8, -v9
	v_add_f32_e32 v3, v3, v71
	v_add_f32_e32 v4, v24, v34
	v_fmac_f32_e32 v79, v39, v10
	v_fma_f32 v36, v38, v10, -v11
	v_add_f32_e32 v3, v3, v75
	v_add_f32_e32 v4, v4, v35
	v_add_f32_e32 v3, v3, v79
	v_add_f32_e32 v4, v4, v36
	v_mul_f32_e32 v69, v44, v17
	v_mul_f32_e32 v17, v45, v17
	v_mov_b32_e32 v33, v5
	v_add_f32_e32 v5, v3, v83
	v_add_f32_e32 v4, v4, v37
	v_pk_mul_f32 v[72:73], v[48:49], v[20:21] op_sel:[1,1] op_sel_hi:[0,1]
	v_mov_b32_e32 v74, v23
	v_fmac_f32_e32 v69, v45, v16
	v_fma_f32 v68, v44, v16, -v17
	v_pk_add_f32 v[4:5], v[4:5], v[66:67]
	v_pk_fma_f32 v[6:7], v[48:49], v[20:21], v[72:73] neg_lo:[0,0,1] neg_hi:[0,0,1]
	v_pk_fma_f32 v[8:9], v[48:49], v[20:21], v[72:73] op_sel_hi:[1,0,1]
	v_pk_mul_f32 v[10:11], v[50:51], v[74:75] op_sel:[1,0] op_sel_hi:[0,0]
	v_pk_add_f32 v[4:5], v[4:5], v[68:69]
	v_mov_b32_e32 v78, v27
	v_mov_b32_e32 v7, v9
	v_pk_fma_f32 v[8:9], v[50:51], v[22:23], v[10:11] neg_lo:[0,0,1] neg_hi:[0,0,1]
	v_pk_fma_f32 v[10:11], v[50:51], v[22:23], v[10:11] op_sel_hi:[1,0,1]
	v_pk_add_f32 v[4:5], v[4:5], v[32:33]
	v_pk_mul_f32 v[16:17], v[54:55], v[78:79] op_sel:[1,0] op_sel_hi:[0,0]
	v_mov_b32_e32 v9, v11
	v_pk_add_f32 v[4:5], v[4:5], v[6:7]
	v_mov_b32_e32 v82, v31
	v_mov_b32_e32 v13, v15
	v_pk_fma_f32 v[14:15], v[54:55], v[26:27], v[16:17] neg_lo:[0,0,1] neg_hi:[0,0,1]
	v_pk_fma_f32 v[16:17], v[54:55], v[26:27], v[16:17] op_sel_hi:[1,0,1]
	v_pk_add_f32 v[4:5], v[4:5], v[8:9]
	v_pk_fma_f32 v[20:21], v[56:57], v[28:29], v[80:81] neg_lo:[0,0,1] neg_hi:[0,0,1]
	v_pk_mul_f32 v[28:29], v[58:59], v[82:83] op_sel:[1,0] op_sel_hi:[0,0]
	v_mov_b32_e32 v15, v17
	v_pk_add_f32 v[4:5], v[4:5], v[12:13]
	v_mov_b32_e32 v21, v25
	v_pk_add_f32 v[4:5], v[4:5], v[14:15]
	v_pk_fma_f32 v[6:7], v[58:59], v[30:31], v[28:29] neg_lo:[0,0,1] neg_hi:[0,0,1]
	v_pk_fma_f32 v[8:9], v[58:59], v[30:31], v[28:29] op_sel_hi:[1,0,1]
	v_pk_add_f32 v[4:5], v[4:5], v[20:21]
	v_mov_b32_e32 v7, v9
	v_pk_add_f32 v[4:5], v[4:5], v[6:7]
	s_waitcnt vmcnt(1) lgkmcnt(0)
	v_pk_mul_f32 v[6:7], v[64:65], v[60:61] op_sel:[1,1] op_sel_hi:[0,1]
	v_pk_fma_f32 v[8:9], v[64:65], v[60:61], v[6:7] neg_lo:[0,0,1] neg_hi:[0,0,1]
	v_pk_fma_f32 v[6:7], v[64:65], v[60:61], v[6:7] op_sel_hi:[1,0,1]
	s_nop 0
	v_mov_b32_e32 v9, v7
	v_pk_add_f32 v[4:5], v[4:5], v[8:9]
	s_waitcnt vmcnt(0)
	v_pk_add_f32 v[4:5], v[62:63], v[4:5] neg_lo:[0,1] neg_hi:[0,1]
	scratch_store_dwordx2 off, v[4:5], off offset:216
	s_and_saveexec_b64 s[0:1], vcc
	s_cbranch_execz .LBB106_219
; %bb.218:
	scratch_load_dwordx2 v[4:5], off, off offset:208
	v_mov_b32_e32 v3, v2
	scratch_store_dwordx2 off, v[2:3], off offset:208
	s_waitcnt vmcnt(1)
	ds_write_b64 v1, v[4:5]
.LBB106_219:
	s_or_b64 exec, exec, s[0:1]
	s_waitcnt lgkmcnt(0)
	; wave barrier
	scratch_load_dwordx4 v[8:11], off, off offset:216
	scratch_load_dwordx4 v[16:19], off, off offset:232
	;; [unrolled: 1-line block ×4, first 2 shown]
	ds_read2_b64 v[4:7], v2 offset0:71 offset1:72
	v_cmp_lt_u32_e32 vcc, 25, v0
	s_waitcnt vmcnt(3) lgkmcnt(0)
	v_mul_f32_e32 v3, v4, v9
	v_fmac_f32_e32 v3, v5, v8
	v_mul_f32_e32 v12, v6, v11
	v_add_f32_e32 v3, 0, v3
	v_fmac_f32_e32 v12, v7, v10
	v_add_f32_e32 v3, v3, v12
	ds_read2_b64 v[12:15], v2 offset0:73 offset1:74
	s_waitcnt vmcnt(2) lgkmcnt(0)
	v_mul_f32_e32 v20, v12, v17
	v_fmac_f32_e32 v20, v13, v16
	v_add_f32_e32 v3, v3, v20
	v_mul_f32_e32 v20, v14, v19
	v_fmac_f32_e32 v20, v15, v18
	v_add_f32_e32 v3, v3, v20
	ds_read2_b64 v[20:23], v2 offset0:75 offset1:76
	s_waitcnt vmcnt(1) lgkmcnt(0)
	v_mul_f32_e32 v28, v20, v25
	v_fmac_f32_e32 v28, v21, v24
	v_add_f32_e32 v3, v3, v28
	v_mul_f32_e32 v28, v22, v27
	v_fmac_f32_e32 v28, v23, v26
	v_add_f32_e32 v53, v3, v28
	ds_read2_b64 v[28:31], v2 offset0:77 offset1:78
	scratch_load_dwordx4 v[36:39], off, off offset:280
	scratch_load_dwordx4 v[40:43], off, off offset:296
	scratch_load_dwordx4 v[44:47], off, off offset:312
	scratch_load_dwordx4 v[48:51], off, off offset:328
	v_mul_f32_e32 v3, v5, v9
	v_fma_f32 v3, v4, v8, -v3
	v_mul_f32_e32 v4, v7, v11
	v_add_f32_e32 v3, 0, v3
	v_fma_f32 v4, v6, v10, -v4
	v_add_f32_e32 v3, v3, v4
	v_mul_f32_e32 v4, v13, v17
	v_fma_f32 v4, v12, v16, -v4
	v_add_f32_e32 v3, v3, v4
	v_mul_f32_e32 v4, v15, v19
	;; [unrolled: 3-line block ×4, first 2 shown]
	v_fma_f32 v4, v22, v26, -v4
	v_add_f32_e32 v52, v3, v4
	ds_read2_b64 v[4:7], v2 offset0:79 offset1:80
	ds_read2_b64 v[8:11], v2 offset0:81 offset1:82
	;; [unrolled: 1-line block ×4, first 2 shown]
	s_waitcnt vmcnt(4) lgkmcnt(4)
	v_mul_f32_e32 v55, v28, v33
	v_mul_f32_e32 v3, v29, v33
	v_fmac_f32_e32 v55, v29, v32
	v_mul_f32_e32 v57, v30, v35
	v_fma_f32 v54, v28, v32, -v3
	v_mul_f32_e32 v3, v31, v35
	v_fmac_f32_e32 v57, v31, v34
	v_fma_f32 v56, v30, v34, -v3
	v_pk_add_f32 v[2:3], v[52:53], v[54:55]
	s_waitcnt vmcnt(3) lgkmcnt(3)
	v_pk_mul_f32 v[20:21], v[4:5], v[36:37] op_sel:[1,1] op_sel_hi:[0,1]
	v_pk_fma_f32 v[22:23], v[4:5], v[36:37], v[20:21] neg_lo:[0,0,1] neg_hi:[0,0,1]
	v_pk_fma_f32 v[4:5], v[4:5], v[36:37], v[20:21] op_sel_hi:[1,0,1]
	v_pk_add_f32 v[2:3], v[2:3], v[56:57]
	v_mov_b32_e32 v4, v39
	v_mov_b32_e32 v23, v5
	v_pk_mul_f32 v[4:5], v[6:7], v[4:5] op_sel:[1,0] op_sel_hi:[0,0]
	v_pk_fma_f32 v[20:21], v[6:7], v[38:39], v[4:5] neg_lo:[0,0,1] neg_hi:[0,0,1]
	v_pk_fma_f32 v[4:5], v[6:7], v[38:39], v[4:5] op_sel_hi:[1,0,1]
	v_pk_add_f32 v[2:3], v[2:3], v[22:23]
	v_mov_b32_e32 v21, v5
	s_waitcnt vmcnt(2) lgkmcnt(2)
	v_pk_mul_f32 v[4:5], v[8:9], v[40:41] op_sel:[1,1] op_sel_hi:[0,1]
	v_pk_fma_f32 v[6:7], v[8:9], v[40:41], v[4:5] neg_lo:[0,0,1] neg_hi:[0,0,1]
	v_pk_fma_f32 v[4:5], v[8:9], v[40:41], v[4:5] op_sel_hi:[1,0,1]
	v_pk_add_f32 v[2:3], v[2:3], v[20:21]
	v_mov_b32_e32 v4, v43
	v_mov_b32_e32 v7, v5
	v_pk_mul_f32 v[4:5], v[10:11], v[4:5] op_sel:[1,0] op_sel_hi:[0,0]
	v_pk_add_f32 v[2:3], v[2:3], v[6:7]
	v_pk_fma_f32 v[6:7], v[10:11], v[42:43], v[4:5] neg_lo:[0,0,1] neg_hi:[0,0,1]
	v_pk_fma_f32 v[4:5], v[10:11], v[42:43], v[4:5] op_sel_hi:[1,0,1]
	s_nop 0
	v_mov_b32_e32 v7, v5
	s_waitcnt vmcnt(1) lgkmcnt(1)
	v_pk_mul_f32 v[4:5], v[12:13], v[44:45] op_sel:[1,1] op_sel_hi:[0,1]
	v_pk_add_f32 v[2:3], v[2:3], v[6:7]
	v_pk_fma_f32 v[6:7], v[12:13], v[44:45], v[4:5] neg_lo:[0,0,1] neg_hi:[0,0,1]
	v_pk_fma_f32 v[4:5], v[12:13], v[44:45], v[4:5] op_sel_hi:[1,0,1]
	s_nop 0
	v_mov_b32_e32 v4, v47
	v_mov_b32_e32 v7, v5
	v_pk_mul_f32 v[4:5], v[14:15], v[4:5] op_sel:[1,0] op_sel_hi:[0,0]
	v_pk_add_f32 v[2:3], v[2:3], v[6:7]
	v_pk_fma_f32 v[6:7], v[14:15], v[46:47], v[4:5] neg_lo:[0,0,1] neg_hi:[0,0,1]
	v_pk_fma_f32 v[4:5], v[14:15], v[46:47], v[4:5] op_sel_hi:[1,0,1]
	s_nop 0
	v_mov_b32_e32 v7, v5
	s_waitcnt vmcnt(0) lgkmcnt(0)
	v_pk_mul_f32 v[4:5], v[16:17], v[48:49] op_sel:[1,1] op_sel_hi:[0,1]
	v_pk_add_f32 v[2:3], v[2:3], v[6:7]
	v_pk_fma_f32 v[6:7], v[16:17], v[48:49], v[4:5] neg_lo:[0,0,1] neg_hi:[0,0,1]
	v_pk_fma_f32 v[4:5], v[16:17], v[48:49], v[4:5] op_sel_hi:[1,0,1]
	s_nop 0
	v_mov_b32_e32 v4, v51
	v_mov_b32_e32 v7, v5
	v_pk_mul_f32 v[4:5], v[18:19], v[4:5] op_sel:[1,0] op_sel_hi:[0,0]
	v_pk_add_f32 v[2:3], v[2:3], v[6:7]
	v_pk_fma_f32 v[6:7], v[18:19], v[50:51], v[4:5] neg_lo:[0,0,1] neg_hi:[0,0,1]
	v_pk_fma_f32 v[4:5], v[18:19], v[50:51], v[4:5] op_sel_hi:[1,0,1]
	s_nop 0
	v_mov_b32_e32 v7, v5
	scratch_load_dwordx2 v[4:5], off, off offset:208
	v_pk_add_f32 v[2:3], v[2:3], v[6:7]
	s_waitcnt vmcnt(0)
	v_pk_add_f32 v[2:3], v[4:5], v[2:3] neg_lo:[0,1] neg_hi:[0,1]
	scratch_store_dwordx2 off, v[2:3], off offset:208
	s_and_saveexec_b64 s[0:1], vcc
	s_cbranch_execz .LBB106_221
; %bb.220:
	scratch_load_dwordx2 v[2:3], off, off offset:200
	v_mov_b32_e32 v4, 0
	v_mov_b32_e32 v5, v4
	scratch_store_dwordx2 off, v[4:5], off offset:200
	s_waitcnt vmcnt(1)
	ds_write_b64 v1, v[2:3]
.LBB106_221:
	s_or_b64 exec, exec, s[0:1]
	v_mov_b32_e32 v2, 0
	s_waitcnt lgkmcnt(0)
	; wave barrier
	ds_read_b128 v[4:7], v2 offset:560
	ds_read_b128 v[8:11], v2 offset:576
	;; [unrolled: 1-line block ×4, first 2 shown]
	scratch_load_dwordx4 v[20:23], off, off offset:208
	scratch_load_dwordx4 v[40:43], off, off offset:272
	v_cmp_lt_u32_e32 vcc, 24, v0
	s_waitcnt vmcnt(1) lgkmcnt(3)
	v_mul_f32_e32 v3, v4, v21
	v_fmac_f32_e32 v3, v5, v20
	v_mul_f32_e32 v24, v6, v23
	v_add_f32_e32 v3, 0, v3
	v_fmac_f32_e32 v24, v7, v22
	v_add_f32_e32 v3, v3, v24
	scratch_load_dwordx4 v[24:27], off, off offset:224
	s_waitcnt vmcnt(0) lgkmcnt(2)
	v_mul_f32_e32 v28, v8, v25
	v_fmac_f32_e32 v28, v9, v24
	v_add_f32_e32 v3, v3, v28
	v_mul_f32_e32 v28, v10, v27
	v_fmac_f32_e32 v28, v11, v26
	v_add_f32_e32 v3, v3, v28
	scratch_load_dwordx4 v[28:31], off, off offset:240
	s_waitcnt vmcnt(0) lgkmcnt(1)
	v_mul_f32_e32 v32, v12, v29
	v_fmac_f32_e32 v32, v13, v28
	v_add_f32_e32 v3, v3, v32
	v_mul_f32_e32 v32, v14, v31
	v_fmac_f32_e32 v32, v15, v30
	v_add_f32_e32 v3, v3, v32
	scratch_load_dwordx4 v[32:35], off, off offset:256
	s_waitcnt vmcnt(0) lgkmcnt(0)
	v_mul_f32_e32 v36, v16, v33
	v_fmac_f32_e32 v36, v17, v32
	v_add_f32_e32 v57, v3, v36
	ds_read_b128 v[36:39], v2 offset:624
	scratch_load_dwordx4 v[44:47], off, off offset:288
	scratch_load_dwordx4 v[48:51], off, off offset:304
	;; [unrolled: 1-line block ×3, first 2 shown]
	scratch_load_dwordx2 v[62:63], off, off offset:336
	v_mul_f32_e32 v3, v5, v21
	v_fma_f32 v3, v4, v20, -v3
	v_mul_f32_e32 v4, v7, v23
	v_add_f32_e32 v3, 0, v3
	v_fma_f32 v4, v6, v22, -v4
	v_add_f32_e32 v3, v3, v4
	v_mul_f32_e32 v4, v9, v25
	v_fma_f32 v4, v8, v24, -v4
	v_add_f32_e32 v3, v3, v4
	v_mul_f32_e32 v4, v11, v27
	;; [unrolled: 3-line block ×5, first 2 shown]
	v_fma_f32 v4, v16, v32, -v4
	v_mul_f32_e32 v59, v18, v35
	v_add_f32_e32 v56, v3, v4
	v_mul_f32_e32 v3, v19, v35
	v_mov_b32_e32 v20, v43
	v_fmac_f32_e32 v59, v19, v34
	s_waitcnt lgkmcnt(0)
	v_mul_f32_e32 v61, v36, v41
	v_fma_f32 v58, v18, v34, -v3
	v_mul_f32_e32 v3, v37, v41
	ds_read_b128 v[4:7], v2 offset:640
	ds_read_b128 v[8:11], v2 offset:656
	;; [unrolled: 1-line block ×3, first 2 shown]
	ds_read_b64 v[16:17], v2 offset:688
	v_pk_mul_f32 v[20:21], v[38:39], v[20:21] op_sel:[1,0] op_sel_hi:[0,0]
	v_fmac_f32_e32 v61, v37, v40
	v_fma_f32 v60, v36, v40, -v3
	v_pk_add_f32 v[18:19], v[56:57], v[58:59]
	v_pk_fma_f32 v[22:23], v[38:39], v[42:43], v[20:21] neg_lo:[0,0,1] neg_hi:[0,0,1]
	v_pk_fma_f32 v[20:21], v[38:39], v[42:43], v[20:21] op_sel_hi:[1,0,1]
	v_pk_add_f32 v[18:19], v[18:19], v[60:61]
	v_mov_b32_e32 v23, v21
	v_pk_add_f32 v[18:19], v[18:19], v[22:23]
	s_waitcnt vmcnt(3) lgkmcnt(3)
	v_pk_mul_f32 v[20:21], v[4:5], v[44:45] op_sel:[1,1] op_sel_hi:[0,1]
	v_pk_fma_f32 v[22:23], v[4:5], v[44:45], v[20:21] neg_lo:[0,0,1] neg_hi:[0,0,1]
	v_pk_fma_f32 v[4:5], v[4:5], v[44:45], v[20:21] op_sel_hi:[1,0,1]
	s_nop 0
	v_mov_b32_e32 v23, v5
	v_pk_add_f32 v[4:5], v[18:19], v[22:23]
	v_mov_b32_e32 v18, v47
	v_pk_mul_f32 v[18:19], v[6:7], v[18:19] op_sel:[1,0] op_sel_hi:[0,0]
	v_pk_fma_f32 v[20:21], v[6:7], v[46:47], v[18:19] neg_lo:[0,0,1] neg_hi:[0,0,1]
	v_pk_fma_f32 v[6:7], v[6:7], v[46:47], v[18:19] op_sel_hi:[1,0,1]
	s_nop 0
	v_mov_b32_e32 v21, v7
	s_waitcnt vmcnt(2) lgkmcnt(2)
	v_pk_mul_f32 v[6:7], v[8:9], v[48:49] op_sel:[1,1] op_sel_hi:[0,1]
	v_pk_fma_f32 v[18:19], v[8:9], v[48:49], v[6:7] neg_lo:[0,0,1] neg_hi:[0,0,1]
	v_pk_fma_f32 v[6:7], v[8:9], v[48:49], v[6:7] op_sel_hi:[1,0,1]
	v_pk_add_f32 v[4:5], v[4:5], v[20:21]
	v_mov_b32_e32 v6, v51
	v_mov_b32_e32 v19, v7
	v_pk_mul_f32 v[6:7], v[10:11], v[6:7] op_sel:[1,0] op_sel_hi:[0,0]
	v_pk_fma_f32 v[8:9], v[10:11], v[50:51], v[6:7] neg_lo:[0,0,1] neg_hi:[0,0,1]
	v_pk_fma_f32 v[6:7], v[10:11], v[50:51], v[6:7] op_sel_hi:[1,0,1]
	v_pk_add_f32 v[4:5], v[4:5], v[18:19]
	v_mov_b32_e32 v9, v7
	s_waitcnt vmcnt(1) lgkmcnt(1)
	v_pk_mul_f32 v[6:7], v[12:13], v[52:53] op_sel:[1,1] op_sel_hi:[0,1]
	v_pk_add_f32 v[4:5], v[4:5], v[8:9]
	v_pk_fma_f32 v[8:9], v[12:13], v[52:53], v[6:7] neg_lo:[0,0,1] neg_hi:[0,0,1]
	v_pk_fma_f32 v[6:7], v[12:13], v[52:53], v[6:7] op_sel_hi:[1,0,1]
	s_nop 0
	v_mov_b32_e32 v6, v55
	v_mov_b32_e32 v9, v7
	v_pk_mul_f32 v[6:7], v[14:15], v[6:7] op_sel:[1,0] op_sel_hi:[0,0]
	v_pk_add_f32 v[4:5], v[4:5], v[8:9]
	v_pk_fma_f32 v[8:9], v[14:15], v[54:55], v[6:7] neg_lo:[0,0,1] neg_hi:[0,0,1]
	v_pk_fma_f32 v[6:7], v[14:15], v[54:55], v[6:7] op_sel_hi:[1,0,1]
	s_nop 0
	v_mov_b32_e32 v9, v7
	s_waitcnt vmcnt(0) lgkmcnt(0)
	v_pk_mul_f32 v[6:7], v[16:17], v[62:63] op_sel:[1,1] op_sel_hi:[0,1]
	v_pk_add_f32 v[4:5], v[4:5], v[8:9]
	v_pk_fma_f32 v[8:9], v[16:17], v[62:63], v[6:7] neg_lo:[0,0,1] neg_hi:[0,0,1]
	v_pk_fma_f32 v[6:7], v[16:17], v[62:63], v[6:7] op_sel_hi:[1,0,1]
	s_nop 0
	v_mov_b32_e32 v9, v7
	scratch_load_dwordx2 v[6:7], off, off offset:200
	v_pk_add_f32 v[4:5], v[4:5], v[8:9]
	s_waitcnt vmcnt(0)
	v_pk_add_f32 v[4:5], v[6:7], v[4:5] neg_lo:[0,1] neg_hi:[0,1]
	scratch_store_dwordx2 off, v[4:5], off offset:200
	s_and_saveexec_b64 s[0:1], vcc
	s_cbranch_execz .LBB106_223
; %bb.222:
	scratch_load_dwordx2 v[4:5], off, off offset:192
	v_mov_b32_e32 v3, v2
	scratch_store_dwordx2 off, v[2:3], off offset:192
	s_waitcnt vmcnt(1)
	ds_write_b64 v1, v[4:5]
.LBB106_223:
	s_or_b64 exec, exec, s[0:1]
	s_waitcnt lgkmcnt(0)
	; wave barrier
	scratch_load_dwordx4 v[8:11], off, off offset:200
	scratch_load_dwordx4 v[16:19], off, off offset:216
	;; [unrolled: 1-line block ×4, first 2 shown]
	ds_read2_b64 v[4:7], v2 offset0:69 offset1:70
	scratch_load_dwordx4 v[40:43], off, off offset:264
	v_cmp_lt_u32_e32 vcc, 23, v0
	s_waitcnt vmcnt(4) lgkmcnt(0)
	v_mul_f32_e32 v3, v4, v9
	v_fmac_f32_e32 v3, v5, v8
	v_mul_f32_e32 v12, v6, v11
	v_add_f32_e32 v3, 0, v3
	v_fmac_f32_e32 v12, v7, v10
	v_add_f32_e32 v3, v3, v12
	ds_read2_b64 v[12:15], v2 offset0:71 offset1:72
	s_waitcnt vmcnt(3) lgkmcnt(0)
	v_mul_f32_e32 v20, v12, v17
	v_fmac_f32_e32 v20, v13, v16
	v_add_f32_e32 v3, v3, v20
	v_mul_f32_e32 v20, v14, v19
	v_fmac_f32_e32 v20, v15, v18
	v_add_f32_e32 v3, v3, v20
	ds_read2_b64 v[20:23], v2 offset0:73 offset1:74
	s_waitcnt vmcnt(2) lgkmcnt(0)
	v_mul_f32_e32 v28, v20, v25
	v_fmac_f32_e32 v28, v21, v24
	v_add_f32_e32 v3, v3, v28
	v_mul_f32_e32 v28, v22, v27
	;; [unrolled: 8-line block ×3, first 2 shown]
	v_fmac_f32_e32 v36, v31, v34
	v_add_f32_e32 v61, v3, v36
	ds_read2_b64 v[36:39], v2 offset0:77 offset1:78
	scratch_load_dwordx4 v[44:47], off, off offset:280
	scratch_load_dwordx4 v[48:51], off, off offset:296
	;; [unrolled: 1-line block ×4, first 2 shown]
	v_mul_f32_e32 v3, v5, v9
	v_fma_f32 v3, v4, v8, -v3
	v_mul_f32_e32 v4, v7, v11
	v_add_f32_e32 v3, 0, v3
	v_fma_f32 v4, v6, v10, -v4
	v_add_f32_e32 v3, v3, v4
	v_mul_f32_e32 v4, v13, v17
	v_fma_f32 v4, v12, v16, -v4
	v_add_f32_e32 v3, v3, v4
	v_mul_f32_e32 v4, v15, v19
	;; [unrolled: 3-line block ×6, first 2 shown]
	v_fma_f32 v4, v30, v34, -v4
	v_add_f32_e32 v60, v3, v4
	ds_read2_b64 v[4:7], v2 offset0:79 offset1:80
	ds_read2_b64 v[8:11], v2 offset0:81 offset1:82
	;; [unrolled: 1-line block ×4, first 2 shown]
	s_waitcnt vmcnt(4) lgkmcnt(4)
	v_mul_f32_e32 v63, v36, v41
	v_mul_f32_e32 v3, v37, v41
	v_fmac_f32_e32 v63, v37, v40
	v_mul_f32_e32 v65, v38, v43
	v_fma_f32 v62, v36, v40, -v3
	v_mul_f32_e32 v3, v39, v43
	v_fmac_f32_e32 v65, v39, v42
	v_fma_f32 v64, v38, v42, -v3
	v_pk_add_f32 v[2:3], v[60:61], v[62:63]
	s_waitcnt vmcnt(3) lgkmcnt(3)
	v_pk_mul_f32 v[20:21], v[4:5], v[44:45] op_sel:[1,1] op_sel_hi:[0,1]
	v_pk_fma_f32 v[22:23], v[4:5], v[44:45], v[20:21] neg_lo:[0,0,1] neg_hi:[0,0,1]
	v_pk_fma_f32 v[4:5], v[4:5], v[44:45], v[20:21] op_sel_hi:[1,0,1]
	v_pk_add_f32 v[2:3], v[2:3], v[64:65]
	v_mov_b32_e32 v4, v47
	v_mov_b32_e32 v23, v5
	v_pk_mul_f32 v[4:5], v[6:7], v[4:5] op_sel:[1,0] op_sel_hi:[0,0]
	v_pk_fma_f32 v[20:21], v[6:7], v[46:47], v[4:5] neg_lo:[0,0,1] neg_hi:[0,0,1]
	v_pk_fma_f32 v[4:5], v[6:7], v[46:47], v[4:5] op_sel_hi:[1,0,1]
	v_pk_add_f32 v[2:3], v[2:3], v[22:23]
	v_mov_b32_e32 v21, v5
	s_waitcnt vmcnt(2) lgkmcnt(2)
	v_pk_mul_f32 v[4:5], v[8:9], v[48:49] op_sel:[1,1] op_sel_hi:[0,1]
	v_pk_fma_f32 v[6:7], v[8:9], v[48:49], v[4:5] neg_lo:[0,0,1] neg_hi:[0,0,1]
	v_pk_fma_f32 v[4:5], v[8:9], v[48:49], v[4:5] op_sel_hi:[1,0,1]
	v_pk_add_f32 v[2:3], v[2:3], v[20:21]
	v_mov_b32_e32 v4, v51
	v_mov_b32_e32 v7, v5
	v_pk_mul_f32 v[4:5], v[10:11], v[4:5] op_sel:[1,0] op_sel_hi:[0,0]
	v_pk_add_f32 v[2:3], v[2:3], v[6:7]
	v_pk_fma_f32 v[6:7], v[10:11], v[50:51], v[4:5] neg_lo:[0,0,1] neg_hi:[0,0,1]
	v_pk_fma_f32 v[4:5], v[10:11], v[50:51], v[4:5] op_sel_hi:[1,0,1]
	s_nop 0
	v_mov_b32_e32 v7, v5
	s_waitcnt vmcnt(1) lgkmcnt(1)
	v_pk_mul_f32 v[4:5], v[12:13], v[52:53] op_sel:[1,1] op_sel_hi:[0,1]
	v_pk_add_f32 v[2:3], v[2:3], v[6:7]
	v_pk_fma_f32 v[6:7], v[12:13], v[52:53], v[4:5] neg_lo:[0,0,1] neg_hi:[0,0,1]
	v_pk_fma_f32 v[4:5], v[12:13], v[52:53], v[4:5] op_sel_hi:[1,0,1]
	s_nop 0
	v_mov_b32_e32 v4, v55
	v_mov_b32_e32 v7, v5
	v_pk_mul_f32 v[4:5], v[14:15], v[4:5] op_sel:[1,0] op_sel_hi:[0,0]
	v_pk_add_f32 v[2:3], v[2:3], v[6:7]
	v_pk_fma_f32 v[6:7], v[14:15], v[54:55], v[4:5] neg_lo:[0,0,1] neg_hi:[0,0,1]
	v_pk_fma_f32 v[4:5], v[14:15], v[54:55], v[4:5] op_sel_hi:[1,0,1]
	s_nop 0
	v_mov_b32_e32 v7, v5
	s_waitcnt vmcnt(0) lgkmcnt(0)
	v_pk_mul_f32 v[4:5], v[16:17], v[56:57] op_sel:[1,1] op_sel_hi:[0,1]
	v_pk_add_f32 v[2:3], v[2:3], v[6:7]
	v_pk_fma_f32 v[6:7], v[16:17], v[56:57], v[4:5] neg_lo:[0,0,1] neg_hi:[0,0,1]
	v_pk_fma_f32 v[4:5], v[16:17], v[56:57], v[4:5] op_sel_hi:[1,0,1]
	s_nop 0
	v_mov_b32_e32 v4, v59
	v_mov_b32_e32 v7, v5
	v_pk_mul_f32 v[4:5], v[18:19], v[4:5] op_sel:[1,0] op_sel_hi:[0,0]
	v_pk_add_f32 v[2:3], v[2:3], v[6:7]
	v_pk_fma_f32 v[6:7], v[18:19], v[58:59], v[4:5] neg_lo:[0,0,1] neg_hi:[0,0,1]
	v_pk_fma_f32 v[4:5], v[18:19], v[58:59], v[4:5] op_sel_hi:[1,0,1]
	s_nop 0
	v_mov_b32_e32 v7, v5
	scratch_load_dwordx2 v[4:5], off, off offset:192
	v_pk_add_f32 v[2:3], v[2:3], v[6:7]
	s_waitcnt vmcnt(0)
	v_pk_add_f32 v[2:3], v[4:5], v[2:3] neg_lo:[0,1] neg_hi:[0,1]
	scratch_store_dwordx2 off, v[2:3], off offset:192
	s_and_saveexec_b64 s[0:1], vcc
	s_cbranch_execz .LBB106_225
; %bb.224:
	scratch_load_dwordx2 v[2:3], off, off offset:184
	v_mov_b32_e32 v4, 0
	v_mov_b32_e32 v5, v4
	scratch_store_dwordx2 off, v[4:5], off offset:184
	s_waitcnt vmcnt(1)
	ds_write_b64 v1, v[2:3]
.LBB106_225:
	s_or_b64 exec, exec, s[0:1]
	v_mov_b32_e32 v2, 0
	s_waitcnt lgkmcnt(0)
	; wave barrier
	ds_read_b128 v[4:7], v2 offset:544
	ds_read_b128 v[8:11], v2 offset:560
	;; [unrolled: 1-line block ×4, first 2 shown]
	scratch_load_dwordx4 v[20:23], off, off offset:192
	scratch_load_dwordx4 v[40:43], off, off offset:256
	v_cmp_lt_u32_e32 vcc, 22, v0
	scratch_load_dwordx4 v[48:51], off, off offset:272
	s_waitcnt vmcnt(2) lgkmcnt(3)
	v_mul_f32_e32 v3, v4, v21
	v_fmac_f32_e32 v3, v5, v20
	v_mul_f32_e32 v24, v6, v23
	v_add_f32_e32 v3, 0, v3
	v_fmac_f32_e32 v24, v7, v22
	v_add_f32_e32 v3, v3, v24
	scratch_load_dwordx4 v[24:27], off, off offset:208
	s_waitcnt vmcnt(0) lgkmcnt(2)
	v_mul_f32_e32 v28, v8, v25
	v_fmac_f32_e32 v28, v9, v24
	v_add_f32_e32 v3, v3, v28
	v_mul_f32_e32 v28, v10, v27
	v_fmac_f32_e32 v28, v11, v26
	v_add_f32_e32 v3, v3, v28
	scratch_load_dwordx4 v[28:31], off, off offset:224
	s_waitcnt vmcnt(0) lgkmcnt(1)
	v_mul_f32_e32 v32, v12, v29
	v_fmac_f32_e32 v32, v13, v28
	v_add_f32_e32 v3, v3, v32
	v_mul_f32_e32 v32, v14, v31
	;; [unrolled: 8-line block ×3, first 2 shown]
	v_fmac_f32_e32 v36, v19, v34
	v_add_f32_e32 v3, v3, v36
	ds_read_b128 v[36:39], v2 offset:608
	s_waitcnt lgkmcnt(0)
	v_mul_f32_e32 v44, v36, v41
	v_fmac_f32_e32 v44, v37, v40
	v_add_f32_e32 v65, v3, v44
	ds_read_b128 v[44:47], v2 offset:624
	scratch_load_dwordx4 v[52:55], off, off offset:288
	scratch_load_dwordx4 v[56:59], off, off offset:304
	;; [unrolled: 1-line block ×3, first 2 shown]
	scratch_load_dwordx2 v[70:71], off, off offset:336
	v_mul_f32_e32 v3, v5, v21
	v_fma_f32 v3, v4, v20, -v3
	v_mul_f32_e32 v4, v7, v23
	v_add_f32_e32 v3, 0, v3
	v_fma_f32 v4, v6, v22, -v4
	v_add_f32_e32 v3, v3, v4
	v_mul_f32_e32 v4, v9, v25
	v_fma_f32 v4, v8, v24, -v4
	v_add_f32_e32 v3, v3, v4
	v_mul_f32_e32 v4, v11, v27
	;; [unrolled: 3-line block ×7, first 2 shown]
	v_fma_f32 v4, v36, v40, -v4
	v_mul_f32_e32 v67, v38, v43
	v_add_f32_e32 v64, v3, v4
	v_mul_f32_e32 v3, v39, v43
	v_mov_b32_e32 v20, v51
	v_fmac_f32_e32 v67, v39, v42
	s_waitcnt lgkmcnt(0)
	v_mul_f32_e32 v69, v44, v49
	v_fma_f32 v66, v38, v42, -v3
	v_mul_f32_e32 v3, v45, v49
	ds_read_b128 v[4:7], v2 offset:640
	ds_read_b128 v[8:11], v2 offset:656
	;; [unrolled: 1-line block ×3, first 2 shown]
	ds_read_b64 v[16:17], v2 offset:688
	v_pk_mul_f32 v[20:21], v[46:47], v[20:21] op_sel:[1,0] op_sel_hi:[0,0]
	v_fmac_f32_e32 v69, v45, v48
	v_fma_f32 v68, v44, v48, -v3
	v_pk_add_f32 v[18:19], v[64:65], v[66:67]
	v_pk_fma_f32 v[22:23], v[46:47], v[50:51], v[20:21] neg_lo:[0,0,1] neg_hi:[0,0,1]
	v_pk_fma_f32 v[20:21], v[46:47], v[50:51], v[20:21] op_sel_hi:[1,0,1]
	v_pk_add_f32 v[18:19], v[18:19], v[68:69]
	v_mov_b32_e32 v23, v21
	v_pk_add_f32 v[18:19], v[18:19], v[22:23]
	s_waitcnt vmcnt(3) lgkmcnt(3)
	v_pk_mul_f32 v[20:21], v[4:5], v[52:53] op_sel:[1,1] op_sel_hi:[0,1]
	v_pk_fma_f32 v[22:23], v[4:5], v[52:53], v[20:21] neg_lo:[0,0,1] neg_hi:[0,0,1]
	v_pk_fma_f32 v[4:5], v[4:5], v[52:53], v[20:21] op_sel_hi:[1,0,1]
	s_nop 0
	v_mov_b32_e32 v23, v5
	v_pk_add_f32 v[4:5], v[18:19], v[22:23]
	v_mov_b32_e32 v18, v55
	v_pk_mul_f32 v[18:19], v[6:7], v[18:19] op_sel:[1,0] op_sel_hi:[0,0]
	v_pk_fma_f32 v[20:21], v[6:7], v[54:55], v[18:19] neg_lo:[0,0,1] neg_hi:[0,0,1]
	v_pk_fma_f32 v[6:7], v[6:7], v[54:55], v[18:19] op_sel_hi:[1,0,1]
	s_nop 0
	v_mov_b32_e32 v21, v7
	s_waitcnt vmcnt(2) lgkmcnt(2)
	v_pk_mul_f32 v[6:7], v[8:9], v[56:57] op_sel:[1,1] op_sel_hi:[0,1]
	v_pk_fma_f32 v[18:19], v[8:9], v[56:57], v[6:7] neg_lo:[0,0,1] neg_hi:[0,0,1]
	v_pk_fma_f32 v[6:7], v[8:9], v[56:57], v[6:7] op_sel_hi:[1,0,1]
	v_pk_add_f32 v[4:5], v[4:5], v[20:21]
	v_mov_b32_e32 v6, v59
	v_mov_b32_e32 v19, v7
	v_pk_mul_f32 v[6:7], v[10:11], v[6:7] op_sel:[1,0] op_sel_hi:[0,0]
	v_pk_fma_f32 v[8:9], v[10:11], v[58:59], v[6:7] neg_lo:[0,0,1] neg_hi:[0,0,1]
	v_pk_fma_f32 v[6:7], v[10:11], v[58:59], v[6:7] op_sel_hi:[1,0,1]
	v_pk_add_f32 v[4:5], v[4:5], v[18:19]
	v_mov_b32_e32 v9, v7
	s_waitcnt vmcnt(1) lgkmcnt(1)
	v_pk_mul_f32 v[6:7], v[12:13], v[60:61] op_sel:[1,1] op_sel_hi:[0,1]
	v_pk_add_f32 v[4:5], v[4:5], v[8:9]
	v_pk_fma_f32 v[8:9], v[12:13], v[60:61], v[6:7] neg_lo:[0,0,1] neg_hi:[0,0,1]
	v_pk_fma_f32 v[6:7], v[12:13], v[60:61], v[6:7] op_sel_hi:[1,0,1]
	s_nop 0
	v_mov_b32_e32 v6, v63
	v_mov_b32_e32 v9, v7
	v_pk_mul_f32 v[6:7], v[14:15], v[6:7] op_sel:[1,0] op_sel_hi:[0,0]
	v_pk_add_f32 v[4:5], v[4:5], v[8:9]
	v_pk_fma_f32 v[8:9], v[14:15], v[62:63], v[6:7] neg_lo:[0,0,1] neg_hi:[0,0,1]
	v_pk_fma_f32 v[6:7], v[14:15], v[62:63], v[6:7] op_sel_hi:[1,0,1]
	s_nop 0
	v_mov_b32_e32 v9, v7
	s_waitcnt vmcnt(0) lgkmcnt(0)
	v_pk_mul_f32 v[6:7], v[16:17], v[70:71] op_sel:[1,1] op_sel_hi:[0,1]
	v_pk_add_f32 v[4:5], v[4:5], v[8:9]
	v_pk_fma_f32 v[8:9], v[16:17], v[70:71], v[6:7] neg_lo:[0,0,1] neg_hi:[0,0,1]
	v_pk_fma_f32 v[6:7], v[16:17], v[70:71], v[6:7] op_sel_hi:[1,0,1]
	s_nop 0
	v_mov_b32_e32 v9, v7
	scratch_load_dwordx2 v[6:7], off, off offset:184
	v_pk_add_f32 v[4:5], v[4:5], v[8:9]
	s_waitcnt vmcnt(0)
	v_pk_add_f32 v[4:5], v[6:7], v[4:5] neg_lo:[0,1] neg_hi:[0,1]
	scratch_store_dwordx2 off, v[4:5], off offset:184
	s_and_saveexec_b64 s[0:1], vcc
	s_cbranch_execz .LBB106_227
; %bb.226:
	scratch_load_dwordx2 v[4:5], off, off offset:176
	v_mov_b32_e32 v3, v2
	scratch_store_dwordx2 off, v[2:3], off offset:176
	s_waitcnt vmcnt(1)
	ds_write_b64 v1, v[4:5]
.LBB106_227:
	s_or_b64 exec, exec, s[0:1]
	s_waitcnt lgkmcnt(0)
	; wave barrier
	scratch_load_dwordx4 v[8:11], off, off offset:184
	scratch_load_dwordx4 v[16:19], off, off offset:200
	;; [unrolled: 1-line block ×6, first 2 shown]
	ds_read2_b64 v[4:7], v2 offset0:67 offset1:68
	v_cmp_lt_u32_e32 vcc, 21, v0
	s_waitcnt vmcnt(5) lgkmcnt(0)
	v_mul_f32_e32 v3, v4, v9
	v_fmac_f32_e32 v3, v5, v8
	v_mul_f32_e32 v12, v6, v11
	v_add_f32_e32 v3, 0, v3
	v_fmac_f32_e32 v12, v7, v10
	v_add_f32_e32 v3, v3, v12
	ds_read2_b64 v[12:15], v2 offset0:69 offset1:70
	s_waitcnt vmcnt(4) lgkmcnt(0)
	v_mul_f32_e32 v20, v12, v17
	v_fmac_f32_e32 v20, v13, v16
	v_add_f32_e32 v3, v3, v20
	v_mul_f32_e32 v20, v14, v19
	v_fmac_f32_e32 v20, v15, v18
	v_add_f32_e32 v3, v3, v20
	ds_read2_b64 v[20:23], v2 offset0:71 offset1:72
	s_waitcnt vmcnt(3) lgkmcnt(0)
	v_mul_f32_e32 v28, v20, v25
	v_fmac_f32_e32 v28, v21, v24
	v_add_f32_e32 v3, v3, v28
	v_mul_f32_e32 v28, v22, v27
	;; [unrolled: 8-line block ×4, first 2 shown]
	v_fmac_f32_e32 v44, v39, v42
	v_add_f32_e32 v69, v3, v44
	ds_read2_b64 v[44:47], v2 offset0:77 offset1:78
	scratch_load_dwordx4 v[52:55], off, off offset:280
	scratch_load_dwordx4 v[56:59], off, off offset:296
	;; [unrolled: 1-line block ×4, first 2 shown]
	v_mul_f32_e32 v3, v5, v9
	v_fma_f32 v3, v4, v8, -v3
	v_mul_f32_e32 v4, v7, v11
	v_add_f32_e32 v3, 0, v3
	v_fma_f32 v4, v6, v10, -v4
	v_add_f32_e32 v3, v3, v4
	v_mul_f32_e32 v4, v13, v17
	v_fma_f32 v4, v12, v16, -v4
	v_add_f32_e32 v3, v3, v4
	v_mul_f32_e32 v4, v15, v19
	;; [unrolled: 3-line block ×8, first 2 shown]
	v_fma_f32 v4, v38, v42, -v4
	v_add_f32_e32 v68, v3, v4
	ds_read2_b64 v[4:7], v2 offset0:79 offset1:80
	ds_read2_b64 v[8:11], v2 offset0:81 offset1:82
	;; [unrolled: 1-line block ×4, first 2 shown]
	s_waitcnt vmcnt(4) lgkmcnt(4)
	v_mul_f32_e32 v71, v44, v49
	v_mul_f32_e32 v3, v45, v49
	v_fmac_f32_e32 v71, v45, v48
	v_mul_f32_e32 v73, v46, v51
	v_fma_f32 v70, v44, v48, -v3
	v_mul_f32_e32 v3, v47, v51
	v_fmac_f32_e32 v73, v47, v50
	v_fma_f32 v72, v46, v50, -v3
	v_pk_add_f32 v[2:3], v[68:69], v[70:71]
	s_waitcnt vmcnt(3) lgkmcnt(3)
	v_pk_mul_f32 v[20:21], v[4:5], v[52:53] op_sel:[1,1] op_sel_hi:[0,1]
	v_pk_fma_f32 v[22:23], v[4:5], v[52:53], v[20:21] neg_lo:[0,0,1] neg_hi:[0,0,1]
	v_pk_fma_f32 v[4:5], v[4:5], v[52:53], v[20:21] op_sel_hi:[1,0,1]
	v_pk_add_f32 v[2:3], v[2:3], v[72:73]
	v_mov_b32_e32 v4, v55
	v_mov_b32_e32 v23, v5
	v_pk_mul_f32 v[4:5], v[6:7], v[4:5] op_sel:[1,0] op_sel_hi:[0,0]
	v_pk_fma_f32 v[20:21], v[6:7], v[54:55], v[4:5] neg_lo:[0,0,1] neg_hi:[0,0,1]
	v_pk_fma_f32 v[4:5], v[6:7], v[54:55], v[4:5] op_sel_hi:[1,0,1]
	v_pk_add_f32 v[2:3], v[2:3], v[22:23]
	v_mov_b32_e32 v21, v5
	s_waitcnt vmcnt(2) lgkmcnt(2)
	v_pk_mul_f32 v[4:5], v[8:9], v[56:57] op_sel:[1,1] op_sel_hi:[0,1]
	v_pk_fma_f32 v[6:7], v[8:9], v[56:57], v[4:5] neg_lo:[0,0,1] neg_hi:[0,0,1]
	v_pk_fma_f32 v[4:5], v[8:9], v[56:57], v[4:5] op_sel_hi:[1,0,1]
	v_pk_add_f32 v[2:3], v[2:3], v[20:21]
	v_mov_b32_e32 v4, v59
	v_mov_b32_e32 v7, v5
	v_pk_mul_f32 v[4:5], v[10:11], v[4:5] op_sel:[1,0] op_sel_hi:[0,0]
	v_pk_add_f32 v[2:3], v[2:3], v[6:7]
	v_pk_fma_f32 v[6:7], v[10:11], v[58:59], v[4:5] neg_lo:[0,0,1] neg_hi:[0,0,1]
	v_pk_fma_f32 v[4:5], v[10:11], v[58:59], v[4:5] op_sel_hi:[1,0,1]
	s_nop 0
	v_mov_b32_e32 v7, v5
	s_waitcnt vmcnt(1) lgkmcnt(1)
	v_pk_mul_f32 v[4:5], v[12:13], v[60:61] op_sel:[1,1] op_sel_hi:[0,1]
	v_pk_add_f32 v[2:3], v[2:3], v[6:7]
	v_pk_fma_f32 v[6:7], v[12:13], v[60:61], v[4:5] neg_lo:[0,0,1] neg_hi:[0,0,1]
	v_pk_fma_f32 v[4:5], v[12:13], v[60:61], v[4:5] op_sel_hi:[1,0,1]
	s_nop 0
	v_mov_b32_e32 v4, v63
	v_mov_b32_e32 v7, v5
	v_pk_mul_f32 v[4:5], v[14:15], v[4:5] op_sel:[1,0] op_sel_hi:[0,0]
	v_pk_add_f32 v[2:3], v[2:3], v[6:7]
	v_pk_fma_f32 v[6:7], v[14:15], v[62:63], v[4:5] neg_lo:[0,0,1] neg_hi:[0,0,1]
	v_pk_fma_f32 v[4:5], v[14:15], v[62:63], v[4:5] op_sel_hi:[1,0,1]
	s_nop 0
	v_mov_b32_e32 v7, v5
	s_waitcnt vmcnt(0) lgkmcnt(0)
	v_pk_mul_f32 v[4:5], v[16:17], v[64:65] op_sel:[1,1] op_sel_hi:[0,1]
	v_pk_add_f32 v[2:3], v[2:3], v[6:7]
	v_pk_fma_f32 v[6:7], v[16:17], v[64:65], v[4:5] neg_lo:[0,0,1] neg_hi:[0,0,1]
	v_pk_fma_f32 v[4:5], v[16:17], v[64:65], v[4:5] op_sel_hi:[1,0,1]
	s_nop 0
	v_mov_b32_e32 v4, v67
	v_mov_b32_e32 v7, v5
	v_pk_mul_f32 v[4:5], v[18:19], v[4:5] op_sel:[1,0] op_sel_hi:[0,0]
	v_pk_add_f32 v[2:3], v[2:3], v[6:7]
	v_pk_fma_f32 v[6:7], v[18:19], v[66:67], v[4:5] neg_lo:[0,0,1] neg_hi:[0,0,1]
	v_pk_fma_f32 v[4:5], v[18:19], v[66:67], v[4:5] op_sel_hi:[1,0,1]
	s_nop 0
	v_mov_b32_e32 v7, v5
	scratch_load_dwordx2 v[4:5], off, off offset:176
	v_pk_add_f32 v[2:3], v[2:3], v[6:7]
	s_waitcnt vmcnt(0)
	v_pk_add_f32 v[2:3], v[4:5], v[2:3] neg_lo:[0,1] neg_hi:[0,1]
	scratch_store_dwordx2 off, v[2:3], off offset:176
	s_and_saveexec_b64 s[0:1], vcc
	s_cbranch_execz .LBB106_229
; %bb.228:
	scratch_load_dwordx2 v[2:3], off, off offset:168
	v_mov_b32_e32 v4, 0
	v_mov_b32_e32 v5, v4
	scratch_store_dwordx2 off, v[4:5], off offset:168
	s_waitcnt vmcnt(1)
	ds_write_b64 v1, v[2:3]
.LBB106_229:
	s_or_b64 exec, exec, s[0:1]
	v_mov_b32_e32 v2, 0
	s_waitcnt lgkmcnt(0)
	; wave barrier
	ds_read_b128 v[4:7], v2 offset:528
	ds_read_b128 v[8:11], v2 offset:544
	;; [unrolled: 1-line block ×4, first 2 shown]
	scratch_load_dwordx4 v[20:23], off, off offset:176
	scratch_load_dwordx4 v[40:43], off, off offset:240
	v_cmp_lt_u32_e32 vcc, 20, v0
	scratch_load_dwordx4 v[48:51], off, off offset:256
	scratch_load_dwordx4 v[56:59], off, off offset:272
	s_waitcnt vmcnt(3) lgkmcnt(3)
	v_mul_f32_e32 v3, v4, v21
	v_fmac_f32_e32 v3, v5, v20
	v_mul_f32_e32 v24, v6, v23
	v_add_f32_e32 v3, 0, v3
	v_fmac_f32_e32 v24, v7, v22
	v_add_f32_e32 v3, v3, v24
	scratch_load_dwordx4 v[24:27], off, off offset:192
	s_waitcnt vmcnt(0) lgkmcnt(2)
	v_mul_f32_e32 v28, v8, v25
	v_fmac_f32_e32 v28, v9, v24
	v_add_f32_e32 v3, v3, v28
	v_mul_f32_e32 v28, v10, v27
	v_fmac_f32_e32 v28, v11, v26
	v_add_f32_e32 v3, v3, v28
	scratch_load_dwordx4 v[28:31], off, off offset:208
	s_waitcnt vmcnt(0) lgkmcnt(1)
	v_mul_f32_e32 v32, v12, v29
	v_fmac_f32_e32 v32, v13, v28
	v_add_f32_e32 v3, v3, v32
	v_mul_f32_e32 v32, v14, v31
	;; [unrolled: 8-line block ×3, first 2 shown]
	v_fmac_f32_e32 v36, v19, v34
	v_add_f32_e32 v3, v3, v36
	ds_read_b128 v[36:39], v2 offset:592
	s_waitcnt lgkmcnt(0)
	v_mul_f32_e32 v44, v36, v41
	v_fmac_f32_e32 v44, v37, v40
	v_add_f32_e32 v3, v3, v44
	v_mul_f32_e32 v44, v38, v43
	v_fmac_f32_e32 v44, v39, v42
	v_add_f32_e32 v3, v3, v44
	ds_read_b128 v[44:47], v2 offset:608
	s_waitcnt lgkmcnt(0)
	v_mul_f32_e32 v52, v44, v49
	v_fmac_f32_e32 v52, v45, v48
	v_add_f32_e32 v73, v3, v52
	ds_read_b128 v[52:55], v2 offset:624
	scratch_load_dwordx4 v[60:63], off, off offset:288
	scratch_load_dwordx4 v[64:67], off, off offset:304
	;; [unrolled: 1-line block ×3, first 2 shown]
	scratch_load_dwordx2 v[78:79], off, off offset:336
	v_mul_f32_e32 v3, v5, v21
	v_fma_f32 v3, v4, v20, -v3
	v_mul_f32_e32 v4, v7, v23
	v_add_f32_e32 v3, 0, v3
	v_fma_f32 v4, v6, v22, -v4
	v_add_f32_e32 v3, v3, v4
	v_mul_f32_e32 v4, v9, v25
	v_fma_f32 v4, v8, v24, -v4
	v_add_f32_e32 v3, v3, v4
	v_mul_f32_e32 v4, v11, v27
	;; [unrolled: 3-line block ×9, first 2 shown]
	v_fma_f32 v4, v44, v48, -v4
	v_mul_f32_e32 v75, v46, v51
	v_add_f32_e32 v72, v3, v4
	v_mul_f32_e32 v3, v47, v51
	v_mov_b32_e32 v20, v59
	v_fmac_f32_e32 v75, v47, v50
	s_waitcnt lgkmcnt(0)
	v_mul_f32_e32 v77, v52, v57
	v_fma_f32 v74, v46, v50, -v3
	v_mul_f32_e32 v3, v53, v57
	ds_read_b128 v[4:7], v2 offset:640
	ds_read_b128 v[8:11], v2 offset:656
	;; [unrolled: 1-line block ×3, first 2 shown]
	ds_read_b64 v[16:17], v2 offset:688
	v_pk_mul_f32 v[20:21], v[54:55], v[20:21] op_sel:[1,0] op_sel_hi:[0,0]
	v_fmac_f32_e32 v77, v53, v56
	v_fma_f32 v76, v52, v56, -v3
	v_pk_add_f32 v[18:19], v[72:73], v[74:75]
	v_pk_fma_f32 v[22:23], v[54:55], v[58:59], v[20:21] neg_lo:[0,0,1] neg_hi:[0,0,1]
	v_pk_fma_f32 v[20:21], v[54:55], v[58:59], v[20:21] op_sel_hi:[1,0,1]
	v_pk_add_f32 v[18:19], v[18:19], v[76:77]
	v_mov_b32_e32 v23, v21
	v_pk_add_f32 v[18:19], v[18:19], v[22:23]
	s_waitcnt vmcnt(3) lgkmcnt(3)
	v_pk_mul_f32 v[20:21], v[4:5], v[60:61] op_sel:[1,1] op_sel_hi:[0,1]
	v_pk_fma_f32 v[22:23], v[4:5], v[60:61], v[20:21] neg_lo:[0,0,1] neg_hi:[0,0,1]
	v_pk_fma_f32 v[4:5], v[4:5], v[60:61], v[20:21] op_sel_hi:[1,0,1]
	s_nop 0
	v_mov_b32_e32 v23, v5
	v_pk_add_f32 v[4:5], v[18:19], v[22:23]
	v_mov_b32_e32 v18, v63
	v_pk_mul_f32 v[18:19], v[6:7], v[18:19] op_sel:[1,0] op_sel_hi:[0,0]
	v_pk_fma_f32 v[20:21], v[6:7], v[62:63], v[18:19] neg_lo:[0,0,1] neg_hi:[0,0,1]
	v_pk_fma_f32 v[6:7], v[6:7], v[62:63], v[18:19] op_sel_hi:[1,0,1]
	s_nop 0
	v_mov_b32_e32 v21, v7
	s_waitcnt vmcnt(2) lgkmcnt(2)
	v_pk_mul_f32 v[6:7], v[8:9], v[64:65] op_sel:[1,1] op_sel_hi:[0,1]
	v_pk_fma_f32 v[18:19], v[8:9], v[64:65], v[6:7] neg_lo:[0,0,1] neg_hi:[0,0,1]
	v_pk_fma_f32 v[6:7], v[8:9], v[64:65], v[6:7] op_sel_hi:[1,0,1]
	v_pk_add_f32 v[4:5], v[4:5], v[20:21]
	v_mov_b32_e32 v6, v67
	v_mov_b32_e32 v19, v7
	v_pk_mul_f32 v[6:7], v[10:11], v[6:7] op_sel:[1,0] op_sel_hi:[0,0]
	v_pk_fma_f32 v[8:9], v[10:11], v[66:67], v[6:7] neg_lo:[0,0,1] neg_hi:[0,0,1]
	v_pk_fma_f32 v[6:7], v[10:11], v[66:67], v[6:7] op_sel_hi:[1,0,1]
	v_pk_add_f32 v[4:5], v[4:5], v[18:19]
	v_mov_b32_e32 v9, v7
	s_waitcnt vmcnt(1) lgkmcnt(1)
	v_pk_mul_f32 v[6:7], v[12:13], v[68:69] op_sel:[1,1] op_sel_hi:[0,1]
	v_pk_add_f32 v[4:5], v[4:5], v[8:9]
	v_pk_fma_f32 v[8:9], v[12:13], v[68:69], v[6:7] neg_lo:[0,0,1] neg_hi:[0,0,1]
	v_pk_fma_f32 v[6:7], v[12:13], v[68:69], v[6:7] op_sel_hi:[1,0,1]
	s_nop 0
	v_mov_b32_e32 v6, v71
	v_mov_b32_e32 v9, v7
	v_pk_mul_f32 v[6:7], v[14:15], v[6:7] op_sel:[1,0] op_sel_hi:[0,0]
	v_pk_add_f32 v[4:5], v[4:5], v[8:9]
	v_pk_fma_f32 v[8:9], v[14:15], v[70:71], v[6:7] neg_lo:[0,0,1] neg_hi:[0,0,1]
	v_pk_fma_f32 v[6:7], v[14:15], v[70:71], v[6:7] op_sel_hi:[1,0,1]
	s_nop 0
	v_mov_b32_e32 v9, v7
	s_waitcnt vmcnt(0) lgkmcnt(0)
	v_pk_mul_f32 v[6:7], v[16:17], v[78:79] op_sel:[1,1] op_sel_hi:[0,1]
	v_pk_add_f32 v[4:5], v[4:5], v[8:9]
	v_pk_fma_f32 v[8:9], v[16:17], v[78:79], v[6:7] neg_lo:[0,0,1] neg_hi:[0,0,1]
	v_pk_fma_f32 v[6:7], v[16:17], v[78:79], v[6:7] op_sel_hi:[1,0,1]
	s_nop 0
	v_mov_b32_e32 v9, v7
	scratch_load_dwordx2 v[6:7], off, off offset:168
	v_pk_add_f32 v[4:5], v[4:5], v[8:9]
	s_waitcnt vmcnt(0)
	v_pk_add_f32 v[4:5], v[6:7], v[4:5] neg_lo:[0,1] neg_hi:[0,1]
	scratch_store_dwordx2 off, v[4:5], off offset:168
	s_and_saveexec_b64 s[0:1], vcc
	s_cbranch_execz .LBB106_231
; %bb.230:
	scratch_load_dwordx2 v[4:5], off, off offset:160
	v_mov_b32_e32 v3, v2
	scratch_store_dwordx2 off, v[2:3], off offset:160
	s_waitcnt vmcnt(1)
	ds_write_b64 v1, v[4:5]
.LBB106_231:
	s_or_b64 exec, exec, s[0:1]
	s_waitcnt lgkmcnt(0)
	; wave barrier
	scratch_load_dwordx4 v[8:11], off, off offset:168
	scratch_load_dwordx4 v[16:19], off, off offset:184
	;; [unrolled: 1-line block ×6, first 2 shown]
	ds_read2_b64 v[4:7], v2 offset0:65 offset1:66
	scratch_load_dwordx4 v[56:59], off, off offset:264
	v_cmp_lt_u32_e32 vcc, 19, v0
	s_waitcnt vmcnt(6) lgkmcnt(0)
	v_mul_f32_e32 v3, v4, v9
	v_fmac_f32_e32 v3, v5, v8
	v_mul_f32_e32 v12, v6, v11
	v_add_f32_e32 v3, 0, v3
	v_fmac_f32_e32 v12, v7, v10
	v_add_f32_e32 v3, v3, v12
	ds_read2_b64 v[12:15], v2 offset0:67 offset1:68
	s_waitcnt vmcnt(5) lgkmcnt(0)
	v_mul_f32_e32 v20, v12, v17
	v_fmac_f32_e32 v20, v13, v16
	v_add_f32_e32 v3, v3, v20
	v_mul_f32_e32 v20, v14, v19
	v_fmac_f32_e32 v20, v15, v18
	v_add_f32_e32 v3, v3, v20
	ds_read2_b64 v[20:23], v2 offset0:69 offset1:70
	s_waitcnt vmcnt(4) lgkmcnt(0)
	v_mul_f32_e32 v28, v20, v25
	v_fmac_f32_e32 v28, v21, v24
	v_add_f32_e32 v3, v3, v28
	v_mul_f32_e32 v28, v22, v27
	;; [unrolled: 8-line block ×5, first 2 shown]
	v_fmac_f32_e32 v52, v47, v50
	v_add_f32_e32 v77, v3, v52
	ds_read2_b64 v[52:55], v2 offset0:77 offset1:78
	scratch_load_dwordx4 v[60:63], off, off offset:280
	scratch_load_dwordx4 v[64:67], off, off offset:296
	;; [unrolled: 1-line block ×4, first 2 shown]
	v_mul_f32_e32 v3, v5, v9
	v_fma_f32 v3, v4, v8, -v3
	v_mul_f32_e32 v4, v7, v11
	v_add_f32_e32 v3, 0, v3
	v_fma_f32 v4, v6, v10, -v4
	v_add_f32_e32 v3, v3, v4
	v_mul_f32_e32 v4, v13, v17
	v_fma_f32 v4, v12, v16, -v4
	v_add_f32_e32 v3, v3, v4
	v_mul_f32_e32 v4, v15, v19
	v_fma_f32 v4, v14, v18, -v4
	v_add_f32_e32 v3, v3, v4
	v_mul_f32_e32 v4, v21, v25
	v_fma_f32 v4, v20, v24, -v4
	v_add_f32_e32 v3, v3, v4
	v_mul_f32_e32 v4, v23, v27
	v_fma_f32 v4, v22, v26, -v4
	v_add_f32_e32 v3, v3, v4
	v_mul_f32_e32 v4, v29, v33
	v_fma_f32 v4, v28, v32, -v4
	v_add_f32_e32 v3, v3, v4
	v_mul_f32_e32 v4, v31, v35
	v_fma_f32 v4, v30, v34, -v4
	v_add_f32_e32 v3, v3, v4
	v_mul_f32_e32 v4, v37, v41
	v_fma_f32 v4, v36, v40, -v4
	v_add_f32_e32 v3, v3, v4
	v_mul_f32_e32 v4, v39, v43
	v_fma_f32 v4, v38, v42, -v4
	v_add_f32_e32 v3, v3, v4
	v_mul_f32_e32 v4, v45, v49
	v_fma_f32 v4, v44, v48, -v4
	v_add_f32_e32 v3, v3, v4
	v_mul_f32_e32 v4, v47, v51
	v_fma_f32 v4, v46, v50, -v4
	v_add_f32_e32 v76, v3, v4
	ds_read2_b64 v[4:7], v2 offset0:79 offset1:80
	ds_read2_b64 v[8:11], v2 offset0:81 offset1:82
	;; [unrolled: 1-line block ×4, first 2 shown]
	s_waitcnt vmcnt(4) lgkmcnt(4)
	v_mul_f32_e32 v79, v52, v57
	v_mul_f32_e32 v3, v53, v57
	v_fmac_f32_e32 v79, v53, v56
	v_mul_f32_e32 v81, v54, v59
	v_fma_f32 v78, v52, v56, -v3
	v_mul_f32_e32 v3, v55, v59
	v_fmac_f32_e32 v81, v55, v58
	v_fma_f32 v80, v54, v58, -v3
	v_pk_add_f32 v[2:3], v[76:77], v[78:79]
	s_waitcnt vmcnt(3) lgkmcnt(3)
	v_pk_mul_f32 v[20:21], v[4:5], v[60:61] op_sel:[1,1] op_sel_hi:[0,1]
	v_pk_fma_f32 v[22:23], v[4:5], v[60:61], v[20:21] neg_lo:[0,0,1] neg_hi:[0,0,1]
	v_pk_fma_f32 v[4:5], v[4:5], v[60:61], v[20:21] op_sel_hi:[1,0,1]
	v_pk_add_f32 v[2:3], v[2:3], v[80:81]
	v_mov_b32_e32 v4, v63
	v_mov_b32_e32 v23, v5
	v_pk_mul_f32 v[4:5], v[6:7], v[4:5] op_sel:[1,0] op_sel_hi:[0,0]
	v_pk_fma_f32 v[20:21], v[6:7], v[62:63], v[4:5] neg_lo:[0,0,1] neg_hi:[0,0,1]
	v_pk_fma_f32 v[4:5], v[6:7], v[62:63], v[4:5] op_sel_hi:[1,0,1]
	v_pk_add_f32 v[2:3], v[2:3], v[22:23]
	v_mov_b32_e32 v21, v5
	s_waitcnt vmcnt(2) lgkmcnt(2)
	v_pk_mul_f32 v[4:5], v[8:9], v[64:65] op_sel:[1,1] op_sel_hi:[0,1]
	v_pk_fma_f32 v[6:7], v[8:9], v[64:65], v[4:5] neg_lo:[0,0,1] neg_hi:[0,0,1]
	v_pk_fma_f32 v[4:5], v[8:9], v[64:65], v[4:5] op_sel_hi:[1,0,1]
	v_pk_add_f32 v[2:3], v[2:3], v[20:21]
	v_mov_b32_e32 v4, v67
	v_mov_b32_e32 v7, v5
	v_pk_mul_f32 v[4:5], v[10:11], v[4:5] op_sel:[1,0] op_sel_hi:[0,0]
	v_pk_add_f32 v[2:3], v[2:3], v[6:7]
	v_pk_fma_f32 v[6:7], v[10:11], v[66:67], v[4:5] neg_lo:[0,0,1] neg_hi:[0,0,1]
	v_pk_fma_f32 v[4:5], v[10:11], v[66:67], v[4:5] op_sel_hi:[1,0,1]
	s_nop 0
	v_mov_b32_e32 v7, v5
	s_waitcnt vmcnt(1) lgkmcnt(1)
	v_pk_mul_f32 v[4:5], v[12:13], v[68:69] op_sel:[1,1] op_sel_hi:[0,1]
	v_pk_add_f32 v[2:3], v[2:3], v[6:7]
	v_pk_fma_f32 v[6:7], v[12:13], v[68:69], v[4:5] neg_lo:[0,0,1] neg_hi:[0,0,1]
	v_pk_fma_f32 v[4:5], v[12:13], v[68:69], v[4:5] op_sel_hi:[1,0,1]
	s_nop 0
	v_mov_b32_e32 v4, v71
	v_mov_b32_e32 v7, v5
	v_pk_mul_f32 v[4:5], v[14:15], v[4:5] op_sel:[1,0] op_sel_hi:[0,0]
	v_pk_add_f32 v[2:3], v[2:3], v[6:7]
	v_pk_fma_f32 v[6:7], v[14:15], v[70:71], v[4:5] neg_lo:[0,0,1] neg_hi:[0,0,1]
	v_pk_fma_f32 v[4:5], v[14:15], v[70:71], v[4:5] op_sel_hi:[1,0,1]
	s_nop 0
	v_mov_b32_e32 v7, v5
	s_waitcnt vmcnt(0) lgkmcnt(0)
	v_pk_mul_f32 v[4:5], v[16:17], v[72:73] op_sel:[1,1] op_sel_hi:[0,1]
	v_pk_add_f32 v[2:3], v[2:3], v[6:7]
	v_pk_fma_f32 v[6:7], v[16:17], v[72:73], v[4:5] neg_lo:[0,0,1] neg_hi:[0,0,1]
	v_pk_fma_f32 v[4:5], v[16:17], v[72:73], v[4:5] op_sel_hi:[1,0,1]
	s_nop 0
	v_mov_b32_e32 v4, v75
	v_mov_b32_e32 v7, v5
	v_pk_mul_f32 v[4:5], v[18:19], v[4:5] op_sel:[1,0] op_sel_hi:[0,0]
	v_pk_add_f32 v[2:3], v[2:3], v[6:7]
	v_pk_fma_f32 v[6:7], v[18:19], v[74:75], v[4:5] neg_lo:[0,0,1] neg_hi:[0,0,1]
	v_pk_fma_f32 v[4:5], v[18:19], v[74:75], v[4:5] op_sel_hi:[1,0,1]
	s_nop 0
	v_mov_b32_e32 v7, v5
	scratch_load_dwordx2 v[4:5], off, off offset:160
	v_pk_add_f32 v[2:3], v[2:3], v[6:7]
	s_waitcnt vmcnt(0)
	v_pk_add_f32 v[2:3], v[4:5], v[2:3] neg_lo:[0,1] neg_hi:[0,1]
	scratch_store_dwordx2 off, v[2:3], off offset:160
	s_and_saveexec_b64 s[0:1], vcc
	s_cbranch_execz .LBB106_233
; %bb.232:
	scratch_load_dwordx2 v[2:3], off, off offset:152
	v_mov_b32_e32 v4, 0
	v_mov_b32_e32 v5, v4
	scratch_store_dwordx2 off, v[4:5], off offset:152
	s_waitcnt vmcnt(1)
	ds_write_b64 v1, v[2:3]
.LBB106_233:
	s_or_b64 exec, exec, s[0:1]
	s_waitcnt lgkmcnt(0)
	; wave barrier
	scratch_load_dwordx4 v[6:9], off, off offset:160
	scratch_load_dwordx4 v[14:17], off, off offset:176
	;; [unrolled: 1-line block ×11, first 2 shown]
	scratch_load_dwordx2 v[22:23], off, off offset:336
	scratch_load_dwordx2 v[36:37], off, off offset:152
	v_mov_b32_e32 v38, 0
	ds_read_b128 v[52:55], v38 offset:512
	ds_read_b128 v[56:59], v38 offset:528
	;; [unrolled: 1-line block ×8, first 2 shown]
	v_cmp_lt_u32_e32 vcc, 18, v0
	s_waitcnt vmcnt(12) lgkmcnt(7)
	v_mul_f32_e32 v39, v52, v7
	v_mul_f32_e32 v84, v54, v9
	;; [unrolled: 1-line block ×3, first 2 shown]
	v_fmac_f32_e32 v39, v53, v6
	s_waitcnt vmcnt(8) lgkmcnt(3)
	v_mul_f32_e32 v93, v68, v19
	v_mul_f32_e32 v19, v69, v19
	;; [unrolled: 1-line block ×4, first 2 shown]
	v_fmac_f32_e32 v84, v55, v8
	v_fmac_f32_e32 v93, v69, v18
	v_fma_f32 v6, v52, v6, -v7
	v_fma_f32 v18, v68, v18, -v19
	v_add_f32_e32 v19, 0, v39
	v_mul_f32_e32 v88, v58, v17
	v_fmac_f32_e32 v86, v57, v14
	v_fma_f32 v7, v54, v8, -v9
	v_add_f32_e32 v6, 0, v6
	v_add_f32_e32 v19, v19, v84
	v_mul_f32_e32 v89, v60, v25
	v_fmac_f32_e32 v88, v59, v16
	v_add_f32_e32 v6, v6, v7
	v_add_f32_e32 v7, v19, v86
	v_mul_f32_e32 v90, v62, v27
	v_fmac_f32_e32 v89, v61, v24
	v_add_f32_e32 v7, v7, v88
	v_mul_f32_e32 v91, v64, v29
	v_mul_f32_e32 v15, v57, v15
	v_fmac_f32_e32 v90, v63, v26
	v_add_f32_e32 v7, v7, v89
	v_mul_f32_e32 v92, v66, v31
	v_mul_f32_e32 v17, v59, v17
	v_fmac_f32_e32 v91, v65, v28
	v_fma_f32 v8, v56, v14, -v15
	v_add_f32_e32 v7, v7, v90
	v_mul_f32_e32 v25, v61, v25
	v_fmac_f32_e32 v92, v67, v30
	v_fma_f32 v9, v58, v16, -v17
	v_add_f32_e32 v6, v6, v8
	v_add_f32_e32 v7, v7, v91
	v_mul_f32_e32 v94, v70, v21
	v_mul_f32_e32 v27, v63, v27
	v_fma_f32 v14, v60, v24, -v25
	v_add_f32_e32 v6, v6, v9
	v_add_f32_e32 v7, v7, v92
	s_waitcnt vmcnt(7) lgkmcnt(2)
	v_mul_f32_e32 v95, v72, v33
	v_mul_f32_e32 v29, v65, v29
	v_fmac_f32_e32 v94, v71, v20
	v_fma_f32 v15, v62, v26, -v27
	v_add_f32_e32 v6, v6, v14
	v_add_f32_e32 v7, v7, v93
	v_mul_f32_e32 v96, v74, v35
	v_mul_f32_e32 v31, v67, v31
	v_fmac_f32_e32 v95, v73, v32
	v_fma_f32 v16, v64, v28, -v29
	v_add_f32_e32 v6, v6, v15
	v_add_f32_e32 v7, v7, v94
	s_waitcnt vmcnt(6) lgkmcnt(1)
	v_mul_f32_e32 v97, v76, v41
	v_fmac_f32_e32 v96, v75, v34
	v_fma_f32 v17, v66, v30, -v31
	v_add_f32_e32 v6, v6, v16
	v_add_f32_e32 v7, v7, v95
	v_mul_f32_e32 v21, v71, v21
	v_fmac_f32_e32 v97, v77, v40
	v_add_f32_e32 v6, v6, v17
	v_add_f32_e32 v7, v7, v96
	;; [unrolled: 1-line block ×4, first 2 shown]
	v_fma_f32 v7, v70, v20, -v21
	v_add_f32_e32 v6, v6, v7
	v_mul_f32_e32 v7, v73, v33
	v_fma_f32 v7, v72, v32, -v7
	v_add_f32_e32 v6, v6, v7
	v_mul_f32_e32 v7, v75, v35
	;; [unrolled: 3-line block ×4, first 2 shown]
	v_mul_f32_e32 v85, v78, v43
	v_fma_f32 v84, v78, v42, -v6
	s_waitcnt vmcnt(5) lgkmcnt(0)
	v_mul_f32_e32 v6, v81, v45
	v_mov_b32_e32 v28, v47
	v_mul_f32_e32 v87, v80, v45
	v_fmac_f32_e32 v85, v79, v42
	v_fma_f32 v86, v80, v44, -v6
	ds_read_b128 v[6:9], v38 offset:640
	ds_read_b128 v[14:17], v38 offset:656
	;; [unrolled: 1-line block ×3, first 2 shown]
	ds_read_b64 v[26:27], v38 offset:688
	v_pk_mul_f32 v[28:29], v[82:83], v[28:29] op_sel:[1,0] op_sel_hi:[0,0]
	v_fmac_f32_e32 v87, v81, v44
	v_pk_add_f32 v[24:25], v[24:25], v[84:85]
	v_pk_fma_f32 v[30:31], v[82:83], v[46:47], v[28:29] neg_lo:[0,0,1] neg_hi:[0,0,1]
	v_pk_fma_f32 v[28:29], v[82:83], v[46:47], v[28:29] op_sel_hi:[1,0,1]
	v_pk_add_f32 v[24:25], v[24:25], v[86:87]
	v_mov_b32_e32 v31, v29
	s_waitcnt vmcnt(4) lgkmcnt(3)
	v_pk_mul_f32 v[28:29], v[6:7], v[48:49] op_sel:[1,1] op_sel_hi:[0,1]
	v_pk_add_f32 v[24:25], v[24:25], v[30:31]
	v_pk_fma_f32 v[30:31], v[6:7], v[48:49], v[28:29] neg_lo:[0,0,1] neg_hi:[0,0,1]
	v_pk_fma_f32 v[6:7], v[6:7], v[48:49], v[28:29] op_sel_hi:[1,0,1]
	s_nop 0
	v_mov_b32_e32 v31, v7
	v_pk_add_f32 v[6:7], v[24:25], v[30:31]
	v_mov_b32_e32 v24, v51
	v_pk_mul_f32 v[24:25], v[8:9], v[24:25] op_sel:[1,0] op_sel_hi:[0,0]
	v_pk_fma_f32 v[28:29], v[8:9], v[50:51], v[24:25] neg_lo:[0,0,1] neg_hi:[0,0,1]
	v_pk_fma_f32 v[8:9], v[8:9], v[50:51], v[24:25] op_sel_hi:[1,0,1]
	s_nop 0
	v_mov_b32_e32 v29, v9
	s_waitcnt vmcnt(3) lgkmcnt(2)
	v_pk_mul_f32 v[8:9], v[14:15], v[10:11] op_sel:[1,1] op_sel_hi:[0,1]
	v_pk_fma_f32 v[24:25], v[14:15], v[10:11], v[8:9] neg_lo:[0,0,1] neg_hi:[0,0,1]
	v_pk_fma_f32 v[8:9], v[14:15], v[10:11], v[8:9] op_sel_hi:[1,0,1]
	v_pk_add_f32 v[6:7], v[6:7], v[28:29]
	v_mov_b32_e32 v8, v13
	v_mov_b32_e32 v25, v9
	v_pk_mul_f32 v[8:9], v[16:17], v[8:9] op_sel:[1,0] op_sel_hi:[0,0]
	v_pk_fma_f32 v[10:11], v[16:17], v[12:13], v[8:9] neg_lo:[0,0,1] neg_hi:[0,0,1]
	v_pk_fma_f32 v[8:9], v[16:17], v[12:13], v[8:9] op_sel_hi:[1,0,1]
	v_pk_add_f32 v[6:7], v[6:7], v[24:25]
	v_mov_b32_e32 v11, v9
	s_waitcnt vmcnt(2) lgkmcnt(1)
	v_pk_mul_f32 v[8:9], v[18:19], v[2:3] op_sel:[1,1] op_sel_hi:[0,1]
	v_pk_add_f32 v[6:7], v[6:7], v[10:11]
	v_pk_fma_f32 v[10:11], v[18:19], v[2:3], v[8:9] neg_lo:[0,0,1] neg_hi:[0,0,1]
	v_pk_fma_f32 v[2:3], v[18:19], v[2:3], v[8:9] op_sel_hi:[1,0,1]
	s_nop 0
	v_mov_b32_e32 v11, v3
	v_pk_add_f32 v[2:3], v[6:7], v[10:11]
	v_mov_b32_e32 v6, v5
	v_pk_mul_f32 v[6:7], v[20:21], v[6:7] op_sel:[1,0] op_sel_hi:[0,0]
	v_pk_fma_f32 v[8:9], v[20:21], v[4:5], v[6:7] neg_lo:[0,0,1] neg_hi:[0,0,1]
	v_pk_fma_f32 v[4:5], v[20:21], v[4:5], v[6:7] op_sel_hi:[1,0,1]
	s_nop 0
	v_mov_b32_e32 v9, v5
	s_waitcnt vmcnt(1) lgkmcnt(0)
	v_pk_mul_f32 v[4:5], v[26:27], v[22:23] op_sel:[1,1] op_sel_hi:[0,1]
	v_pk_fma_f32 v[6:7], v[26:27], v[22:23], v[4:5] neg_lo:[0,0,1] neg_hi:[0,0,1]
	v_pk_fma_f32 v[4:5], v[26:27], v[22:23], v[4:5] op_sel_hi:[1,0,1]
	v_pk_add_f32 v[2:3], v[2:3], v[8:9]
	v_mov_b32_e32 v7, v5
	v_pk_add_f32 v[2:3], v[2:3], v[6:7]
	s_waitcnt vmcnt(0)
	v_pk_add_f32 v[2:3], v[36:37], v[2:3] neg_lo:[0,1] neg_hi:[0,1]
	scratch_store_dwordx2 off, v[2:3], off offset:152
	s_and_saveexec_b64 s[0:1], vcc
	s_cbranch_execz .LBB106_235
; %bb.234:
	scratch_load_dwordx2 v[2:3], off, off offset:144
	v_mov_b32_e32 v39, v38
	scratch_store_dwordx2 off, v[38:39], off offset:144
	s_waitcnt vmcnt(1)
	ds_write_b64 v1, v[2:3]
.LBB106_235:
	s_or_b64 exec, exec, s[0:1]
	s_waitcnt lgkmcnt(0)
	; wave barrier
	scratch_load_dwordx4 v[2:5], off, off offset:152
	scratch_load_dwordx4 v[14:17], off, off offset:168
	;; [unrolled: 1-line block ×8, first 2 shown]
	ds_read2_b64 v[48:51], v38 offset0:63 offset1:64
	ds_read2_b64 v[52:55], v38 offset0:65 offset1:66
	;; [unrolled: 1-line block ×8, first 2 shown]
	scratch_load_dwordx4 v[80:83], off, off offset:280
	scratch_load_dwordx4 v[26:29], off, off offset:296
	;; [unrolled: 1-line block ×4, first 2 shown]
	scratch_load_dwordx2 v[84:85], off, off offset:144
	v_cmp_lt_u32_e32 vcc, 17, v0
	s_waitcnt vmcnt(12) lgkmcnt(7)
	v_mul_f32_e32 v39, v48, v3
	v_mul_f32_e32 v86, v50, v5
	;; [unrolled: 1-line block ×3, first 2 shown]
	v_fmac_f32_e32 v39, v49, v2
	s_waitcnt vmcnt(8) lgkmcnt(3)
	v_mul_f32_e32 v95, v64, v19
	v_mul_f32_e32 v19, v65, v19
	;; [unrolled: 1-line block ×4, first 2 shown]
	v_fmac_f32_e32 v86, v51, v4
	v_fmac_f32_e32 v95, v65, v18
	v_fma_f32 v2, v48, v2, -v3
	v_fma_f32 v18, v64, v18, -v19
	v_add_f32_e32 v19, 0, v39
	v_mul_f32_e32 v90, v54, v17
	v_fmac_f32_e32 v88, v53, v14
	v_fma_f32 v3, v50, v4, -v5
	v_add_f32_e32 v2, 0, v2
	v_add_f32_e32 v19, v19, v86
	v_mul_f32_e32 v91, v56, v31
	v_fmac_f32_e32 v90, v55, v16
	v_add_f32_e32 v2, v2, v3
	v_add_f32_e32 v3, v19, v88
	v_mul_f32_e32 v92, v58, v33
	v_fmac_f32_e32 v91, v57, v30
	v_add_f32_e32 v3, v3, v90
	v_mul_f32_e32 v93, v60, v41
	v_fmac_f32_e32 v92, v59, v32
	;; [unrolled: 3-line block ×4, first 2 shown]
	v_add_f32_e32 v3, v3, v93
	v_mul_f32_e32 v96, v66, v21
	v_mul_f32_e32 v17, v55, v17
	v_fma_f32 v4, v52, v14, -v15
	v_add_f32_e32 v3, v3, v94
	s_waitcnt vmcnt(7) lgkmcnt(2)
	v_mul_f32_e32 v97, v68, v23
	v_mul_f32_e32 v31, v57, v31
	v_fmac_f32_e32 v96, v67, v20
	v_fma_f32 v5, v54, v16, -v17
	v_add_f32_e32 v2, v2, v4
	v_add_f32_e32 v3, v3, v95
	v_mul_f32_e32 v98, v70, v25
	v_mul_f32_e32 v33, v59, v33
	v_fmac_f32_e32 v97, v69, v22
	v_fma_f32 v14, v56, v30, -v31
	v_add_f32_e32 v2, v2, v5
	v_add_f32_e32 v3, v3, v96
	s_waitcnt vmcnt(6) lgkmcnt(1)
	v_mul_f32_e32 v99, v72, v35
	v_mul_f32_e32 v41, v61, v41
	v_fmac_f32_e32 v98, v71, v24
	v_fma_f32 v15, v58, v32, -v33
	v_add_f32_e32 v2, v2, v14
	v_add_f32_e32 v3, v3, v97
	v_mul_f32_e32 v100, v74, v37
	v_mul_f32_e32 v43, v63, v43
	v_fmac_f32_e32 v99, v73, v34
	v_fma_f32 v16, v60, v40, -v41
	v_add_f32_e32 v2, v2, v15
	v_add_f32_e32 v3, v3, v98
	v_fmac_f32_e32 v100, v75, v36
	v_fma_f32 v17, v62, v42, -v43
	v_add_f32_e32 v2, v2, v16
	v_add_f32_e32 v3, v3, v99
	v_add_f32_e32 v2, v2, v17
	v_add_f32_e32 v31, v3, v100
	v_mul_f32_e32 v3, v67, v21
	v_add_f32_e32 v2, v2, v18
	v_fma_f32 v3, v66, v20, -v3
	v_add_f32_e32 v2, v2, v3
	v_mul_f32_e32 v3, v69, v23
	v_fma_f32 v3, v68, v22, -v3
	v_add_f32_e32 v2, v2, v3
	v_mul_f32_e32 v3, v71, v25
	;; [unrolled: 3-line block ×4, first 2 shown]
	v_fma_f32 v3, v74, v36, -v3
	v_add_f32_e32 v30, v2, v3
	s_waitcnt vmcnt(5) lgkmcnt(0)
	v_mul_f32_e32 v2, v77, v45
	v_fma_f32 v86, v76, v44, -v2
	v_mul_f32_e32 v2, v79, v47
	v_fma_f32 v88, v78, v46, -v2
	ds_read2_b64 v[2:5], v38 offset0:79 offset1:80
	ds_read2_b64 v[14:17], v38 offset0:81 offset1:82
	;; [unrolled: 1-line block ×4, first 2 shown]
	v_mul_f32_e32 v87, v76, v45
	v_mul_f32_e32 v89, v78, v47
	v_fmac_f32_e32 v87, v77, v44
	s_waitcnt vmcnt(4) lgkmcnt(3)
	v_pk_mul_f32 v[32:33], v[2:3], v[80:81] op_sel:[1,1] op_sel_hi:[0,1]
	v_fmac_f32_e32 v89, v79, v46
	v_pk_add_f32 v[30:31], v[30:31], v[86:87]
	v_pk_fma_f32 v[34:35], v[2:3], v[80:81], v[32:33] neg_lo:[0,0,1] neg_hi:[0,0,1]
	v_pk_fma_f32 v[2:3], v[2:3], v[80:81], v[32:33] op_sel_hi:[1,0,1]
	v_pk_add_f32 v[30:31], v[30:31], v[88:89]
	v_mov_b32_e32 v35, v3
	v_pk_add_f32 v[2:3], v[30:31], v[34:35]
	v_mov_b32_e32 v30, v83
	v_pk_mul_f32 v[30:31], v[4:5], v[30:31] op_sel:[1,0] op_sel_hi:[0,0]
	v_pk_fma_f32 v[32:33], v[4:5], v[82:83], v[30:31] neg_lo:[0,0,1] neg_hi:[0,0,1]
	v_pk_fma_f32 v[4:5], v[4:5], v[82:83], v[30:31] op_sel_hi:[1,0,1]
	s_nop 0
	v_mov_b32_e32 v33, v5
	s_waitcnt vmcnt(3) lgkmcnt(2)
	v_pk_mul_f32 v[4:5], v[14:15], v[26:27] op_sel:[1,1] op_sel_hi:[0,1]
	v_pk_fma_f32 v[30:31], v[14:15], v[26:27], v[4:5] neg_lo:[0,0,1] neg_hi:[0,0,1]
	v_pk_fma_f32 v[4:5], v[14:15], v[26:27], v[4:5] op_sel_hi:[1,0,1]
	v_pk_add_f32 v[2:3], v[2:3], v[32:33]
	v_mov_b32_e32 v4, v29
	v_mov_b32_e32 v31, v5
	v_pk_mul_f32 v[4:5], v[16:17], v[4:5] op_sel:[1,0] op_sel_hi:[0,0]
	v_pk_fma_f32 v[14:15], v[16:17], v[28:29], v[4:5] neg_lo:[0,0,1] neg_hi:[0,0,1]
	v_pk_fma_f32 v[4:5], v[16:17], v[28:29], v[4:5] op_sel_hi:[1,0,1]
	v_pk_add_f32 v[2:3], v[2:3], v[30:31]
	v_mov_b32_e32 v15, v5
	s_waitcnt vmcnt(2) lgkmcnt(1)
	v_pk_mul_f32 v[4:5], v[18:19], v[10:11] op_sel:[1,1] op_sel_hi:[0,1]
	v_pk_add_f32 v[2:3], v[2:3], v[14:15]
	v_pk_fma_f32 v[14:15], v[18:19], v[10:11], v[4:5] neg_lo:[0,0,1] neg_hi:[0,0,1]
	v_pk_fma_f32 v[4:5], v[18:19], v[10:11], v[4:5] op_sel_hi:[1,0,1]
	s_nop 0
	v_mov_b32_e32 v4, v13
	v_mov_b32_e32 v15, v5
	v_pk_mul_f32 v[4:5], v[20:21], v[4:5] op_sel:[1,0] op_sel_hi:[0,0]
	v_pk_fma_f32 v[10:11], v[20:21], v[12:13], v[4:5] neg_lo:[0,0,1] neg_hi:[0,0,1]
	v_pk_fma_f32 v[4:5], v[20:21], v[12:13], v[4:5] op_sel_hi:[1,0,1]
	v_pk_add_f32 v[2:3], v[2:3], v[14:15]
	v_mov_b32_e32 v11, v5
	s_waitcnt vmcnt(1) lgkmcnt(0)
	v_pk_mul_f32 v[4:5], v[22:23], v[6:7] op_sel:[1,1] op_sel_hi:[0,1]
	v_pk_add_f32 v[2:3], v[2:3], v[10:11]
	v_pk_fma_f32 v[10:11], v[22:23], v[6:7], v[4:5] neg_lo:[0,0,1] neg_hi:[0,0,1]
	v_pk_fma_f32 v[4:5], v[22:23], v[6:7], v[4:5] op_sel_hi:[1,0,1]
	s_nop 0
	v_mov_b32_e32 v4, v9
	v_mov_b32_e32 v11, v5
	v_pk_mul_f32 v[4:5], v[24:25], v[4:5] op_sel:[1,0] op_sel_hi:[0,0]
	v_pk_fma_f32 v[6:7], v[24:25], v[8:9], v[4:5] neg_lo:[0,0,1] neg_hi:[0,0,1]
	v_pk_fma_f32 v[4:5], v[24:25], v[8:9], v[4:5] op_sel_hi:[1,0,1]
	v_pk_add_f32 v[2:3], v[2:3], v[10:11]
	v_mov_b32_e32 v7, v5
	v_pk_add_f32 v[2:3], v[2:3], v[6:7]
	s_waitcnt vmcnt(0)
	v_pk_add_f32 v[2:3], v[84:85], v[2:3] neg_lo:[0,1] neg_hi:[0,1]
	scratch_store_dwordx2 off, v[2:3], off offset:144
	s_and_saveexec_b64 s[0:1], vcc
	s_cbranch_execz .LBB106_237
; %bb.236:
	scratch_load_dwordx2 v[2:3], off, off offset:136
	v_mov_b32_e32 v4, 0
	v_mov_b32_e32 v5, v4
	scratch_store_dwordx2 off, v[4:5], off offset:136
	s_waitcnt vmcnt(1)
	ds_write_b64 v1, v[2:3]
.LBB106_237:
	s_or_b64 exec, exec, s[0:1]
	s_waitcnt lgkmcnt(0)
	; wave barrier
	scratch_load_dwordx4 v[10:13], off, off offset:144
	scratch_load_dwordx4 v[26:29], off, off offset:160
	;; [unrolled: 1-line block ×12, first 2 shown]
	scratch_load_dwordx2 v[50:51], off, off offset:336
	scratch_load_dwordx2 v[56:57], off, off offset:136
	v_mov_b32_e32 v58, 0
	ds_read_b128 v[52:55], v58 offset:496
	ds_read_b128 v[60:63], v58 offset:512
	;; [unrolled: 1-line block ×10, first 2 shown]
	v_cmp_lt_u32_e32 vcc, 16, v0
	s_waitcnt vmcnt(13) lgkmcnt(9)
	v_mul_f32_e32 v59, v52, v11
	v_mul_f32_e32 v96, v54, v13
	v_fmac_f32_e32 v59, v53, v10
	s_waitcnt vmcnt(10) lgkmcnt(6)
	v_mul_f32_e32 v103, v68, v7
	v_mul_f32_e32 v7, v69, v7
	;; [unrolled: 1-line block ×3, first 2 shown]
	v_fmac_f32_e32 v96, v55, v12
	v_fmac_f32_e32 v103, v69, v6
	v_fma_f32 v6, v68, v6, -v7
	v_add_f32_e32 v7, 0, v59
	v_mul_f32_e32 v100, v62, v29
	v_fmac_f32_e32 v98, v61, v26
	v_add_f32_e32 v7, v7, v96
	v_mul_f32_e32 v101, v64, v39
	v_fmac_f32_e32 v100, v63, v28
	;; [unrolled: 3-line block ×3, first 2 shown]
	v_add_f32_e32 v7, v7, v100
	v_fmac_f32_e32 v102, v67, v40
	v_add_f32_e32 v7, v7, v101
	v_mul_f32_e32 v104, v70, v9
	v_add_f32_e32 v7, v7, v102
	s_waitcnt vmcnt(9) lgkmcnt(5)
	v_mul_f32_e32 v105, v72, v15
	v_fmac_f32_e32 v104, v71, v8
	v_add_f32_e32 v7, v7, v103
	v_mul_f32_e32 v106, v74, v17
	v_mul_f32_e32 v11, v53, v11
	v_fmac_f32_e32 v105, v73, v14
	v_add_f32_e32 v7, v7, v104
	s_waitcnt vmcnt(8) lgkmcnt(4)
	v_mul_f32_e32 v107, v76, v23
	v_mul_f32_e32 v13, v55, v13
	v_fmac_f32_e32 v106, v75, v16
	v_fma_f32 v10, v52, v10, -v11
	v_add_f32_e32 v7, v7, v105
	v_mul_f32_e32 v108, v78, v25
	v_mul_f32_e32 v27, v61, v27
	v_fmac_f32_e32 v107, v77, v22
	v_fma_f32 v11, v54, v12, -v13
	v_add_f32_e32 v10, 0, v10
	v_add_f32_e32 v7, v7, v106
	s_waitcnt vmcnt(7) lgkmcnt(3)
	v_mul_f32_e32 v109, v80, v31
	v_mul_f32_e32 v29, v63, v29
	v_fmac_f32_e32 v108, v79, v24
	v_fma_f32 v12, v60, v26, -v27
	v_add_f32_e32 v10, v10, v11
	v_add_f32_e32 v7, v7, v107
	v_mul_f32_e32 v110, v82, v33
	v_mul_f32_e32 v39, v65, v39
	v_fmac_f32_e32 v109, v81, v30
	v_fma_f32 v13, v62, v28, -v29
	v_add_f32_e32 v10, v10, v12
	v_add_f32_e32 v7, v7, v108
	s_waitcnt vmcnt(6) lgkmcnt(2)
	v_mul_f32_e32 v111, v84, v43
	v_mul_f32_e32 v41, v67, v41
	v_fmac_f32_e32 v110, v83, v32
	v_fma_f32 v26, v64, v38, -v39
	v_add_f32_e32 v10, v10, v13
	v_add_f32_e32 v7, v7, v109
	v_fmac_f32_e32 v111, v85, v42
	v_fma_f32 v27, v66, v40, -v41
	v_add_f32_e32 v10, v10, v26
	v_add_f32_e32 v7, v7, v110
	;; [unrolled: 1-line block ×4, first 2 shown]
	v_mul_f32_e32 v7, v71, v9
	v_add_f32_e32 v6, v10, v6
	v_fma_f32 v7, v70, v8, -v7
	v_add_f32_e32 v6, v6, v7
	v_mul_f32_e32 v7, v73, v15
	v_fma_f32 v7, v72, v14, -v7
	v_add_f32_e32 v6, v6, v7
	v_mul_f32_e32 v7, v75, v17
	;; [unrolled: 3-line block ×7, first 2 shown]
	v_fma_f32 v7, v84, v42, -v7
	v_mul_f32_e32 v97, v86, v45
	v_add_f32_e32 v26, v6, v7
	v_mul_f32_e32 v6, v87, v45
	s_waitcnt vmcnt(5)
	v_mov_b32_e32 v22, v49
	s_waitcnt lgkmcnt(1)
	v_mul_f32_e32 v99, v88, v47
	v_fmac_f32_e32 v97, v87, v44
	v_fma_f32 v96, v86, v44, -v6
	v_mul_f32_e32 v6, v89, v47
	v_pk_mul_f32 v[22:23], v[90:91], v[22:23] op_sel:[1,0] op_sel_hi:[0,0]
	v_fmac_f32_e32 v99, v89, v46
	v_fma_f32 v98, v88, v46, -v6
	v_pk_add_f32 v[16:17], v[26:27], v[96:97]
	v_pk_fma_f32 v[24:25], v[90:91], v[48:49], v[22:23] neg_lo:[0,0,1] neg_hi:[0,0,1]
	v_pk_fma_f32 v[22:23], v[90:91], v[48:49], v[22:23] op_sel_hi:[1,0,1]
	v_pk_add_f32 v[16:17], v[16:17], v[98:99]
	v_mov_b32_e32 v25, v23
	s_waitcnt vmcnt(4) lgkmcnt(0)
	v_pk_mul_f32 v[22:23], v[92:93], v[34:35] op_sel:[1,1] op_sel_hi:[0,1]
	v_pk_add_f32 v[16:17], v[16:17], v[24:25]
	v_pk_fma_f32 v[24:25], v[92:93], v[34:35], v[22:23] neg_lo:[0,0,1] neg_hi:[0,0,1]
	v_pk_fma_f32 v[22:23], v[92:93], v[34:35], v[22:23] op_sel_hi:[1,0,1]
	ds_read_b128 v[6:9], v58 offset:656
	ds_read_b128 v[10:13], v58 offset:672
	ds_read_b64 v[14:15], v58 offset:688
	v_mov_b32_e32 v22, v37
	v_mov_b32_e32 v25, v23
	v_pk_mul_f32 v[22:23], v[94:95], v[22:23] op_sel:[1,0] op_sel_hi:[0,0]
	v_pk_add_f32 v[16:17], v[16:17], v[24:25]
	v_pk_fma_f32 v[24:25], v[94:95], v[36:37], v[22:23] neg_lo:[0,0,1] neg_hi:[0,0,1]
	v_pk_fma_f32 v[22:23], v[94:95], v[36:37], v[22:23] op_sel_hi:[1,0,1]
	s_nop 0
	v_mov_b32_e32 v25, v23
	s_waitcnt vmcnt(3) lgkmcnt(2)
	v_pk_mul_f32 v[22:23], v[6:7], v[18:19] op_sel:[1,1] op_sel_hi:[0,1]
	v_pk_add_f32 v[16:17], v[16:17], v[24:25]
	v_pk_fma_f32 v[24:25], v[6:7], v[18:19], v[22:23] neg_lo:[0,0,1] neg_hi:[0,0,1]
	v_pk_fma_f32 v[6:7], v[6:7], v[18:19], v[22:23] op_sel_hi:[1,0,1]
	s_nop 0
	v_mov_b32_e32 v25, v7
	v_pk_add_f32 v[6:7], v[16:17], v[24:25]
	v_mov_b32_e32 v16, v21
	v_pk_mul_f32 v[16:17], v[8:9], v[16:17] op_sel:[1,0] op_sel_hi:[0,0]
	v_pk_fma_f32 v[18:19], v[8:9], v[20:21], v[16:17] neg_lo:[0,0,1] neg_hi:[0,0,1]
	v_pk_fma_f32 v[8:9], v[8:9], v[20:21], v[16:17] op_sel_hi:[1,0,1]
	s_nop 0
	v_mov_b32_e32 v19, v9
	s_waitcnt vmcnt(2) lgkmcnt(1)
	v_pk_mul_f32 v[8:9], v[10:11], v[2:3] op_sel:[1,1] op_sel_hi:[0,1]
	v_pk_fma_f32 v[16:17], v[10:11], v[2:3], v[8:9] neg_lo:[0,0,1] neg_hi:[0,0,1]
	v_pk_fma_f32 v[2:3], v[10:11], v[2:3], v[8:9] op_sel_hi:[1,0,1]
	v_pk_add_f32 v[6:7], v[6:7], v[18:19]
	v_mov_b32_e32 v17, v3
	v_pk_add_f32 v[2:3], v[6:7], v[16:17]
	v_mov_b32_e32 v6, v5
	v_pk_mul_f32 v[6:7], v[12:13], v[6:7] op_sel:[1,0] op_sel_hi:[0,0]
	v_pk_fma_f32 v[8:9], v[12:13], v[4:5], v[6:7] neg_lo:[0,0,1] neg_hi:[0,0,1]
	v_pk_fma_f32 v[4:5], v[12:13], v[4:5], v[6:7] op_sel_hi:[1,0,1]
	s_nop 0
	v_mov_b32_e32 v9, v5
	s_waitcnt vmcnt(1) lgkmcnt(0)
	v_pk_mul_f32 v[4:5], v[14:15], v[50:51] op_sel:[1,1] op_sel_hi:[0,1]
	v_pk_fma_f32 v[6:7], v[14:15], v[50:51], v[4:5] neg_lo:[0,0,1] neg_hi:[0,0,1]
	v_pk_fma_f32 v[4:5], v[14:15], v[50:51], v[4:5] op_sel_hi:[1,0,1]
	v_pk_add_f32 v[2:3], v[2:3], v[8:9]
	v_mov_b32_e32 v7, v5
	v_pk_add_f32 v[2:3], v[2:3], v[6:7]
	s_waitcnt vmcnt(0)
	v_pk_add_f32 v[2:3], v[56:57], v[2:3] neg_lo:[0,1] neg_hi:[0,1]
	scratch_store_dwordx2 off, v[2:3], off offset:136
	s_and_saveexec_b64 s[0:1], vcc
	s_cbranch_execz .LBB106_239
; %bb.238:
	scratch_load_dwordx2 v[2:3], off, off offset:128
	v_mov_b32_e32 v59, v58
	scratch_store_dwordx2 off, v[58:59], off offset:128
	s_waitcnt vmcnt(1)
	ds_write_b64 v1, v[2:3]
.LBB106_239:
	s_or_b64 exec, exec, s[0:1]
	s_waitcnt lgkmcnt(0)
	; wave barrier
	scratch_load_dwordx4 v[2:5], off, off offset:136
	scratch_load_dwordx4 v[18:21], off, off offset:152
	;; [unrolled: 1-line block ×9, first 2 shown]
	ds_read2_b64 v[60:63], v58 offset0:61 offset1:62
	ds_read2_b64 v[64:67], v58 offset0:63 offset1:64
	;; [unrolled: 1-line block ×8, first 2 shown]
	scratch_load_dwordx4 v[50:53], off, off offset:280
	scratch_load_dwordx4 v[34:37], off, off offset:296
	;; [unrolled: 1-line block ×4, first 2 shown]
	ds_read2_b64 v[88:91], v58 offset0:77 offset1:78
	ds_read2_b64 v[92:95], v58 offset0:79 offset1:80
	scratch_load_dwordx2 v[96:97], off, off offset:128
	v_cmp_lt_u32_e32 vcc, 15, v0
	s_waitcnt vmcnt(13) lgkmcnt(9)
	v_mul_f32_e32 v59, v60, v3
	v_mul_f32_e32 v98, v62, v5
	;; [unrolled: 1-line block ×3, first 2 shown]
	s_waitcnt vmcnt(10) lgkmcnt(6)
	v_mul_f32_e32 v105, v72, v7
	v_mul_f32_e32 v7, v73, v7
	v_fmac_f32_e32 v59, v61, v2
	v_mul_f32_e32 v100, v64, v19
	v_mul_f32_e32 v5, v63, v5
	v_fmac_f32_e32 v98, v63, v4
	v_fmac_f32_e32 v105, v73, v6
	v_fma_f32 v2, v60, v2, -v3
	v_fma_f32 v6, v72, v6, -v7
	v_add_f32_e32 v7, 0, v59
	v_mul_f32_e32 v102, v66, v21
	v_fmac_f32_e32 v100, v65, v18
	v_fma_f32 v3, v62, v4, -v5
	v_add_f32_e32 v2, 0, v2
	v_add_f32_e32 v7, v7, v98
	v_mul_f32_e32 v103, v68, v39
	v_fmac_f32_e32 v102, v67, v20
	v_add_f32_e32 v2, v2, v3
	v_add_f32_e32 v3, v7, v100
	v_mul_f32_e32 v104, v70, v41
	v_fmac_f32_e32 v103, v69, v38
	v_add_f32_e32 v3, v3, v102
	v_fmac_f32_e32 v104, v71, v40
	v_add_f32_e32 v3, v3, v103
	v_mul_f32_e32 v106, v74, v9
	v_add_f32_e32 v3, v3, v104
	s_waitcnt vmcnt(9) lgkmcnt(5)
	v_mul_f32_e32 v107, v76, v15
	v_fmac_f32_e32 v106, v75, v8
	v_add_f32_e32 v3, v3, v105
	v_mul_f32_e32 v108, v78, v17
	v_fmac_f32_e32 v107, v77, v14
	v_add_f32_e32 v3, v3, v106
	s_waitcnt vmcnt(8) lgkmcnt(4)
	v_mul_f32_e32 v109, v80, v23
	v_fmac_f32_e32 v108, v79, v16
	v_add_f32_e32 v3, v3, v107
	v_mul_f32_e32 v110, v82, v25
	v_fmac_f32_e32 v109, v81, v22
	v_add_f32_e32 v3, v3, v108
	s_waitcnt vmcnt(7) lgkmcnt(3)
	v_mul_f32_e32 v111, v84, v31
	v_mul_f32_e32 v19, v65, v19
	v_fmac_f32_e32 v110, v83, v24
	v_add_f32_e32 v3, v3, v109
	v_mul_f32_e32 v112, v86, v33
	v_mul_f32_e32 v21, v67, v21
	v_fmac_f32_e32 v111, v85, v30
	v_fma_f32 v4, v64, v18, -v19
	v_add_f32_e32 v3, v3, v110
	s_waitcnt vmcnt(6) lgkmcnt(2)
	v_mul_f32_e32 v113, v54, v43
	v_mul_f32_e32 v39, v69, v39
	v_fmac_f32_e32 v112, v87, v32
	v_fma_f32 v5, v66, v20, -v21
	v_add_f32_e32 v2, v2, v4
	v_add_f32_e32 v3, v3, v111
	v_mul_f32_e32 v114, v56, v45
	v_mul_f32_e32 v41, v71, v41
	v_fmac_f32_e32 v113, v55, v42
	v_fma_f32 v18, v68, v38, -v39
	v_add_f32_e32 v2, v2, v5
	v_add_f32_e32 v3, v3, v112
	v_fmac_f32_e32 v114, v57, v44
	v_fma_f32 v19, v70, v40, -v41
	v_add_f32_e32 v2, v2, v18
	v_add_f32_e32 v3, v3, v113
	;; [unrolled: 1-line block ×4, first 2 shown]
	v_mul_f32_e32 v3, v75, v9
	v_add_f32_e32 v2, v2, v6
	v_fma_f32 v3, v74, v8, -v3
	v_add_f32_e32 v2, v2, v3
	v_mul_f32_e32 v3, v77, v15
	v_fma_f32 v3, v76, v14, -v3
	v_add_f32_e32 v2, v2, v3
	v_mul_f32_e32 v3, v79, v17
	;; [unrolled: 3-line block ×8, first 2 shown]
	v_fma_f32 v3, v56, v44, -v3
	s_waitcnt vmcnt(5) lgkmcnt(1)
	v_mul_f32_e32 v99, v88, v47
	v_add_f32_e32 v18, v2, v3
	v_mul_f32_e32 v2, v89, v47
	s_waitcnt vmcnt(4) lgkmcnt(0)
	v_pk_mul_f32 v[20:21], v[92:93], v[50:51] op_sel:[1,1] op_sel_hi:[0,1]
	v_mul_f32_e32 v101, v90, v49
	v_fmac_f32_e32 v99, v89, v46
	v_fma_f32 v98, v88, v46, -v2
	v_mul_f32_e32 v2, v91, v49
	v_pk_fma_f32 v[22:23], v[92:93], v[50:51], v[20:21] neg_lo:[0,0,1] neg_hi:[0,0,1]
	v_pk_fma_f32 v[20:21], v[92:93], v[50:51], v[20:21] op_sel_hi:[1,0,1]
	v_fmac_f32_e32 v101, v91, v48
	v_fma_f32 v100, v90, v48, -v2
	ds_read2_b64 v[2:5], v58 offset0:81 offset1:82
	ds_read2_b64 v[6:9], v58 offset0:83 offset1:84
	;; [unrolled: 1-line block ×3, first 2 shown]
	v_pk_add_f32 v[18:19], v[18:19], v[98:99]
	v_mov_b32_e32 v20, v53
	v_pk_add_f32 v[18:19], v[18:19], v[100:101]
	v_mov_b32_e32 v23, v21
	v_pk_mul_f32 v[20:21], v[94:95], v[20:21] op_sel:[1,0] op_sel_hi:[0,0]
	v_pk_add_f32 v[18:19], v[18:19], v[22:23]
	v_pk_fma_f32 v[22:23], v[94:95], v[52:53], v[20:21] neg_lo:[0,0,1] neg_hi:[0,0,1]
	v_pk_fma_f32 v[20:21], v[94:95], v[52:53], v[20:21] op_sel_hi:[1,0,1]
	s_nop 0
	v_mov_b32_e32 v23, v21
	s_waitcnt vmcnt(3) lgkmcnt(2)
	v_pk_mul_f32 v[20:21], v[2:3], v[34:35] op_sel:[1,1] op_sel_hi:[0,1]
	v_pk_add_f32 v[18:19], v[18:19], v[22:23]
	v_pk_fma_f32 v[22:23], v[2:3], v[34:35], v[20:21] neg_lo:[0,0,1] neg_hi:[0,0,1]
	v_pk_fma_f32 v[2:3], v[2:3], v[34:35], v[20:21] op_sel_hi:[1,0,1]
	s_nop 0
	v_mov_b32_e32 v23, v3
	v_pk_add_f32 v[2:3], v[18:19], v[22:23]
	v_mov_b32_e32 v18, v37
	v_pk_mul_f32 v[18:19], v[4:5], v[18:19] op_sel:[1,0] op_sel_hi:[0,0]
	v_pk_fma_f32 v[20:21], v[4:5], v[36:37], v[18:19] neg_lo:[0,0,1] neg_hi:[0,0,1]
	v_pk_fma_f32 v[4:5], v[4:5], v[36:37], v[18:19] op_sel_hi:[1,0,1]
	s_nop 0
	v_mov_b32_e32 v21, v5
	s_waitcnt vmcnt(2) lgkmcnt(1)
	v_pk_mul_f32 v[4:5], v[6:7], v[26:27] op_sel:[1,1] op_sel_hi:[0,1]
	v_pk_fma_f32 v[18:19], v[6:7], v[26:27], v[4:5] neg_lo:[0,0,1] neg_hi:[0,0,1]
	v_pk_fma_f32 v[4:5], v[6:7], v[26:27], v[4:5] op_sel_hi:[1,0,1]
	v_pk_add_f32 v[2:3], v[2:3], v[20:21]
	v_mov_b32_e32 v4, v29
	v_mov_b32_e32 v19, v5
	v_pk_mul_f32 v[4:5], v[8:9], v[4:5] op_sel:[1,0] op_sel_hi:[0,0]
	v_pk_fma_f32 v[6:7], v[8:9], v[28:29], v[4:5] neg_lo:[0,0,1] neg_hi:[0,0,1]
	v_pk_fma_f32 v[4:5], v[8:9], v[28:29], v[4:5] op_sel_hi:[1,0,1]
	v_pk_add_f32 v[2:3], v[2:3], v[18:19]
	v_mov_b32_e32 v7, v5
	s_waitcnt vmcnt(1) lgkmcnt(0)
	v_pk_mul_f32 v[4:5], v[14:15], v[10:11] op_sel:[1,1] op_sel_hi:[0,1]
	v_pk_add_f32 v[2:3], v[2:3], v[6:7]
	v_pk_fma_f32 v[6:7], v[14:15], v[10:11], v[4:5] neg_lo:[0,0,1] neg_hi:[0,0,1]
	v_pk_fma_f32 v[4:5], v[14:15], v[10:11], v[4:5] op_sel_hi:[1,0,1]
	s_nop 0
	v_mov_b32_e32 v4, v13
	v_mov_b32_e32 v7, v5
	v_pk_mul_f32 v[4:5], v[16:17], v[4:5] op_sel:[1,0] op_sel_hi:[0,0]
	v_pk_add_f32 v[2:3], v[2:3], v[6:7]
	v_pk_fma_f32 v[6:7], v[16:17], v[12:13], v[4:5] neg_lo:[0,0,1] neg_hi:[0,0,1]
	v_pk_fma_f32 v[4:5], v[16:17], v[12:13], v[4:5] op_sel_hi:[1,0,1]
	s_nop 0
	v_mov_b32_e32 v7, v5
	v_pk_add_f32 v[2:3], v[2:3], v[6:7]
	s_waitcnt vmcnt(0)
	v_pk_add_f32 v[2:3], v[96:97], v[2:3] neg_lo:[0,1] neg_hi:[0,1]
	scratch_store_dwordx2 off, v[2:3], off offset:128
	s_and_saveexec_b64 s[0:1], vcc
	s_cbranch_execz .LBB106_241
; %bb.240:
	scratch_load_dwordx2 v[2:3], off, off offset:120
	v_mov_b32_e32 v4, 0
	v_mov_b32_e32 v5, v4
	scratch_store_dwordx2 off, v[4:5], off offset:120
	s_waitcnt vmcnt(1)
	ds_write_b64 v1, v[2:3]
.LBB106_241:
	s_or_b64 exec, exec, s[0:1]
	s_waitcnt lgkmcnt(0)
	; wave barrier
	scratch_load_dwordx4 v[18:21], off, off offset:128
	scratch_load_dwordx4 v[30:33], off, off offset:144
	;; [unrolled: 1-line block ×13, first 2 shown]
	scratch_load_dwordx2 v[54:55], off, off offset:336
	scratch_load_dwordx2 v[80:81], off, off offset:120
	v_mov_b32_e32 v82, 0
	ds_read_b128 v[56:59], v82 offset:480
	ds_read_b128 v[60:63], v82 offset:496
	;; [unrolled: 1-line block ×10, first 2 shown]
	v_cmp_lt_u32_e32 vcc, 14, v0
	s_waitcnt vmcnt(14) lgkmcnt(9)
	v_mul_f32_e32 v83, v56, v19
	v_mul_f32_e32 v100, v58, v21
	s_waitcnt vmcnt(12) lgkmcnt(7)
	v_mul_f32_e32 v105, v64, v3
	v_mul_f32_e32 v3, v65, v3
	v_fmac_f32_e32 v83, v57, v18
	v_mul_f32_e32 v102, v60, v31
	v_fmac_f32_e32 v100, v59, v20
	v_fmac_f32_e32 v105, v65, v2
	v_fma_f32 v2, v64, v2, -v3
	v_add_f32_e32 v3, 0, v83
	v_mul_f32_e32 v104, v62, v33
	v_fmac_f32_e32 v102, v61, v30
	v_add_f32_e32 v3, v3, v100
	v_fmac_f32_e32 v104, v63, v32
	v_add_f32_e32 v3, v3, v102
	v_mul_f32_e32 v106, v66, v5
	v_add_f32_e32 v3, v3, v104
	s_waitcnt vmcnt(11) lgkmcnt(6)
	v_mul_f32_e32 v107, v68, v7
	v_fmac_f32_e32 v106, v67, v4
	v_add_f32_e32 v3, v3, v105
	v_mul_f32_e32 v108, v70, v9
	v_fmac_f32_e32 v107, v69, v6
	v_add_f32_e32 v3, v3, v106
	s_waitcnt vmcnt(10) lgkmcnt(5)
	v_mul_f32_e32 v109, v72, v15
	v_fmac_f32_e32 v108, v71, v8
	v_add_f32_e32 v3, v3, v107
	v_mul_f32_e32 v110, v74, v17
	v_fmac_f32_e32 v109, v73, v14
	;; [unrolled: 7-line block ×3, first 2 shown]
	v_add_f32_e32 v3, v3, v110
	s_waitcnt vmcnt(8) lgkmcnt(3)
	v_mul_f32_e32 v113, v84, v35
	v_mul_f32_e32 v19, v57, v19
	v_fmac_f32_e32 v112, v79, v24
	v_add_f32_e32 v3, v3, v111
	v_mul_f32_e32 v114, v86, v37
	v_mul_f32_e32 v21, v59, v21
	v_fmac_f32_e32 v113, v85, v34
	v_fma_f32 v18, v56, v18, -v19
	v_add_f32_e32 v3, v3, v112
	s_waitcnt vmcnt(7) lgkmcnt(2)
	v_mul_f32_e32 v115, v88, v39
	v_mul_f32_e32 v31, v61, v31
	v_fmac_f32_e32 v114, v87, v36
	v_fma_f32 v19, v58, v20, -v21
	v_add_f32_e32 v18, 0, v18
	v_add_f32_e32 v3, v3, v113
	v_mul_f32_e32 v116, v90, v41
	v_mul_f32_e32 v33, v63, v33
	v_fmac_f32_e32 v115, v89, v38
	v_fma_f32 v20, v60, v30, -v31
	v_add_f32_e32 v18, v18, v19
	v_add_f32_e32 v3, v3, v114
	s_waitcnt vmcnt(6) lgkmcnt(1)
	v_mul_f32_e32 v117, v92, v51
	v_fmac_f32_e32 v116, v91, v40
	v_fma_f32 v21, v62, v32, -v33
	v_add_f32_e32 v18, v18, v20
	v_add_f32_e32 v3, v3, v115
	v_mul_f32_e32 v5, v67, v5
	v_fmac_f32_e32 v117, v93, v50
	v_add_f32_e32 v18, v18, v21
	v_add_f32_e32 v3, v3, v116
	;; [unrolled: 1-line block ×4, first 2 shown]
	v_fma_f32 v3, v66, v4, -v5
	v_add_f32_e32 v2, v2, v3
	v_mul_f32_e32 v3, v69, v7
	v_fma_f32 v3, v68, v6, -v3
	v_add_f32_e32 v2, v2, v3
	v_mul_f32_e32 v3, v71, v9
	;; [unrolled: 3-line block ×12, first 2 shown]
	v_mul_f32_e32 v101, v94, v53
	v_fma_f32 v100, v94, v52, -v2
	s_waitcnt vmcnt(5) lgkmcnt(0)
	v_mul_f32_e32 v2, v97, v47
	v_mov_b32_e32 v22, v49
	v_mul_f32_e32 v103, v96, v47
	v_fmac_f32_e32 v101, v95, v52
	v_fma_f32 v102, v96, v46, -v2
	ds_read_b128 v[2:5], v82 offset:640
	ds_read_b128 v[6:9], v82 offset:656
	ds_read_b128 v[14:17], v82 offset:672
	ds_read_b64 v[20:21], v82 offset:688
	v_pk_mul_f32 v[22:23], v[98:99], v[22:23] op_sel:[1,0] op_sel_hi:[0,0]
	v_fmac_f32_e32 v103, v97, v46
	v_pk_add_f32 v[18:19], v[18:19], v[100:101]
	v_pk_fma_f32 v[24:25], v[98:99], v[48:49], v[22:23] neg_lo:[0,0,1] neg_hi:[0,0,1]
	v_pk_fma_f32 v[22:23], v[98:99], v[48:49], v[22:23] op_sel_hi:[1,0,1]
	v_pk_add_f32 v[18:19], v[18:19], v[102:103]
	v_mov_b32_e32 v25, v23
	s_waitcnt vmcnt(4) lgkmcnt(3)
	v_pk_mul_f32 v[22:23], v[2:3], v[42:43] op_sel:[1,1] op_sel_hi:[0,1]
	v_pk_add_f32 v[18:19], v[18:19], v[24:25]
	v_pk_fma_f32 v[24:25], v[2:3], v[42:43], v[22:23] neg_lo:[0,0,1] neg_hi:[0,0,1]
	v_pk_fma_f32 v[2:3], v[2:3], v[42:43], v[22:23] op_sel_hi:[1,0,1]
	s_nop 0
	v_mov_b32_e32 v25, v3
	v_pk_add_f32 v[2:3], v[18:19], v[24:25]
	v_mov_b32_e32 v18, v45
	v_pk_mul_f32 v[18:19], v[4:5], v[18:19] op_sel:[1,0] op_sel_hi:[0,0]
	v_pk_fma_f32 v[22:23], v[4:5], v[44:45], v[18:19] neg_lo:[0,0,1] neg_hi:[0,0,1]
	v_pk_fma_f32 v[4:5], v[4:5], v[44:45], v[18:19] op_sel_hi:[1,0,1]
	s_nop 0
	v_mov_b32_e32 v23, v5
	s_waitcnt vmcnt(3) lgkmcnt(2)
	v_pk_mul_f32 v[4:5], v[6:7], v[26:27] op_sel:[1,1] op_sel_hi:[0,1]
	v_pk_fma_f32 v[18:19], v[6:7], v[26:27], v[4:5] neg_lo:[0,0,1] neg_hi:[0,0,1]
	v_pk_fma_f32 v[4:5], v[6:7], v[26:27], v[4:5] op_sel_hi:[1,0,1]
	v_pk_add_f32 v[2:3], v[2:3], v[22:23]
	v_mov_b32_e32 v4, v29
	v_mov_b32_e32 v19, v5
	v_pk_mul_f32 v[4:5], v[8:9], v[4:5] op_sel:[1,0] op_sel_hi:[0,0]
	v_pk_fma_f32 v[6:7], v[8:9], v[28:29], v[4:5] neg_lo:[0,0,1] neg_hi:[0,0,1]
	v_pk_fma_f32 v[4:5], v[8:9], v[28:29], v[4:5] op_sel_hi:[1,0,1]
	v_pk_add_f32 v[2:3], v[2:3], v[18:19]
	v_mov_b32_e32 v7, v5
	s_waitcnt vmcnt(2) lgkmcnt(1)
	v_pk_mul_f32 v[4:5], v[14:15], v[10:11] op_sel:[1,1] op_sel_hi:[0,1]
	v_pk_add_f32 v[2:3], v[2:3], v[6:7]
	v_pk_fma_f32 v[6:7], v[14:15], v[10:11], v[4:5] neg_lo:[0,0,1] neg_hi:[0,0,1]
	v_pk_fma_f32 v[4:5], v[14:15], v[10:11], v[4:5] op_sel_hi:[1,0,1]
	s_nop 0
	v_mov_b32_e32 v4, v13
	v_mov_b32_e32 v7, v5
	v_pk_mul_f32 v[4:5], v[16:17], v[4:5] op_sel:[1,0] op_sel_hi:[0,0]
	v_pk_add_f32 v[2:3], v[2:3], v[6:7]
	v_pk_fma_f32 v[6:7], v[16:17], v[12:13], v[4:5] neg_lo:[0,0,1] neg_hi:[0,0,1]
	v_pk_fma_f32 v[4:5], v[16:17], v[12:13], v[4:5] op_sel_hi:[1,0,1]
	s_nop 0
	v_mov_b32_e32 v7, v5
	s_waitcnt vmcnt(1) lgkmcnt(0)
	v_pk_mul_f32 v[4:5], v[20:21], v[54:55] op_sel:[1,1] op_sel_hi:[0,1]
	v_pk_add_f32 v[2:3], v[2:3], v[6:7]
	v_pk_fma_f32 v[6:7], v[20:21], v[54:55], v[4:5] neg_lo:[0,0,1] neg_hi:[0,0,1]
	v_pk_fma_f32 v[4:5], v[20:21], v[54:55], v[4:5] op_sel_hi:[1,0,1]
	s_nop 0
	v_mov_b32_e32 v7, v5
	v_pk_add_f32 v[2:3], v[2:3], v[6:7]
	s_waitcnt vmcnt(0)
	v_pk_add_f32 v[2:3], v[80:81], v[2:3] neg_lo:[0,1] neg_hi:[0,1]
	scratch_store_dwordx2 off, v[2:3], off offset:120
	s_and_saveexec_b64 s[0:1], vcc
	s_cbranch_execz .LBB106_243
; %bb.242:
	scratch_load_dwordx2 v[2:3], off, off offset:112
	v_mov_b32_e32 v83, v82
	scratch_store_dwordx2 off, v[82:83], off offset:112
	s_waitcnt vmcnt(1)
	ds_write_b64 v1, v[2:3]
.LBB106_243:
	s_or_b64 exec, exec, s[0:1]
	s_waitcnt lgkmcnt(0)
	; wave barrier
	scratch_load_dwordx4 v[10:13], off, off offset:120
	scratch_load_dwordx4 v[26:29], off, off offset:136
	;; [unrolled: 1-line block ×10, first 2 shown]
	ds_read2_b64 v[84:87], v82 offset0:59 offset1:60
	ds_read2_b64 v[88:91], v82 offset0:61 offset1:62
	;; [unrolled: 1-line block ×10, first 2 shown]
	scratch_load_dwordx4 v[54:57], off, off offset:280
	scratch_load_dwordx4 v[46:49], off, off offset:296
	scratch_load_dwordx4 v[34:37], off, off offset:312
	scratch_load_dwordx4 v[18:21], off, off offset:328
	scratch_load_dwordx2 v[100:101], off, off offset:112
	v_cmp_lt_u32_e32 vcc, 13, v0
	s_waitcnt vmcnt(14) lgkmcnt(9)
	v_mul_f32_e32 v83, v84, v11
	v_mul_f32_e32 v102, v86, v13
	s_waitcnt vmcnt(12) lgkmcnt(7)
	v_mul_f32_e32 v107, v92, v3
	v_mul_f32_e32 v3, v93, v3
	v_fmac_f32_e32 v83, v85, v10
	v_mul_f32_e32 v104, v88, v27
	v_fmac_f32_e32 v102, v87, v12
	v_fmac_f32_e32 v107, v93, v2
	v_fma_f32 v2, v92, v2, -v3
	v_add_f32_e32 v3, 0, v83
	v_mul_f32_e32 v106, v90, v29
	v_fmac_f32_e32 v104, v89, v26
	v_add_f32_e32 v3, v3, v102
	v_fmac_f32_e32 v106, v91, v28
	v_add_f32_e32 v3, v3, v104
	v_mul_f32_e32 v108, v94, v5
	v_add_f32_e32 v3, v3, v106
	s_waitcnt vmcnt(11) lgkmcnt(6)
	v_mul_f32_e32 v109, v96, v7
	v_fmac_f32_e32 v108, v95, v4
	v_add_f32_e32 v3, v3, v107
	v_mul_f32_e32 v110, v98, v9
	v_fmac_f32_e32 v109, v97, v6
	v_add_f32_e32 v3, v3, v108
	s_waitcnt vmcnt(10) lgkmcnt(5)
	v_mul_f32_e32 v111, v78, v15
	v_fmac_f32_e32 v110, v99, v8
	v_add_f32_e32 v3, v3, v109
	v_mul_f32_e32 v112, v80, v17
	v_fmac_f32_e32 v111, v79, v14
	;; [unrolled: 7-line block ×4, first 2 shown]
	v_add_f32_e32 v3, v3, v114
	s_waitcnt vmcnt(7) lgkmcnt(2)
	v_mul_f32_e32 v117, v66, v39
	v_mul_f32_e32 v11, v85, v11
	v_fmac_f32_e32 v116, v73, v32
	v_add_f32_e32 v3, v3, v115
	v_mul_f32_e32 v118, v68, v41
	v_mul_f32_e32 v13, v87, v13
	v_fmac_f32_e32 v117, v67, v38
	v_fma_f32 v10, v84, v10, -v11
	v_add_f32_e32 v3, v3, v116
	s_waitcnt vmcnt(6) lgkmcnt(1)
	v_mul_f32_e32 v119, v62, v43
	v_mul_f32_e32 v27, v89, v27
	v_fmac_f32_e32 v118, v69, v40
	v_fma_f32 v11, v86, v12, -v13
	v_add_f32_e32 v10, 0, v10
	v_add_f32_e32 v3, v3, v117
	v_mul_f32_e32 v120, v64, v45
	v_mul_f32_e32 v29, v91, v29
	v_fmac_f32_e32 v119, v63, v42
	v_fma_f32 v12, v88, v26, -v27
	v_add_f32_e32 v10, v10, v11
	v_add_f32_e32 v3, v3, v118
	v_fmac_f32_e32 v120, v65, v44
	v_fma_f32 v13, v90, v28, -v29
	v_add_f32_e32 v10, v10, v12
	v_add_f32_e32 v3, v3, v119
	;; [unrolled: 1-line block ×4, first 2 shown]
	v_mul_f32_e32 v3, v95, v5
	v_add_f32_e32 v2, v10, v2
	v_fma_f32 v3, v94, v4, -v3
	v_add_f32_e32 v2, v2, v3
	v_mul_f32_e32 v3, v97, v7
	v_fma_f32 v3, v96, v6, -v3
	v_add_f32_e32 v2, v2, v3
	v_mul_f32_e32 v3, v99, v9
	;; [unrolled: 3-line block ×12, first 2 shown]
	v_fma_f32 v3, v64, v44, -v3
	v_add_f32_e32 v26, v2, v3
	s_waitcnt vmcnt(5) lgkmcnt(0)
	v_mul_f32_e32 v2, v59, v51
	v_fma_f32 v102, v58, v50, -v2
	v_mul_f32_e32 v2, v61, v53
	v_fma_f32 v104, v60, v52, -v2
	ds_read2_b64 v[2:5], v82 offset0:79 offset1:80
	ds_read2_b64 v[6:9], v82 offset0:81 offset1:82
	;; [unrolled: 1-line block ×4, first 2 shown]
	v_mul_f32_e32 v103, v58, v51
	v_mul_f32_e32 v105, v60, v53
	v_fmac_f32_e32 v103, v59, v50
	s_waitcnt vmcnt(4) lgkmcnt(3)
	v_pk_mul_f32 v[24:25], v[2:3], v[54:55] op_sel:[1,1] op_sel_hi:[0,1]
	v_fmac_f32_e32 v105, v61, v52
	v_pk_add_f32 v[22:23], v[26:27], v[102:103]
	v_pk_fma_f32 v[26:27], v[2:3], v[54:55], v[24:25] neg_lo:[0,0,1] neg_hi:[0,0,1]
	v_pk_fma_f32 v[2:3], v[2:3], v[54:55], v[24:25] op_sel_hi:[1,0,1]
	v_pk_add_f32 v[22:23], v[22:23], v[104:105]
	v_mov_b32_e32 v27, v3
	v_pk_add_f32 v[2:3], v[22:23], v[26:27]
	v_mov_b32_e32 v22, v57
	v_pk_mul_f32 v[22:23], v[4:5], v[22:23] op_sel:[1,0] op_sel_hi:[0,0]
	v_pk_fma_f32 v[24:25], v[4:5], v[56:57], v[22:23] neg_lo:[0,0,1] neg_hi:[0,0,1]
	v_pk_fma_f32 v[4:5], v[4:5], v[56:57], v[22:23] op_sel_hi:[1,0,1]
	s_nop 0
	v_mov_b32_e32 v25, v5
	s_waitcnt vmcnt(3) lgkmcnt(2)
	v_pk_mul_f32 v[4:5], v[6:7], v[46:47] op_sel:[1,1] op_sel_hi:[0,1]
	v_pk_fma_f32 v[22:23], v[6:7], v[46:47], v[4:5] neg_lo:[0,0,1] neg_hi:[0,0,1]
	v_pk_fma_f32 v[4:5], v[6:7], v[46:47], v[4:5] op_sel_hi:[1,0,1]
	v_pk_add_f32 v[2:3], v[2:3], v[24:25]
	v_mov_b32_e32 v4, v49
	v_mov_b32_e32 v23, v5
	v_pk_mul_f32 v[4:5], v[8:9], v[4:5] op_sel:[1,0] op_sel_hi:[0,0]
	v_pk_fma_f32 v[6:7], v[8:9], v[48:49], v[4:5] neg_lo:[0,0,1] neg_hi:[0,0,1]
	v_pk_fma_f32 v[4:5], v[8:9], v[48:49], v[4:5] op_sel_hi:[1,0,1]
	v_pk_add_f32 v[2:3], v[2:3], v[22:23]
	v_mov_b32_e32 v7, v5
	s_waitcnt vmcnt(2) lgkmcnt(1)
	v_pk_mul_f32 v[4:5], v[10:11], v[34:35] op_sel:[1,1] op_sel_hi:[0,1]
	v_pk_add_f32 v[2:3], v[2:3], v[6:7]
	v_pk_fma_f32 v[6:7], v[10:11], v[34:35], v[4:5] neg_lo:[0,0,1] neg_hi:[0,0,1]
	v_pk_fma_f32 v[4:5], v[10:11], v[34:35], v[4:5] op_sel_hi:[1,0,1]
	s_nop 0
	v_mov_b32_e32 v4, v37
	v_mov_b32_e32 v7, v5
	v_pk_mul_f32 v[4:5], v[12:13], v[4:5] op_sel:[1,0] op_sel_hi:[0,0]
	v_pk_add_f32 v[2:3], v[2:3], v[6:7]
	v_pk_fma_f32 v[6:7], v[12:13], v[36:37], v[4:5] neg_lo:[0,0,1] neg_hi:[0,0,1]
	v_pk_fma_f32 v[4:5], v[12:13], v[36:37], v[4:5] op_sel_hi:[1,0,1]
	s_nop 0
	v_mov_b32_e32 v7, v5
	s_waitcnt vmcnt(1) lgkmcnt(0)
	v_pk_mul_f32 v[4:5], v[14:15], v[18:19] op_sel:[1,1] op_sel_hi:[0,1]
	v_pk_add_f32 v[2:3], v[2:3], v[6:7]
	v_pk_fma_f32 v[6:7], v[14:15], v[18:19], v[4:5] neg_lo:[0,0,1] neg_hi:[0,0,1]
	v_pk_fma_f32 v[4:5], v[14:15], v[18:19], v[4:5] op_sel_hi:[1,0,1]
	s_nop 0
	v_mov_b32_e32 v4, v21
	v_mov_b32_e32 v7, v5
	v_pk_mul_f32 v[4:5], v[16:17], v[4:5] op_sel:[1,0] op_sel_hi:[0,0]
	v_pk_add_f32 v[2:3], v[2:3], v[6:7]
	v_pk_fma_f32 v[6:7], v[16:17], v[20:21], v[4:5] neg_lo:[0,0,1] neg_hi:[0,0,1]
	v_pk_fma_f32 v[4:5], v[16:17], v[20:21], v[4:5] op_sel_hi:[1,0,1]
	s_nop 0
	v_mov_b32_e32 v7, v5
	v_pk_add_f32 v[2:3], v[2:3], v[6:7]
	s_waitcnt vmcnt(0)
	v_pk_add_f32 v[2:3], v[100:101], v[2:3] neg_lo:[0,1] neg_hi:[0,1]
	scratch_store_dwordx2 off, v[2:3], off offset:112
	s_and_saveexec_b64 s[0:1], vcc
	s_cbranch_execz .LBB106_245
; %bb.244:
	scratch_load_dwordx2 v[2:3], off, off offset:104
	v_mov_b32_e32 v4, 0
	v_mov_b32_e32 v5, v4
	scratch_store_dwordx2 off, v[4:5], off offset:104
	s_waitcnt vmcnt(1)
	ds_write_b64 v1, v[2:3]
.LBB106_245:
	s_or_b64 exec, exec, s[0:1]
	s_waitcnt lgkmcnt(0)
	; wave barrier
	scratch_load_dwordx4 v[26:29], off, off offset:112
	scratch_load_dwordx4 v[2:5], off, off offset:128
	;; [unrolled: 1-line block ×14, first 2 shown]
	scratch_load_dwordx2 v[58:59], off, off offset:336
	scratch_load_dwordx2 v[100:101], off, off offset:104
	v_mov_b32_e32 v102, 0
	ds_read_b128 v[60:63], v102 offset:464
	ds_read_b128 v[64:67], v102 offset:480
	;; [unrolled: 1-line block ×12, first 2 shown]
	v_cmp_lt_u32_e32 vcc, 12, v0
	s_waitcnt vmcnt(15) lgkmcnt(11)
	v_mul_f32_e32 v103, v60, v27
	v_mul_f32_e32 v112, v62, v29
	s_waitcnt vmcnt(14) lgkmcnt(10)
	v_mul_f32_e32 v114, v64, v3
	v_mul_f32_e32 v3, v65, v3
	v_fmac_f32_e32 v103, v61, v26
	v_fmac_f32_e32 v112, v63, v28
	;; [unrolled: 1-line block ×3, first 2 shown]
	v_fma_f32 v2, v64, v2, -v3
	v_add_f32_e32 v3, 0, v103
	v_mul_f32_e32 v116, v66, v5
	v_add_f32_e32 v3, v3, v112
	s_waitcnt vmcnt(13) lgkmcnt(9)
	v_mul_f32_e32 v117, v68, v7
	v_fmac_f32_e32 v116, v67, v4
	v_add_f32_e32 v3, v3, v114
	v_mul_f32_e32 v118, v70, v9
	v_fmac_f32_e32 v117, v69, v6
	v_add_f32_e32 v3, v3, v116
	s_waitcnt vmcnt(12) lgkmcnt(8)
	v_mul_f32_e32 v119, v72, v11
	v_fmac_f32_e32 v118, v71, v8
	v_add_f32_e32 v3, v3, v117
	v_mul_f32_e32 v120, v74, v13
	v_fmac_f32_e32 v119, v73, v10
	v_add_f32_e32 v3, v3, v118
	s_waitcnt vmcnt(11) lgkmcnt(7)
	v_mul_f32_e32 v121, v76, v15
	v_fmac_f32_e32 v120, v75, v12
	v_add_f32_e32 v3, v3, v119
	v_mul_f32_e32 v122, v78, v17
	v_fmac_f32_e32 v121, v77, v14
	v_add_f32_e32 v3, v3, v120
	s_waitcnt vmcnt(10) lgkmcnt(6)
	v_mul_f32_e32 v123, v80, v23
	v_fmac_f32_e32 v122, v79, v16
	v_add_f32_e32 v3, v3, v121
	v_mul_f32_e32 v210, v82, v25
	v_fmac_f32_e32 v123, v81, v22
	v_add_f32_e32 v3, v3, v122
	s_waitcnt vmcnt(9) lgkmcnt(5)
	v_mul_f32_e32 v211, v84, v31
	v_fmac_f32_e32 v210, v83, v24
	v_add_f32_e32 v3, v3, v123
	v_mul_f32_e32 v212, v86, v33
	v_fmac_f32_e32 v211, v85, v30
	v_add_f32_e32 v3, v3, v210
	s_waitcnt vmcnt(8) lgkmcnt(4)
	v_mul_f32_e32 v213, v88, v39
	v_fmac_f32_e32 v212, v87, v32
	v_add_f32_e32 v3, v3, v211
	v_mul_f32_e32 v214, v90, v41
	v_fmac_f32_e32 v213, v89, v38
	v_add_f32_e32 v3, v3, v212
	s_waitcnt vmcnt(7) lgkmcnt(3)
	v_mul_f32_e32 v215, v92, v43
	v_fmac_f32_e32 v214, v91, v40
	v_add_f32_e32 v3, v3, v213
	v_mul_f32_e32 v216, v94, v45
	v_mul_f32_e32 v27, v61, v27
	v_fmac_f32_e32 v215, v93, v42
	v_add_f32_e32 v3, v3, v214
	s_waitcnt vmcnt(6) lgkmcnt(2)
	v_mul_f32_e32 v217, v96, v51
	v_mul_f32_e32 v29, v63, v29
	v_fmac_f32_e32 v216, v95, v44
	v_fma_f32 v26, v60, v26, -v27
	v_add_f32_e32 v3, v3, v215
	v_fmac_f32_e32 v217, v97, v50
	v_fma_f32 v27, v62, v28, -v29
	v_add_f32_e32 v26, 0, v26
	v_add_f32_e32 v3, v3, v216
	;; [unrolled: 1-line block ×4, first 2 shown]
	v_mul_f32_e32 v3, v67, v5
	v_add_f32_e32 v2, v26, v2
	v_fma_f32 v3, v66, v4, -v3
	v_add_f32_e32 v2, v2, v3
	v_mul_f32_e32 v3, v69, v7
	v_fma_f32 v3, v68, v6, -v3
	v_add_f32_e32 v2, v2, v3
	v_mul_f32_e32 v3, v71, v9
	;; [unrolled: 3-line block ×15, first 2 shown]
	v_fma_f32 v3, v96, v50, -v3
	v_mul_f32_e32 v113, v98, v53
	v_add_f32_e32 v26, v2, v3
	v_mul_f32_e32 v2, v99, v53
	s_waitcnt vmcnt(5)
	v_mov_b32_e32 v14, v57
	s_waitcnt lgkmcnt(1)
	v_mul_f32_e32 v115, v104, v55
	v_fmac_f32_e32 v113, v99, v52
	v_fma_f32 v112, v98, v52, -v2
	v_mul_f32_e32 v2, v105, v55
	v_pk_mul_f32 v[14:15], v[106:107], v[14:15] op_sel:[1,0] op_sel_hi:[0,0]
	v_fmac_f32_e32 v115, v105, v54
	v_fma_f32 v114, v104, v54, -v2
	v_pk_add_f32 v[12:13], v[26:27], v[112:113]
	v_pk_fma_f32 v[16:17], v[106:107], v[56:57], v[14:15] neg_lo:[0,0,1] neg_hi:[0,0,1]
	v_pk_fma_f32 v[14:15], v[106:107], v[56:57], v[14:15] op_sel_hi:[1,0,1]
	v_pk_add_f32 v[12:13], v[12:13], v[114:115]
	v_mov_b32_e32 v17, v15
	s_waitcnt vmcnt(4) lgkmcnt(0)
	v_pk_mul_f32 v[14:15], v[108:109], v[46:47] op_sel:[1,1] op_sel_hi:[0,1]
	v_pk_add_f32 v[12:13], v[12:13], v[16:17]
	v_pk_fma_f32 v[16:17], v[108:109], v[46:47], v[14:15] neg_lo:[0,0,1] neg_hi:[0,0,1]
	v_pk_fma_f32 v[14:15], v[108:109], v[46:47], v[14:15] op_sel_hi:[1,0,1]
	ds_read_b128 v[2:5], v102 offset:656
	ds_read_b128 v[6:9], v102 offset:672
	ds_read_b64 v[10:11], v102 offset:688
	v_mov_b32_e32 v14, v49
	v_mov_b32_e32 v17, v15
	v_pk_mul_f32 v[14:15], v[110:111], v[14:15] op_sel:[1,0] op_sel_hi:[0,0]
	v_pk_add_f32 v[12:13], v[12:13], v[16:17]
	v_pk_fma_f32 v[16:17], v[110:111], v[48:49], v[14:15] neg_lo:[0,0,1] neg_hi:[0,0,1]
	v_pk_fma_f32 v[14:15], v[110:111], v[48:49], v[14:15] op_sel_hi:[1,0,1]
	s_nop 0
	v_mov_b32_e32 v17, v15
	s_waitcnt vmcnt(3) lgkmcnt(2)
	v_pk_mul_f32 v[14:15], v[2:3], v[34:35] op_sel:[1,1] op_sel_hi:[0,1]
	v_pk_add_f32 v[12:13], v[12:13], v[16:17]
	v_pk_fma_f32 v[16:17], v[2:3], v[34:35], v[14:15] neg_lo:[0,0,1] neg_hi:[0,0,1]
	v_pk_fma_f32 v[2:3], v[2:3], v[34:35], v[14:15] op_sel_hi:[1,0,1]
	s_nop 0
	v_mov_b32_e32 v17, v3
	v_pk_add_f32 v[2:3], v[12:13], v[16:17]
	v_mov_b32_e32 v12, v37
	v_pk_mul_f32 v[12:13], v[4:5], v[12:13] op_sel:[1,0] op_sel_hi:[0,0]
	v_pk_fma_f32 v[14:15], v[4:5], v[36:37], v[12:13] neg_lo:[0,0,1] neg_hi:[0,0,1]
	v_pk_fma_f32 v[4:5], v[4:5], v[36:37], v[12:13] op_sel_hi:[1,0,1]
	s_nop 0
	v_mov_b32_e32 v15, v5
	s_waitcnt vmcnt(2) lgkmcnt(1)
	v_pk_mul_f32 v[4:5], v[6:7], v[18:19] op_sel:[1,1] op_sel_hi:[0,1]
	v_pk_fma_f32 v[12:13], v[6:7], v[18:19], v[4:5] neg_lo:[0,0,1] neg_hi:[0,0,1]
	v_pk_fma_f32 v[4:5], v[6:7], v[18:19], v[4:5] op_sel_hi:[1,0,1]
	v_pk_add_f32 v[2:3], v[2:3], v[14:15]
	v_mov_b32_e32 v4, v21
	v_mov_b32_e32 v13, v5
	v_pk_mul_f32 v[4:5], v[8:9], v[4:5] op_sel:[1,0] op_sel_hi:[0,0]
	v_pk_fma_f32 v[6:7], v[8:9], v[20:21], v[4:5] neg_lo:[0,0,1] neg_hi:[0,0,1]
	v_pk_fma_f32 v[4:5], v[8:9], v[20:21], v[4:5] op_sel_hi:[1,0,1]
	v_pk_add_f32 v[2:3], v[2:3], v[12:13]
	v_mov_b32_e32 v7, v5
	s_waitcnt vmcnt(1) lgkmcnt(0)
	v_pk_mul_f32 v[4:5], v[10:11], v[58:59] op_sel:[1,1] op_sel_hi:[0,1]
	v_pk_add_f32 v[2:3], v[2:3], v[6:7]
	v_pk_fma_f32 v[6:7], v[10:11], v[58:59], v[4:5] neg_lo:[0,0,1] neg_hi:[0,0,1]
	v_pk_fma_f32 v[4:5], v[10:11], v[58:59], v[4:5] op_sel_hi:[1,0,1]
	s_nop 0
	v_mov_b32_e32 v7, v5
	v_pk_add_f32 v[2:3], v[2:3], v[6:7]
	s_waitcnt vmcnt(0)
	v_pk_add_f32 v[2:3], v[100:101], v[2:3] neg_lo:[0,1] neg_hi:[0,1]
	scratch_store_dwordx2 off, v[2:3], off offset:104
	s_and_saveexec_b64 s[0:1], vcc
	s_cbranch_execz .LBB106_247
; %bb.246:
	scratch_load_dwordx2 v[2:3], off, off offset:96
	v_mov_b32_e32 v103, v102
	scratch_store_dwordx2 off, v[102:103], off offset:96
	s_waitcnt vmcnt(1)
	ds_write_b64 v1, v[2:3]
.LBB106_247:
	s_or_b64 exec, exec, s[0:1]
	s_waitcnt lgkmcnt(0)
	; wave barrier
	scratch_load_dwordx4 v[18:21], off, off offset:104
	scratch_load_dwordx4 v[2:5], off, off offset:120
	;; [unrolled: 1-line block ×11, first 2 shown]
	ds_read2_b64 v[104:107], v102 offset0:57 offset1:58
	ds_read2_b64 v[98:101], v102 offset0:59 offset1:60
	ds_read2_b64 v[94:97], v102 offset0:61 offset1:62
	ds_read2_b64 v[90:93], v102 offset0:63 offset1:64
	ds_read2_b64 v[86:89], v102 offset0:65 offset1:66
	ds_read2_b64 v[82:85], v102 offset0:67 offset1:68
	ds_read2_b64 v[74:77], v102 offset0:69 offset1:70
	ds_read2_b64 v[70:73], v102 offset0:71 offset1:72
	ds_read2_b64 v[66:69], v102 offset0:73 offset1:74
	ds_read2_b64 v[62:65], v102 offset0:75 offset1:76
	scratch_load_dwordx4 v[58:61], off, off offset:280
	scratch_load_dwordx4 v[50:53], off, off offset:296
	scratch_load_dwordx4 v[38:41], off, off offset:312
	scratch_load_dwordx4 v[26:29], off, off offset:328
	ds_read2_b64 v[78:81], v102 offset0:77 offset1:78
	ds_read2_b64 v[108:111], v102 offset0:79 offset1:80
	scratch_load_dwordx2 v[112:113], off, off offset:96
	v_cmp_lt_u32_e32 vcc, 11, v0
	s_waitcnt vmcnt(15) lgkmcnt(11)
	v_mul_f32_e32 v103, v104, v19
	v_mul_f32_e32 v114, v106, v21
	s_waitcnt vmcnt(14) lgkmcnt(10)
	v_mul_f32_e32 v116, v98, v3
	v_mul_f32_e32 v3, v99, v3
	v_fmac_f32_e32 v103, v105, v18
	v_fmac_f32_e32 v114, v107, v20
	;; [unrolled: 1-line block ×3, first 2 shown]
	v_fma_f32 v2, v98, v2, -v3
	v_add_f32_e32 v3, 0, v103
	v_mul_f32_e32 v118, v100, v5
	v_add_f32_e32 v3, v3, v114
	s_waitcnt vmcnt(13) lgkmcnt(9)
	v_mul_f32_e32 v119, v94, v7
	v_fmac_f32_e32 v118, v101, v4
	v_add_f32_e32 v3, v3, v116
	v_mul_f32_e32 v120, v96, v9
	v_fmac_f32_e32 v119, v95, v6
	v_add_f32_e32 v3, v3, v118
	s_waitcnt vmcnt(12) lgkmcnt(8)
	v_mul_f32_e32 v121, v90, v11
	v_fmac_f32_e32 v120, v97, v8
	v_add_f32_e32 v3, v3, v119
	v_mul_f32_e32 v122, v92, v13
	v_fmac_f32_e32 v121, v91, v10
	;; [unrolled: 7-line block ×7, first 2 shown]
	v_add_f32_e32 v3, v3, v216
	s_waitcnt vmcnt(6) lgkmcnt(2)
	v_mul_f32_e32 v219, v62, v47
	v_mul_f32_e32 v19, v105, v19
	v_fmac_f32_e32 v218, v69, v44
	v_add_f32_e32 v3, v3, v217
	v_mul_f32_e32 v220, v64, v49
	v_mul_f32_e32 v21, v107, v21
	v_fmac_f32_e32 v219, v63, v46
	v_fma_f32 v18, v104, v18, -v19
	v_add_f32_e32 v3, v3, v218
	v_fmac_f32_e32 v220, v65, v48
	v_fma_f32 v19, v106, v20, -v21
	v_add_f32_e32 v18, 0, v18
	v_add_f32_e32 v3, v3, v219
	;; [unrolled: 1-line block ×4, first 2 shown]
	v_mul_f32_e32 v3, v101, v5
	v_add_f32_e32 v2, v18, v2
	v_fma_f32 v3, v100, v4, -v3
	v_add_f32_e32 v2, v2, v3
	v_mul_f32_e32 v3, v95, v7
	v_fma_f32 v3, v94, v6, -v3
	v_add_f32_e32 v2, v2, v3
	v_mul_f32_e32 v3, v97, v9
	;; [unrolled: 3-line block ×16, first 2 shown]
	v_fma_f32 v3, v64, v48, -v3
	s_waitcnt vmcnt(5) lgkmcnt(1)
	v_mul_f32_e32 v115, v78, v55
	v_add_f32_e32 v18, v2, v3
	v_mul_f32_e32 v2, v79, v55
	v_fmac_f32_e32 v115, v79, v54
	v_fma_f32 v114, v78, v54, -v2
	s_waitcnt vmcnt(4) lgkmcnt(0)
	v_pk_mul_f32 v[16:17], v[108:109], v[58:59] op_sel:[1,1] op_sel_hi:[0,1]
	v_mul_f32_e32 v117, v80, v57
	v_mul_f32_e32 v2, v81, v57
	v_pk_add_f32 v[14:15], v[18:19], v[114:115]
	v_pk_fma_f32 v[18:19], v[108:109], v[58:59], v[16:17] neg_lo:[0,0,1] neg_hi:[0,0,1]
	v_pk_fma_f32 v[16:17], v[108:109], v[58:59], v[16:17] op_sel_hi:[1,0,1]
	v_fmac_f32_e32 v117, v81, v56
	v_fma_f32 v116, v80, v56, -v2
	ds_read2_b64 v[2:5], v102 offset0:81 offset1:82
	ds_read2_b64 v[6:9], v102 offset0:83 offset1:84
	;; [unrolled: 1-line block ×3, first 2 shown]
	v_mov_b32_e32 v16, v61
	v_pk_add_f32 v[14:15], v[14:15], v[116:117]
	v_mov_b32_e32 v19, v17
	v_pk_mul_f32 v[16:17], v[110:111], v[16:17] op_sel:[1,0] op_sel_hi:[0,0]
	v_pk_add_f32 v[14:15], v[14:15], v[18:19]
	v_pk_fma_f32 v[18:19], v[110:111], v[60:61], v[16:17] neg_lo:[0,0,1] neg_hi:[0,0,1]
	v_pk_fma_f32 v[16:17], v[110:111], v[60:61], v[16:17] op_sel_hi:[1,0,1]
	s_nop 0
	v_mov_b32_e32 v19, v17
	s_waitcnt vmcnt(3) lgkmcnt(2)
	v_pk_mul_f32 v[16:17], v[2:3], v[50:51] op_sel:[1,1] op_sel_hi:[0,1]
	v_pk_add_f32 v[14:15], v[14:15], v[18:19]
	v_pk_fma_f32 v[18:19], v[2:3], v[50:51], v[16:17] neg_lo:[0,0,1] neg_hi:[0,0,1]
	v_pk_fma_f32 v[2:3], v[2:3], v[50:51], v[16:17] op_sel_hi:[1,0,1]
	s_nop 0
	v_mov_b32_e32 v19, v3
	v_pk_add_f32 v[2:3], v[14:15], v[18:19]
	v_mov_b32_e32 v14, v53
	v_pk_mul_f32 v[14:15], v[4:5], v[14:15] op_sel:[1,0] op_sel_hi:[0,0]
	v_pk_fma_f32 v[16:17], v[4:5], v[52:53], v[14:15] neg_lo:[0,0,1] neg_hi:[0,0,1]
	v_pk_fma_f32 v[4:5], v[4:5], v[52:53], v[14:15] op_sel_hi:[1,0,1]
	s_nop 0
	v_mov_b32_e32 v17, v5
	s_waitcnt vmcnt(2) lgkmcnt(1)
	v_pk_mul_f32 v[4:5], v[6:7], v[38:39] op_sel:[1,1] op_sel_hi:[0,1]
	v_pk_fma_f32 v[14:15], v[6:7], v[38:39], v[4:5] neg_lo:[0,0,1] neg_hi:[0,0,1]
	v_pk_fma_f32 v[4:5], v[6:7], v[38:39], v[4:5] op_sel_hi:[1,0,1]
	v_pk_add_f32 v[2:3], v[2:3], v[16:17]
	v_mov_b32_e32 v4, v41
	v_mov_b32_e32 v15, v5
	v_pk_mul_f32 v[4:5], v[8:9], v[4:5] op_sel:[1,0] op_sel_hi:[0,0]
	v_pk_fma_f32 v[6:7], v[8:9], v[40:41], v[4:5] neg_lo:[0,0,1] neg_hi:[0,0,1]
	v_pk_fma_f32 v[4:5], v[8:9], v[40:41], v[4:5] op_sel_hi:[1,0,1]
	v_pk_add_f32 v[2:3], v[2:3], v[14:15]
	v_mov_b32_e32 v7, v5
	s_waitcnt vmcnt(1) lgkmcnt(0)
	v_pk_mul_f32 v[4:5], v[10:11], v[26:27] op_sel:[1,1] op_sel_hi:[0,1]
	v_pk_add_f32 v[2:3], v[2:3], v[6:7]
	v_pk_fma_f32 v[6:7], v[10:11], v[26:27], v[4:5] neg_lo:[0,0,1] neg_hi:[0,0,1]
	v_pk_fma_f32 v[4:5], v[10:11], v[26:27], v[4:5] op_sel_hi:[1,0,1]
	s_nop 0
	v_mov_b32_e32 v4, v29
	v_mov_b32_e32 v7, v5
	v_pk_mul_f32 v[4:5], v[12:13], v[4:5] op_sel:[1,0] op_sel_hi:[0,0]
	v_pk_add_f32 v[2:3], v[2:3], v[6:7]
	v_pk_fma_f32 v[6:7], v[12:13], v[28:29], v[4:5] neg_lo:[0,0,1] neg_hi:[0,0,1]
	v_pk_fma_f32 v[4:5], v[12:13], v[28:29], v[4:5] op_sel_hi:[1,0,1]
	s_nop 0
	v_mov_b32_e32 v7, v5
	v_pk_add_f32 v[2:3], v[2:3], v[6:7]
	s_waitcnt vmcnt(0)
	v_pk_add_f32 v[2:3], v[112:113], v[2:3] neg_lo:[0,1] neg_hi:[0,1]
	scratch_store_dwordx2 off, v[2:3], off offset:96
	s_and_saveexec_b64 s[0:1], vcc
	s_cbranch_execz .LBB106_249
; %bb.248:
	scratch_load_dwordx2 v[2:3], off, off offset:88
	v_mov_b32_e32 v4, 0
	v_mov_b32_e32 v5, v4
	scratch_store_dwordx2 off, v[4:5], off offset:88
	s_waitcnt vmcnt(1)
	ds_write_b64 v1, v[2:3]
.LBB106_249:
	s_or_b64 exec, exec, s[0:1]
	s_waitcnt lgkmcnt(0)
	; wave barrier
	scratch_load_dwordx4 v[2:5], off, off offset:96
	scratch_load_dwordx4 v[6:9], off, off offset:112
	;; [unrolled: 1-line block ×15, first 2 shown]
	scratch_load_dwordx2 v[62:63], off, off offset:336
	scratch_load_dwordx2 v[112:113], off, off offset:88
	v_mov_b32_e32 v114, 0
	ds_read_b128 v[64:67], v114 offset:448
	ds_read_b128 v[68:71], v114 offset:464
	;; [unrolled: 1-line block ×12, first 2 shown]
	v_cmp_lt_u32_e32 vcc, 10, v0
	s_waitcnt vmcnt(16) lgkmcnt(11)
	v_mul_f32_e32 v115, v64, v3
	v_mul_f32_e32 v116, v66, v5
	;; [unrolled: 1-line block ×3, first 2 shown]
	v_fmac_f32_e32 v115, v65, v2
	s_waitcnt vmcnt(15) lgkmcnt(10)
	v_mul_f32_e32 v118, v68, v7
	v_fmac_f32_e32 v116, v67, v4
	v_fma_f32 v2, v64, v2, -v3
	v_add_f32_e32 v3, 0, v115
	v_mul_f32_e32 v120, v70, v9
	v_fmac_f32_e32 v118, v69, v6
	v_add_f32_e32 v3, v3, v116
	s_waitcnt vmcnt(14) lgkmcnt(9)
	v_mul_f32_e32 v121, v72, v11
	v_fmac_f32_e32 v120, v71, v8
	v_add_f32_e32 v3, v3, v118
	v_mul_f32_e32 v122, v74, v13
	v_fmac_f32_e32 v121, v73, v10
	v_add_f32_e32 v3, v3, v120
	s_waitcnt vmcnt(13) lgkmcnt(8)
	v_mul_f32_e32 v123, v76, v15
	v_fmac_f32_e32 v122, v75, v12
	;; [unrolled: 7-line block ×9, first 2 shown]
	v_add_f32_e32 v3, v3, v221
	v_mul_f32_e32 v5, v67, v5
	v_fmac_f32_e32 v223, v105, v58
	v_add_f32_e32 v3, v3, v222
	v_add_f32_e32 v2, 0, v2
	;; [unrolled: 1-line block ×3, first 2 shown]
	v_fma_f32 v3, v66, v4, -v5
	v_add_f32_e32 v2, v2, v3
	v_mul_f32_e32 v3, v69, v7
	v_fma_f32 v3, v68, v6, -v3
	v_add_f32_e32 v2, v2, v3
	v_mul_f32_e32 v3, v71, v9
	;; [unrolled: 3-line block ×20, first 2 shown]
	v_mul_f32_e32 v117, v106, v61
	v_fma_f32 v116, v106, v60, -v2
	s_waitcnt vmcnt(5) lgkmcnt(0)
	v_mul_f32_e32 v2, v109, v55
	v_mov_b32_e32 v18, v57
	v_mul_f32_e32 v119, v108, v55
	v_fmac_f32_e32 v117, v107, v60
	v_fma_f32 v118, v108, v54, -v2
	ds_read_b128 v[2:5], v114 offset:640
	ds_read_b128 v[6:9], v114 offset:656
	;; [unrolled: 1-line block ×3, first 2 shown]
	ds_read_b64 v[14:15], v114 offset:688
	v_pk_mul_f32 v[18:19], v[110:111], v[18:19] op_sel:[1,0] op_sel_hi:[0,0]
	v_fmac_f32_e32 v119, v109, v54
	v_pk_add_f32 v[16:17], v[64:65], v[116:117]
	v_pk_fma_f32 v[20:21], v[110:111], v[56:57], v[18:19] neg_lo:[0,0,1] neg_hi:[0,0,1]
	v_pk_fma_f32 v[18:19], v[110:111], v[56:57], v[18:19] op_sel_hi:[1,0,1]
	v_pk_add_f32 v[16:17], v[16:17], v[118:119]
	v_mov_b32_e32 v21, v19
	s_waitcnt vmcnt(4) lgkmcnt(3)
	v_pk_mul_f32 v[18:19], v[2:3], v[50:51] op_sel:[1,1] op_sel_hi:[0,1]
	v_pk_add_f32 v[16:17], v[16:17], v[20:21]
	v_pk_fma_f32 v[20:21], v[2:3], v[50:51], v[18:19] neg_lo:[0,0,1] neg_hi:[0,0,1]
	v_pk_fma_f32 v[2:3], v[2:3], v[50:51], v[18:19] op_sel_hi:[1,0,1]
	s_nop 0
	v_mov_b32_e32 v21, v3
	v_pk_add_f32 v[2:3], v[16:17], v[20:21]
	v_mov_b32_e32 v16, v53
	v_pk_mul_f32 v[16:17], v[4:5], v[16:17] op_sel:[1,0] op_sel_hi:[0,0]
	v_pk_fma_f32 v[18:19], v[4:5], v[52:53], v[16:17] neg_lo:[0,0,1] neg_hi:[0,0,1]
	v_pk_fma_f32 v[4:5], v[4:5], v[52:53], v[16:17] op_sel_hi:[1,0,1]
	s_nop 0
	v_mov_b32_e32 v19, v5
	s_waitcnt vmcnt(3) lgkmcnt(2)
	v_pk_mul_f32 v[4:5], v[6:7], v[38:39] op_sel:[1,1] op_sel_hi:[0,1]
	v_pk_fma_f32 v[16:17], v[6:7], v[38:39], v[4:5] neg_lo:[0,0,1] neg_hi:[0,0,1]
	v_pk_fma_f32 v[4:5], v[6:7], v[38:39], v[4:5] op_sel_hi:[1,0,1]
	v_pk_add_f32 v[2:3], v[2:3], v[18:19]
	v_mov_b32_e32 v4, v41
	v_mov_b32_e32 v17, v5
	v_pk_mul_f32 v[4:5], v[8:9], v[4:5] op_sel:[1,0] op_sel_hi:[0,0]
	v_pk_fma_f32 v[6:7], v[8:9], v[40:41], v[4:5] neg_lo:[0,0,1] neg_hi:[0,0,1]
	v_pk_fma_f32 v[4:5], v[8:9], v[40:41], v[4:5] op_sel_hi:[1,0,1]
	v_pk_add_f32 v[2:3], v[2:3], v[16:17]
	v_mov_b32_e32 v7, v5
	s_waitcnt vmcnt(2) lgkmcnt(1)
	v_pk_mul_f32 v[4:5], v[10:11], v[26:27] op_sel:[1,1] op_sel_hi:[0,1]
	v_pk_add_f32 v[2:3], v[2:3], v[6:7]
	v_pk_fma_f32 v[6:7], v[10:11], v[26:27], v[4:5] neg_lo:[0,0,1] neg_hi:[0,0,1]
	v_pk_fma_f32 v[4:5], v[10:11], v[26:27], v[4:5] op_sel_hi:[1,0,1]
	s_nop 0
	v_mov_b32_e32 v4, v29
	v_mov_b32_e32 v7, v5
	v_pk_mul_f32 v[4:5], v[12:13], v[4:5] op_sel:[1,0] op_sel_hi:[0,0]
	v_pk_add_f32 v[2:3], v[2:3], v[6:7]
	v_pk_fma_f32 v[6:7], v[12:13], v[28:29], v[4:5] neg_lo:[0,0,1] neg_hi:[0,0,1]
	v_pk_fma_f32 v[4:5], v[12:13], v[28:29], v[4:5] op_sel_hi:[1,0,1]
	s_nop 0
	v_mov_b32_e32 v7, v5
	s_waitcnt vmcnt(1) lgkmcnt(0)
	v_pk_mul_f32 v[4:5], v[14:15], v[62:63] op_sel:[1,1] op_sel_hi:[0,1]
	v_pk_add_f32 v[2:3], v[2:3], v[6:7]
	v_pk_fma_f32 v[6:7], v[14:15], v[62:63], v[4:5] neg_lo:[0,0,1] neg_hi:[0,0,1]
	v_pk_fma_f32 v[4:5], v[14:15], v[62:63], v[4:5] op_sel_hi:[1,0,1]
	s_nop 0
	v_mov_b32_e32 v7, v5
	v_pk_add_f32 v[2:3], v[2:3], v[6:7]
	s_waitcnt vmcnt(0)
	v_pk_add_f32 v[2:3], v[112:113], v[2:3] neg_lo:[0,1] neg_hi:[0,1]
	scratch_store_dwordx2 off, v[2:3], off offset:88
	s_and_saveexec_b64 s[0:1], vcc
	s_cbranch_execz .LBB106_251
; %bb.250:
	scratch_load_dwordx2 v[2:3], off, off offset:80
	v_mov_b32_e32 v115, v114
	scratch_store_dwordx2 off, v[114:115], off offset:80
	s_waitcnt vmcnt(1)
	ds_write_b64 v1, v[2:3]
.LBB106_251:
	s_or_b64 exec, exec, s[0:1]
	s_waitcnt lgkmcnt(0)
	; wave barrier
	scratch_load_dwordx4 v[2:5], off, off offset:88
	scratch_load_dwordx4 v[6:9], off, off offset:104
	;; [unrolled: 1-line block ×12, first 2 shown]
	ds_read2_b64 v[110:113], v114 offset0:55 offset1:56
	ds_read2_b64 v[106:109], v114 offset0:57 offset1:58
	;; [unrolled: 1-line block ×12, first 2 shown]
	scratch_load_dwordx4 v[62:65], off, off offset:280
	scratch_load_dwordx4 v[54:57], off, off offset:296
	;; [unrolled: 1-line block ×4, first 2 shown]
	scratch_load_dwordx2 v[116:117], off, off offset:80
	v_cmp_lt_u32_e32 vcc, 9, v0
	s_waitcnt vmcnt(16) lgkmcnt(11)
	v_mul_f32_e32 v115, v110, v3
	v_mul_f32_e32 v118, v112, v5
	;; [unrolled: 1-line block ×3, first 2 shown]
	v_fmac_f32_e32 v115, v111, v2
	s_waitcnt vmcnt(15) lgkmcnt(10)
	v_mul_f32_e32 v120, v106, v7
	v_fmac_f32_e32 v118, v113, v4
	v_fma_f32 v2, v110, v2, -v3
	v_add_f32_e32 v3, 0, v115
	v_mul_f32_e32 v122, v108, v9
	v_fmac_f32_e32 v120, v107, v6
	v_add_f32_e32 v3, v3, v118
	s_waitcnt vmcnt(14) lgkmcnt(9)
	v_mul_f32_e32 v123, v102, v11
	v_fmac_f32_e32 v122, v109, v8
	v_add_f32_e32 v3, v3, v120
	v_mul_f32_e32 v210, v104, v13
	v_fmac_f32_e32 v123, v103, v10
	v_add_f32_e32 v3, v3, v122
	s_waitcnt vmcnt(13) lgkmcnt(8)
	v_mul_f32_e32 v211, v98, v15
	v_fmac_f32_e32 v210, v105, v12
	;; [unrolled: 7-line block ×9, first 2 shown]
	v_add_f32_e32 v3, v3, v223
	v_mul_f32_e32 v226, v72, v53
	v_fmac_f32_e32 v225, v71, v50
	v_add_f32_e32 v3, v3, v224
	v_fmac_f32_e32 v226, v73, v52
	v_add_f32_e32 v3, v3, v225
	v_add_f32_e32 v111, v3, v226
	v_mul_f32_e32 v3, v113, v5
	v_add_f32_e32 v2, 0, v2
	v_fma_f32 v3, v112, v4, -v3
	v_add_f32_e32 v2, v2, v3
	v_mul_f32_e32 v3, v107, v7
	v_fma_f32 v3, v106, v6, -v3
	v_add_f32_e32 v2, v2, v3
	v_mul_f32_e32 v3, v109, v9
	;; [unrolled: 3-line block ×20, first 2 shown]
	v_fma_f32 v3, v72, v52, -v3
	v_add_f32_e32 v110, v2, v3
	s_waitcnt vmcnt(5) lgkmcnt(0)
	v_mul_f32_e32 v2, v67, v59
	v_fma_f32 v118, v66, v58, -v2
	v_mul_f32_e32 v2, v69, v61
	v_fma_f32 v120, v68, v60, -v2
	ds_read2_b64 v[2:5], v114 offset0:79 offset1:80
	ds_read2_b64 v[6:9], v114 offset0:81 offset1:82
	;; [unrolled: 1-line block ×4, first 2 shown]
	v_mul_f32_e32 v119, v66, v59
	v_mul_f32_e32 v121, v68, v61
	v_fmac_f32_e32 v119, v67, v58
	s_waitcnt vmcnt(4) lgkmcnt(3)
	v_pk_mul_f32 v[20:21], v[2:3], v[62:63] op_sel:[1,1] op_sel_hi:[0,1]
	v_fmac_f32_e32 v121, v69, v60
	v_pk_add_f32 v[18:19], v[110:111], v[118:119]
	v_pk_fma_f32 v[22:23], v[2:3], v[62:63], v[20:21] neg_lo:[0,0,1] neg_hi:[0,0,1]
	v_pk_fma_f32 v[2:3], v[2:3], v[62:63], v[20:21] op_sel_hi:[1,0,1]
	v_pk_add_f32 v[18:19], v[18:19], v[120:121]
	v_mov_b32_e32 v23, v3
	v_pk_add_f32 v[2:3], v[18:19], v[22:23]
	v_mov_b32_e32 v18, v65
	v_pk_mul_f32 v[18:19], v[4:5], v[18:19] op_sel:[1,0] op_sel_hi:[0,0]
	v_pk_fma_f32 v[20:21], v[4:5], v[64:65], v[18:19] neg_lo:[0,0,1] neg_hi:[0,0,1]
	v_pk_fma_f32 v[4:5], v[4:5], v[64:65], v[18:19] op_sel_hi:[1,0,1]
	s_nop 0
	v_mov_b32_e32 v21, v5
	s_waitcnt vmcnt(3) lgkmcnt(2)
	v_pk_mul_f32 v[4:5], v[6:7], v[54:55] op_sel:[1,1] op_sel_hi:[0,1]
	v_pk_fma_f32 v[18:19], v[6:7], v[54:55], v[4:5] neg_lo:[0,0,1] neg_hi:[0,0,1]
	v_pk_fma_f32 v[4:5], v[6:7], v[54:55], v[4:5] op_sel_hi:[1,0,1]
	v_pk_add_f32 v[2:3], v[2:3], v[20:21]
	v_mov_b32_e32 v4, v57
	v_mov_b32_e32 v19, v5
	v_pk_mul_f32 v[4:5], v[8:9], v[4:5] op_sel:[1,0] op_sel_hi:[0,0]
	v_pk_fma_f32 v[6:7], v[8:9], v[56:57], v[4:5] neg_lo:[0,0,1] neg_hi:[0,0,1]
	v_pk_fma_f32 v[4:5], v[8:9], v[56:57], v[4:5] op_sel_hi:[1,0,1]
	v_pk_add_f32 v[2:3], v[2:3], v[18:19]
	v_mov_b32_e32 v7, v5
	s_waitcnt vmcnt(2) lgkmcnt(1)
	v_pk_mul_f32 v[4:5], v[10:11], v[42:43] op_sel:[1,1] op_sel_hi:[0,1]
	v_pk_add_f32 v[2:3], v[2:3], v[6:7]
	v_pk_fma_f32 v[6:7], v[10:11], v[42:43], v[4:5] neg_lo:[0,0,1] neg_hi:[0,0,1]
	v_pk_fma_f32 v[4:5], v[10:11], v[42:43], v[4:5] op_sel_hi:[1,0,1]
	s_nop 0
	v_mov_b32_e32 v4, v45
	v_mov_b32_e32 v7, v5
	v_pk_mul_f32 v[4:5], v[12:13], v[4:5] op_sel:[1,0] op_sel_hi:[0,0]
	v_pk_add_f32 v[2:3], v[2:3], v[6:7]
	v_pk_fma_f32 v[6:7], v[12:13], v[44:45], v[4:5] neg_lo:[0,0,1] neg_hi:[0,0,1]
	v_pk_fma_f32 v[4:5], v[12:13], v[44:45], v[4:5] op_sel_hi:[1,0,1]
	s_nop 0
	v_mov_b32_e32 v7, v5
	s_waitcnt vmcnt(1) lgkmcnt(0)
	v_pk_mul_f32 v[4:5], v[14:15], v[34:35] op_sel:[1,1] op_sel_hi:[0,1]
	v_pk_add_f32 v[2:3], v[2:3], v[6:7]
	v_pk_fma_f32 v[6:7], v[14:15], v[34:35], v[4:5] neg_lo:[0,0,1] neg_hi:[0,0,1]
	v_pk_fma_f32 v[4:5], v[14:15], v[34:35], v[4:5] op_sel_hi:[1,0,1]
	s_nop 0
	v_mov_b32_e32 v4, v37
	v_mov_b32_e32 v7, v5
	v_pk_mul_f32 v[4:5], v[16:17], v[4:5] op_sel:[1,0] op_sel_hi:[0,0]
	v_pk_add_f32 v[2:3], v[2:3], v[6:7]
	v_pk_fma_f32 v[6:7], v[16:17], v[36:37], v[4:5] neg_lo:[0,0,1] neg_hi:[0,0,1]
	v_pk_fma_f32 v[4:5], v[16:17], v[36:37], v[4:5] op_sel_hi:[1,0,1]
	s_nop 0
	v_mov_b32_e32 v7, v5
	v_pk_add_f32 v[2:3], v[2:3], v[6:7]
	s_waitcnt vmcnt(0)
	v_pk_add_f32 v[2:3], v[116:117], v[2:3] neg_lo:[0,1] neg_hi:[0,1]
	scratch_store_dwordx2 off, v[2:3], off offset:80
	s_and_saveexec_b64 s[0:1], vcc
	s_cbranch_execz .LBB106_253
; %bb.252:
	scratch_load_dwordx2 v[2:3], off, off offset:72
	v_mov_b32_e32 v4, 0
	v_mov_b32_e32 v5, v4
	scratch_store_dwordx2 off, v[4:5], off offset:72
	s_waitcnt vmcnt(1)
	ds_write_b64 v1, v[2:3]
.LBB106_253:
	s_or_b64 exec, exec, s[0:1]
	s_waitcnt lgkmcnt(0)
	; wave barrier
	scratch_load_dwordx4 v[2:5], off, off offset:80
	scratch_load_dwordx4 v[6:9], off, off offset:96
	;; [unrolled: 1-line block ×13, first 2 shown]
	v_mov_b32_e32 v106, 0
	scratch_load_dwordx2 v[210:211], off, off offset:72
	ds_read_b128 v[54:57], v106 offset:432
	ds_read_b128 v[58:61], v106 offset:448
	;; [unrolled: 1-line block ×14, first 2 shown]
	v_cmp_lt_u32_e32 vcc, 8, v0
	s_waitcnt vmcnt(13) lgkmcnt(13)
	v_mul_f32_e32 v107, v54, v3
	v_mul_f32_e32 v112, v56, v5
	v_fmac_f32_e32 v107, v55, v2
	s_waitcnt vmcnt(12) lgkmcnt(12)
	v_mul_f32_e32 v113, v58, v7
	v_fmac_f32_e32 v112, v57, v4
	v_add_f32_e32 v107, 0, v107
	v_mul_f32_e32 v114, v60, v9
	v_fmac_f32_e32 v113, v59, v6
	v_add_f32_e32 v107, v107, v112
	s_waitcnt vmcnt(11) lgkmcnt(11)
	v_mul_f32_e32 v115, v62, v11
	v_fmac_f32_e32 v114, v61, v8
	v_add_f32_e32 v107, v107, v113
	v_mul_f32_e32 v116, v64, v13
	v_fmac_f32_e32 v115, v63, v10
	v_add_f32_e32 v107, v107, v114
	;; [unrolled: 7-line block ×8, first 2 shown]
	s_waitcnt vmcnt(4) lgkmcnt(4)
	v_mul_f32_e32 v219, v90, v39
	v_fmac_f32_e32 v218, v89, v36
	v_add_f32_e32 v107, v107, v217
	v_fmac_f32_e32 v219, v91, v38
	v_add_f32_e32 v107, v107, v218
	v_add_f32_e32 v107, v107, v219
	scratch_load_dwordx4 v[112:115], off, off offset:288
	scratch_load_dwordx4 v[116:119], off, off offset:304
	;; [unrolled: 1-line block ×3, first 2 shown]
	scratch_load_dwordx2 v[218:219], off, off offset:336
	v_mul_f32_e32 v3, v55, v3
	v_fma_f32 v2, v54, v2, -v3
	v_mul_f32_e32 v3, v57, v5
	v_add_f32_e32 v2, 0, v2
	v_fma_f32 v3, v56, v4, -v3
	v_add_f32_e32 v2, v2, v3
	v_mul_f32_e32 v3, v59, v7
	v_fma_f32 v3, v58, v6, -v3
	v_add_f32_e32 v2, v2, v3
	v_mul_f32_e32 v3, v61, v9
	v_fma_f32 v3, v60, v8, -v3
	v_add_f32_e32 v2, v2, v3
	v_mul_f32_e32 v3, v63, v11
	v_fma_f32 v3, v62, v10, -v3
	v_add_f32_e32 v2, v2, v3
	v_mul_f32_e32 v3, v65, v13
	v_fma_f32 v3, v64, v12, -v3
	v_add_f32_e32 v2, v2, v3
	v_mul_f32_e32 v3, v67, v15
	v_fma_f32 v3, v66, v14, -v3
	v_add_f32_e32 v2, v2, v3
	v_mul_f32_e32 v3, v69, v17
	v_fma_f32 v3, v68, v16, -v3
	v_add_f32_e32 v2, v2, v3
	v_mul_f32_e32 v3, v71, v19
	v_fma_f32 v3, v70, v18, -v3
	v_add_f32_e32 v2, v2, v3
	v_mul_f32_e32 v3, v73, v21
	v_fma_f32 v3, v72, v20, -v3
	v_add_f32_e32 v2, v2, v3
	v_mul_f32_e32 v3, v75, v23
	v_fma_f32 v3, v74, v22, -v3
	v_add_f32_e32 v2, v2, v3
	v_mul_f32_e32 v3, v77, v25
	v_fma_f32 v3, v76, v24, -v3
	v_add_f32_e32 v2, v2, v3
	v_mul_f32_e32 v3, v79, v27
	v_fma_f32 v3, v78, v26, -v3
	v_add_f32_e32 v2, v2, v3
	v_mul_f32_e32 v3, v81, v29
	v_fma_f32 v3, v80, v28, -v3
	v_add_f32_e32 v2, v2, v3
	v_mul_f32_e32 v3, v83, v31
	v_fma_f32 v3, v82, v30, -v3
	v_add_f32_e32 v2, v2, v3
	v_mul_f32_e32 v3, v85, v33
	v_fma_f32 v3, v84, v32, -v3
	v_add_f32_e32 v2, v2, v3
	v_mul_f32_e32 v3, v87, v35
	v_fma_f32 v3, v86, v34, -v3
	v_add_f32_e32 v2, v2, v3
	v_mul_f32_e32 v3, v89, v37
	v_fma_f32 v3, v88, v36, -v3
	v_add_f32_e32 v2, v2, v3
	v_mul_f32_e32 v3, v91, v39
	v_fma_f32 v3, v90, v38, -v3
	v_add_f32_e32 v2, v2, v3
	v_mul_f32_e32 v3, v93, v41
	v_fma_f32 v3, v92, v40, -v3
	v_add_f32_e32 v2, v2, v3
	s_waitcnt vmcnt(7) lgkmcnt(3)
	v_mul_f32_e32 v3, v95, v43
	v_fma_f32 v3, v94, v42, -v3
	v_mul_f32_e32 v220, v92, v41
	v_add_f32_e32 v2, v2, v3
	v_mul_f32_e32 v3, v97, v45
	v_mul_f32_e32 v221, v94, v43
	v_fmac_f32_e32 v220, v93, v40
	v_fma_f32 v3, v96, v44, -v3
	v_mul_f32_e32 v222, v96, v45
	v_fmac_f32_e32 v221, v95, v42
	v_add_f32_e32 v107, v107, v220
	v_add_f32_e32 v2, v2, v3
	s_waitcnt vmcnt(6) lgkmcnt(2)
	v_mul_f32_e32 v3, v99, v47
	v_mul_f32_e32 v223, v98, v47
	v_fmac_f32_e32 v222, v97, v44
	v_add_f32_e32 v107, v107, v221
	v_fma_f32 v3, v98, v46, -v3
	v_mul_f32_e32 v213, v100, v49
	v_fmac_f32_e32 v223, v99, v46
	v_add_f32_e32 v107, v107, v222
	v_add_f32_e32 v216, v2, v3
	v_mul_f32_e32 v2, v101, v49
	s_waitcnt vmcnt(5)
	v_mov_b32_e32 v14, v53
	s_waitcnt lgkmcnt(1)
	v_mul_f32_e32 v215, v102, v51
	v_fmac_f32_e32 v213, v101, v48
	v_add_f32_e32 v217, v107, v223
	v_fma_f32 v212, v100, v48, -v2
	v_mul_f32_e32 v2, v103, v51
	v_pk_mul_f32 v[14:15], v[104:105], v[14:15] op_sel:[1,0] op_sel_hi:[0,0]
	v_fmac_f32_e32 v215, v103, v50
	v_fma_f32 v214, v102, v50, -v2
	v_pk_add_f32 v[12:13], v[216:217], v[212:213]
	v_pk_fma_f32 v[16:17], v[104:105], v[52:53], v[14:15] neg_lo:[0,0,1] neg_hi:[0,0,1]
	v_pk_fma_f32 v[14:15], v[104:105], v[52:53], v[14:15] op_sel_hi:[1,0,1]
	v_pk_add_f32 v[12:13], v[12:13], v[214:215]
	v_mov_b32_e32 v17, v15
	s_waitcnt vmcnt(3) lgkmcnt(0)
	v_pk_mul_f32 v[14:15], v[108:109], v[112:113] op_sel:[1,1] op_sel_hi:[0,1]
	v_pk_add_f32 v[12:13], v[12:13], v[16:17]
	v_pk_fma_f32 v[16:17], v[108:109], v[112:113], v[14:15] neg_lo:[0,0,1] neg_hi:[0,0,1]
	v_pk_fma_f32 v[14:15], v[108:109], v[112:113], v[14:15] op_sel_hi:[1,0,1]
	ds_read_b128 v[2:5], v106 offset:656
	ds_read_b128 v[6:9], v106 offset:672
	ds_read_b64 v[10:11], v106 offset:688
	v_mov_b32_e32 v14, v115
	v_mov_b32_e32 v17, v15
	v_pk_mul_f32 v[14:15], v[110:111], v[14:15] op_sel:[1,0] op_sel_hi:[0,0]
	v_pk_add_f32 v[12:13], v[12:13], v[16:17]
	v_pk_fma_f32 v[16:17], v[110:111], v[114:115], v[14:15] neg_lo:[0,0,1] neg_hi:[0,0,1]
	v_pk_fma_f32 v[14:15], v[110:111], v[114:115], v[14:15] op_sel_hi:[1,0,1]
	s_nop 0
	v_mov_b32_e32 v17, v15
	s_waitcnt vmcnt(2) lgkmcnt(2)
	v_pk_mul_f32 v[14:15], v[2:3], v[116:117] op_sel:[1,1] op_sel_hi:[0,1]
	v_pk_add_f32 v[12:13], v[12:13], v[16:17]
	v_pk_fma_f32 v[16:17], v[2:3], v[116:117], v[14:15] neg_lo:[0,0,1] neg_hi:[0,0,1]
	v_pk_fma_f32 v[2:3], v[2:3], v[116:117], v[14:15] op_sel_hi:[1,0,1]
	s_nop 0
	v_mov_b32_e32 v17, v3
	v_pk_add_f32 v[2:3], v[12:13], v[16:17]
	v_mov_b32_e32 v12, v119
	v_pk_mul_f32 v[12:13], v[4:5], v[12:13] op_sel:[1,0] op_sel_hi:[0,0]
	v_pk_fma_f32 v[14:15], v[4:5], v[118:119], v[12:13] neg_lo:[0,0,1] neg_hi:[0,0,1]
	v_pk_fma_f32 v[4:5], v[4:5], v[118:119], v[12:13] op_sel_hi:[1,0,1]
	s_nop 0
	v_mov_b32_e32 v15, v5
	s_waitcnt vmcnt(1) lgkmcnt(1)
	v_pk_mul_f32 v[4:5], v[6:7], v[120:121] op_sel:[1,1] op_sel_hi:[0,1]
	v_pk_fma_f32 v[12:13], v[6:7], v[120:121], v[4:5] neg_lo:[0,0,1] neg_hi:[0,0,1]
	v_pk_fma_f32 v[4:5], v[6:7], v[120:121], v[4:5] op_sel_hi:[1,0,1]
	v_pk_add_f32 v[2:3], v[2:3], v[14:15]
	v_mov_b32_e32 v4, v123
	v_mov_b32_e32 v13, v5
	v_pk_mul_f32 v[4:5], v[8:9], v[4:5] op_sel:[1,0] op_sel_hi:[0,0]
	v_pk_fma_f32 v[6:7], v[8:9], v[122:123], v[4:5] neg_lo:[0,0,1] neg_hi:[0,0,1]
	v_pk_fma_f32 v[4:5], v[8:9], v[122:123], v[4:5] op_sel_hi:[1,0,1]
	v_pk_add_f32 v[2:3], v[2:3], v[12:13]
	v_mov_b32_e32 v7, v5
	s_waitcnt vmcnt(0) lgkmcnt(0)
	v_pk_mul_f32 v[4:5], v[10:11], v[218:219] op_sel:[1,1] op_sel_hi:[0,1]
	v_pk_add_f32 v[2:3], v[2:3], v[6:7]
	v_pk_fma_f32 v[6:7], v[10:11], v[218:219], v[4:5] neg_lo:[0,0,1] neg_hi:[0,0,1]
	v_pk_fma_f32 v[4:5], v[10:11], v[218:219], v[4:5] op_sel_hi:[1,0,1]
	s_nop 0
	v_mov_b32_e32 v7, v5
	v_pk_add_f32 v[2:3], v[2:3], v[6:7]
	s_nop 0
	v_pk_add_f32 v[2:3], v[210:211], v[2:3] neg_lo:[0,1] neg_hi:[0,1]
	scratch_store_dwordx2 off, v[2:3], off offset:72
	s_and_saveexec_b64 s[0:1], vcc
	s_cbranch_execz .LBB106_255
; %bb.254:
	scratch_load_dwordx2 v[2:3], off, off offset:64
	v_mov_b32_e32 v107, v106
	scratch_store_dwordx2 off, v[106:107], off offset:64
	s_waitcnt vmcnt(1)
	ds_write_b64 v1, v[2:3]
.LBB106_255:
	s_or_b64 exec, exec, s[0:1]
	s_waitcnt lgkmcnt(0)
	; wave barrier
	scratch_load_dwordx4 v[2:5], off, off offset:72
	scratch_load_dwordx4 v[6:9], off, off offset:88
	;; [unrolled: 1-line block ×13, first 2 shown]
	ds_read2_b64 v[102:105], v106 offset0:53 offset1:54
	ds_read2_b64 v[98:101], v106 offset0:55 offset1:56
	;; [unrolled: 1-line block ×14, first 2 shown]
	scratch_load_dwordx2 v[214:215], off, off offset:64
	v_cmp_lt_u32_e32 vcc, 7, v0
	s_waitcnt vmcnt(13) lgkmcnt(13)
	v_mul_f32_e32 v107, v102, v3
	v_mul_f32_e32 v112, v104, v5
	v_fmac_f32_e32 v107, v103, v2
	s_waitcnt vmcnt(12) lgkmcnt(12)
	v_mul_f32_e32 v113, v98, v7
	v_fmac_f32_e32 v112, v105, v4
	v_add_f32_e32 v107, 0, v107
	v_mul_f32_e32 v114, v100, v9
	v_fmac_f32_e32 v113, v99, v6
	v_add_f32_e32 v107, v107, v112
	s_waitcnt vmcnt(11) lgkmcnt(11)
	v_mul_f32_e32 v115, v94, v11
	v_fmac_f32_e32 v114, v101, v8
	v_add_f32_e32 v107, v107, v113
	v_mul_f32_e32 v116, v96, v13
	v_fmac_f32_e32 v115, v95, v10
	v_add_f32_e32 v107, v107, v114
	;; [unrolled: 7-line block ×7, first 2 shown]
	s_waitcnt vmcnt(5) lgkmcnt(5)
	v_mul_f32_e32 v213, v70, v35
	v_fmac_f32_e32 v212, v77, v32
	v_add_f32_e32 v107, v107, v211
	v_fmac_f32_e32 v213, v71, v34
	v_add_f32_e32 v107, v107, v212
	v_add_f32_e32 v107, v107, v213
	scratch_load_dwordx4 v[112:115], off, off offset:280
	scratch_load_dwordx4 v[116:119], off, off offset:296
	;; [unrolled: 1-line block ×4, first 2 shown]
	v_mul_f32_e32 v3, v103, v3
	v_fma_f32 v2, v102, v2, -v3
	v_mul_f32_e32 v3, v105, v5
	v_add_f32_e32 v2, 0, v2
	v_fma_f32 v3, v104, v4, -v3
	v_add_f32_e32 v2, v2, v3
	v_mul_f32_e32 v3, v99, v7
	v_fma_f32 v3, v98, v6, -v3
	v_add_f32_e32 v2, v2, v3
	v_mul_f32_e32 v3, v101, v9
	;; [unrolled: 3-line block ×16, first 2 shown]
	v_fma_f32 v3, v72, v36, -v3
	v_add_f32_e32 v2, v2, v3
	s_waitcnt vmcnt(8) lgkmcnt(4)
	v_mul_f32_e32 v3, v67, v39
	v_fma_f32 v3, v66, v38, -v3
	v_add_f32_e32 v2, v2, v3
	v_mul_f32_e32 v3, v69, v41
	v_fma_f32 v3, v68, v40, -v3
	v_add_f32_e32 v2, v2, v3
	s_waitcnt vmcnt(7) lgkmcnt(3)
	v_mul_f32_e32 v3, v63, v43
	v_mul_f32_e32 v216, v72, v37
	v_fma_f32 v3, v62, v42, -v3
	v_mul_f32_e32 v218, v66, v39
	v_fmac_f32_e32 v216, v73, v36
	v_add_f32_e32 v2, v2, v3
	v_mul_f32_e32 v3, v65, v45
	v_mul_f32_e32 v220, v68, v41
	v_fmac_f32_e32 v218, v67, v38
	v_add_f32_e32 v107, v107, v216
	v_fma_f32 v3, v64, v44, -v3
	v_mul_f32_e32 v221, v62, v43
	v_fmac_f32_e32 v220, v69, v40
	v_add_f32_e32 v107, v107, v218
	v_add_f32_e32 v2, v2, v3
	s_waitcnt vmcnt(6) lgkmcnt(2)
	v_mul_f32_e32 v3, v59, v47
	v_mul_f32_e32 v222, v64, v45
	v_fmac_f32_e32 v221, v63, v42
	v_add_f32_e32 v107, v107, v220
	v_fma_f32 v3, v58, v46, -v3
	v_mul_f32_e32 v223, v58, v47
	v_fmac_f32_e32 v222, v65, v44
	v_add_f32_e32 v107, v107, v221
	v_add_f32_e32 v2, v2, v3
	v_mul_f32_e32 v3, v61, v49
	v_mul_f32_e32 v224, v60, v49
	v_fmac_f32_e32 v223, v59, v46
	v_add_f32_e32 v107, v107, v222
	v_fma_f32 v3, v60, v48, -v3
	s_waitcnt vmcnt(5) lgkmcnt(1)
	v_mul_f32_e32 v217, v54, v51
	v_fmac_f32_e32 v224, v61, v48
	v_add_f32_e32 v107, v107, v223
	v_add_f32_e32 v220, v2, v3
	v_mul_f32_e32 v2, v55, v51
	s_waitcnt vmcnt(3) lgkmcnt(0)
	v_pk_mul_f32 v[16:17], v[108:109], v[112:113] op_sel:[1,1] op_sel_hi:[0,1]
	v_mul_f32_e32 v219, v56, v53
	v_fmac_f32_e32 v217, v55, v50
	v_add_f32_e32 v221, v107, v224
	v_fma_f32 v216, v54, v50, -v2
	v_mul_f32_e32 v2, v57, v53
	v_pk_fma_f32 v[18:19], v[108:109], v[112:113], v[16:17] neg_lo:[0,0,1] neg_hi:[0,0,1]
	v_pk_fma_f32 v[16:17], v[108:109], v[112:113], v[16:17] op_sel_hi:[1,0,1]
	v_fmac_f32_e32 v219, v57, v52
	v_fma_f32 v218, v56, v52, -v2
	ds_read2_b64 v[2:5], v106 offset0:81 offset1:82
	ds_read2_b64 v[6:9], v106 offset0:83 offset1:84
	;; [unrolled: 1-line block ×3, first 2 shown]
	v_pk_add_f32 v[14:15], v[220:221], v[216:217]
	v_mov_b32_e32 v16, v115
	v_pk_add_f32 v[14:15], v[14:15], v[218:219]
	v_mov_b32_e32 v19, v17
	v_pk_mul_f32 v[16:17], v[110:111], v[16:17] op_sel:[1,0] op_sel_hi:[0,0]
	v_pk_add_f32 v[14:15], v[14:15], v[18:19]
	v_pk_fma_f32 v[18:19], v[110:111], v[114:115], v[16:17] neg_lo:[0,0,1] neg_hi:[0,0,1]
	v_pk_fma_f32 v[16:17], v[110:111], v[114:115], v[16:17] op_sel_hi:[1,0,1]
	s_nop 0
	v_mov_b32_e32 v19, v17
	s_waitcnt vmcnt(2) lgkmcnt(2)
	v_pk_mul_f32 v[16:17], v[2:3], v[116:117] op_sel:[1,1] op_sel_hi:[0,1]
	v_pk_add_f32 v[14:15], v[14:15], v[18:19]
	v_pk_fma_f32 v[18:19], v[2:3], v[116:117], v[16:17] neg_lo:[0,0,1] neg_hi:[0,0,1]
	v_pk_fma_f32 v[2:3], v[2:3], v[116:117], v[16:17] op_sel_hi:[1,0,1]
	s_nop 0
	v_mov_b32_e32 v19, v3
	v_pk_add_f32 v[2:3], v[14:15], v[18:19]
	v_mov_b32_e32 v14, v119
	v_pk_mul_f32 v[14:15], v[4:5], v[14:15] op_sel:[1,0] op_sel_hi:[0,0]
	v_pk_fma_f32 v[16:17], v[4:5], v[118:119], v[14:15] neg_lo:[0,0,1] neg_hi:[0,0,1]
	v_pk_fma_f32 v[4:5], v[4:5], v[118:119], v[14:15] op_sel_hi:[1,0,1]
	s_nop 0
	v_mov_b32_e32 v17, v5
	s_waitcnt vmcnt(1) lgkmcnt(1)
	v_pk_mul_f32 v[4:5], v[6:7], v[120:121] op_sel:[1,1] op_sel_hi:[0,1]
	v_pk_fma_f32 v[14:15], v[6:7], v[120:121], v[4:5] neg_lo:[0,0,1] neg_hi:[0,0,1]
	v_pk_fma_f32 v[4:5], v[6:7], v[120:121], v[4:5] op_sel_hi:[1,0,1]
	v_pk_add_f32 v[2:3], v[2:3], v[16:17]
	v_mov_b32_e32 v4, v123
	v_mov_b32_e32 v15, v5
	v_pk_mul_f32 v[4:5], v[8:9], v[4:5] op_sel:[1,0] op_sel_hi:[0,0]
	v_pk_fma_f32 v[6:7], v[8:9], v[122:123], v[4:5] neg_lo:[0,0,1] neg_hi:[0,0,1]
	v_pk_fma_f32 v[4:5], v[8:9], v[122:123], v[4:5] op_sel_hi:[1,0,1]
	v_pk_add_f32 v[2:3], v[2:3], v[14:15]
	v_mov_b32_e32 v7, v5
	s_waitcnt vmcnt(0) lgkmcnt(0)
	v_pk_mul_f32 v[4:5], v[10:11], v[210:211] op_sel:[1,1] op_sel_hi:[0,1]
	v_pk_add_f32 v[2:3], v[2:3], v[6:7]
	v_pk_fma_f32 v[6:7], v[10:11], v[210:211], v[4:5] neg_lo:[0,0,1] neg_hi:[0,0,1]
	v_pk_fma_f32 v[4:5], v[10:11], v[210:211], v[4:5] op_sel_hi:[1,0,1]
	s_nop 0
	v_mov_b32_e32 v4, v213
	v_mov_b32_e32 v7, v5
	v_pk_mul_f32 v[4:5], v[12:13], v[4:5] op_sel:[1,0] op_sel_hi:[0,0]
	v_pk_add_f32 v[2:3], v[2:3], v[6:7]
	v_pk_fma_f32 v[6:7], v[12:13], v[212:213], v[4:5] neg_lo:[0,0,1] neg_hi:[0,0,1]
	v_pk_fma_f32 v[4:5], v[12:13], v[212:213], v[4:5] op_sel_hi:[1,0,1]
	s_nop 0
	v_mov_b32_e32 v7, v5
	v_pk_add_f32 v[2:3], v[2:3], v[6:7]
	s_nop 0
	v_pk_add_f32 v[2:3], v[214:215], v[2:3] neg_lo:[0,1] neg_hi:[0,1]
	scratch_store_dwordx2 off, v[2:3], off offset:64
	s_and_saveexec_b64 s[0:1], vcc
	s_cbranch_execz .LBB106_257
; %bb.256:
	scratch_load_dwordx2 v[2:3], off, off offset:56
	v_mov_b32_e32 v4, 0
	v_mov_b32_e32 v5, v4
	scratch_store_dwordx2 off, v[4:5], off offset:56
	s_waitcnt vmcnt(1)
	ds_write_b64 v1, v[2:3]
.LBB106_257:
	s_or_b64 exec, exec, s[0:1]
	s_waitcnt lgkmcnt(0)
	; wave barrier
	scratch_load_dwordx4 v[2:5], off, off offset:64
	scratch_load_dwordx4 v[6:9], off, off offset:80
	;; [unrolled: 1-line block ×13, first 2 shown]
	v_mov_b32_e32 v114, 0
	scratch_load_dwordx4 v[54:57], off, off offset:272
	scratch_load_dwordx2 v[214:215], off, off offset:56
	ds_read_b128 v[58:61], v114 offset:416
	ds_read_b128 v[62:65], v114 offset:432
	;; [unrolled: 1-line block ×14, first 2 shown]
	v_cmp_lt_u32_e32 vcc, 6, v0
	s_waitcnt vmcnt(14) lgkmcnt(13)
	v_mul_f32_e32 v115, v58, v3
	v_mul_f32_e32 v116, v60, v5
	v_fmac_f32_e32 v115, v59, v2
	s_waitcnt vmcnt(13) lgkmcnt(12)
	v_mul_f32_e32 v117, v62, v7
	v_fmac_f32_e32 v116, v61, v4
	v_add_f32_e32 v115, 0, v115
	v_mul_f32_e32 v118, v64, v9
	v_fmac_f32_e32 v117, v63, v6
	v_add_f32_e32 v115, v115, v116
	s_waitcnt vmcnt(12) lgkmcnt(11)
	v_mul_f32_e32 v119, v66, v11
	v_fmac_f32_e32 v118, v65, v8
	v_add_f32_e32 v115, v115, v117
	v_mul_f32_e32 v120, v68, v13
	v_fmac_f32_e32 v119, v67, v10
	v_add_f32_e32 v115, v115, v118
	;; [unrolled: 7-line block ×6, first 2 shown]
	s_waitcnt vmcnt(7) lgkmcnt(6)
	v_mul_f32_e32 v217, v86, v31
	v_fmac_f32_e32 v216, v85, v28
	v_add_f32_e32 v115, v115, v213
	scratch_load_dwordx4 v[116:119], off, off offset:288
	v_mul_f32_e32 v218, v88, v33
	v_fmac_f32_e32 v217, v87, v30
	v_add_f32_e32 v115, v115, v216
	s_waitcnt vmcnt(7) lgkmcnt(5)
	v_mul_f32_e32 v219, v90, v35
	v_fmac_f32_e32 v218, v89, v32
	v_add_f32_e32 v115, v115, v217
	v_mul_f32_e32 v220, v92, v37
	v_fmac_f32_e32 v219, v91, v34
	v_add_f32_e32 v115, v115, v218
	s_waitcnt vmcnt(6) lgkmcnt(4)
	v_mul_f32_e32 v221, v94, v39
	v_fmac_f32_e32 v220, v93, v36
	v_add_f32_e32 v115, v115, v219
	;; [unrolled: 7-line block ×3, first 2 shown]
	v_fmac_f32_e32 v223, v99, v42
	v_add_f32_e32 v115, v115, v222
	v_add_f32_e32 v115, v115, v223
	scratch_load_dwordx4 v[120:123], off, off offset:304
	scratch_load_dwordx4 v[210:213], off, off offset:320
	scratch_load_dwordx2 v[222:223], off, off offset:336
	v_mul_f32_e32 v3, v59, v3
	v_fma_f32 v2, v58, v2, -v3
	v_mul_f32_e32 v3, v61, v5
	v_add_f32_e32 v2, 0, v2
	v_fma_f32 v3, v60, v4, -v3
	v_add_f32_e32 v2, v2, v3
	v_mul_f32_e32 v3, v63, v7
	v_fma_f32 v3, v62, v6, -v3
	v_add_f32_e32 v2, v2, v3
	v_mul_f32_e32 v3, v65, v9
	;; [unrolled: 3-line block ×20, first 2 shown]
	v_fma_f32 v3, v100, v44, -v3
	v_add_f32_e32 v2, v2, v3
	s_waitcnt vmcnt(7) lgkmcnt(2)
	v_mul_f32_e32 v3, v103, v47
	v_fma_f32 v3, v102, v46, -v3
	v_add_f32_e32 v2, v2, v3
	v_mul_f32_e32 v3, v105, v49
	v_mul_f32_e32 v224, v100, v45
	v_fma_f32 v3, v104, v48, -v3
	v_mul_f32_e32 v225, v102, v47
	v_fmac_f32_e32 v224, v101, v44
	v_add_f32_e32 v2, v2, v3
	s_waitcnt vmcnt(6) lgkmcnt(1)
	v_mul_f32_e32 v3, v107, v51
	v_mul_f32_e32 v226, v104, v49
	v_fmac_f32_e32 v225, v103, v46
	v_add_f32_e32 v115, v115, v224
	v_fma_f32 v3, v106, v50, -v3
	v_mul_f32_e32 v227, v106, v51
	v_fmac_f32_e32 v226, v105, v48
	v_add_f32_e32 v115, v115, v225
	v_add_f32_e32 v216, v2, v3
	v_mul_f32_e32 v2, v109, v53
	v_fmac_f32_e32 v227, v107, v50
	v_add_f32_e32 v115, v115, v226
	v_mul_f32_e32 v219, v108, v53
	v_fma_f32 v218, v108, v52, -v2
	s_waitcnt vmcnt(5) lgkmcnt(0)
	v_mul_f32_e32 v2, v111, v55
	v_mov_b32_e32 v18, v57
	v_add_f32_e32 v217, v115, v227
	v_fmac_f32_e32 v219, v109, v52
	v_mul_f32_e32 v221, v110, v55
	v_fma_f32 v220, v110, v54, -v2
	ds_read_b128 v[2:5], v114 offset:640
	ds_read_b128 v[6:9], v114 offset:656
	;; [unrolled: 1-line block ×3, first 2 shown]
	ds_read_b64 v[14:15], v114 offset:688
	v_pk_mul_f32 v[18:19], v[112:113], v[18:19] op_sel:[1,0] op_sel_hi:[0,0]
	v_fmac_f32_e32 v221, v111, v54
	v_pk_add_f32 v[16:17], v[216:217], v[218:219]
	v_pk_fma_f32 v[20:21], v[112:113], v[56:57], v[18:19] neg_lo:[0,0,1] neg_hi:[0,0,1]
	v_pk_fma_f32 v[18:19], v[112:113], v[56:57], v[18:19] op_sel_hi:[1,0,1]
	v_pk_add_f32 v[16:17], v[16:17], v[220:221]
	v_mov_b32_e32 v21, v19
	s_waitcnt vmcnt(3) lgkmcnt(3)
	v_pk_mul_f32 v[18:19], v[2:3], v[116:117] op_sel:[1,1] op_sel_hi:[0,1]
	v_pk_add_f32 v[16:17], v[16:17], v[20:21]
	v_pk_fma_f32 v[20:21], v[2:3], v[116:117], v[18:19] neg_lo:[0,0,1] neg_hi:[0,0,1]
	v_pk_fma_f32 v[2:3], v[2:3], v[116:117], v[18:19] op_sel_hi:[1,0,1]
	s_nop 0
	v_mov_b32_e32 v21, v3
	v_pk_add_f32 v[2:3], v[16:17], v[20:21]
	v_mov_b32_e32 v16, v119
	v_pk_mul_f32 v[16:17], v[4:5], v[16:17] op_sel:[1,0] op_sel_hi:[0,0]
	v_pk_fma_f32 v[18:19], v[4:5], v[118:119], v[16:17] neg_lo:[0,0,1] neg_hi:[0,0,1]
	v_pk_fma_f32 v[4:5], v[4:5], v[118:119], v[16:17] op_sel_hi:[1,0,1]
	s_nop 0
	v_mov_b32_e32 v19, v5
	s_waitcnt vmcnt(2) lgkmcnt(2)
	v_pk_mul_f32 v[4:5], v[6:7], v[120:121] op_sel:[1,1] op_sel_hi:[0,1]
	v_pk_fma_f32 v[16:17], v[6:7], v[120:121], v[4:5] neg_lo:[0,0,1] neg_hi:[0,0,1]
	v_pk_fma_f32 v[4:5], v[6:7], v[120:121], v[4:5] op_sel_hi:[1,0,1]
	v_pk_add_f32 v[2:3], v[2:3], v[18:19]
	v_mov_b32_e32 v4, v123
	v_mov_b32_e32 v17, v5
	v_pk_mul_f32 v[4:5], v[8:9], v[4:5] op_sel:[1,0] op_sel_hi:[0,0]
	v_pk_fma_f32 v[6:7], v[8:9], v[122:123], v[4:5] neg_lo:[0,0,1] neg_hi:[0,0,1]
	v_pk_fma_f32 v[4:5], v[8:9], v[122:123], v[4:5] op_sel_hi:[1,0,1]
	v_pk_add_f32 v[2:3], v[2:3], v[16:17]
	v_mov_b32_e32 v7, v5
	s_waitcnt vmcnt(1) lgkmcnt(1)
	v_pk_mul_f32 v[4:5], v[10:11], v[210:211] op_sel:[1,1] op_sel_hi:[0,1]
	v_pk_add_f32 v[2:3], v[2:3], v[6:7]
	v_pk_fma_f32 v[6:7], v[10:11], v[210:211], v[4:5] neg_lo:[0,0,1] neg_hi:[0,0,1]
	v_pk_fma_f32 v[4:5], v[10:11], v[210:211], v[4:5] op_sel_hi:[1,0,1]
	s_nop 0
	v_mov_b32_e32 v4, v213
	v_mov_b32_e32 v7, v5
	v_pk_mul_f32 v[4:5], v[12:13], v[4:5] op_sel:[1,0] op_sel_hi:[0,0]
	v_pk_add_f32 v[2:3], v[2:3], v[6:7]
	v_pk_fma_f32 v[6:7], v[12:13], v[212:213], v[4:5] neg_lo:[0,0,1] neg_hi:[0,0,1]
	v_pk_fma_f32 v[4:5], v[12:13], v[212:213], v[4:5] op_sel_hi:[1,0,1]
	s_nop 0
	v_mov_b32_e32 v7, v5
	s_waitcnt vmcnt(0) lgkmcnt(0)
	v_pk_mul_f32 v[4:5], v[14:15], v[222:223] op_sel:[1,1] op_sel_hi:[0,1]
	v_pk_add_f32 v[2:3], v[2:3], v[6:7]
	v_pk_fma_f32 v[6:7], v[14:15], v[222:223], v[4:5] neg_lo:[0,0,1] neg_hi:[0,0,1]
	v_pk_fma_f32 v[4:5], v[14:15], v[222:223], v[4:5] op_sel_hi:[1,0,1]
	s_nop 0
	v_mov_b32_e32 v7, v5
	v_pk_add_f32 v[2:3], v[2:3], v[6:7]
	s_nop 0
	v_pk_add_f32 v[2:3], v[214:215], v[2:3] neg_lo:[0,1] neg_hi:[0,1]
	scratch_store_dwordx2 off, v[2:3], off offset:56
	s_and_saveexec_b64 s[0:1], vcc
	s_cbranch_execz .LBB106_259
; %bb.258:
	scratch_load_dwordx2 v[2:3], off, off offset:48
	v_mov_b32_e32 v115, v114
	scratch_store_dwordx2 off, v[114:115], off offset:48
	s_waitcnt vmcnt(1)
	ds_write_b64 v1, v[2:3]
.LBB106_259:
	s_or_b64 exec, exec, s[0:1]
	s_waitcnt lgkmcnt(0)
	; wave barrier
	scratch_load_dwordx4 v[2:5], off, off offset:56
	scratch_load_dwordx4 v[6:9], off, off offset:72
	;; [unrolled: 1-line block ×13, first 2 shown]
	ds_read2_b64 v[110:113], v114 offset0:51 offset1:52
	ds_read2_b64 v[106:109], v114 offset0:53 offset1:54
	;; [unrolled: 1-line block ×14, first 2 shown]
	scratch_load_dwordx4 v[66:69], off, off offset:264
	scratch_load_dwordx2 v[218:219], off, off offset:48
	v_cmp_lt_u32_e32 vcc, 5, v0
	s_waitcnt vmcnt(14) lgkmcnt(13)
	v_mul_f32_e32 v115, v110, v3
	v_mul_f32_e32 v116, v112, v5
	v_fmac_f32_e32 v115, v111, v2
	s_waitcnt vmcnt(13) lgkmcnt(12)
	v_mul_f32_e32 v117, v106, v7
	v_fmac_f32_e32 v116, v113, v4
	v_add_f32_e32 v115, 0, v115
	v_mul_f32_e32 v118, v108, v9
	v_fmac_f32_e32 v117, v107, v6
	v_add_f32_e32 v115, v115, v116
	s_waitcnt vmcnt(12) lgkmcnt(11)
	v_mul_f32_e32 v119, v102, v11
	v_fmac_f32_e32 v118, v109, v8
	v_add_f32_e32 v115, v115, v117
	v_mul_f32_e32 v120, v104, v13
	v_fmac_f32_e32 v119, v103, v10
	v_add_f32_e32 v115, v115, v118
	;; [unrolled: 7-line block ×4, first 2 shown]
	s_waitcnt vmcnt(9) lgkmcnt(8)
	v_mul_f32_e32 v211, v90, v23
	v_fmac_f32_e32 v210, v97, v20
	v_add_f32_e32 v115, v115, v123
	scratch_load_dwordx4 v[116:119], off, off offset:280
	v_mul_f32_e32 v212, v92, v25
	v_fmac_f32_e32 v211, v91, v22
	v_add_f32_e32 v115, v115, v210
	s_waitcnt vmcnt(9) lgkmcnt(7)
	v_mul_f32_e32 v213, v86, v27
	v_fmac_f32_e32 v212, v93, v24
	v_add_f32_e32 v115, v115, v211
	v_mul_f32_e32 v214, v88, v29
	v_fmac_f32_e32 v213, v87, v26
	v_add_f32_e32 v115, v115, v212
	s_waitcnt vmcnt(8) lgkmcnt(6)
	v_mul_f32_e32 v215, v82, v31
	v_fmac_f32_e32 v214, v89, v28
	v_add_f32_e32 v115, v115, v213
	;; [unrolled: 7-line block ×3, first 2 shown]
	v_fmac_f32_e32 v217, v79, v34
	v_add_f32_e32 v115, v115, v216
	v_add_f32_e32 v115, v115, v217
	scratch_load_dwordx4 v[120:123], off, off offset:296
	scratch_load_dwordx4 v[210:213], off, off offset:312
	;; [unrolled: 1-line block ×3, first 2 shown]
	v_mul_f32_e32 v3, v111, v3
	v_fma_f32 v2, v110, v2, -v3
	v_mul_f32_e32 v3, v113, v5
	v_add_f32_e32 v2, 0, v2
	v_fma_f32 v3, v112, v4, -v3
	v_add_f32_e32 v2, v2, v3
	v_mul_f32_e32 v3, v107, v7
	v_fma_f32 v3, v106, v6, -v3
	v_add_f32_e32 v2, v2, v3
	v_mul_f32_e32 v3, v109, v9
	;; [unrolled: 3-line block ×16, first 2 shown]
	v_fma_f32 v3, v80, v36, -v3
	v_add_f32_e32 v2, v2, v3
	s_waitcnt vmcnt(9) lgkmcnt(4)
	v_mul_f32_e32 v3, v75, v39
	v_fma_f32 v3, v74, v38, -v3
	v_add_f32_e32 v2, v2, v3
	v_mul_f32_e32 v3, v77, v41
	v_fma_f32 v3, v76, v40, -v3
	v_add_f32_e32 v2, v2, v3
	s_waitcnt vmcnt(8) lgkmcnt(3)
	v_mul_f32_e32 v3, v71, v43
	v_fma_f32 v3, v70, v42, -v3
	v_add_f32_e32 v2, v2, v3
	v_mul_f32_e32 v3, v73, v45
	v_fma_f32 v3, v72, v44, -v3
	v_add_f32_e32 v2, v2, v3
	s_waitcnt vmcnt(7) lgkmcnt(2)
	v_mul_f32_e32 v3, v63, v47
	v_fma_f32 v3, v62, v46, -v3
	v_mul_f32_e32 v220, v80, v37
	v_add_f32_e32 v2, v2, v3
	v_mul_f32_e32 v3, v65, v49
	v_mul_f32_e32 v221, v74, v39
	v_fmac_f32_e32 v220, v81, v36
	v_fma_f32 v3, v64, v48, -v3
	v_mul_f32_e32 v222, v76, v41
	v_fmac_f32_e32 v221, v75, v38
	v_add_f32_e32 v115, v115, v220
	v_add_f32_e32 v2, v2, v3
	s_waitcnt vmcnt(6) lgkmcnt(1)
	v_mul_f32_e32 v3, v55, v51
	v_mul_f32_e32 v223, v70, v43
	v_fmac_f32_e32 v222, v77, v40
	v_add_f32_e32 v115, v115, v221
	v_fma_f32 v3, v54, v50, -v3
	v_mul_f32_e32 v224, v72, v45
	v_fmac_f32_e32 v223, v71, v42
	v_add_f32_e32 v115, v115, v222
	v_add_f32_e32 v2, v2, v3
	v_mul_f32_e32 v3, v57, v53
	v_mul_f32_e32 v225, v62, v47
	v_fmac_f32_e32 v224, v73, v44
	v_add_f32_e32 v115, v115, v223
	v_fma_f32 v3, v56, v52, -v3
	v_mul_f32_e32 v226, v64, v49
	v_fmac_f32_e32 v225, v63, v46
	v_add_f32_e32 v115, v115, v224
	v_add_f32_e32 v220, v2, v3
	s_waitcnt vmcnt(5) lgkmcnt(0)
	v_mul_f32_e32 v2, v59, v67
	v_mul_f32_e32 v227, v54, v51
	v_fmac_f32_e32 v226, v65, v48
	v_add_f32_e32 v115, v115, v225
	v_fma_f32 v222, v58, v66, -v2
	v_mul_f32_e32 v2, v61, v69
	v_mul_f32_e32 v228, v56, v53
	v_fmac_f32_e32 v227, v55, v50
	v_add_f32_e32 v115, v115, v226
	v_fma_f32 v224, v60, v68, -v2
	ds_read2_b64 v[2:5], v114 offset0:79 offset1:80
	ds_read2_b64 v[6:9], v114 offset0:81 offset1:82
	;; [unrolled: 1-line block ×4, first 2 shown]
	v_add_f32_e32 v115, v115, v227
	v_fmac_f32_e32 v228, v57, v52
	v_mul_f32_e32 v223, v58, v67
	v_add_f32_e32 v221, v115, v228
	v_fmac_f32_e32 v223, v59, v66
	v_mul_f32_e32 v225, v60, v69
	s_waitcnt vmcnt(3) lgkmcnt(3)
	v_pk_mul_f32 v[20:21], v[2:3], v[116:117] op_sel:[1,1] op_sel_hi:[0,1]
	v_fmac_f32_e32 v225, v61, v68
	v_pk_add_f32 v[18:19], v[220:221], v[222:223]
	v_pk_fma_f32 v[22:23], v[2:3], v[116:117], v[20:21] neg_lo:[0,0,1] neg_hi:[0,0,1]
	v_pk_fma_f32 v[2:3], v[2:3], v[116:117], v[20:21] op_sel_hi:[1,0,1]
	v_pk_add_f32 v[18:19], v[18:19], v[224:225]
	v_mov_b32_e32 v23, v3
	v_pk_add_f32 v[2:3], v[18:19], v[22:23]
	v_mov_b32_e32 v18, v119
	v_pk_mul_f32 v[18:19], v[4:5], v[18:19] op_sel:[1,0] op_sel_hi:[0,0]
	v_pk_fma_f32 v[20:21], v[4:5], v[118:119], v[18:19] neg_lo:[0,0,1] neg_hi:[0,0,1]
	v_pk_fma_f32 v[4:5], v[4:5], v[118:119], v[18:19] op_sel_hi:[1,0,1]
	s_nop 0
	v_mov_b32_e32 v21, v5
	s_waitcnt vmcnt(2) lgkmcnt(2)
	v_pk_mul_f32 v[4:5], v[6:7], v[120:121] op_sel:[1,1] op_sel_hi:[0,1]
	v_pk_fma_f32 v[18:19], v[6:7], v[120:121], v[4:5] neg_lo:[0,0,1] neg_hi:[0,0,1]
	v_pk_fma_f32 v[4:5], v[6:7], v[120:121], v[4:5] op_sel_hi:[1,0,1]
	v_pk_add_f32 v[2:3], v[2:3], v[20:21]
	v_mov_b32_e32 v4, v123
	v_mov_b32_e32 v19, v5
	v_pk_mul_f32 v[4:5], v[8:9], v[4:5] op_sel:[1,0] op_sel_hi:[0,0]
	v_pk_fma_f32 v[6:7], v[8:9], v[122:123], v[4:5] neg_lo:[0,0,1] neg_hi:[0,0,1]
	v_pk_fma_f32 v[4:5], v[8:9], v[122:123], v[4:5] op_sel_hi:[1,0,1]
	v_pk_add_f32 v[2:3], v[2:3], v[18:19]
	v_mov_b32_e32 v7, v5
	s_waitcnt vmcnt(1) lgkmcnt(1)
	v_pk_mul_f32 v[4:5], v[10:11], v[210:211] op_sel:[1,1] op_sel_hi:[0,1]
	v_pk_add_f32 v[2:3], v[2:3], v[6:7]
	v_pk_fma_f32 v[6:7], v[10:11], v[210:211], v[4:5] neg_lo:[0,0,1] neg_hi:[0,0,1]
	v_pk_fma_f32 v[4:5], v[10:11], v[210:211], v[4:5] op_sel_hi:[1,0,1]
	s_nop 0
	v_mov_b32_e32 v4, v213
	v_mov_b32_e32 v7, v5
	v_pk_mul_f32 v[4:5], v[12:13], v[4:5] op_sel:[1,0] op_sel_hi:[0,0]
	v_pk_add_f32 v[2:3], v[2:3], v[6:7]
	v_pk_fma_f32 v[6:7], v[12:13], v[212:213], v[4:5] neg_lo:[0,0,1] neg_hi:[0,0,1]
	v_pk_fma_f32 v[4:5], v[12:13], v[212:213], v[4:5] op_sel_hi:[1,0,1]
	s_nop 0
	v_mov_b32_e32 v7, v5
	s_waitcnt vmcnt(0) lgkmcnt(0)
	v_pk_mul_f32 v[4:5], v[14:15], v[214:215] op_sel:[1,1] op_sel_hi:[0,1]
	v_pk_add_f32 v[2:3], v[2:3], v[6:7]
	v_pk_fma_f32 v[6:7], v[14:15], v[214:215], v[4:5] neg_lo:[0,0,1] neg_hi:[0,0,1]
	v_pk_fma_f32 v[4:5], v[14:15], v[214:215], v[4:5] op_sel_hi:[1,0,1]
	s_nop 0
	v_mov_b32_e32 v4, v217
	v_mov_b32_e32 v7, v5
	v_pk_mul_f32 v[4:5], v[16:17], v[4:5] op_sel:[1,0] op_sel_hi:[0,0]
	v_pk_add_f32 v[2:3], v[2:3], v[6:7]
	v_pk_fma_f32 v[6:7], v[16:17], v[216:217], v[4:5] neg_lo:[0,0,1] neg_hi:[0,0,1]
	v_pk_fma_f32 v[4:5], v[16:17], v[216:217], v[4:5] op_sel_hi:[1,0,1]
	s_nop 0
	v_mov_b32_e32 v7, v5
	v_pk_add_f32 v[2:3], v[2:3], v[6:7]
	s_nop 0
	v_pk_add_f32 v[2:3], v[218:219], v[2:3] neg_lo:[0,1] neg_hi:[0,1]
	scratch_store_dwordx2 off, v[2:3], off offset:48
	s_and_saveexec_b64 s[0:1], vcc
	s_cbranch_execz .LBB106_261
; %bb.260:
	scratch_load_dwordx2 v[2:3], off, off offset:40
	v_mov_b32_e32 v4, 0
	v_mov_b32_e32 v5, v4
	scratch_store_dwordx2 off, v[4:5], off offset:40
	s_waitcnt vmcnt(1)
	ds_write_b64 v1, v[2:3]
.LBB106_261:
	s_or_b64 exec, exec, s[0:1]
	s_waitcnt lgkmcnt(0)
	; wave barrier
	scratch_load_dwordx4 v[2:5], off, off offset:48
	scratch_load_dwordx4 v[6:9], off, off offset:64
	;; [unrolled: 1-line block ×15, first 2 shown]
	scratch_load_dwordx2 v[226:227], off, off offset:40
	v_mov_b32_e32 v118, 0
	ds_read_b128 v[62:65], v118 offset:400
	ds_read_b128 v[66:69], v118 offset:416
	;; [unrolled: 1-line block ×14, first 2 shown]
	v_cmp_lt_u32_e32 vcc, 4, v0
	s_waitcnt vmcnt(15) lgkmcnt(13)
	v_mul_f32_e32 v119, v62, v3
	v_mul_f32_e32 v120, v64, v5
	v_fmac_f32_e32 v119, v63, v2
	s_waitcnt vmcnt(14) lgkmcnt(12)
	v_mul_f32_e32 v121, v66, v7
	v_fmac_f32_e32 v120, v65, v4
	v_add_f32_e32 v119, 0, v119
	v_mul_f32_e32 v122, v68, v9
	v_fmac_f32_e32 v121, v67, v6
	v_add_f32_e32 v119, v119, v120
	s_waitcnt vmcnt(13) lgkmcnt(11)
	v_mul_f32_e32 v123, v70, v11
	v_fmac_f32_e32 v122, v69, v8
	v_add_f32_e32 v119, v119, v121
	v_mul_f32_e32 v210, v72, v13
	v_fmac_f32_e32 v123, v71, v10
	v_add_f32_e32 v119, v119, v122
	s_waitcnt vmcnt(12) lgkmcnt(10)
	v_mul_f32_e32 v211, v74, v15
	v_fmac_f32_e32 v210, v73, v12
	v_add_f32_e32 v119, v119, v123
	v_mul_f32_e32 v212, v76, v17
	v_fmac_f32_e32 v211, v75, v14
	v_add_f32_e32 v119, v119, v210
	s_waitcnt vmcnt(11) lgkmcnt(9)
	v_mul_f32_e32 v213, v78, v19
	v_fmac_f32_e32 v212, v77, v16
	v_add_f32_e32 v119, v119, v211
	v_mul_f32_e32 v214, v80, v21
	v_fmac_f32_e32 v213, v79, v18
	v_add_f32_e32 v119, v119, v212
	s_waitcnt vmcnt(10) lgkmcnt(8)
	v_mul_f32_e32 v215, v82, v23
	v_fmac_f32_e32 v214, v81, v20
	v_add_f32_e32 v119, v119, v213
	v_mul_f32_e32 v216, v84, v25
	v_fmac_f32_e32 v215, v83, v22
	v_add_f32_e32 v119, v119, v214
	s_waitcnt vmcnt(9) lgkmcnt(7)
	v_mul_f32_e32 v217, v86, v27
	v_fmac_f32_e32 v216, v85, v24
	v_add_f32_e32 v119, v119, v215
	v_mul_f32_e32 v218, v88, v29
	v_fmac_f32_e32 v217, v87, v26
	v_add_f32_e32 v119, v119, v216
	s_waitcnt vmcnt(8) lgkmcnt(6)
	v_mul_f32_e32 v219, v90, v31
	v_fmac_f32_e32 v218, v89, v28
	v_add_f32_e32 v119, v119, v217
	v_mul_f32_e32 v220, v92, v33
	v_fmac_f32_e32 v219, v91, v30
	v_add_f32_e32 v119, v119, v218
	s_waitcnt vmcnt(7) lgkmcnt(5)
	v_mul_f32_e32 v221, v94, v35
	v_fmac_f32_e32 v220, v93, v32
	v_add_f32_e32 v119, v119, v219
	v_mul_f32_e32 v222, v96, v37
	v_fmac_f32_e32 v221, v95, v34
	v_add_f32_e32 v119, v119, v220
	s_waitcnt vmcnt(6) lgkmcnt(4)
	v_mul_f32_e32 v223, v98, v39
	v_fmac_f32_e32 v222, v97, v36
	v_add_f32_e32 v119, v119, v221
	v_mul_f32_e32 v224, v100, v41
	v_fmac_f32_e32 v223, v99, v38
	v_add_f32_e32 v119, v119, v222
	s_waitcnt vmcnt(5) lgkmcnt(3)
	v_mul_f32_e32 v225, v102, v43
	v_fmac_f32_e32 v224, v101, v40
	v_add_f32_e32 v119, v119, v223
	v_mul_f32_e32 v228, v104, v45
	v_fmac_f32_e32 v225, v103, v42
	v_add_f32_e32 v119, v119, v224
	s_waitcnt vmcnt(4) lgkmcnt(2)
	v_mul_f32_e32 v229, v106, v47
	v_fmac_f32_e32 v228, v105, v44
	v_add_f32_e32 v119, v119, v225
	v_mul_f32_e32 v230, v108, v49
	v_fmac_f32_e32 v229, v107, v46
	v_add_f32_e32 v119, v119, v228
	s_waitcnt vmcnt(3) lgkmcnt(1)
	v_mul_f32_e32 v231, v110, v51
	v_fmac_f32_e32 v230, v109, v48
	v_add_f32_e32 v119, v119, v229
	v_add_f32_e32 v119, v119, v230
	v_fmac_f32_e32 v231, v111, v50
	v_mul_f32_e32 v120, v112, v53
	v_add_f32_e32 v119, v119, v231
	v_fmac_f32_e32 v120, v113, v52
	s_waitcnt vmcnt(2) lgkmcnt(0)
	v_mul_f32_e32 v210, v114, v55
	v_add_f32_e32 v119, v119, v120
	v_fmac_f32_e32 v210, v115, v54
	ds_read_b128 v[120:123], v118 offset:624
	v_add_f32_e32 v229, v119, v210
	ds_read_b128 v[210:213], v118 offset:640
	scratch_load_dwordx4 v[214:217], off, off offset:288
	scratch_load_dwordx4 v[218:221], off, off offset:304
	;; [unrolled: 1-line block ×3, first 2 shown]
	scratch_load_dwordx2 v[234:235], off, off offset:336
	v_mul_f32_e32 v3, v63, v3
	v_fma_f32 v2, v62, v2, -v3
	v_mul_f32_e32 v3, v65, v5
	v_add_f32_e32 v2, 0, v2
	v_fma_f32 v3, v64, v4, -v3
	v_add_f32_e32 v2, v2, v3
	v_mul_f32_e32 v3, v67, v7
	v_fma_f32 v3, v66, v6, -v3
	v_add_f32_e32 v2, v2, v3
	v_mul_f32_e32 v3, v69, v9
	;; [unrolled: 3-line block ×25, first 2 shown]
	v_fma_f32 v3, v114, v54, -v3
	v_mul_f32_e32 v231, v116, v57
	v_add_f32_e32 v228, v2, v3
	v_mul_f32_e32 v2, v117, v57
	s_waitcnt vmcnt(5)
	v_mov_b32_e32 v14, v61
	v_fmac_f32_e32 v231, v117, v56
	s_waitcnt lgkmcnt(1)
	v_mul_f32_e32 v233, v120, v59
	v_fma_f32 v230, v116, v56, -v2
	v_mul_f32_e32 v2, v121, v59
	v_pk_mul_f32 v[14:15], v[122:123], v[14:15] op_sel:[1,0] op_sel_hi:[0,0]
	v_fmac_f32_e32 v233, v121, v58
	v_fma_f32 v232, v120, v58, -v2
	v_pk_add_f32 v[12:13], v[228:229], v[230:231]
	v_pk_fma_f32 v[16:17], v[122:123], v[60:61], v[14:15] neg_lo:[0,0,1] neg_hi:[0,0,1]
	v_pk_fma_f32 v[14:15], v[122:123], v[60:61], v[14:15] op_sel_hi:[1,0,1]
	v_pk_add_f32 v[12:13], v[12:13], v[232:233]
	v_mov_b32_e32 v17, v15
	s_waitcnt vmcnt(3) lgkmcnt(0)
	v_pk_mul_f32 v[14:15], v[210:211], v[214:215] op_sel:[1,1] op_sel_hi:[0,1]
	v_pk_add_f32 v[12:13], v[12:13], v[16:17]
	v_pk_fma_f32 v[16:17], v[210:211], v[214:215], v[14:15] neg_lo:[0,0,1] neg_hi:[0,0,1]
	v_pk_fma_f32 v[14:15], v[210:211], v[214:215], v[14:15] op_sel_hi:[1,0,1]
	ds_read_b128 v[2:5], v118 offset:656
	ds_read_b128 v[6:9], v118 offset:672
	ds_read_b64 v[10:11], v118 offset:688
	v_mov_b32_e32 v14, v217
	v_mov_b32_e32 v17, v15
	v_pk_mul_f32 v[14:15], v[212:213], v[14:15] op_sel:[1,0] op_sel_hi:[0,0]
	v_pk_add_f32 v[12:13], v[12:13], v[16:17]
	v_pk_fma_f32 v[16:17], v[212:213], v[216:217], v[14:15] neg_lo:[0,0,1] neg_hi:[0,0,1]
	v_pk_fma_f32 v[14:15], v[212:213], v[216:217], v[14:15] op_sel_hi:[1,0,1]
	s_nop 0
	v_mov_b32_e32 v17, v15
	s_waitcnt vmcnt(2) lgkmcnt(2)
	v_pk_mul_f32 v[14:15], v[2:3], v[218:219] op_sel:[1,1] op_sel_hi:[0,1]
	v_pk_add_f32 v[12:13], v[12:13], v[16:17]
	v_pk_fma_f32 v[16:17], v[2:3], v[218:219], v[14:15] neg_lo:[0,0,1] neg_hi:[0,0,1]
	v_pk_fma_f32 v[2:3], v[2:3], v[218:219], v[14:15] op_sel_hi:[1,0,1]
	s_nop 0
	v_mov_b32_e32 v17, v3
	v_pk_add_f32 v[2:3], v[12:13], v[16:17]
	v_mov_b32_e32 v12, v221
	v_pk_mul_f32 v[12:13], v[4:5], v[12:13] op_sel:[1,0] op_sel_hi:[0,0]
	v_pk_fma_f32 v[14:15], v[4:5], v[220:221], v[12:13] neg_lo:[0,0,1] neg_hi:[0,0,1]
	v_pk_fma_f32 v[4:5], v[4:5], v[220:221], v[12:13] op_sel_hi:[1,0,1]
	s_nop 0
	v_mov_b32_e32 v15, v5
	s_waitcnt vmcnt(1) lgkmcnt(1)
	v_pk_mul_f32 v[4:5], v[6:7], v[222:223] op_sel:[1,1] op_sel_hi:[0,1]
	v_pk_fma_f32 v[12:13], v[6:7], v[222:223], v[4:5] neg_lo:[0,0,1] neg_hi:[0,0,1]
	v_pk_fma_f32 v[4:5], v[6:7], v[222:223], v[4:5] op_sel_hi:[1,0,1]
	v_pk_add_f32 v[2:3], v[2:3], v[14:15]
	v_mov_b32_e32 v4, v225
	v_mov_b32_e32 v13, v5
	v_pk_mul_f32 v[4:5], v[8:9], v[4:5] op_sel:[1,0] op_sel_hi:[0,0]
	v_pk_fma_f32 v[6:7], v[8:9], v[224:225], v[4:5] neg_lo:[0,0,1] neg_hi:[0,0,1]
	v_pk_fma_f32 v[4:5], v[8:9], v[224:225], v[4:5] op_sel_hi:[1,0,1]
	v_pk_add_f32 v[2:3], v[2:3], v[12:13]
	v_mov_b32_e32 v7, v5
	s_waitcnt vmcnt(0) lgkmcnt(0)
	v_pk_mul_f32 v[4:5], v[10:11], v[234:235] op_sel:[1,1] op_sel_hi:[0,1]
	v_pk_add_f32 v[2:3], v[2:3], v[6:7]
	v_pk_fma_f32 v[6:7], v[10:11], v[234:235], v[4:5] neg_lo:[0,0,1] neg_hi:[0,0,1]
	v_pk_fma_f32 v[4:5], v[10:11], v[234:235], v[4:5] op_sel_hi:[1,0,1]
	s_nop 0
	v_mov_b32_e32 v7, v5
	v_pk_add_f32 v[2:3], v[2:3], v[6:7]
	s_nop 0
	v_pk_add_f32 v[2:3], v[226:227], v[2:3] neg_lo:[0,1] neg_hi:[0,1]
	scratch_store_dwordx2 off, v[2:3], off offset:40
	s_and_saveexec_b64 s[0:1], vcc
	s_cbranch_execz .LBB106_263
; %bb.262:
	scratch_load_dwordx2 v[2:3], off, off offset:32
	v_mov_b32_e32 v119, v118
	scratch_store_dwordx2 off, v[118:119], off offset:32
	s_waitcnt vmcnt(1)
	ds_write_b64 v1, v[2:3]
.LBB106_263:
	s_or_b64 exec, exec, s[0:1]
	s_waitcnt lgkmcnt(0)
	; wave barrier
	scratch_load_dwordx4 v[2:5], off, off offset:40
	scratch_load_dwordx4 v[6:9], off, off offset:56
	;; [unrolled: 1-line block ×13, first 2 shown]
	ds_read2_b64 v[114:117], v118 offset0:49 offset1:50
	ds_read2_b64 v[110:113], v118 offset0:51 offset1:52
	;; [unrolled: 1-line block ×14, first 2 shown]
	scratch_load_dwordx4 v[62:65], off, off offset:248
	scratch_load_dwordx4 v[70:73], off, off offset:264
	scratch_load_dwordx2 v[230:231], off, off offset:32
	v_cmp_lt_u32_e32 vcc, 3, v0
	s_waitcnt vmcnt(15) lgkmcnt(13)
	v_mul_f32_e32 v119, v114, v3
	v_mul_f32_e32 v120, v116, v5
	v_fmac_f32_e32 v119, v115, v2
	s_waitcnt vmcnt(14) lgkmcnt(12)
	v_mul_f32_e32 v121, v110, v7
	v_fmac_f32_e32 v120, v117, v4
	v_add_f32_e32 v119, 0, v119
	v_mul_f32_e32 v122, v112, v9
	v_fmac_f32_e32 v121, v111, v6
	v_add_f32_e32 v119, v119, v120
	s_waitcnt vmcnt(13) lgkmcnt(11)
	v_mul_f32_e32 v123, v106, v11
	v_fmac_f32_e32 v122, v113, v8
	v_add_f32_e32 v119, v119, v121
	v_mul_f32_e32 v210, v108, v13
	v_fmac_f32_e32 v123, v107, v10
	v_add_f32_e32 v119, v119, v122
	;; [unrolled: 7-line block ×11, first 2 shown]
	s_waitcnt vmcnt(3) lgkmcnt(1)
	v_mul_f32_e32 v229, v54, v51
	v_fmac_f32_e32 v228, v69, v48
	v_add_f32_e32 v119, v119, v227
	v_fmac_f32_e32 v229, v55, v50
	v_add_f32_e32 v119, v119, v228
	v_mul_f32_e32 v120, v56, v53
	v_add_f32_e32 v119, v119, v229
	v_fmac_f32_e32 v120, v57, v52
	v_add_f32_e32 v119, v119, v120
	s_waitcnt vmcnt(2) lgkmcnt(0)
	v_mul_f32_e32 v120, v58, v63
	v_fmac_f32_e32 v120, v59, v62
	v_mul_f32_e32 v210, v60, v65
	v_add_f32_e32 v119, v119, v120
	v_fmac_f32_e32 v210, v61, v64
	ds_read2_b64 v[120:123], v118 offset0:77 offset1:78
	v_add_f32_e32 v233, v119, v210
	ds_read2_b64 v[210:213], v118 offset0:79 offset1:80
	scratch_load_dwordx4 v[214:217], off, off offset:280
	scratch_load_dwordx4 v[218:221], off, off offset:296
	;; [unrolled: 1-line block ×4, first 2 shown]
	v_mul_f32_e32 v3, v115, v3
	v_fma_f32 v2, v114, v2, -v3
	v_mul_f32_e32 v3, v117, v5
	v_add_f32_e32 v2, 0, v2
	v_fma_f32 v3, v116, v4, -v3
	v_add_f32_e32 v2, v2, v3
	v_mul_f32_e32 v3, v111, v7
	v_fma_f32 v3, v110, v6, -v3
	v_add_f32_e32 v2, v2, v3
	v_mul_f32_e32 v3, v113, v9
	;; [unrolled: 3-line block ×26, first 2 shown]
	v_fma_f32 v3, v60, v64, -v3
	s_waitcnt vmcnt(5) lgkmcnt(1)
	v_mul_f32_e32 v235, v120, v71
	v_add_f32_e32 v232, v2, v3
	v_mul_f32_e32 v2, v121, v71
	s_waitcnt vmcnt(3) lgkmcnt(0)
	v_pk_mul_f32 v[16:17], v[210:211], v[214:215] op_sel:[1,1] op_sel_hi:[0,1]
	v_fmac_f32_e32 v235, v121, v70
	v_mul_f32_e32 v237, v122, v73
	v_fma_f32 v234, v120, v70, -v2
	v_mul_f32_e32 v2, v123, v73
	v_pk_fma_f32 v[18:19], v[210:211], v[214:215], v[16:17] neg_lo:[0,0,1] neg_hi:[0,0,1]
	v_pk_fma_f32 v[16:17], v[210:211], v[214:215], v[16:17] op_sel_hi:[1,0,1]
	v_fmac_f32_e32 v237, v123, v72
	v_fma_f32 v236, v122, v72, -v2
	ds_read2_b64 v[2:5], v118 offset0:81 offset1:82
	ds_read2_b64 v[6:9], v118 offset0:83 offset1:84
	ds_read2_b64 v[10:13], v118 offset0:85 offset1:86
	v_pk_add_f32 v[14:15], v[232:233], v[234:235]
	v_mov_b32_e32 v16, v217
	v_pk_add_f32 v[14:15], v[14:15], v[236:237]
	v_mov_b32_e32 v19, v17
	v_pk_mul_f32 v[16:17], v[212:213], v[16:17] op_sel:[1,0] op_sel_hi:[0,0]
	v_pk_add_f32 v[14:15], v[14:15], v[18:19]
	v_pk_fma_f32 v[18:19], v[212:213], v[216:217], v[16:17] neg_lo:[0,0,1] neg_hi:[0,0,1]
	v_pk_fma_f32 v[16:17], v[212:213], v[216:217], v[16:17] op_sel_hi:[1,0,1]
	s_nop 0
	v_mov_b32_e32 v19, v17
	s_waitcnt vmcnt(2) lgkmcnt(2)
	v_pk_mul_f32 v[16:17], v[2:3], v[218:219] op_sel:[1,1] op_sel_hi:[0,1]
	v_pk_add_f32 v[14:15], v[14:15], v[18:19]
	v_pk_fma_f32 v[18:19], v[2:3], v[218:219], v[16:17] neg_lo:[0,0,1] neg_hi:[0,0,1]
	v_pk_fma_f32 v[2:3], v[2:3], v[218:219], v[16:17] op_sel_hi:[1,0,1]
	s_nop 0
	v_mov_b32_e32 v19, v3
	v_pk_add_f32 v[2:3], v[14:15], v[18:19]
	v_mov_b32_e32 v14, v221
	v_pk_mul_f32 v[14:15], v[4:5], v[14:15] op_sel:[1,0] op_sel_hi:[0,0]
	v_pk_fma_f32 v[16:17], v[4:5], v[220:221], v[14:15] neg_lo:[0,0,1] neg_hi:[0,0,1]
	v_pk_fma_f32 v[4:5], v[4:5], v[220:221], v[14:15] op_sel_hi:[1,0,1]
	s_nop 0
	v_mov_b32_e32 v17, v5
	s_waitcnt vmcnt(1) lgkmcnt(1)
	v_pk_mul_f32 v[4:5], v[6:7], v[222:223] op_sel:[1,1] op_sel_hi:[0,1]
	v_pk_fma_f32 v[14:15], v[6:7], v[222:223], v[4:5] neg_lo:[0,0,1] neg_hi:[0,0,1]
	v_pk_fma_f32 v[4:5], v[6:7], v[222:223], v[4:5] op_sel_hi:[1,0,1]
	v_pk_add_f32 v[2:3], v[2:3], v[16:17]
	v_mov_b32_e32 v4, v225
	v_mov_b32_e32 v15, v5
	v_pk_mul_f32 v[4:5], v[8:9], v[4:5] op_sel:[1,0] op_sel_hi:[0,0]
	v_pk_fma_f32 v[6:7], v[8:9], v[224:225], v[4:5] neg_lo:[0,0,1] neg_hi:[0,0,1]
	v_pk_fma_f32 v[4:5], v[8:9], v[224:225], v[4:5] op_sel_hi:[1,0,1]
	v_pk_add_f32 v[2:3], v[2:3], v[14:15]
	v_mov_b32_e32 v7, v5
	s_waitcnt vmcnt(0) lgkmcnt(0)
	v_pk_mul_f32 v[4:5], v[10:11], v[226:227] op_sel:[1,1] op_sel_hi:[0,1]
	v_pk_add_f32 v[2:3], v[2:3], v[6:7]
	v_pk_fma_f32 v[6:7], v[10:11], v[226:227], v[4:5] neg_lo:[0,0,1] neg_hi:[0,0,1]
	v_pk_fma_f32 v[4:5], v[10:11], v[226:227], v[4:5] op_sel_hi:[1,0,1]
	s_nop 0
	v_mov_b32_e32 v4, v229
	v_mov_b32_e32 v7, v5
	v_pk_mul_f32 v[4:5], v[12:13], v[4:5] op_sel:[1,0] op_sel_hi:[0,0]
	v_pk_add_f32 v[2:3], v[2:3], v[6:7]
	v_pk_fma_f32 v[6:7], v[12:13], v[228:229], v[4:5] neg_lo:[0,0,1] neg_hi:[0,0,1]
	v_pk_fma_f32 v[4:5], v[12:13], v[228:229], v[4:5] op_sel_hi:[1,0,1]
	s_nop 0
	v_mov_b32_e32 v7, v5
	v_pk_add_f32 v[2:3], v[2:3], v[6:7]
	s_nop 0
	v_pk_add_f32 v[2:3], v[230:231], v[2:3] neg_lo:[0,1] neg_hi:[0,1]
	scratch_store_dwordx2 off, v[2:3], off offset:32
	s_and_saveexec_b64 s[0:1], vcc
	s_cbranch_execz .LBB106_265
; %bb.264:
	scratch_load_dwordx2 v[2:3], off, off offset:24
	v_mov_b32_e32 v4, 0
	v_mov_b32_e32 v5, v4
	scratch_store_dwordx2 off, v[4:5], off offset:24
	s_waitcnt vmcnt(1)
	ds_write_b64 v1, v[2:3]
.LBB106_265:
	s_or_b64 exec, exec, s[0:1]
	s_waitcnt lgkmcnt(0)
	; wave barrier
	scratch_load_dwordx4 v[2:5], off, off offset:32
	scratch_load_dwordx4 v[6:9], off, off offset:48
	;; [unrolled: 1-line block ×16, first 2 shown]
	scratch_load_dwordx2 v[230:231], off, off offset:24
	v_mov_b32_e32 v122, 0
	ds_read_b128 v[66:69], v122 offset:384
	ds_read_b128 v[70:73], v122 offset:400
	;; [unrolled: 1-line block ×14, first 2 shown]
	v_cmp_lt_u32_e32 vcc, 2, v0
	s_waitcnt vmcnt(16) lgkmcnt(13)
	v_mul_f32_e32 v123, v66, v3
	v_mul_f32_e32 v210, v68, v5
	v_fmac_f32_e32 v123, v67, v2
	s_waitcnt vmcnt(15) lgkmcnt(12)
	v_mul_f32_e32 v211, v70, v7
	v_fmac_f32_e32 v210, v69, v4
	v_add_f32_e32 v123, 0, v123
	v_mul_f32_e32 v212, v72, v9
	v_fmac_f32_e32 v211, v71, v6
	v_add_f32_e32 v123, v123, v210
	s_waitcnt vmcnt(14) lgkmcnt(11)
	v_mul_f32_e32 v213, v74, v11
	v_fmac_f32_e32 v212, v73, v8
	v_add_f32_e32 v123, v123, v211
	v_mul_f32_e32 v214, v76, v13
	v_fmac_f32_e32 v213, v75, v10
	v_add_f32_e32 v123, v123, v212
	;; [unrolled: 7-line block ×11, first 2 shown]
	v_fmac_f32_e32 v234, v113, v48
	v_add_f32_e32 v123, v123, v233
	s_waitcnt vmcnt(4) lgkmcnt(1)
	v_mul_f32_e32 v210, v114, v51
	v_add_f32_e32 v123, v123, v234
	v_fmac_f32_e32 v210, v115, v50
	v_add_f32_e32 v123, v123, v210
	v_mul_f32_e32 v210, v116, v53
	v_fmac_f32_e32 v210, v117, v52
	v_add_f32_e32 v123, v123, v210
	s_waitcnt vmcnt(3) lgkmcnt(0)
	v_mul_f32_e32 v210, v118, v55
	v_fmac_f32_e32 v210, v119, v54
	v_add_f32_e32 v123, v123, v210
	ds_read_b128 v[210:213], v122 offset:608
	v_mul_f32_e32 v214, v120, v57
	v_fmac_f32_e32 v214, v121, v56
	v_add_f32_e32 v123, v123, v214
	ds_read_b128 v[214:217], v122 offset:624
	s_waitcnt vmcnt(2) lgkmcnt(1)
	v_mul_f32_e32 v218, v210, v63
	v_fmac_f32_e32 v218, v211, v62
	v_add_f32_e32 v233, v123, v218
	scratch_load_dwordx4 v[218:221], off, off offset:288
	scratch_load_dwordx4 v[222:225], off, off offset:304
	scratch_load_dwordx4 v[226:229], off, off offset:320
	scratch_load_dwordx2 v[238:239], off, off offset:336
	v_mul_f32_e32 v3, v67, v3
	v_fma_f32 v2, v66, v2, -v3
	v_mul_f32_e32 v3, v69, v5
	v_add_f32_e32 v2, 0, v2
	v_fma_f32 v3, v68, v4, -v3
	v_add_f32_e32 v2, v2, v3
	v_mul_f32_e32 v3, v71, v7
	v_fma_f32 v3, v70, v6, -v3
	v_add_f32_e32 v2, v2, v3
	v_mul_f32_e32 v3, v73, v9
	;; [unrolled: 3-line block ×28, first 2 shown]
	v_mul_f32_e32 v235, v212, v65
	v_fma_f32 v234, v212, v64, -v2
	s_waitcnt vmcnt(5) lgkmcnt(0)
	v_mul_f32_e32 v2, v215, v59
	v_mov_b32_e32 v18, v61
	v_fmac_f32_e32 v235, v213, v64
	v_mul_f32_e32 v237, v214, v59
	v_fma_f32 v236, v214, v58, -v2
	ds_read_b128 v[2:5], v122 offset:640
	ds_read_b128 v[6:9], v122 offset:656
	;; [unrolled: 1-line block ×3, first 2 shown]
	ds_read_b64 v[14:15], v122 offset:688
	v_pk_mul_f32 v[18:19], v[216:217], v[18:19] op_sel:[1,0] op_sel_hi:[0,0]
	v_fmac_f32_e32 v237, v215, v58
	v_pk_add_f32 v[16:17], v[232:233], v[234:235]
	v_pk_fma_f32 v[20:21], v[216:217], v[60:61], v[18:19] neg_lo:[0,0,1] neg_hi:[0,0,1]
	v_pk_fma_f32 v[18:19], v[216:217], v[60:61], v[18:19] op_sel_hi:[1,0,1]
	v_pk_add_f32 v[16:17], v[16:17], v[236:237]
	v_mov_b32_e32 v21, v19
	s_waitcnt vmcnt(3) lgkmcnt(3)
	v_pk_mul_f32 v[18:19], v[2:3], v[218:219] op_sel:[1,1] op_sel_hi:[0,1]
	v_pk_add_f32 v[16:17], v[16:17], v[20:21]
	v_pk_fma_f32 v[20:21], v[2:3], v[218:219], v[18:19] neg_lo:[0,0,1] neg_hi:[0,0,1]
	v_pk_fma_f32 v[2:3], v[2:3], v[218:219], v[18:19] op_sel_hi:[1,0,1]
	s_nop 0
	v_mov_b32_e32 v21, v3
	v_pk_add_f32 v[2:3], v[16:17], v[20:21]
	v_mov_b32_e32 v16, v221
	v_pk_mul_f32 v[16:17], v[4:5], v[16:17] op_sel:[1,0] op_sel_hi:[0,0]
	v_pk_fma_f32 v[18:19], v[4:5], v[220:221], v[16:17] neg_lo:[0,0,1] neg_hi:[0,0,1]
	v_pk_fma_f32 v[4:5], v[4:5], v[220:221], v[16:17] op_sel_hi:[1,0,1]
	s_nop 0
	v_mov_b32_e32 v19, v5
	s_waitcnt vmcnt(2) lgkmcnt(2)
	v_pk_mul_f32 v[4:5], v[6:7], v[222:223] op_sel:[1,1] op_sel_hi:[0,1]
	v_pk_fma_f32 v[16:17], v[6:7], v[222:223], v[4:5] neg_lo:[0,0,1] neg_hi:[0,0,1]
	v_pk_fma_f32 v[4:5], v[6:7], v[222:223], v[4:5] op_sel_hi:[1,0,1]
	v_pk_add_f32 v[2:3], v[2:3], v[18:19]
	v_mov_b32_e32 v4, v225
	v_mov_b32_e32 v17, v5
	v_pk_mul_f32 v[4:5], v[8:9], v[4:5] op_sel:[1,0] op_sel_hi:[0,0]
	v_pk_fma_f32 v[6:7], v[8:9], v[224:225], v[4:5] neg_lo:[0,0,1] neg_hi:[0,0,1]
	v_pk_fma_f32 v[4:5], v[8:9], v[224:225], v[4:5] op_sel_hi:[1,0,1]
	v_pk_add_f32 v[2:3], v[2:3], v[16:17]
	v_mov_b32_e32 v7, v5
	s_waitcnt vmcnt(1) lgkmcnt(1)
	v_pk_mul_f32 v[4:5], v[10:11], v[226:227] op_sel:[1,1] op_sel_hi:[0,1]
	v_pk_add_f32 v[2:3], v[2:3], v[6:7]
	v_pk_fma_f32 v[6:7], v[10:11], v[226:227], v[4:5] neg_lo:[0,0,1] neg_hi:[0,0,1]
	v_pk_fma_f32 v[4:5], v[10:11], v[226:227], v[4:5] op_sel_hi:[1,0,1]
	s_nop 0
	v_mov_b32_e32 v4, v229
	v_mov_b32_e32 v7, v5
	v_pk_mul_f32 v[4:5], v[12:13], v[4:5] op_sel:[1,0] op_sel_hi:[0,0]
	v_pk_add_f32 v[2:3], v[2:3], v[6:7]
	v_pk_fma_f32 v[6:7], v[12:13], v[228:229], v[4:5] neg_lo:[0,0,1] neg_hi:[0,0,1]
	v_pk_fma_f32 v[4:5], v[12:13], v[228:229], v[4:5] op_sel_hi:[1,0,1]
	s_nop 0
	v_mov_b32_e32 v7, v5
	s_waitcnt vmcnt(0) lgkmcnt(0)
	v_pk_mul_f32 v[4:5], v[14:15], v[238:239] op_sel:[1,1] op_sel_hi:[0,1]
	v_pk_add_f32 v[2:3], v[2:3], v[6:7]
	v_pk_fma_f32 v[6:7], v[14:15], v[238:239], v[4:5] neg_lo:[0,0,1] neg_hi:[0,0,1]
	v_pk_fma_f32 v[4:5], v[14:15], v[238:239], v[4:5] op_sel_hi:[1,0,1]
	s_nop 0
	v_mov_b32_e32 v7, v5
	v_pk_add_f32 v[2:3], v[2:3], v[6:7]
	s_nop 0
	v_pk_add_f32 v[2:3], v[230:231], v[2:3] neg_lo:[0,1] neg_hi:[0,1]
	scratch_store_dwordx2 off, v[2:3], off offset:24
	s_and_saveexec_b64 s[0:1], vcc
	s_cbranch_execz .LBB106_267
; %bb.266:
	scratch_load_dwordx2 v[2:3], off, off offset:16
	v_mov_b32_e32 v123, v122
	scratch_store_dwordx2 off, v[122:123], off offset:16
	s_waitcnt vmcnt(1)
	ds_write_b64 v1, v[2:3]
.LBB106_267:
	s_or_b64 exec, exec, s[0:1]
	s_waitcnt lgkmcnt(0)
	; wave barrier
	scratch_load_dwordx4 v[2:5], off, off offset:24
	scratch_load_dwordx4 v[6:9], off, off offset:40
	;; [unrolled: 1-line block ×13, first 2 shown]
	ds_read2_b64 v[118:121], v122 offset0:47 offset1:48
	ds_read2_b64 v[114:117], v122 offset0:49 offset1:50
	ds_read2_b64 v[110:113], v122 offset0:51 offset1:52
	ds_read2_b64 v[106:109], v122 offset0:53 offset1:54
	ds_read2_b64 v[102:105], v122 offset0:55 offset1:56
	ds_read2_b64 v[98:101], v122 offset0:57 offset1:58
	ds_read2_b64 v[94:97], v122 offset0:59 offset1:60
	ds_read2_b64 v[90:93], v122 offset0:61 offset1:62
	ds_read2_b64 v[86:89], v122 offset0:63 offset1:64
	ds_read2_b64 v[82:85], v122 offset0:65 offset1:66
	ds_read2_b64 v[74:77], v122 offset0:67 offset1:68
	ds_read2_b64 v[66:69], v122 offset0:69 offset1:70
	ds_read2_b64 v[54:57], v122 offset0:71 offset1:72
	ds_read2_b64 v[58:61], v122 offset0:73 offset1:74
	scratch_load_dwordx4 v[62:65], off, off offset:232
	scratch_load_dwordx4 v[70:73], off, off offset:248
	;; [unrolled: 1-line block ×3, first 2 shown]
	scratch_load_dwordx2 v[234:235], off, off offset:16
	v_cmp_lt_u32_e32 vcc, 1, v0
	s_waitcnt vmcnt(16) lgkmcnt(13)
	v_mul_f32_e32 v123, v118, v3
	v_mul_f32_e32 v210, v120, v5
	v_fmac_f32_e32 v123, v119, v2
	s_waitcnt vmcnt(15) lgkmcnt(12)
	v_mul_f32_e32 v211, v114, v7
	v_fmac_f32_e32 v210, v121, v4
	v_add_f32_e32 v123, 0, v123
	v_mul_f32_e32 v212, v116, v9
	v_fmac_f32_e32 v211, v115, v6
	v_add_f32_e32 v123, v123, v210
	s_waitcnt vmcnt(14) lgkmcnt(11)
	v_mul_f32_e32 v213, v110, v11
	v_fmac_f32_e32 v212, v117, v8
	v_add_f32_e32 v123, v123, v211
	v_mul_f32_e32 v214, v112, v13
	v_fmac_f32_e32 v213, v111, v10
	v_add_f32_e32 v123, v123, v212
	s_waitcnt vmcnt(13) lgkmcnt(10)
	v_mul_f32_e32 v215, v106, v15
	v_fmac_f32_e32 v214, v113, v12
	v_add_f32_e32 v123, v123, v213
	v_mul_f32_e32 v216, v108, v17
	v_fmac_f32_e32 v215, v107, v14
	v_add_f32_e32 v123, v123, v214
	s_waitcnt vmcnt(12) lgkmcnt(9)
	v_mul_f32_e32 v217, v102, v19
	v_fmac_f32_e32 v216, v109, v16
	v_add_f32_e32 v123, v123, v215
	v_mul_f32_e32 v218, v104, v21
	v_fmac_f32_e32 v217, v103, v18
	v_add_f32_e32 v123, v123, v216
	s_waitcnt vmcnt(11) lgkmcnt(8)
	v_mul_f32_e32 v219, v98, v23
	v_fmac_f32_e32 v218, v105, v20
	v_add_f32_e32 v123, v123, v217
	v_mul_f32_e32 v220, v100, v25
	v_fmac_f32_e32 v219, v99, v22
	v_add_f32_e32 v123, v123, v218
	s_waitcnt vmcnt(10) lgkmcnt(7)
	v_mul_f32_e32 v221, v94, v27
	v_fmac_f32_e32 v220, v101, v24
	v_add_f32_e32 v123, v123, v219
	v_mul_f32_e32 v222, v96, v29
	v_fmac_f32_e32 v221, v95, v26
	v_add_f32_e32 v123, v123, v220
	s_waitcnt vmcnt(9) lgkmcnt(6)
	v_mul_f32_e32 v223, v90, v31
	v_fmac_f32_e32 v222, v97, v28
	v_add_f32_e32 v123, v123, v221
	v_mul_f32_e32 v224, v92, v33
	v_fmac_f32_e32 v223, v91, v30
	v_add_f32_e32 v123, v123, v222
	s_waitcnt vmcnt(8) lgkmcnt(5)
	v_mul_f32_e32 v225, v86, v35
	v_fmac_f32_e32 v224, v93, v32
	v_add_f32_e32 v123, v123, v223
	v_mul_f32_e32 v226, v88, v37
	v_fmac_f32_e32 v225, v87, v34
	v_add_f32_e32 v123, v123, v224
	s_waitcnt vmcnt(7) lgkmcnt(4)
	v_mul_f32_e32 v227, v82, v39
	v_fmac_f32_e32 v226, v89, v36
	v_add_f32_e32 v123, v123, v225
	v_mul_f32_e32 v228, v84, v41
	v_fmac_f32_e32 v227, v83, v38
	v_add_f32_e32 v123, v123, v226
	s_waitcnt vmcnt(6) lgkmcnt(3)
	v_mul_f32_e32 v229, v74, v43
	v_fmac_f32_e32 v228, v85, v40
	v_add_f32_e32 v123, v123, v227
	v_mul_f32_e32 v230, v76, v45
	v_fmac_f32_e32 v229, v75, v42
	v_add_f32_e32 v123, v123, v228
	s_waitcnt vmcnt(5) lgkmcnt(2)
	v_mul_f32_e32 v231, v66, v47
	v_fmac_f32_e32 v230, v77, v44
	v_add_f32_e32 v123, v123, v229
	v_mul_f32_e32 v232, v68, v49
	v_fmac_f32_e32 v231, v67, v46
	v_add_f32_e32 v123, v123, v230
	s_waitcnt vmcnt(4) lgkmcnt(1)
	v_mul_f32_e32 v233, v54, v51
	v_fmac_f32_e32 v232, v69, v48
	v_add_f32_e32 v123, v123, v231
	v_add_f32_e32 v123, v123, v232
	v_fmac_f32_e32 v233, v55, v50
	v_mul_f32_e32 v210, v56, v53
	v_add_f32_e32 v123, v123, v233
	v_fmac_f32_e32 v210, v57, v52
	v_add_f32_e32 v123, v123, v210
	s_waitcnt vmcnt(3) lgkmcnt(0)
	v_mul_f32_e32 v210, v58, v63
	v_fmac_f32_e32 v210, v59, v62
	v_add_f32_e32 v123, v123, v210
	ds_read2_b64 v[210:213], v122 offset0:75 offset1:76
	v_mul_f32_e32 v214, v60, v65
	v_fmac_f32_e32 v214, v61, v64
	v_add_f32_e32 v123, v123, v214
	ds_read2_b64 v[214:217], v122 offset0:77 offset1:78
	s_waitcnt vmcnt(2) lgkmcnt(1)
	v_mul_f32_e32 v218, v210, v71
	v_fmac_f32_e32 v218, v211, v70
	v_add_f32_e32 v123, v123, v218
	v_mul_f32_e32 v218, v212, v73
	v_fmac_f32_e32 v218, v213, v72
	v_add_f32_e32 v237, v123, v218
	scratch_load_dwordx4 v[218:221], off, off offset:280
	scratch_load_dwordx4 v[222:225], off, off offset:296
	scratch_load_dwordx4 v[226:229], off, off offset:312
	scratch_load_dwordx4 v[230:233], off, off offset:328
	v_mul_f32_e32 v3, v119, v3
	v_fma_f32 v2, v118, v2, -v3
	v_mul_f32_e32 v3, v121, v5
	v_add_f32_e32 v2, 0, v2
	v_fma_f32 v3, v120, v4, -v3
	v_add_f32_e32 v2, v2, v3
	v_mul_f32_e32 v3, v115, v7
	v_fma_f32 v3, v114, v6, -v3
	v_add_f32_e32 v2, v2, v3
	v_mul_f32_e32 v3, v117, v9
	;; [unrolled: 3-line block ×28, first 2 shown]
	v_fma_f32 v3, v212, v72, -v3
	v_add_f32_e32 v236, v2, v3
	s_waitcnt vmcnt(5) lgkmcnt(0)
	v_mul_f32_e32 v2, v215, v79
	v_fma_f32 v238, v214, v78, -v2
	v_mul_f32_e32 v2, v217, v81
	v_fma_f32 v240, v216, v80, -v2
	ds_read2_b64 v[2:5], v122 offset0:79 offset1:80
	ds_read2_b64 v[6:9], v122 offset0:81 offset1:82
	;; [unrolled: 1-line block ×4, first 2 shown]
	v_mul_f32_e32 v239, v214, v79
	v_fmac_f32_e32 v239, v215, v78
	v_mul_f32_e32 v241, v216, v81
	s_waitcnt vmcnt(3) lgkmcnt(3)
	v_pk_mul_f32 v[20:21], v[2:3], v[218:219] op_sel:[1,1] op_sel_hi:[0,1]
	v_fmac_f32_e32 v241, v217, v80
	v_pk_add_f32 v[18:19], v[236:237], v[238:239]
	v_pk_fma_f32 v[22:23], v[2:3], v[218:219], v[20:21] neg_lo:[0,0,1] neg_hi:[0,0,1]
	v_pk_fma_f32 v[2:3], v[2:3], v[218:219], v[20:21] op_sel_hi:[1,0,1]
	v_pk_add_f32 v[18:19], v[18:19], v[240:241]
	v_mov_b32_e32 v23, v3
	v_pk_add_f32 v[2:3], v[18:19], v[22:23]
	v_mov_b32_e32 v18, v221
	v_pk_mul_f32 v[18:19], v[4:5], v[18:19] op_sel:[1,0] op_sel_hi:[0,0]
	v_pk_fma_f32 v[20:21], v[4:5], v[220:221], v[18:19] neg_lo:[0,0,1] neg_hi:[0,0,1]
	v_pk_fma_f32 v[4:5], v[4:5], v[220:221], v[18:19] op_sel_hi:[1,0,1]
	s_nop 0
	v_mov_b32_e32 v21, v5
	s_waitcnt vmcnt(2) lgkmcnt(2)
	v_pk_mul_f32 v[4:5], v[6:7], v[222:223] op_sel:[1,1] op_sel_hi:[0,1]
	v_pk_fma_f32 v[18:19], v[6:7], v[222:223], v[4:5] neg_lo:[0,0,1] neg_hi:[0,0,1]
	v_pk_fma_f32 v[4:5], v[6:7], v[222:223], v[4:5] op_sel_hi:[1,0,1]
	v_pk_add_f32 v[2:3], v[2:3], v[20:21]
	v_mov_b32_e32 v4, v225
	v_mov_b32_e32 v19, v5
	v_pk_mul_f32 v[4:5], v[8:9], v[4:5] op_sel:[1,0] op_sel_hi:[0,0]
	v_pk_fma_f32 v[6:7], v[8:9], v[224:225], v[4:5] neg_lo:[0,0,1] neg_hi:[0,0,1]
	v_pk_fma_f32 v[4:5], v[8:9], v[224:225], v[4:5] op_sel_hi:[1,0,1]
	v_pk_add_f32 v[2:3], v[2:3], v[18:19]
	v_mov_b32_e32 v7, v5
	s_waitcnt vmcnt(1) lgkmcnt(1)
	v_pk_mul_f32 v[4:5], v[10:11], v[226:227] op_sel:[1,1] op_sel_hi:[0,1]
	v_pk_add_f32 v[2:3], v[2:3], v[6:7]
	v_pk_fma_f32 v[6:7], v[10:11], v[226:227], v[4:5] neg_lo:[0,0,1] neg_hi:[0,0,1]
	v_pk_fma_f32 v[4:5], v[10:11], v[226:227], v[4:5] op_sel_hi:[1,0,1]
	s_nop 0
	v_mov_b32_e32 v4, v229
	v_mov_b32_e32 v7, v5
	v_pk_mul_f32 v[4:5], v[12:13], v[4:5] op_sel:[1,0] op_sel_hi:[0,0]
	v_pk_add_f32 v[2:3], v[2:3], v[6:7]
	v_pk_fma_f32 v[6:7], v[12:13], v[228:229], v[4:5] neg_lo:[0,0,1] neg_hi:[0,0,1]
	v_pk_fma_f32 v[4:5], v[12:13], v[228:229], v[4:5] op_sel_hi:[1,0,1]
	s_nop 0
	v_mov_b32_e32 v7, v5
	s_waitcnt vmcnt(0) lgkmcnt(0)
	v_pk_mul_f32 v[4:5], v[14:15], v[230:231] op_sel:[1,1] op_sel_hi:[0,1]
	v_pk_add_f32 v[2:3], v[2:3], v[6:7]
	v_pk_fma_f32 v[6:7], v[14:15], v[230:231], v[4:5] neg_lo:[0,0,1] neg_hi:[0,0,1]
	v_pk_fma_f32 v[4:5], v[14:15], v[230:231], v[4:5] op_sel_hi:[1,0,1]
	s_nop 0
	v_mov_b32_e32 v4, v233
	v_mov_b32_e32 v7, v5
	v_pk_mul_f32 v[4:5], v[16:17], v[4:5] op_sel:[1,0] op_sel_hi:[0,0]
	v_pk_add_f32 v[2:3], v[2:3], v[6:7]
	v_pk_fma_f32 v[6:7], v[16:17], v[232:233], v[4:5] neg_lo:[0,0,1] neg_hi:[0,0,1]
	v_pk_fma_f32 v[4:5], v[16:17], v[232:233], v[4:5] op_sel_hi:[1,0,1]
	s_nop 0
	v_mov_b32_e32 v7, v5
	v_pk_add_f32 v[2:3], v[2:3], v[6:7]
	s_nop 0
	v_pk_add_f32 v[2:3], v[234:235], v[2:3] neg_lo:[0,1] neg_hi:[0,1]
	scratch_store_dwordx2 off, v[2:3], off offset:16
	s_and_saveexec_b64 s[0:1], vcc
	s_cbranch_execz .LBB106_269
; %bb.268:
	scratch_load_dwordx2 v[2:3], off, off offset:8
	v_mov_b32_e32 v4, 0
	v_mov_b32_e32 v5, v4
	scratch_store_dwordx2 off, v[4:5], off offset:8
	s_waitcnt vmcnt(1)
	ds_write_b64 v1, v[2:3]
.LBB106_269:
	s_or_b64 exec, exec, s[0:1]
	s_waitcnt lgkmcnt(0)
	; wave barrier
	scratch_load_dwordx4 v[2:5], off, off offset:16
	scratch_load_dwordx4 v[6:9], off, off offset:32
	;; [unrolled: 1-line block ×17, first 2 shown]
	scratch_load_dwordx2 v[70:71], off, off offset:8
	v_mov_b32_e32 v210, 0
	ds_read_b128 v[72:75], v210 offset:368
	ds_read_b128 v[76:79], v210 offset:384
	;; [unrolled: 1-line block ×13, first 2 shown]
	v_cmp_ne_u32_e32 vcc, 0, v0
	s_waitcnt vmcnt(17) lgkmcnt(12)
	v_mul_f32_e32 v211, v72, v3
	v_mul_f32_e32 v212, v74, v5
	v_fmac_f32_e32 v211, v73, v2
	s_waitcnt vmcnt(16) lgkmcnt(11)
	v_mul_f32_e32 v213, v76, v7
	v_fmac_f32_e32 v212, v75, v4
	v_add_f32_e32 v211, 0, v211
	v_mul_f32_e32 v214, v78, v9
	v_fmac_f32_e32 v213, v77, v6
	v_add_f32_e32 v211, v211, v212
	s_waitcnt vmcnt(15) lgkmcnt(10)
	v_mul_f32_e32 v215, v80, v11
	v_fmac_f32_e32 v214, v79, v8
	v_add_f32_e32 v211, v211, v213
	v_mul_f32_e32 v216, v82, v13
	v_fmac_f32_e32 v215, v81, v10
	v_add_f32_e32 v211, v211, v214
	;; [unrolled: 7-line block ×11, first 2 shown]
	ds_read_b128 v[212:215], v210 offset:576
	v_fmac_f32_e32 v234, v119, v48
	v_add_f32_e32 v211, v211, v233
	s_waitcnt vmcnt(5) lgkmcnt(1)
	v_mul_f32_e32 v216, v120, v51
	v_add_f32_e32 v211, v211, v234
	v_fmac_f32_e32 v216, v121, v50
	v_add_f32_e32 v211, v211, v216
	v_mul_f32_e32 v216, v122, v53
	v_fmac_f32_e32 v216, v123, v52
	v_add_f32_e32 v211, v211, v216
	s_waitcnt vmcnt(4) lgkmcnt(0)
	v_mul_f32_e32 v216, v212, v55
	v_fmac_f32_e32 v216, v213, v54
	v_add_f32_e32 v211, v211, v216
	ds_read_b128 v[216:219], v210 offset:592
	v_mul_f32_e32 v220, v214, v57
	v_fmac_f32_e32 v220, v215, v56
	v_add_f32_e32 v211, v211, v220
	ds_read_b128 v[220:223], v210 offset:608
	s_waitcnt vmcnt(3) lgkmcnt(1)
	v_mul_f32_e32 v224, v216, v59
	v_fmac_f32_e32 v224, v217, v58
	v_add_f32_e32 v211, v211, v224
	v_mul_f32_e32 v224, v218, v61
	v_fmac_f32_e32 v224, v219, v60
	s_waitcnt vmcnt(2) lgkmcnt(0)
	v_mul_f32_e32 v228, v220, v63
	v_add_f32_e32 v211, v211, v224
	v_fmac_f32_e32 v228, v221, v62
	ds_read_b128 v[224:227], v210 offset:624
	v_add_f32_e32 v245, v211, v228
	ds_read_b128 v[228:231], v210 offset:640
	scratch_load_dwordx4 v[232:235], off, off offset:288
	scratch_load_dwordx4 v[236:239], off, off offset:304
	;; [unrolled: 1-line block ×3, first 2 shown]
	scratch_load_dwordx2 v[250:251], off, off offset:336
	v_mul_f32_e32 v3, v73, v3
	v_fma_f32 v2, v72, v2, -v3
	v_mul_f32_e32 v3, v75, v5
	v_add_f32_e32 v2, 0, v2
	v_fma_f32 v3, v74, v4, -v3
	v_add_f32_e32 v2, v2, v3
	v_mul_f32_e32 v3, v77, v7
	v_fma_f32 v3, v76, v6, -v3
	v_add_f32_e32 v2, v2, v3
	v_mul_f32_e32 v3, v79, v9
	;; [unrolled: 3-line block ×29, first 2 shown]
	v_fma_f32 v3, v220, v62, -v3
	v_mul_f32_e32 v247, v222, v65
	v_add_f32_e32 v244, v2, v3
	v_mul_f32_e32 v2, v223, v65
	s_waitcnt vmcnt(5)
	v_mov_b32_e32 v14, v69
	v_fmac_f32_e32 v247, v223, v64
	s_waitcnt lgkmcnt(1)
	v_mul_f32_e32 v249, v224, v67
	v_fma_f32 v246, v222, v64, -v2
	v_mul_f32_e32 v2, v225, v67
	v_pk_mul_f32 v[14:15], v[226:227], v[14:15] op_sel:[1,0] op_sel_hi:[0,0]
	v_fmac_f32_e32 v249, v225, v66
	v_fma_f32 v248, v224, v66, -v2
	v_pk_add_f32 v[12:13], v[244:245], v[246:247]
	v_pk_fma_f32 v[16:17], v[226:227], v[68:69], v[14:15] neg_lo:[0,0,1] neg_hi:[0,0,1]
	v_pk_fma_f32 v[14:15], v[226:227], v[68:69], v[14:15] op_sel_hi:[1,0,1]
	v_pk_add_f32 v[12:13], v[12:13], v[248:249]
	v_mov_b32_e32 v17, v15
	s_waitcnt vmcnt(3) lgkmcnt(0)
	v_pk_mul_f32 v[14:15], v[228:229], v[232:233] op_sel:[1,1] op_sel_hi:[0,1]
	v_pk_add_f32 v[12:13], v[12:13], v[16:17]
	v_pk_fma_f32 v[16:17], v[228:229], v[232:233], v[14:15] neg_lo:[0,0,1] neg_hi:[0,0,1]
	v_pk_fma_f32 v[14:15], v[228:229], v[232:233], v[14:15] op_sel_hi:[1,0,1]
	ds_read_b128 v[2:5], v210 offset:656
	ds_read_b128 v[6:9], v210 offset:672
	ds_read_b64 v[10:11], v210 offset:688
	v_mov_b32_e32 v14, v235
	v_mov_b32_e32 v17, v15
	v_pk_mul_f32 v[14:15], v[230:231], v[14:15] op_sel:[1,0] op_sel_hi:[0,0]
	v_pk_add_f32 v[12:13], v[12:13], v[16:17]
	v_pk_fma_f32 v[16:17], v[230:231], v[234:235], v[14:15] neg_lo:[0,0,1] neg_hi:[0,0,1]
	v_pk_fma_f32 v[14:15], v[230:231], v[234:235], v[14:15] op_sel_hi:[1,0,1]
	s_nop 0
	v_mov_b32_e32 v17, v15
	s_waitcnt vmcnt(2) lgkmcnt(2)
	v_pk_mul_f32 v[14:15], v[2:3], v[236:237] op_sel:[1,1] op_sel_hi:[0,1]
	v_pk_add_f32 v[12:13], v[12:13], v[16:17]
	v_pk_fma_f32 v[16:17], v[2:3], v[236:237], v[14:15] neg_lo:[0,0,1] neg_hi:[0,0,1]
	v_pk_fma_f32 v[2:3], v[2:3], v[236:237], v[14:15] op_sel_hi:[1,0,1]
	s_nop 0
	v_mov_b32_e32 v17, v3
	v_pk_add_f32 v[2:3], v[12:13], v[16:17]
	v_mov_b32_e32 v12, v239
	v_pk_mul_f32 v[12:13], v[4:5], v[12:13] op_sel:[1,0] op_sel_hi:[0,0]
	v_pk_fma_f32 v[14:15], v[4:5], v[238:239], v[12:13] neg_lo:[0,0,1] neg_hi:[0,0,1]
	v_pk_fma_f32 v[4:5], v[4:5], v[238:239], v[12:13] op_sel_hi:[1,0,1]
	s_nop 0
	v_mov_b32_e32 v15, v5
	s_waitcnt vmcnt(1) lgkmcnt(1)
	v_pk_mul_f32 v[4:5], v[6:7], v[240:241] op_sel:[1,1] op_sel_hi:[0,1]
	v_pk_fma_f32 v[12:13], v[6:7], v[240:241], v[4:5] neg_lo:[0,0,1] neg_hi:[0,0,1]
	v_pk_fma_f32 v[4:5], v[6:7], v[240:241], v[4:5] op_sel_hi:[1,0,1]
	v_pk_add_f32 v[2:3], v[2:3], v[14:15]
	v_mov_b32_e32 v4, v243
	v_mov_b32_e32 v13, v5
	v_pk_mul_f32 v[4:5], v[8:9], v[4:5] op_sel:[1,0] op_sel_hi:[0,0]
	v_pk_fma_f32 v[6:7], v[8:9], v[242:243], v[4:5] neg_lo:[0,0,1] neg_hi:[0,0,1]
	v_pk_fma_f32 v[4:5], v[8:9], v[242:243], v[4:5] op_sel_hi:[1,0,1]
	v_pk_add_f32 v[2:3], v[2:3], v[12:13]
	v_mov_b32_e32 v7, v5
	s_waitcnt vmcnt(0) lgkmcnt(0)
	v_pk_mul_f32 v[4:5], v[10:11], v[250:251] op_sel:[1,1] op_sel_hi:[0,1]
	v_pk_add_f32 v[2:3], v[2:3], v[6:7]
	v_pk_fma_f32 v[6:7], v[10:11], v[250:251], v[4:5] neg_lo:[0,0,1] neg_hi:[0,0,1]
	v_pk_fma_f32 v[4:5], v[10:11], v[250:251], v[4:5] op_sel_hi:[1,0,1]
	s_nop 0
	v_mov_b32_e32 v7, v5
	v_pk_add_f32 v[2:3], v[2:3], v[6:7]
	s_nop 0
	v_pk_add_f32 v[2:3], v[70:71], v[2:3] neg_lo:[0,1] neg_hi:[0,1]
	scratch_store_dwordx2 off, v[2:3], off offset:8
	s_and_saveexec_b64 s[0:1], vcc
	s_cbranch_execz .LBB106_271
; %bb.270:
	scratch_load_dwordx2 v[2:3], off, off
	v_mov_b32_e32 v211, v210
	scratch_store_dwordx2 off, v[210:211], off
	s_waitcnt vmcnt(1)
	ds_write_b64 v1, v[2:3]
.LBB106_271:
	s_or_b64 exec, exec, s[0:1]
	s_waitcnt lgkmcnt(0)
	; wave barrier
	scratch_load_dwordx4 v[0:3], off, off offset:8
	scratch_load_dwordx4 v[4:7], off, off offset:24
	;; [unrolled: 1-line block ×12, first 2 shown]
	ds_read2_b64 v[120:123], v210 offset0:45 offset1:46
	ds_read2_b64 v[116:119], v210 offset0:47 offset1:48
	;; [unrolled: 1-line block ×12, first 2 shown]
	scratch_load_dwordx4 v[52:55], off, off offset:200
	ds_read2_b64 v[60:63], v210 offset0:69 offset1:70
	ds_read2_b64 v[64:67], v210 offset0:71 offset1:72
	scratch_load_dwordx4 v[68:71], off, off offset:216
	scratch_load_dwordx4 v[76:79], off, off offset:232
	scratch_load_dwordx4 v[84:87], off, off offset:248
	scratch_load_dwordx4 v[92:95], off, off offset:264
	scratch_load_dwordx2 v[212:213], off, off
	s_and_b64 vcc, exec, s[10:11]
	s_waitcnt vmcnt(17) lgkmcnt(13)
	v_mul_f32_e32 v211, v120, v1
	v_mul_f32_e32 v214, v122, v3
	v_fmac_f32_e32 v211, v121, v0
	s_waitcnt vmcnt(16) lgkmcnt(12)
	v_mul_f32_e32 v215, v116, v5
	v_fmac_f32_e32 v214, v123, v2
	v_add_f32_e32 v211, 0, v211
	v_mul_f32_e32 v216, v118, v7
	v_fmac_f32_e32 v215, v117, v4
	v_add_f32_e32 v211, v211, v214
	s_waitcnt vmcnt(15) lgkmcnt(11)
	v_mul_f32_e32 v217, v112, v9
	v_fmac_f32_e32 v216, v119, v6
	v_add_f32_e32 v211, v211, v215
	v_mul_f32_e32 v218, v114, v11
	v_fmac_f32_e32 v217, v113, v8
	v_add_f32_e32 v211, v211, v216
	;; [unrolled: 7-line block ×11, first 2 shown]
	v_fmac_f32_e32 v236, v51, v46
	v_add_f32_e32 v211, v211, v235
	s_waitcnt vmcnt(5) lgkmcnt(1)
	v_mul_f32_e32 v214, v60, v53
	v_add_f32_e32 v211, v211, v236
	v_fmac_f32_e32 v214, v61, v52
	v_add_f32_e32 v211, v211, v214
	v_mul_f32_e32 v214, v62, v55
	v_fmac_f32_e32 v214, v63, v54
	v_add_f32_e32 v211, v211, v214
	s_waitcnt vmcnt(4) lgkmcnt(0)
	v_mul_f32_e32 v214, v64, v69
	v_fmac_f32_e32 v214, v65, v68
	v_add_f32_e32 v211, v211, v214
	ds_read2_b64 v[214:217], v210 offset0:73 offset1:74
	v_mul_f32_e32 v218, v66, v71
	v_fmac_f32_e32 v218, v67, v70
	v_add_f32_e32 v211, v211, v218
	ds_read2_b64 v[218:221], v210 offset0:75 offset1:76
	s_waitcnt vmcnt(3) lgkmcnt(1)
	v_mul_f32_e32 v222, v214, v77
	v_fmac_f32_e32 v222, v215, v76
	v_add_f32_e32 v211, v211, v222
	v_mul_f32_e32 v222, v216, v79
	v_fmac_f32_e32 v222, v217, v78
	v_add_f32_e32 v211, v211, v222
	s_waitcnt vmcnt(2) lgkmcnt(0)
	v_mul_f32_e32 v222, v218, v85
	v_fmac_f32_e32 v222, v219, v84
	v_mul_f32_e32 v226, v220, v87
	v_add_f32_e32 v211, v211, v222
	v_fmac_f32_e32 v226, v221, v86
	ds_read2_b64 v[222:225], v210 offset0:77 offset1:78
	v_add_f32_e32 v247, v211, v226
	ds_read2_b64 v[226:229], v210 offset0:79 offset1:80
	scratch_load_dwordx4 v[230:233], off, off offset:280
	scratch_load_dwordx4 v[234:237], off, off offset:296
	;; [unrolled: 1-line block ×4, first 2 shown]
	v_mul_f32_e32 v1, v121, v1
	v_fma_f32 v0, v120, v0, -v1
	v_mul_f32_e32 v1, v123, v3
	v_add_f32_e32 v0, 0, v0
	v_fma_f32 v1, v122, v2, -v1
	v_add_f32_e32 v0, v0, v1
	v_mul_f32_e32 v1, v117, v5
	v_fma_f32 v1, v116, v4, -v1
	v_add_f32_e32 v0, v0, v1
	v_mul_f32_e32 v1, v119, v7
	;; [unrolled: 3-line block ×30, first 2 shown]
	v_fma_f32 v1, v220, v86, -v1
	s_waitcnt vmcnt(5) lgkmcnt(1)
	v_mul_f32_e32 v249, v222, v93
	v_add_f32_e32 v246, v0, v1
	v_mul_f32_e32 v0, v223, v93
	s_waitcnt vmcnt(3) lgkmcnt(0)
	v_pk_mul_f32 v[14:15], v[226:227], v[230:231] op_sel:[1,1] op_sel_hi:[0,1]
	v_fmac_f32_e32 v249, v223, v92
	v_mul_f32_e32 v251, v224, v95
	v_fma_f32 v248, v222, v92, -v0
	v_mul_f32_e32 v0, v225, v95
	v_pk_fma_f32 v[16:17], v[226:227], v[230:231], v[14:15] neg_lo:[0,0,1] neg_hi:[0,0,1]
	v_pk_fma_f32 v[14:15], v[226:227], v[230:231], v[14:15] op_sel_hi:[1,0,1]
	v_fmac_f32_e32 v251, v225, v94
	v_fma_f32 v250, v224, v94, -v0
	ds_read2_b64 v[0:3], v210 offset0:81 offset1:82
	ds_read2_b64 v[4:7], v210 offset0:83 offset1:84
	ds_read2_b64 v[8:11], v210 offset0:85 offset1:86
	v_pk_add_f32 v[12:13], v[246:247], v[248:249]
	v_mov_b32_e32 v14, v233
	v_pk_add_f32 v[12:13], v[12:13], v[250:251]
	v_mov_b32_e32 v17, v15
	v_pk_mul_f32 v[14:15], v[228:229], v[14:15] op_sel:[1,0] op_sel_hi:[0,0]
	v_pk_add_f32 v[12:13], v[12:13], v[16:17]
	v_pk_fma_f32 v[16:17], v[228:229], v[232:233], v[14:15] neg_lo:[0,0,1] neg_hi:[0,0,1]
	v_pk_fma_f32 v[14:15], v[228:229], v[232:233], v[14:15] op_sel_hi:[1,0,1]
	s_nop 0
	v_mov_b32_e32 v17, v15
	s_waitcnt vmcnt(2) lgkmcnt(2)
	v_pk_mul_f32 v[14:15], v[0:1], v[234:235] op_sel:[1,1] op_sel_hi:[0,1]
	v_pk_add_f32 v[12:13], v[12:13], v[16:17]
	v_pk_fma_f32 v[16:17], v[0:1], v[234:235], v[14:15] neg_lo:[0,0,1] neg_hi:[0,0,1]
	v_pk_fma_f32 v[0:1], v[0:1], v[234:235], v[14:15] op_sel_hi:[1,0,1]
	s_nop 0
	v_mov_b32_e32 v17, v1
	v_pk_add_f32 v[0:1], v[12:13], v[16:17]
	v_mov_b32_e32 v12, v237
	v_pk_mul_f32 v[12:13], v[2:3], v[12:13] op_sel:[1,0] op_sel_hi:[0,0]
	v_pk_fma_f32 v[14:15], v[2:3], v[236:237], v[12:13] neg_lo:[0,0,1] neg_hi:[0,0,1]
	v_pk_fma_f32 v[2:3], v[2:3], v[236:237], v[12:13] op_sel_hi:[1,0,1]
	s_nop 0
	v_mov_b32_e32 v15, v3
	s_waitcnt vmcnt(1) lgkmcnt(1)
	v_pk_mul_f32 v[2:3], v[4:5], v[238:239] op_sel:[1,1] op_sel_hi:[0,1]
	v_pk_fma_f32 v[12:13], v[4:5], v[238:239], v[2:3] neg_lo:[0,0,1] neg_hi:[0,0,1]
	v_pk_fma_f32 v[2:3], v[4:5], v[238:239], v[2:3] op_sel_hi:[1,0,1]
	v_pk_add_f32 v[0:1], v[0:1], v[14:15]
	v_mov_b32_e32 v2, v241
	v_mov_b32_e32 v13, v3
	v_pk_mul_f32 v[2:3], v[6:7], v[2:3] op_sel:[1,0] op_sel_hi:[0,0]
	v_pk_fma_f32 v[4:5], v[6:7], v[240:241], v[2:3] neg_lo:[0,0,1] neg_hi:[0,0,1]
	v_pk_fma_f32 v[2:3], v[6:7], v[240:241], v[2:3] op_sel_hi:[1,0,1]
	v_pk_add_f32 v[0:1], v[0:1], v[12:13]
	v_mov_b32_e32 v5, v3
	s_waitcnt vmcnt(0) lgkmcnt(0)
	v_pk_mul_f32 v[2:3], v[8:9], v[242:243] op_sel:[1,1] op_sel_hi:[0,1]
	v_pk_add_f32 v[0:1], v[0:1], v[4:5]
	v_pk_fma_f32 v[4:5], v[8:9], v[242:243], v[2:3] neg_lo:[0,0,1] neg_hi:[0,0,1]
	v_pk_fma_f32 v[2:3], v[8:9], v[242:243], v[2:3] op_sel_hi:[1,0,1]
	s_nop 0
	v_mov_b32_e32 v2, v245
	v_mov_b32_e32 v5, v3
	v_pk_mul_f32 v[2:3], v[10:11], v[2:3] op_sel:[1,0] op_sel_hi:[0,0]
	v_pk_add_f32 v[0:1], v[0:1], v[4:5]
	v_pk_fma_f32 v[4:5], v[10:11], v[244:245], v[2:3] neg_lo:[0,0,1] neg_hi:[0,0,1]
	v_pk_fma_f32 v[2:3], v[10:11], v[244:245], v[2:3] op_sel_hi:[1,0,1]
	s_nop 0
	v_mov_b32_e32 v5, v3
	v_pk_add_f32 v[0:1], v[0:1], v[4:5]
	s_nop 0
	v_pk_add_f32 v[0:1], v[212:213], v[0:1] neg_lo:[0,1] neg_hi:[0,1]
	scratch_store_dwordx2 off, v[0:1], off
	s_cbranch_vccz .LBB106_356
; %bb.272:
	v_mov_b32_e32 v0, 0
	global_load_dword v1, v0, s[8:9] offset:164
	s_waitcnt vmcnt(0)
	v_readfirstlane_b32 s0, v1
	s_add_i32 s0, s0, -1
	s_cmp_lg_u32 s0, 41
	s_cbranch_scc0 .LBB106_274
; %bb.273:
	s_lshl_b32 s0, s0, 3
	s_nop 0
	scratch_load_dwordx2 v[2:3], off, s0
	scratch_load_dwordx2 v[4:5], off, off offset:328
	s_waitcnt vmcnt(1)
	scratch_store_dwordx2 off, v[2:3], off offset:328
	s_waitcnt vmcnt(1)
	scratch_store_dwordx2 off, v[4:5], s0
.LBB106_274:
	global_load_dword v0, v0, s[8:9] offset:160
	s_waitcnt vmcnt(0)
	v_readfirstlane_b32 s0, v0
	s_add_i32 s0, s0, -1
	s_cmp_eq_u32 s0, 40
	s_cbranch_scc1 .LBB106_276
; %bb.275:
	s_lshl_b32 s0, s0, 3
	s_nop 0
	scratch_load_dwordx2 v[0:1], off, s0
	scratch_load_dwordx2 v[2:3], off, off offset:320
	s_waitcnt vmcnt(1)
	scratch_store_dwordx2 off, v[0:1], off offset:320
	s_waitcnt vmcnt(1)
	scratch_store_dwordx2 off, v[2:3], s0
.LBB106_276:
	v_mov_b32_e32 v0, 0
	global_load_dword v1, v0, s[8:9] offset:156
	s_waitcnt vmcnt(0)
	v_readfirstlane_b32 s0, v1
	s_add_i32 s0, s0, -1
	s_cmp_eq_u32 s0, 39
	s_cbranch_scc1 .LBB106_278
; %bb.277:
	s_lshl_b32 s0, s0, 3
	s_nop 0
	scratch_load_dwordx2 v[2:3], off, s0
	scratch_load_dwordx2 v[4:5], off, off offset:312
	s_waitcnt vmcnt(1)
	scratch_store_dwordx2 off, v[2:3], off offset:312
	s_waitcnt vmcnt(1)
	scratch_store_dwordx2 off, v[4:5], s0
.LBB106_278:
	global_load_dword v0, v0, s[8:9] offset:152
	s_waitcnt vmcnt(0)
	v_readfirstlane_b32 s0, v0
	s_add_i32 s0, s0, -1
	s_cmp_eq_u32 s0, 38
	s_cbranch_scc1 .LBB106_280
; %bb.279:
	s_lshl_b32 s0, s0, 3
	s_nop 0
	scratch_load_dwordx2 v[0:1], off, s0
	scratch_load_dwordx2 v[2:3], off, off offset:304
	s_waitcnt vmcnt(1)
	scratch_store_dwordx2 off, v[0:1], off offset:304
	s_waitcnt vmcnt(1)
	scratch_store_dwordx2 off, v[2:3], s0
.LBB106_280:
	v_mov_b32_e32 v0, 0
	global_load_dword v1, v0, s[8:9] offset:148
	s_waitcnt vmcnt(0)
	v_readfirstlane_b32 s0, v1
	s_add_i32 s0, s0, -1
	s_cmp_eq_u32 s0, 37
	s_cbranch_scc1 .LBB106_282
; %bb.281:
	s_lshl_b32 s0, s0, 3
	s_nop 0
	scratch_load_dwordx2 v[2:3], off, s0
	scratch_load_dwordx2 v[4:5], off, off offset:296
	s_waitcnt vmcnt(1)
	scratch_store_dwordx2 off, v[2:3], off offset:296
	s_waitcnt vmcnt(1)
	scratch_store_dwordx2 off, v[4:5], s0
.LBB106_282:
	global_load_dword v0, v0, s[8:9] offset:144
	s_waitcnt vmcnt(0)
	v_readfirstlane_b32 s0, v0
	s_add_i32 s0, s0, -1
	s_cmp_eq_u32 s0, 36
	s_cbranch_scc1 .LBB106_284
; %bb.283:
	s_lshl_b32 s0, s0, 3
	s_nop 0
	scratch_load_dwordx2 v[0:1], off, s0
	scratch_load_dwordx2 v[2:3], off, off offset:288
	s_waitcnt vmcnt(1)
	scratch_store_dwordx2 off, v[0:1], off offset:288
	s_waitcnt vmcnt(1)
	scratch_store_dwordx2 off, v[2:3], s0
.LBB106_284:
	v_mov_b32_e32 v0, 0
	global_load_dword v1, v0, s[8:9] offset:140
	s_waitcnt vmcnt(0)
	v_readfirstlane_b32 s0, v1
	s_add_i32 s0, s0, -1
	s_cmp_eq_u32 s0, 35
	s_cbranch_scc1 .LBB106_286
; %bb.285:
	s_lshl_b32 s0, s0, 3
	s_nop 0
	scratch_load_dwordx2 v[2:3], off, s0
	scratch_load_dwordx2 v[4:5], off, off offset:280
	s_waitcnt vmcnt(1)
	scratch_store_dwordx2 off, v[2:3], off offset:280
	s_waitcnt vmcnt(1)
	scratch_store_dwordx2 off, v[4:5], s0
.LBB106_286:
	global_load_dword v0, v0, s[8:9] offset:136
	s_waitcnt vmcnt(0)
	v_readfirstlane_b32 s0, v0
	s_add_i32 s0, s0, -1
	s_cmp_eq_u32 s0, 34
	s_cbranch_scc1 .LBB106_288
; %bb.287:
	s_lshl_b32 s0, s0, 3
	s_nop 0
	scratch_load_dwordx2 v[0:1], off, s0
	scratch_load_dwordx2 v[2:3], off, off offset:272
	s_waitcnt vmcnt(1)
	scratch_store_dwordx2 off, v[0:1], off offset:272
	s_waitcnt vmcnt(1)
	scratch_store_dwordx2 off, v[2:3], s0
.LBB106_288:
	v_mov_b32_e32 v0, 0
	global_load_dword v1, v0, s[8:9] offset:132
	s_waitcnt vmcnt(0)
	v_readfirstlane_b32 s0, v1
	s_add_i32 s0, s0, -1
	s_cmp_eq_u32 s0, 33
	s_cbranch_scc1 .LBB106_290
; %bb.289:
	s_lshl_b32 s0, s0, 3
	s_nop 0
	scratch_load_dwordx2 v[2:3], off, s0
	scratch_load_dwordx2 v[4:5], off, off offset:264
	s_waitcnt vmcnt(1)
	scratch_store_dwordx2 off, v[2:3], off offset:264
	s_waitcnt vmcnt(1)
	scratch_store_dwordx2 off, v[4:5], s0
.LBB106_290:
	global_load_dword v0, v0, s[8:9] offset:128
	s_waitcnt vmcnt(0)
	v_readfirstlane_b32 s0, v0
	s_add_i32 s0, s0, -1
	s_cmp_eq_u32 s0, 32
	s_cbranch_scc1 .LBB106_292
; %bb.291:
	s_lshl_b32 s0, s0, 3
	s_nop 0
	scratch_load_dwordx2 v[0:1], off, s0
	scratch_load_dwordx2 v[2:3], off, off offset:256
	s_waitcnt vmcnt(1)
	scratch_store_dwordx2 off, v[0:1], off offset:256
	s_waitcnt vmcnt(1)
	scratch_store_dwordx2 off, v[2:3], s0
.LBB106_292:
	v_mov_b32_e32 v0, 0
	global_load_dword v1, v0, s[8:9] offset:124
	s_waitcnt vmcnt(0)
	v_readfirstlane_b32 s0, v1
	s_add_i32 s0, s0, -1
	s_cmp_eq_u32 s0, 31
	s_cbranch_scc1 .LBB106_294
; %bb.293:
	s_lshl_b32 s0, s0, 3
	s_nop 0
	scratch_load_dwordx2 v[2:3], off, s0
	scratch_load_dwordx2 v[4:5], off, off offset:248
	s_waitcnt vmcnt(1)
	scratch_store_dwordx2 off, v[2:3], off offset:248
	s_waitcnt vmcnt(1)
	scratch_store_dwordx2 off, v[4:5], s0
.LBB106_294:
	global_load_dword v0, v0, s[8:9] offset:120
	s_waitcnt vmcnt(0)
	v_readfirstlane_b32 s0, v0
	s_add_i32 s0, s0, -1
	s_cmp_eq_u32 s0, 30
	s_cbranch_scc1 .LBB106_296
; %bb.295:
	s_lshl_b32 s0, s0, 3
	s_nop 0
	scratch_load_dwordx2 v[0:1], off, s0
	scratch_load_dwordx2 v[2:3], off, off offset:240
	s_waitcnt vmcnt(1)
	scratch_store_dwordx2 off, v[0:1], off offset:240
	s_waitcnt vmcnt(1)
	scratch_store_dwordx2 off, v[2:3], s0
.LBB106_296:
	v_mov_b32_e32 v0, 0
	global_load_dword v1, v0, s[8:9] offset:116
	s_waitcnt vmcnt(0)
	v_readfirstlane_b32 s0, v1
	s_add_i32 s0, s0, -1
	s_cmp_eq_u32 s0, 29
	s_cbranch_scc1 .LBB106_298
; %bb.297:
	s_lshl_b32 s0, s0, 3
	s_nop 0
	scratch_load_dwordx2 v[2:3], off, s0
	scratch_load_dwordx2 v[4:5], off, off offset:232
	s_waitcnt vmcnt(1)
	scratch_store_dwordx2 off, v[2:3], off offset:232
	s_waitcnt vmcnt(1)
	scratch_store_dwordx2 off, v[4:5], s0
.LBB106_298:
	global_load_dword v0, v0, s[8:9] offset:112
	s_waitcnt vmcnt(0)
	v_readfirstlane_b32 s0, v0
	s_add_i32 s0, s0, -1
	s_cmp_eq_u32 s0, 28
	s_cbranch_scc1 .LBB106_300
; %bb.299:
	s_lshl_b32 s0, s0, 3
	s_nop 0
	scratch_load_dwordx2 v[0:1], off, s0
	scratch_load_dwordx2 v[2:3], off, off offset:224
	s_waitcnt vmcnt(1)
	scratch_store_dwordx2 off, v[0:1], off offset:224
	s_waitcnt vmcnt(1)
	scratch_store_dwordx2 off, v[2:3], s0
.LBB106_300:
	v_mov_b32_e32 v0, 0
	global_load_dword v1, v0, s[8:9] offset:108
	s_waitcnt vmcnt(0)
	v_readfirstlane_b32 s0, v1
	s_add_i32 s0, s0, -1
	s_cmp_eq_u32 s0, 27
	s_cbranch_scc1 .LBB106_302
; %bb.301:
	s_lshl_b32 s0, s0, 3
	s_nop 0
	scratch_load_dwordx2 v[2:3], off, s0
	scratch_load_dwordx2 v[4:5], off, off offset:216
	s_waitcnt vmcnt(1)
	scratch_store_dwordx2 off, v[2:3], off offset:216
	s_waitcnt vmcnt(1)
	scratch_store_dwordx2 off, v[4:5], s0
.LBB106_302:
	global_load_dword v0, v0, s[8:9] offset:104
	s_waitcnt vmcnt(0)
	v_readfirstlane_b32 s0, v0
	s_add_i32 s0, s0, -1
	s_cmp_eq_u32 s0, 26
	s_cbranch_scc1 .LBB106_304
; %bb.303:
	s_lshl_b32 s0, s0, 3
	s_nop 0
	scratch_load_dwordx2 v[0:1], off, s0
	scratch_load_dwordx2 v[2:3], off, off offset:208
	s_waitcnt vmcnt(1)
	scratch_store_dwordx2 off, v[0:1], off offset:208
	s_waitcnt vmcnt(1)
	scratch_store_dwordx2 off, v[2:3], s0
.LBB106_304:
	v_mov_b32_e32 v0, 0
	global_load_dword v1, v0, s[8:9] offset:100
	s_waitcnt vmcnt(0)
	v_readfirstlane_b32 s0, v1
	s_add_i32 s0, s0, -1
	s_cmp_eq_u32 s0, 25
	s_cbranch_scc1 .LBB106_306
; %bb.305:
	s_lshl_b32 s0, s0, 3
	s_nop 0
	scratch_load_dwordx2 v[2:3], off, s0
	scratch_load_dwordx2 v[4:5], off, off offset:200
	s_waitcnt vmcnt(1)
	scratch_store_dwordx2 off, v[2:3], off offset:200
	s_waitcnt vmcnt(1)
	scratch_store_dwordx2 off, v[4:5], s0
.LBB106_306:
	global_load_dword v0, v0, s[8:9] offset:96
	s_waitcnt vmcnt(0)
	v_readfirstlane_b32 s0, v0
	s_add_i32 s0, s0, -1
	s_cmp_eq_u32 s0, 24
	s_cbranch_scc1 .LBB106_308
; %bb.307:
	s_lshl_b32 s0, s0, 3
	s_nop 0
	scratch_load_dwordx2 v[0:1], off, s0
	scratch_load_dwordx2 v[2:3], off, off offset:192
	s_waitcnt vmcnt(1)
	scratch_store_dwordx2 off, v[0:1], off offset:192
	s_waitcnt vmcnt(1)
	scratch_store_dwordx2 off, v[2:3], s0
.LBB106_308:
	v_mov_b32_e32 v0, 0
	global_load_dword v1, v0, s[8:9] offset:92
	s_waitcnt vmcnt(0)
	v_readfirstlane_b32 s0, v1
	s_add_i32 s0, s0, -1
	s_cmp_eq_u32 s0, 23
	s_cbranch_scc1 .LBB106_310
; %bb.309:
	s_lshl_b32 s0, s0, 3
	s_nop 0
	scratch_load_dwordx2 v[2:3], off, s0
	scratch_load_dwordx2 v[4:5], off, off offset:184
	s_waitcnt vmcnt(1)
	scratch_store_dwordx2 off, v[2:3], off offset:184
	s_waitcnt vmcnt(1)
	scratch_store_dwordx2 off, v[4:5], s0
.LBB106_310:
	global_load_dword v0, v0, s[8:9] offset:88
	s_waitcnt vmcnt(0)
	v_readfirstlane_b32 s0, v0
	s_add_i32 s0, s0, -1
	s_cmp_eq_u32 s0, 22
	s_cbranch_scc1 .LBB106_312
; %bb.311:
	s_lshl_b32 s0, s0, 3
	s_nop 0
	scratch_load_dwordx2 v[0:1], off, s0
	scratch_load_dwordx2 v[2:3], off, off offset:176
	s_waitcnt vmcnt(1)
	scratch_store_dwordx2 off, v[0:1], off offset:176
	s_waitcnt vmcnt(1)
	scratch_store_dwordx2 off, v[2:3], s0
.LBB106_312:
	v_mov_b32_e32 v0, 0
	global_load_dword v1, v0, s[8:9] offset:84
	s_waitcnt vmcnt(0)
	v_readfirstlane_b32 s0, v1
	s_add_i32 s0, s0, -1
	s_cmp_eq_u32 s0, 21
	s_cbranch_scc1 .LBB106_314
; %bb.313:
	s_lshl_b32 s0, s0, 3
	s_nop 0
	scratch_load_dwordx2 v[2:3], off, s0
	scratch_load_dwordx2 v[4:5], off, off offset:168
	s_waitcnt vmcnt(1)
	scratch_store_dwordx2 off, v[2:3], off offset:168
	s_waitcnt vmcnt(1)
	scratch_store_dwordx2 off, v[4:5], s0
.LBB106_314:
	global_load_dword v0, v0, s[8:9] offset:80
	s_waitcnt vmcnt(0)
	v_readfirstlane_b32 s0, v0
	s_add_i32 s0, s0, -1
	s_cmp_eq_u32 s0, 20
	s_cbranch_scc1 .LBB106_316
; %bb.315:
	s_lshl_b32 s0, s0, 3
	s_nop 0
	scratch_load_dwordx2 v[0:1], off, s0
	scratch_load_dwordx2 v[2:3], off, off offset:160
	s_waitcnt vmcnt(1)
	scratch_store_dwordx2 off, v[0:1], off offset:160
	s_waitcnt vmcnt(1)
	scratch_store_dwordx2 off, v[2:3], s0
.LBB106_316:
	v_mov_b32_e32 v0, 0
	global_load_dword v1, v0, s[8:9] offset:76
	s_waitcnt vmcnt(0)
	v_readfirstlane_b32 s0, v1
	s_add_i32 s0, s0, -1
	s_cmp_eq_u32 s0, 19
	s_cbranch_scc1 .LBB106_318
; %bb.317:
	s_lshl_b32 s0, s0, 3
	s_nop 0
	scratch_load_dwordx2 v[2:3], off, s0
	scratch_load_dwordx2 v[4:5], off, off offset:152
	s_waitcnt vmcnt(1)
	scratch_store_dwordx2 off, v[2:3], off offset:152
	s_waitcnt vmcnt(1)
	scratch_store_dwordx2 off, v[4:5], s0
.LBB106_318:
	global_load_dword v0, v0, s[8:9] offset:72
	s_waitcnt vmcnt(0)
	v_readfirstlane_b32 s0, v0
	s_add_i32 s0, s0, -1
	s_cmp_eq_u32 s0, 18
	s_cbranch_scc1 .LBB106_320
; %bb.319:
	s_lshl_b32 s0, s0, 3
	s_nop 0
	scratch_load_dwordx2 v[0:1], off, s0
	scratch_load_dwordx2 v[2:3], off, off offset:144
	s_waitcnt vmcnt(1)
	scratch_store_dwordx2 off, v[0:1], off offset:144
	s_waitcnt vmcnt(1)
	scratch_store_dwordx2 off, v[2:3], s0
.LBB106_320:
	v_mov_b32_e32 v0, 0
	global_load_dword v1, v0, s[8:9] offset:68
	s_waitcnt vmcnt(0)
	v_readfirstlane_b32 s0, v1
	s_add_i32 s0, s0, -1
	s_cmp_eq_u32 s0, 17
	s_cbranch_scc1 .LBB106_322
; %bb.321:
	s_lshl_b32 s0, s0, 3
	s_nop 0
	scratch_load_dwordx2 v[2:3], off, s0
	scratch_load_dwordx2 v[4:5], off, off offset:136
	s_waitcnt vmcnt(1)
	scratch_store_dwordx2 off, v[2:3], off offset:136
	s_waitcnt vmcnt(1)
	scratch_store_dwordx2 off, v[4:5], s0
.LBB106_322:
	global_load_dword v0, v0, s[8:9] offset:64
	s_waitcnt vmcnt(0)
	v_readfirstlane_b32 s0, v0
	s_add_i32 s0, s0, -1
	s_cmp_eq_u32 s0, 16
	s_cbranch_scc1 .LBB106_324
; %bb.323:
	s_lshl_b32 s0, s0, 3
	s_nop 0
	scratch_load_dwordx2 v[0:1], off, s0
	scratch_load_dwordx2 v[2:3], off, off offset:128
	s_waitcnt vmcnt(1)
	scratch_store_dwordx2 off, v[0:1], off offset:128
	s_waitcnt vmcnt(1)
	scratch_store_dwordx2 off, v[2:3], s0
.LBB106_324:
	v_mov_b32_e32 v0, 0
	global_load_dword v1, v0, s[8:9] offset:60
	s_waitcnt vmcnt(0)
	v_readfirstlane_b32 s0, v1
	s_add_i32 s0, s0, -1
	s_cmp_eq_u32 s0, 15
	s_cbranch_scc1 .LBB106_326
; %bb.325:
	s_lshl_b32 s0, s0, 3
	s_nop 0
	scratch_load_dwordx2 v[2:3], off, s0
	scratch_load_dwordx2 v[4:5], off, off offset:120
	s_waitcnt vmcnt(1)
	scratch_store_dwordx2 off, v[2:3], off offset:120
	s_waitcnt vmcnt(1)
	scratch_store_dwordx2 off, v[4:5], s0
.LBB106_326:
	global_load_dword v0, v0, s[8:9] offset:56
	s_waitcnt vmcnt(0)
	v_readfirstlane_b32 s0, v0
	s_add_i32 s0, s0, -1
	s_cmp_eq_u32 s0, 14
	s_cbranch_scc1 .LBB106_328
; %bb.327:
	s_lshl_b32 s0, s0, 3
	s_nop 0
	scratch_load_dwordx2 v[0:1], off, s0
	scratch_load_dwordx2 v[2:3], off, off offset:112
	s_waitcnt vmcnt(1)
	scratch_store_dwordx2 off, v[0:1], off offset:112
	s_waitcnt vmcnt(1)
	scratch_store_dwordx2 off, v[2:3], s0
.LBB106_328:
	v_mov_b32_e32 v0, 0
	global_load_dword v1, v0, s[8:9] offset:52
	s_waitcnt vmcnt(0)
	v_readfirstlane_b32 s0, v1
	s_add_i32 s0, s0, -1
	s_cmp_eq_u32 s0, 13
	s_cbranch_scc1 .LBB106_330
; %bb.329:
	s_lshl_b32 s0, s0, 3
	s_nop 0
	scratch_load_dwordx2 v[2:3], off, s0
	scratch_load_dwordx2 v[4:5], off, off offset:104
	s_waitcnt vmcnt(1)
	scratch_store_dwordx2 off, v[2:3], off offset:104
	s_waitcnt vmcnt(1)
	scratch_store_dwordx2 off, v[4:5], s0
.LBB106_330:
	global_load_dword v0, v0, s[8:9] offset:48
	s_waitcnt vmcnt(0)
	v_readfirstlane_b32 s0, v0
	s_add_i32 s0, s0, -1
	s_cmp_eq_u32 s0, 12
	s_cbranch_scc1 .LBB106_332
; %bb.331:
	s_lshl_b32 s0, s0, 3
	s_nop 0
	scratch_load_dwordx2 v[0:1], off, s0
	scratch_load_dwordx2 v[2:3], off, off offset:96
	s_waitcnt vmcnt(1)
	scratch_store_dwordx2 off, v[0:1], off offset:96
	s_waitcnt vmcnt(1)
	scratch_store_dwordx2 off, v[2:3], s0
.LBB106_332:
	v_mov_b32_e32 v0, 0
	global_load_dword v1, v0, s[8:9] offset:44
	s_waitcnt vmcnt(0)
	v_readfirstlane_b32 s0, v1
	s_add_i32 s0, s0, -1
	s_cmp_eq_u32 s0, 11
	s_cbranch_scc1 .LBB106_334
; %bb.333:
	s_lshl_b32 s0, s0, 3
	s_nop 0
	scratch_load_dwordx2 v[2:3], off, s0
	scratch_load_dwordx2 v[4:5], off, off offset:88
	s_waitcnt vmcnt(1)
	scratch_store_dwordx2 off, v[2:3], off offset:88
	s_waitcnt vmcnt(1)
	scratch_store_dwordx2 off, v[4:5], s0
.LBB106_334:
	global_load_dword v0, v0, s[8:9] offset:40
	s_waitcnt vmcnt(0)
	v_readfirstlane_b32 s0, v0
	s_add_i32 s0, s0, -1
	s_cmp_eq_u32 s0, 10
	s_cbranch_scc1 .LBB106_336
; %bb.335:
	s_lshl_b32 s0, s0, 3
	s_nop 0
	scratch_load_dwordx2 v[0:1], off, s0
	scratch_load_dwordx2 v[2:3], off, off offset:80
	s_waitcnt vmcnt(1)
	scratch_store_dwordx2 off, v[0:1], off offset:80
	s_waitcnt vmcnt(1)
	scratch_store_dwordx2 off, v[2:3], s0
.LBB106_336:
	v_mov_b32_e32 v0, 0
	global_load_dword v1, v0, s[8:9] offset:36
	s_waitcnt vmcnt(0)
	v_readfirstlane_b32 s0, v1
	s_add_i32 s0, s0, -1
	s_cmp_eq_u32 s0, 9
	s_cbranch_scc1 .LBB106_338
; %bb.337:
	s_lshl_b32 s0, s0, 3
	s_nop 0
	scratch_load_dwordx2 v[2:3], off, s0
	scratch_load_dwordx2 v[4:5], off, off offset:72
	s_waitcnt vmcnt(1)
	scratch_store_dwordx2 off, v[2:3], off offset:72
	s_waitcnt vmcnt(1)
	scratch_store_dwordx2 off, v[4:5], s0
.LBB106_338:
	global_load_dword v0, v0, s[8:9] offset:32
	s_waitcnt vmcnt(0)
	v_readfirstlane_b32 s0, v0
	s_add_i32 s0, s0, -1
	s_cmp_eq_u32 s0, 8
	s_cbranch_scc1 .LBB106_340
; %bb.339:
	s_lshl_b32 s0, s0, 3
	s_nop 0
	scratch_load_dwordx2 v[0:1], off, s0
	scratch_load_dwordx2 v[2:3], off, off offset:64
	s_waitcnt vmcnt(1)
	scratch_store_dwordx2 off, v[0:1], off offset:64
	s_waitcnt vmcnt(1)
	scratch_store_dwordx2 off, v[2:3], s0
.LBB106_340:
	v_mov_b32_e32 v0, 0
	global_load_dword v1, v0, s[8:9] offset:28
	s_waitcnt vmcnt(0)
	v_readfirstlane_b32 s0, v1
	s_add_i32 s0, s0, -1
	s_cmp_eq_u32 s0, 7
	s_cbranch_scc1 .LBB106_342
; %bb.341:
	s_lshl_b32 s0, s0, 3
	s_nop 0
	scratch_load_dwordx2 v[2:3], off, s0
	scratch_load_dwordx2 v[4:5], off, off offset:56
	s_waitcnt vmcnt(1)
	scratch_store_dwordx2 off, v[2:3], off offset:56
	s_waitcnt vmcnt(1)
	scratch_store_dwordx2 off, v[4:5], s0
.LBB106_342:
	global_load_dword v0, v0, s[8:9] offset:24
	s_waitcnt vmcnt(0)
	v_readfirstlane_b32 s0, v0
	s_add_i32 s0, s0, -1
	s_cmp_eq_u32 s0, 6
	s_cbranch_scc1 .LBB106_344
; %bb.343:
	s_lshl_b32 s0, s0, 3
	s_nop 0
	scratch_load_dwordx2 v[0:1], off, s0
	scratch_load_dwordx2 v[2:3], off, off offset:48
	s_waitcnt vmcnt(1)
	scratch_store_dwordx2 off, v[0:1], off offset:48
	s_waitcnt vmcnt(1)
	scratch_store_dwordx2 off, v[2:3], s0
.LBB106_344:
	v_mov_b32_e32 v0, 0
	global_load_dword v1, v0, s[8:9] offset:20
	s_waitcnt vmcnt(0)
	v_readfirstlane_b32 s0, v1
	s_add_i32 s0, s0, -1
	s_cmp_eq_u32 s0, 5
	s_cbranch_scc1 .LBB106_346
; %bb.345:
	s_lshl_b32 s0, s0, 3
	s_nop 0
	scratch_load_dwordx2 v[2:3], off, s0
	scratch_load_dwordx2 v[4:5], off, off offset:40
	s_waitcnt vmcnt(1)
	scratch_store_dwordx2 off, v[2:3], off offset:40
	s_waitcnt vmcnt(1)
	scratch_store_dwordx2 off, v[4:5], s0
.LBB106_346:
	global_load_dword v0, v0, s[8:9] offset:16
	s_waitcnt vmcnt(0)
	v_readfirstlane_b32 s0, v0
	s_add_i32 s0, s0, -1
	s_cmp_eq_u32 s0, 4
	s_cbranch_scc1 .LBB106_348
; %bb.347:
	s_lshl_b32 s0, s0, 3
	s_nop 0
	scratch_load_dwordx2 v[0:1], off, s0
	scratch_load_dwordx2 v[2:3], off, off offset:32
	s_waitcnt vmcnt(1)
	scratch_store_dwordx2 off, v[0:1], off offset:32
	s_waitcnt vmcnt(1)
	scratch_store_dwordx2 off, v[2:3], s0
.LBB106_348:
	v_mov_b32_e32 v0, 0
	global_load_dword v1, v0, s[8:9] offset:12
	s_waitcnt vmcnt(0)
	v_readfirstlane_b32 s0, v1
	s_add_i32 s0, s0, -1
	s_cmp_eq_u32 s0, 3
	s_cbranch_scc1 .LBB106_350
; %bb.349:
	s_lshl_b32 s0, s0, 3
	s_nop 0
	scratch_load_dwordx2 v[2:3], off, s0
	scratch_load_dwordx2 v[4:5], off, off offset:24
	s_waitcnt vmcnt(1)
	scratch_store_dwordx2 off, v[2:3], off offset:24
	s_waitcnt vmcnt(1)
	scratch_store_dwordx2 off, v[4:5], s0
.LBB106_350:
	global_load_dword v0, v0, s[8:9] offset:8
	s_waitcnt vmcnt(0)
	v_readfirstlane_b32 s0, v0
	s_add_i32 s0, s0, -1
	s_cmp_eq_u32 s0, 2
	s_cbranch_scc1 .LBB106_352
; %bb.351:
	s_lshl_b32 s0, s0, 3
	s_nop 0
	scratch_load_dwordx2 v[0:1], off, s0
	scratch_load_dwordx2 v[2:3], off, off offset:16
	s_waitcnt vmcnt(1)
	scratch_store_dwordx2 off, v[0:1], off offset:16
	s_waitcnt vmcnt(1)
	scratch_store_dwordx2 off, v[2:3], s0
.LBB106_352:
	v_mov_b32_e32 v0, 0
	global_load_dword v1, v0, s[8:9] offset:4
	s_waitcnt vmcnt(0)
	v_readfirstlane_b32 s0, v1
	s_add_i32 s0, s0, -1
	s_cmp_eq_u32 s0, 1
	s_cbranch_scc1 .LBB106_354
; %bb.353:
	s_lshl_b32 s0, s0, 3
	s_nop 0
	scratch_load_dwordx2 v[2:3], off, s0
	scratch_load_dwordx2 v[4:5], off, off offset:8
	s_waitcnt vmcnt(1)
	scratch_store_dwordx2 off, v[2:3], off offset:8
	s_waitcnt vmcnt(1)
	scratch_store_dwordx2 off, v[4:5], s0
.LBB106_354:
	global_load_dword v2, v0, s[8:9]
	s_nop 0
	scratch_load_dwordx2 v[0:1], off, off
	s_waitcnt vmcnt(1)
	v_readfirstlane_b32 s0, v2
	s_add_i32 s0, s0, -1
	s_cmp_eq_u32 s0, 0
	s_cbranch_scc1 .LBB106_356
; %bb.355:
	s_lshl_b32 s0, s0, 3
	s_nop 0
	scratch_load_dwordx2 v[2:3], off, s0
	s_waitcnt vmcnt(0)
	scratch_store_dwordx2 off, v[2:3], off
	scratch_store_dwordx2 off, v[0:1], s0
	scratch_load_dwordx2 v[0:1], off, off
.LBB106_356:
	s_waitcnt vmcnt(0)
	flat_store_dwordx2 v[124:125], v[0:1]
	scratch_load_dwordx2 v[0:1], off, off offset:8
	s_waitcnt vmcnt(0)
	flat_store_dwordx2 v[126:127], v[0:1]
	scratch_load_dwordx2 v[0:1], off, off offset:16
	;; [unrolled: 3-line block ×42, first 2 shown]
	s_waitcnt vmcnt(0)
	flat_store_dwordx2 v[208:209], v[0:1]
	s_endpgm
	.section	.rodata,"a",@progbits
	.p2align	6, 0x0
	.amdhsa_kernel _ZN9rocsolver6v33100L18getri_kernel_smallILi43E19rocblas_complex_numIfEPKPS3_EEvT1_iilPiilS8_bb
		.amdhsa_group_segment_fixed_size 696
		.amdhsa_private_segment_fixed_size 352
		.amdhsa_kernarg_size 60
		.amdhsa_user_sgpr_count 2
		.amdhsa_user_sgpr_dispatch_ptr 0
		.amdhsa_user_sgpr_queue_ptr 0
		.amdhsa_user_sgpr_kernarg_segment_ptr 1
		.amdhsa_user_sgpr_dispatch_id 0
		.amdhsa_user_sgpr_kernarg_preload_length 0
		.amdhsa_user_sgpr_kernarg_preload_offset 0
		.amdhsa_user_sgpr_private_segment_size 0
		.amdhsa_uses_dynamic_stack 0
		.amdhsa_enable_private_segment 1
		.amdhsa_system_sgpr_workgroup_id_x 1
		.amdhsa_system_sgpr_workgroup_id_y 0
		.amdhsa_system_sgpr_workgroup_id_z 0
		.amdhsa_system_sgpr_workgroup_info 0
		.amdhsa_system_vgpr_workitem_id 0
		.amdhsa_next_free_vgpr 252
		.amdhsa_next_free_sgpr 17
		.amdhsa_accum_offset 252
		.amdhsa_reserve_vcc 1
		.amdhsa_float_round_mode_32 0
		.amdhsa_float_round_mode_16_64 0
		.amdhsa_float_denorm_mode_32 3
		.amdhsa_float_denorm_mode_16_64 3
		.amdhsa_dx10_clamp 1
		.amdhsa_ieee_mode 1
		.amdhsa_fp16_overflow 0
		.amdhsa_tg_split 0
		.amdhsa_exception_fp_ieee_invalid_op 0
		.amdhsa_exception_fp_denorm_src 0
		.amdhsa_exception_fp_ieee_div_zero 0
		.amdhsa_exception_fp_ieee_overflow 0
		.amdhsa_exception_fp_ieee_underflow 0
		.amdhsa_exception_fp_ieee_inexact 0
		.amdhsa_exception_int_div_zero 0
	.end_amdhsa_kernel
	.section	.text._ZN9rocsolver6v33100L18getri_kernel_smallILi43E19rocblas_complex_numIfEPKPS3_EEvT1_iilPiilS8_bb,"axG",@progbits,_ZN9rocsolver6v33100L18getri_kernel_smallILi43E19rocblas_complex_numIfEPKPS3_EEvT1_iilPiilS8_bb,comdat
.Lfunc_end106:
	.size	_ZN9rocsolver6v33100L18getri_kernel_smallILi43E19rocblas_complex_numIfEPKPS3_EEvT1_iilPiilS8_bb, .Lfunc_end106-_ZN9rocsolver6v33100L18getri_kernel_smallILi43E19rocblas_complex_numIfEPKPS3_EEvT1_iilPiilS8_bb
                                        ; -- End function
	.set _ZN9rocsolver6v33100L18getri_kernel_smallILi43E19rocblas_complex_numIfEPKPS3_EEvT1_iilPiilS8_bb.num_vgpr, 252
	.set _ZN9rocsolver6v33100L18getri_kernel_smallILi43E19rocblas_complex_numIfEPKPS3_EEvT1_iilPiilS8_bb.num_agpr, 0
	.set _ZN9rocsolver6v33100L18getri_kernel_smallILi43E19rocblas_complex_numIfEPKPS3_EEvT1_iilPiilS8_bb.numbered_sgpr, 17
	.set _ZN9rocsolver6v33100L18getri_kernel_smallILi43E19rocblas_complex_numIfEPKPS3_EEvT1_iilPiilS8_bb.num_named_barrier, 0
	.set _ZN9rocsolver6v33100L18getri_kernel_smallILi43E19rocblas_complex_numIfEPKPS3_EEvT1_iilPiilS8_bb.private_seg_size, 352
	.set _ZN9rocsolver6v33100L18getri_kernel_smallILi43E19rocblas_complex_numIfEPKPS3_EEvT1_iilPiilS8_bb.uses_vcc, 1
	.set _ZN9rocsolver6v33100L18getri_kernel_smallILi43E19rocblas_complex_numIfEPKPS3_EEvT1_iilPiilS8_bb.uses_flat_scratch, 0
	.set _ZN9rocsolver6v33100L18getri_kernel_smallILi43E19rocblas_complex_numIfEPKPS3_EEvT1_iilPiilS8_bb.has_dyn_sized_stack, 0
	.set _ZN9rocsolver6v33100L18getri_kernel_smallILi43E19rocblas_complex_numIfEPKPS3_EEvT1_iilPiilS8_bb.has_recursion, 0
	.set _ZN9rocsolver6v33100L18getri_kernel_smallILi43E19rocblas_complex_numIfEPKPS3_EEvT1_iilPiilS8_bb.has_indirect_call, 0
	.section	.AMDGPU.csdata,"",@progbits
; Kernel info:
; codeLenInByte = 57332
; TotalNumSgprs: 23
; NumVgprs: 252
; NumAgprs: 0
; TotalNumVgprs: 252
; ScratchSize: 352
; MemoryBound: 0
; FloatMode: 240
; IeeeMode: 1
; LDSByteSize: 696 bytes/workgroup (compile time only)
; SGPRBlocks: 2
; VGPRBlocks: 31
; NumSGPRsForWavesPerEU: 23
; NumVGPRsForWavesPerEU: 252
; AccumOffset: 252
; Occupancy: 2
; WaveLimiterHint : 1
; COMPUTE_PGM_RSRC2:SCRATCH_EN: 1
; COMPUTE_PGM_RSRC2:USER_SGPR: 2
; COMPUTE_PGM_RSRC2:TRAP_HANDLER: 0
; COMPUTE_PGM_RSRC2:TGID_X_EN: 1
; COMPUTE_PGM_RSRC2:TGID_Y_EN: 0
; COMPUTE_PGM_RSRC2:TGID_Z_EN: 0
; COMPUTE_PGM_RSRC2:TIDIG_COMP_CNT: 0
; COMPUTE_PGM_RSRC3_GFX90A:ACCUM_OFFSET: 62
; COMPUTE_PGM_RSRC3_GFX90A:TG_SPLIT: 0
	.section	.text._ZN9rocsolver6v33100L18getri_kernel_smallILi44E19rocblas_complex_numIfEPKPS3_EEvT1_iilPiilS8_bb,"axG",@progbits,_ZN9rocsolver6v33100L18getri_kernel_smallILi44E19rocblas_complex_numIfEPKPS3_EEvT1_iilPiilS8_bb,comdat
	.globl	_ZN9rocsolver6v33100L18getri_kernel_smallILi44E19rocblas_complex_numIfEPKPS3_EEvT1_iilPiilS8_bb ; -- Begin function _ZN9rocsolver6v33100L18getri_kernel_smallILi44E19rocblas_complex_numIfEPKPS3_EEvT1_iilPiilS8_bb
	.p2align	8
	.type	_ZN9rocsolver6v33100L18getri_kernel_smallILi44E19rocblas_complex_numIfEPKPS3_EEvT1_iilPiilS8_bb,@function
_ZN9rocsolver6v33100L18getri_kernel_smallILi44E19rocblas_complex_numIfEPKPS3_EEvT1_iilPiilS8_bb: ; @_ZN9rocsolver6v33100L18getri_kernel_smallILi44E19rocblas_complex_numIfEPKPS3_EEvT1_iilPiilS8_bb
; %bb.0:
	v_cmp_gt_u32_e32 vcc, 44, v0
	s_and_saveexec_b64 s[4:5], vcc
	s_cbranch_execz .LBB107_190
; %bb.1:
	s_load_dword s14, s[0:1], 0x38
	s_load_dwordx2 s[8:9], s[0:1], 0x0
	s_load_dwordx4 s[4:7], s[0:1], 0x28
	s_waitcnt lgkmcnt(0)
	s_bitcmp1_b32 s14, 8
	s_cselect_b64 s[10:11], -1, 0
	s_ashr_i32 s3, s2, 31
	s_lshl_b64 s[12:13], s[2:3], 3
	s_add_u32 s8, s8, s12
	s_addc_u32 s9, s9, s13
	s_load_dwordx2 s[12:13], s[8:9], 0x0
	s_bfe_u32 s8, s14, 0x10008
	s_cmp_eq_u32 s8, 0
                                        ; implicit-def: $sgpr8_sgpr9
	s_cbranch_scc1 .LBB107_3
; %bb.2:
	s_load_dword s8, s[0:1], 0x20
	s_load_dwordx2 s[14:15], s[0:1], 0x18
	s_mul_i32 s9, s4, s3
	s_mul_hi_u32 s16, s4, s2
	s_add_i32 s16, s16, s9
	s_mul_i32 s5, s5, s2
	s_add_i32 s5, s16, s5
	s_mul_i32 s4, s4, s2
	s_waitcnt lgkmcnt(0)
	s_ashr_i32 s9, s8, 31
	s_lshl_b64 s[4:5], s[4:5], 2
	s_add_u32 s14, s14, s4
	s_addc_u32 s15, s15, s5
	s_lshl_b64 s[4:5], s[8:9], 2
	s_add_u32 s8, s14, s4
	s_addc_u32 s9, s15, s5
.LBB107_3:
	s_load_dwordx2 s[4:5], s[0:1], 0x8
	s_load_dword s14, s[0:1], 0x38
	v_lshlrev_b32_e32 v2, 3, v0
	v_mov_b32_e32 v3, 0
	s_waitcnt lgkmcnt(0)
	s_ashr_i32 s1, s4, 31
	s_mov_b32 s0, s4
	s_lshl_b64 s[0:1], s[0:1], 3
	s_add_u32 s0, s12, s0
	s_addc_u32 s1, s13, s1
	v_lshl_add_u64 v[126:127], s[0:1], 0, v[2:3]
	flat_load_dwordx2 v[4:5], v[126:127]
	s_mov_b32 s12, s5
	s_ashr_i32 s13, s5, 31
	v_lshl_add_u64 v[128:129], s[12:13], 3, v[126:127]
	s_add_i32 s4, s5, s5
	v_add_u32_e32 v6, s4, v0
	v_ashrrev_i32_e32 v7, 31, v6
	v_lshl_add_u64 v[130:131], v[6:7], 3, s[0:1]
	v_add_u32_e32 v6, s5, v6
	v_ashrrev_i32_e32 v7, 31, v6
	v_lshl_add_u64 v[132:133], v[6:7], 3, s[0:1]
	;; [unrolled: 3-line block ×25, first 2 shown]
	s_waitcnt vmcnt(0) lgkmcnt(0)
	scratch_store_dwordx2 off, v[4:5], off
	flat_load_dwordx2 v[4:5], v[128:129]
	v_add_u32_e32 v6, s5, v6
	v_ashrrev_i32_e32 v7, 31, v6
	v_lshl_add_u64 v[180:181], v[6:7], 3, s[0:1]
	v_add_u32_e32 v6, s5, v6
	v_ashrrev_i32_e32 v7, 31, v6
	v_lshl_add_u64 v[182:183], v[6:7], 3, s[0:1]
	;; [unrolled: 3-line block ×17, first 2 shown]
	s_bitcmp0_b32 s14, 0
	s_mov_b64 s[4:5], -1
	s_waitcnt vmcnt(0) lgkmcnt(0)
	scratch_store_dwordx2 off, v[4:5], off offset:8
	flat_load_dwordx2 v[4:5], v[130:131]
	s_waitcnt vmcnt(0) lgkmcnt(0)
	scratch_store_dwordx2 off, v[4:5], off offset:16
	flat_load_dwordx2 v[4:5], v[132:133]
	;; [unrolled: 3-line block ×42, first 2 shown]
	s_waitcnt vmcnt(0) lgkmcnt(0)
	scratch_store_dwordx2 off, v[4:5], off offset:344
	s_cbranch_scc1 .LBB107_188
; %bb.4:
	v_cmp_eq_u32_e64 s[0:1], 0, v0
	s_and_saveexec_b64 s[4:5], s[0:1]
; %bb.5:
	v_mov_b32_e32 v1, 0
	ds_write_b32 v1, v1 offset:704
; %bb.6:
	s_or_b64 exec, exec, s[4:5]
	s_waitcnt lgkmcnt(0)
	; wave barrier
	scratch_load_dwordx2 v[4:5], v2, off
	s_waitcnt vmcnt(0)
	v_cmp_eq_f32_e32 vcc, 0, v4
	v_cmp_eq_f32_e64 s[4:5], 0, v5
	s_and_b64 s[4:5], vcc, s[4:5]
	s_and_saveexec_b64 s[12:13], s[4:5]
	s_cbranch_execz .LBB107_10
; %bb.7:
	v_mov_b32_e32 v1, 0
	ds_read_b32 v4, v1 offset:704
	v_add_u32_e32 v3, 1, v0
	s_waitcnt lgkmcnt(0)
	v_readfirstlane_b32 s4, v4
	s_cmp_eq_u32 s4, 0
	s_cselect_b64 s[14:15], -1, 0
	v_cmp_gt_i32_e32 vcc, s4, v3
	s_or_b64 s[14:15], s[14:15], vcc
	s_and_b64 exec, exec, s[14:15]
	s_cbranch_execz .LBB107_10
; %bb.8:
	s_mov_b64 s[14:15], 0
	v_mov_b32_e32 v4, s4
.LBB107_9:                              ; =>This Inner Loop Header: Depth=1
	ds_cmpst_rtn_b32 v4, v1, v4, v3 offset:704
	s_waitcnt lgkmcnt(0)
	v_cmp_ne_u32_e32 vcc, 0, v4
	v_cmp_le_i32_e64 s[4:5], v4, v3
	s_and_b64 s[4:5], vcc, s[4:5]
	s_and_b64 s[4:5], exec, s[4:5]
	s_or_b64 s[14:15], s[4:5], s[14:15]
	s_andn2_b64 exec, exec, s[14:15]
	s_cbranch_execnz .LBB107_9
.LBB107_10:
	s_or_b64 exec, exec, s[12:13]
	v_mov_b32_e32 v3, 0
	; wave barrier
	ds_read_b32 v1, v3 offset:704
	s_and_saveexec_b64 s[4:5], s[0:1]
	s_cbranch_execz .LBB107_12
; %bb.11:
	s_lshl_b64 s[12:13], s[2:3], 2
	s_add_u32 s12, s6, s12
	s_addc_u32 s13, s7, s13
	s_waitcnt lgkmcnt(0)
	global_store_dword v3, v1, s[12:13]
.LBB107_12:
	s_or_b64 exec, exec, s[4:5]
	s_waitcnt lgkmcnt(0)
	v_cmp_ne_u32_e32 vcc, 0, v1
	s_mov_b64 s[4:5], 0
	s_cbranch_vccnz .LBB107_188
; %bb.13:
	v_mov_b32_e32 v3, v2
	scratch_load_dwordx2 v[4:5], v3, off
                                        ; implicit-def: $vgpr7
                                        ; implicit-def: $vgpr8
	s_waitcnt vmcnt(0)
	v_cmp_ngt_f32_e64 s[4:5], |v4|, |v5|
	s_and_saveexec_b64 s[12:13], s[4:5]
	s_xor_b64 s[4:5], exec, s[12:13]
	s_cbranch_execz .LBB107_15
; %bb.14:
	v_div_scale_f32 v1, s[12:13], v5, v5, v4
	v_rcp_f32_e32 v6, v1
	v_div_scale_f32 v7, vcc, v4, v5, v4
	v_fma_f32 v8, -v1, v6, 1.0
	v_fmac_f32_e32 v6, v8, v6
	v_mul_f32_e32 v8, v7, v6
	v_fma_f32 v9, -v1, v8, v7
	v_fmac_f32_e32 v8, v9, v6
	v_fma_f32 v1, -v1, v8, v7
	v_div_fmas_f32 v1, v1, v6, v8
	v_div_fixup_f32 v1, v1, v5, v4
	v_fmac_f32_e32 v5, v4, v1
	v_div_scale_f32 v4, s[12:13], v5, v5, -1.0
	v_rcp_f32_e32 v6, v4
	s_nop 0
	v_fma_f32 v7, -v4, v6, 1.0
	v_fmac_f32_e32 v6, v7, v6
	v_div_scale_f32 v7, vcc, -1.0, v5, -1.0
	v_mul_f32_e32 v8, v7, v6
	v_fma_f32 v9, -v4, v8, v7
	v_fmac_f32_e32 v8, v9, v6
	v_fma_f32 v4, -v4, v8, v7
	v_div_fmas_f32 v4, v4, v6, v8
	v_div_fixup_f32 v7, v4, v5, -1.0
	v_mul_f32_e32 v8, v1, v7
	v_xor_b32_e32 v6, 0x80000000, v8
                                        ; implicit-def: $vgpr4_vgpr5
.LBB107_15:
	s_andn2_saveexec_b64 s[4:5], s[4:5]
	s_cbranch_execz .LBB107_17
; %bb.16:
	v_div_scale_f32 v1, s[12:13], v4, v4, v5
	v_rcp_f32_e32 v6, v1
	v_div_scale_f32 v7, vcc, v5, v4, v5
	v_fma_f32 v8, -v1, v6, 1.0
	v_fmac_f32_e32 v6, v8, v6
	v_mul_f32_e32 v8, v7, v6
	v_fma_f32 v9, -v1, v8, v7
	v_fmac_f32_e32 v8, v9, v6
	v_fma_f32 v1, -v1, v8, v7
	v_div_fmas_f32 v1, v1, v6, v8
	v_div_fixup_f32 v1, v1, v4, v5
	v_fmac_f32_e32 v4, v5, v1
	v_div_scale_f32 v5, s[12:13], v4, v4, 1.0
	v_rcp_f32_e32 v6, v5
	s_nop 0
	v_fma_f32 v7, -v5, v6, 1.0
	v_fmac_f32_e32 v6, v7, v6
	v_div_scale_f32 v7, vcc, 1.0, v4, 1.0
	v_mul_f32_e32 v8, v7, v6
	v_fma_f32 v9, -v5, v8, v7
	v_fmac_f32_e32 v8, v9, v6
	v_fma_f32 v5, -v5, v8, v7
	v_div_fmas_f32 v5, v5, v6, v8
	v_div_fixup_f32 v6, v5, v4, 1.0
	v_xor_b32_e32 v8, 0x80000000, v6
	v_mul_f32_e64 v7, v1, -v6
.LBB107_17:
	s_or_b64 exec, exec, s[4:5]
	scratch_store_dwordx2 v3, v[6:7], off
	scratch_load_dwordx2 v[4:5], off, off offset:8
	v_xor_b32_e32 v9, 0x80000000, v7
	v_add_u32_e32 v1, 0x160, v2
	s_waitcnt vmcnt(0)
	ds_write2_b64 v2, v[8:9], v[4:5] offset1:44
	s_waitcnt lgkmcnt(0)
	; wave barrier
	s_and_saveexec_b64 s[4:5], s[0:1]
	s_cbranch_execz .LBB107_19
; %bb.18:
	scratch_load_dwordx2 v[4:5], v3, off
	ds_read_b64 v[6:7], v1
	v_mov_b32_e32 v8, 0
	ds_read_b64 v[8:9], v8 offset:8
	s_waitcnt vmcnt(0) lgkmcnt(1)
	v_pk_mul_f32 v[10:11], v[6:7], v[4:5] op_sel:[1,1] op_sel_hi:[0,1]
	v_pk_fma_f32 v[12:13], v[6:7], v[4:5], v[10:11] neg_lo:[0,0,1] neg_hi:[0,0,1]
	v_pk_fma_f32 v[4:5], v[6:7], v[4:5], v[10:11] op_sel_hi:[1,0,1]
	s_nop 0
	v_mov_b32_e32 v13, v5
	v_pk_add_f32 v[4:5], v[12:13], 0 op_sel_hi:[1,0]
	s_waitcnt lgkmcnt(0)
	v_pk_mul_f32 v[6:7], v[4:5], v[8:9] op_sel:[1,1] op_sel_hi:[0,1]
	v_pk_fma_f32 v[10:11], v[4:5], v[8:9], v[6:7] neg_lo:[0,0,1] neg_hi:[0,0,1]
	v_pk_fma_f32 v[4:5], v[4:5], v[8:9], v[6:7] op_sel_hi:[1,0,1]
	s_nop 0
	v_mov_b32_e32 v11, v5
	scratch_store_dwordx2 off, v[10:11], off offset:8
.LBB107_19:
	s_or_b64 exec, exec, s[4:5]
	; wave barrier
	scratch_load_dwordx2 v[4:5], off, off offset:16
	v_cmp_gt_u32_e32 vcc, 2, v0
	s_waitcnt vmcnt(0)
	ds_write_b64 v1, v[4:5]
	s_waitcnt lgkmcnt(0)
	; wave barrier
	s_and_saveexec_b64 s[4:5], vcc
	s_cbranch_execz .LBB107_23
; %bb.20:
	scratch_load_dwordx2 v[4:5], v3, off
	ds_read_b64 v[6:7], v1
	s_waitcnt vmcnt(0) lgkmcnt(0)
	v_pk_mul_f32 v[8:9], v[6:7], v[4:5] op_sel:[1,1] op_sel_hi:[0,1]
	v_pk_fma_f32 v[10:11], v[6:7], v[4:5], v[8:9] neg_lo:[0,0,1] neg_hi:[0,0,1]
	v_pk_fma_f32 v[4:5], v[6:7], v[4:5], v[8:9] op_sel_hi:[1,0,1]
	s_nop 0
	v_mov_b32_e32 v11, v5
	v_pk_add_f32 v[4:5], v[10:11], 0 op_sel_hi:[1,0]
	s_and_saveexec_b64 s[12:13], s[0:1]
	s_cbranch_execz .LBB107_22
; %bb.21:
	scratch_load_dwordx2 v[6:7], off, off offset:8
	v_mov_b32_e32 v3, 0
	ds_read_b64 v[8:9], v3 offset:360
	s_waitcnt vmcnt(0) lgkmcnt(0)
	v_pk_mul_f32 v[10:11], v[8:9], v[6:7] op_sel:[1,1] op_sel_hi:[0,1]
	v_pk_fma_f32 v[12:13], v[8:9], v[6:7], v[10:11] neg_lo:[0,0,1] neg_hi:[0,0,1]
	v_pk_fma_f32 v[6:7], v[8:9], v[6:7], v[10:11] op_sel_hi:[1,0,1]
	s_nop 0
	v_mov_b32_e32 v13, v7
	v_pk_add_f32 v[4:5], v[4:5], v[12:13]
.LBB107_22:
	s_or_b64 exec, exec, s[12:13]
	v_mov_b32_e32 v3, 0
	ds_read_b64 v[6:7], v3 offset:16
	s_waitcnt lgkmcnt(0)
	v_pk_mul_f32 v[8:9], v[4:5], v[6:7] op_sel:[1,1] op_sel_hi:[0,1]
	v_pk_fma_f32 v[10:11], v[4:5], v[6:7], v[8:9] neg_lo:[0,0,1] neg_hi:[0,0,1]
	v_pk_fma_f32 v[4:5], v[4:5], v[6:7], v[8:9] op_sel_hi:[1,0,1]
	s_nop 0
	v_mov_b32_e32 v11, v5
	scratch_store_dwordx2 off, v[10:11], off offset:16
.LBB107_23:
	s_or_b64 exec, exec, s[4:5]
	; wave barrier
	scratch_load_dwordx2 v[4:5], off, off offset:24
	v_cmp_gt_u32_e32 vcc, 3, v0
	v_add_u32_e32 v6, -1, v0
	s_waitcnt vmcnt(0)
	ds_write_b64 v1, v[4:5]
	s_waitcnt lgkmcnt(0)
	; wave barrier
	s_and_saveexec_b64 s[0:1], vcc
	s_cbranch_execz .LBB107_27
; %bb.24:
	v_mov_b32_e32 v4, 0
	v_add_u32_e32 v3, -1, v0
	v_add_u32_e32 v7, 0x160, v2
	v_mov_b32_e32 v8, v2
	s_mov_b64 s[4:5], 0
	v_mov_b32_e32 v5, v4
.LBB107_25:                             ; =>This Inner Loop Header: Depth=1
	scratch_load_dwordx2 v[10:11], v8, off
	ds_read_b64 v[12:13], v7
	v_add_u32_e32 v3, 1, v3
	v_cmp_lt_u32_e32 vcc, 1, v3
	v_add_u32_e32 v7, 8, v7
	v_add_u32_e32 v8, 8, v8
	s_or_b64 s[4:5], vcc, s[4:5]
	s_waitcnt vmcnt(0) lgkmcnt(0)
	v_pk_mul_f32 v[14:15], v[12:13], v[10:11] op_sel:[1,1] op_sel_hi:[0,1]
	v_pk_fma_f32 v[16:17], v[12:13], v[10:11], v[14:15] neg_lo:[0,0,1] neg_hi:[0,0,1]
	v_pk_fma_f32 v[10:11], v[12:13], v[10:11], v[14:15] op_sel_hi:[1,0,1]
	s_nop 0
	v_mov_b32_e32 v17, v11
	v_pk_add_f32 v[4:5], v[4:5], v[16:17]
	s_andn2_b64 exec, exec, s[4:5]
	s_cbranch_execnz .LBB107_25
; %bb.26:
	s_or_b64 exec, exec, s[4:5]
	v_mov_b32_e32 v3, 0
	ds_read_b64 v[8:9], v3 offset:24
	s_waitcnt lgkmcnt(0)
	v_pk_mul_f32 v[10:11], v[4:5], v[8:9] op_sel:[1,1] op_sel_hi:[0,1]
	v_pk_fma_f32 v[12:13], v[4:5], v[8:9], v[10:11] neg_lo:[0,0,1] neg_hi:[0,0,1]
	v_pk_fma_f32 v[4:5], v[4:5], v[8:9], v[10:11] op_sel_hi:[1,0,1]
	s_nop 0
	v_mov_b32_e32 v13, v5
	scratch_store_dwordx2 off, v[12:13], off offset:24
.LBB107_27:
	s_or_b64 exec, exec, s[0:1]
	; wave barrier
	scratch_load_dwordx2 v[4:5], off, off offset:32
	v_cmp_gt_u32_e32 vcc, 4, v0
	s_waitcnt vmcnt(0)
	ds_write_b64 v1, v[4:5]
	s_waitcnt lgkmcnt(0)
	; wave barrier
	s_and_saveexec_b64 s[0:1], vcc
	s_cbranch_execz .LBB107_31
; %bb.28:
	v_mov_b32_e32 v4, 0
	v_add_u32_e32 v3, -1, v0
	v_add_u32_e32 v7, 0x160, v2
	v_mov_b32_e32 v8, v2
	s_mov_b64 s[4:5], 0
	v_mov_b32_e32 v5, v4
.LBB107_29:                             ; =>This Inner Loop Header: Depth=1
	scratch_load_dwordx2 v[10:11], v8, off
	ds_read_b64 v[12:13], v7
	v_add_u32_e32 v3, 1, v3
	v_cmp_lt_u32_e32 vcc, 2, v3
	v_add_u32_e32 v7, 8, v7
	v_add_u32_e32 v8, 8, v8
	s_or_b64 s[4:5], vcc, s[4:5]
	s_waitcnt vmcnt(0) lgkmcnt(0)
	v_pk_mul_f32 v[14:15], v[12:13], v[10:11] op_sel:[1,1] op_sel_hi:[0,1]
	v_pk_fma_f32 v[16:17], v[12:13], v[10:11], v[14:15] neg_lo:[0,0,1] neg_hi:[0,0,1]
	v_pk_fma_f32 v[10:11], v[12:13], v[10:11], v[14:15] op_sel_hi:[1,0,1]
	s_nop 0
	v_mov_b32_e32 v17, v11
	v_pk_add_f32 v[4:5], v[4:5], v[16:17]
	s_andn2_b64 exec, exec, s[4:5]
	s_cbranch_execnz .LBB107_29
; %bb.30:
	s_or_b64 exec, exec, s[4:5]
	v_mov_b32_e32 v3, 0
	ds_read_b64 v[8:9], v3 offset:32
	s_waitcnt lgkmcnt(0)
	v_pk_mul_f32 v[10:11], v[4:5], v[8:9] op_sel:[1,1] op_sel_hi:[0,1]
	v_pk_fma_f32 v[12:13], v[4:5], v[8:9], v[10:11] neg_lo:[0,0,1] neg_hi:[0,0,1]
	v_pk_fma_f32 v[4:5], v[4:5], v[8:9], v[10:11] op_sel_hi:[1,0,1]
	s_nop 0
	v_mov_b32_e32 v13, v5
	scratch_store_dwordx2 off, v[12:13], off offset:32
.LBB107_31:
	s_or_b64 exec, exec, s[0:1]
	; wave barrier
	scratch_load_dwordx2 v[4:5], off, off offset:40
	v_cmp_gt_u32_e32 vcc, 5, v0
	;; [unrolled: 46-line block ×19, first 2 shown]
	s_waitcnt vmcnt(0)
	ds_write_b64 v1, v[4:5]
	s_waitcnt lgkmcnt(0)
	; wave barrier
	s_and_saveexec_b64 s[0:1], vcc
	s_cbranch_execz .LBB107_103
; %bb.100:
	v_mov_b32_e32 v4, 0
	v_add_u32_e32 v3, -1, v0
	v_add_u32_e32 v7, 0x160, v2
	v_mov_b32_e32 v8, v2
	s_mov_b64 s[4:5], 0
	v_mov_b32_e32 v5, v4
.LBB107_101:                            ; =>This Inner Loop Header: Depth=1
	scratch_load_dwordx2 v[10:11], v8, off
	ds_read_b64 v[12:13], v7
	v_add_u32_e32 v3, 1, v3
	v_cmp_lt_u32_e32 vcc, 20, v3
	v_add_u32_e32 v7, 8, v7
	v_add_u32_e32 v8, 8, v8
	s_or_b64 s[4:5], vcc, s[4:5]
	s_waitcnt vmcnt(0) lgkmcnt(0)
	v_pk_mul_f32 v[14:15], v[12:13], v[10:11] op_sel:[1,1] op_sel_hi:[0,1]
	v_pk_fma_f32 v[16:17], v[12:13], v[10:11], v[14:15] neg_lo:[0,0,1] neg_hi:[0,0,1]
	v_pk_fma_f32 v[10:11], v[12:13], v[10:11], v[14:15] op_sel_hi:[1,0,1]
	s_nop 0
	v_mov_b32_e32 v17, v11
	v_pk_add_f32 v[4:5], v[4:5], v[16:17]
	s_andn2_b64 exec, exec, s[4:5]
	s_cbranch_execnz .LBB107_101
; %bb.102:
	s_or_b64 exec, exec, s[4:5]
	v_mov_b32_e32 v3, 0
	ds_read_b64 v[8:9], v3 offset:176
	s_waitcnt lgkmcnt(0)
	v_pk_mul_f32 v[10:11], v[4:5], v[8:9] op_sel:[1,1] op_sel_hi:[0,1]
	v_pk_fma_f32 v[12:13], v[4:5], v[8:9], v[10:11] neg_lo:[0,0,1] neg_hi:[0,0,1]
	v_pk_fma_f32 v[4:5], v[4:5], v[8:9], v[10:11] op_sel_hi:[1,0,1]
	s_nop 0
	v_mov_b32_e32 v13, v5
	scratch_store_dwordx2 off, v[12:13], off offset:176
.LBB107_103:
	s_or_b64 exec, exec, s[0:1]
	; wave barrier
	scratch_load_dwordx2 v[4:5], off, off offset:184
	v_cmp_gt_u32_e32 vcc, 23, v0
	s_waitcnt vmcnt(0)
	ds_write_b64 v1, v[4:5]
	s_waitcnt lgkmcnt(0)
	; wave barrier
	s_and_saveexec_b64 s[0:1], vcc
	s_cbranch_execz .LBB107_107
; %bb.104:
	v_mov_b32_e32 v4, 0
	v_add_u32_e32 v3, -1, v0
	v_add_u32_e32 v7, 0x160, v2
	v_mov_b32_e32 v8, v2
	s_mov_b64 s[4:5], 0
	v_mov_b32_e32 v5, v4
.LBB107_105:                            ; =>This Inner Loop Header: Depth=1
	scratch_load_dwordx2 v[10:11], v8, off
	ds_read_b64 v[12:13], v7
	v_add_u32_e32 v3, 1, v3
	v_cmp_lt_u32_e32 vcc, 21, v3
	v_add_u32_e32 v7, 8, v7
	v_add_u32_e32 v8, 8, v8
	s_or_b64 s[4:5], vcc, s[4:5]
	s_waitcnt vmcnt(0) lgkmcnt(0)
	v_pk_mul_f32 v[14:15], v[12:13], v[10:11] op_sel:[1,1] op_sel_hi:[0,1]
	v_pk_fma_f32 v[16:17], v[12:13], v[10:11], v[14:15] neg_lo:[0,0,1] neg_hi:[0,0,1]
	v_pk_fma_f32 v[10:11], v[12:13], v[10:11], v[14:15] op_sel_hi:[1,0,1]
	s_nop 0
	v_mov_b32_e32 v17, v11
	v_pk_add_f32 v[4:5], v[4:5], v[16:17]
	s_andn2_b64 exec, exec, s[4:5]
	s_cbranch_execnz .LBB107_105
; %bb.106:
	s_or_b64 exec, exec, s[4:5]
	v_mov_b32_e32 v3, 0
	ds_read_b64 v[8:9], v3 offset:184
	s_waitcnt lgkmcnt(0)
	v_pk_mul_f32 v[10:11], v[4:5], v[8:9] op_sel:[1,1] op_sel_hi:[0,1]
	v_pk_fma_f32 v[12:13], v[4:5], v[8:9], v[10:11] neg_lo:[0,0,1] neg_hi:[0,0,1]
	v_pk_fma_f32 v[4:5], v[4:5], v[8:9], v[10:11] op_sel_hi:[1,0,1]
	s_nop 0
	v_mov_b32_e32 v13, v5
	scratch_store_dwordx2 off, v[12:13], off offset:184
.LBB107_107:
	s_or_b64 exec, exec, s[0:1]
	; wave barrier
	scratch_load_dwordx2 v[4:5], off, off offset:192
	v_cmp_gt_u32_e32 vcc, 24, v0
	;; [unrolled: 46-line block ×20, first 2 shown]
	s_waitcnt vmcnt(0)
	ds_write_b64 v1, v[4:5]
	s_waitcnt lgkmcnt(0)
	; wave barrier
	s_and_saveexec_b64 s[0:1], vcc
	s_cbranch_execz .LBB107_183
; %bb.180:
	v_mov_b32_e32 v4, 0
	v_add_u32_e32 v3, -1, v0
	v_add_u32_e32 v7, 0x160, v2
	v_mov_b32_e32 v8, v2
	s_mov_b64 s[4:5], 0
	v_mov_b32_e32 v5, v4
.LBB107_181:                            ; =>This Inner Loop Header: Depth=1
	scratch_load_dwordx2 v[10:11], v8, off
	ds_read_b64 v[12:13], v7
	v_add_u32_e32 v3, 1, v3
	v_cmp_lt_u32_e32 vcc, 40, v3
	v_add_u32_e32 v7, 8, v7
	v_add_u32_e32 v8, 8, v8
	s_or_b64 s[4:5], vcc, s[4:5]
	s_waitcnt vmcnt(0) lgkmcnt(0)
	v_pk_mul_f32 v[14:15], v[12:13], v[10:11] op_sel:[1,1] op_sel_hi:[0,1]
	v_pk_fma_f32 v[16:17], v[12:13], v[10:11], v[14:15] neg_lo:[0,0,1] neg_hi:[0,0,1]
	v_pk_fma_f32 v[10:11], v[12:13], v[10:11], v[14:15] op_sel_hi:[1,0,1]
	s_nop 0
	v_mov_b32_e32 v17, v11
	v_pk_add_f32 v[4:5], v[4:5], v[16:17]
	s_andn2_b64 exec, exec, s[4:5]
	s_cbranch_execnz .LBB107_181
; %bb.182:
	s_or_b64 exec, exec, s[4:5]
	v_mov_b32_e32 v3, 0
	ds_read_b64 v[8:9], v3 offset:336
	s_waitcnt lgkmcnt(0)
	v_pk_mul_f32 v[10:11], v[4:5], v[8:9] op_sel:[1,1] op_sel_hi:[0,1]
	v_pk_fma_f32 v[12:13], v[4:5], v[8:9], v[10:11] neg_lo:[0,0,1] neg_hi:[0,0,1]
	v_pk_fma_f32 v[4:5], v[4:5], v[8:9], v[10:11] op_sel_hi:[1,0,1]
	s_nop 0
	v_mov_b32_e32 v13, v5
	scratch_store_dwordx2 off, v[12:13], off offset:336
.LBB107_183:
	s_or_b64 exec, exec, s[0:1]
	; wave barrier
	scratch_load_dwordx2 v[4:5], off, off offset:344
	v_cmp_ne_u32_e32 vcc, 43, v0
	s_waitcnt vmcnt(0)
	ds_write_b64 v1, v[4:5]
	s_waitcnt lgkmcnt(0)
	; wave barrier
	s_and_saveexec_b64 s[0:1], vcc
	s_cbranch_execz .LBB107_187
; %bb.184:
	v_add_u32_e32 v1, 0x160, v2
	v_mov_b32_e32 v4, v2
	v_mov_b32_e32 v2, 0
	s_mov_b64 s[4:5], 0
	v_mov_b32_e32 v3, v2
.LBB107_185:                            ; =>This Inner Loop Header: Depth=1
	scratch_load_dwordx2 v[8:9], v4, off
	ds_read_b64 v[10:11], v1
	v_add_u32_e32 v6, 1, v6
	v_cmp_lt_u32_e32 vcc, 41, v6
	v_add_u32_e32 v1, 8, v1
	v_add_u32_e32 v4, 8, v4
	s_or_b64 s[4:5], vcc, s[4:5]
	s_waitcnt vmcnt(0) lgkmcnt(0)
	v_pk_mul_f32 v[12:13], v[10:11], v[8:9] op_sel:[1,1] op_sel_hi:[0,1]
	v_pk_fma_f32 v[14:15], v[10:11], v[8:9], v[12:13] neg_lo:[0,0,1] neg_hi:[0,0,1]
	v_pk_fma_f32 v[8:9], v[10:11], v[8:9], v[12:13] op_sel_hi:[1,0,1]
	s_nop 0
	v_mov_b32_e32 v15, v9
	v_pk_add_f32 v[2:3], v[2:3], v[14:15]
	s_andn2_b64 exec, exec, s[4:5]
	s_cbranch_execnz .LBB107_185
; %bb.186:
	s_or_b64 exec, exec, s[4:5]
	v_mov_b32_e32 v1, 0
	ds_read_b64 v[4:5], v1 offset:344
	s_waitcnt lgkmcnt(0)
	v_pk_mul_f32 v[6:7], v[2:3], v[4:5] op_sel:[1,1] op_sel_hi:[0,1]
	v_pk_fma_f32 v[8:9], v[2:3], v[4:5], v[6:7] neg_lo:[0,0,1] neg_hi:[0,0,1]
	v_pk_fma_f32 v[2:3], v[2:3], v[4:5], v[6:7] op_sel_hi:[1,0,1]
	s_nop 0
	v_mov_b32_e32 v9, v3
	scratch_store_dwordx2 off, v[8:9], off offset:344
.LBB107_187:
	s_or_b64 exec, exec, s[0:1]
	s_mov_b64 s[4:5], -1
	; wave barrier
.LBB107_188:
	s_and_b64 vcc, exec, s[4:5]
	s_cbranch_vccz .LBB107_190
; %bb.189:
	s_lshl_b64 s[0:1], s[2:3], 2
	s_add_u32 s0, s6, s0
	s_addc_u32 s1, s7, s1
	v_mov_b32_e32 v1, 0
	global_load_dword v1, v1, s[0:1]
	s_waitcnt vmcnt(0)
	v_cmp_ne_u32_e32 vcc, 0, v1
	s_cbranch_vccz .LBB107_191
.LBB107_190:
	s_endpgm
.LBB107_191:
	v_mov_b32_e32 v1, 0x160
	v_lshl_add_u32 v1, v0, 3, v1
	v_cmp_eq_u32_e32 vcc, 43, v0
	s_and_saveexec_b64 s[0:1], vcc
	s_cbranch_execz .LBB107_193
; %bb.192:
	scratch_load_dwordx2 v[2:3], off, off offset:336
	v_mov_b32_e32 v4, 0
	v_mov_b32_e32 v5, v4
	scratch_store_dwordx2 off, v[4:5], off offset:336
	s_waitcnt vmcnt(1)
	ds_write_b64 v1, v[2:3]
.LBB107_193:
	s_or_b64 exec, exec, s[0:1]
	s_waitcnt lgkmcnt(0)
	; wave barrier
	scratch_load_dwordx2 v[4:5], off, off offset:344
	scratch_load_dwordx2 v[6:7], off, off offset:336
	v_mov_b32_e32 v2, 0
	ds_read_b64 v[8:9], v2 offset:696
	v_cmp_lt_u32_e32 vcc, 41, v0
	s_waitcnt vmcnt(1) lgkmcnt(0)
	v_pk_mul_f32 v[10:11], v[8:9], v[4:5] op_sel:[1,1] op_sel_hi:[0,1]
	v_pk_fma_f32 v[12:13], v[8:9], v[4:5], v[10:11] neg_lo:[0,0,1] neg_hi:[0,0,1]
	v_pk_fma_f32 v[4:5], v[8:9], v[4:5], v[10:11] op_sel_hi:[1,0,1]
	s_nop 0
	v_mov_b32_e32 v13, v5
	v_pk_add_f32 v[4:5], v[12:13], 0 op_sel_hi:[1,0]
	s_waitcnt vmcnt(0)
	v_pk_add_f32 v[4:5], v[6:7], v[4:5] neg_lo:[0,1] neg_hi:[0,1]
	scratch_store_dwordx2 off, v[4:5], off offset:336
	s_and_saveexec_b64 s[0:1], vcc
	s_cbranch_execz .LBB107_195
; %bb.194:
	scratch_load_dwordx2 v[4:5], off, off offset:328
	v_mov_b32_e32 v3, v2
	scratch_store_dwordx2 off, v[2:3], off offset:328
	s_waitcnt vmcnt(1)
	ds_write_b64 v1, v[4:5]
.LBB107_195:
	s_or_b64 exec, exec, s[0:1]
	s_waitcnt lgkmcnt(0)
	; wave barrier
	scratch_load_dwordx4 v[4:7], off, off offset:336
	scratch_load_dwordx2 v[12:13], off, off offset:328
	ds_read_b128 v[8:11], v2 offset:688
	v_cmp_lt_u32_e32 vcc, 40, v0
	s_waitcnt vmcnt(1) lgkmcnt(0)
	v_pk_mul_f32 v[2:3], v[8:9], v[4:5] op_sel:[1,1] op_sel_hi:[0,1]
	v_mov_b32_e32 v14, v7
	v_pk_fma_f32 v[16:17], v[8:9], v[4:5], v[2:3] neg_lo:[0,0,1] neg_hi:[0,0,1]
	v_pk_fma_f32 v[2:3], v[8:9], v[4:5], v[2:3] op_sel_hi:[1,0,1]
	v_pk_mul_f32 v[4:5], v[10:11], v[14:15] op_sel:[1,0] op_sel_hi:[0,0]
	v_mov_b32_e32 v17, v3
	v_pk_fma_f32 v[2:3], v[10:11], v[6:7], v[4:5] neg_lo:[0,0,1] neg_hi:[0,0,1]
	v_pk_fma_f32 v[4:5], v[10:11], v[6:7], v[4:5] op_sel_hi:[1,0,1]
	v_pk_add_f32 v[6:7], v[16:17], 0 op_sel_hi:[1,0]
	v_mov_b32_e32 v3, v5
	v_pk_add_f32 v[2:3], v[6:7], v[2:3]
	s_waitcnt vmcnt(0)
	v_pk_add_f32 v[2:3], v[12:13], v[2:3] neg_lo:[0,1] neg_hi:[0,1]
	scratch_store_dwordx2 off, v[2:3], off offset:328
	s_and_saveexec_b64 s[0:1], vcc
	s_cbranch_execz .LBB107_197
; %bb.196:
	scratch_load_dwordx2 v[2:3], off, off offset:320
	v_mov_b32_e32 v4, 0
	v_mov_b32_e32 v5, v4
	scratch_store_dwordx2 off, v[4:5], off offset:320
	s_waitcnt vmcnt(1)
	ds_write_b64 v1, v[2:3]
.LBB107_197:
	s_or_b64 exec, exec, s[0:1]
	s_waitcnt lgkmcnt(0)
	; wave barrier
	scratch_load_dwordx4 v[4:7], off, off offset:328
	scratch_load_dwordx2 v[12:13], off, off offset:344
	scratch_load_dwordx2 v[14:15], off, off offset:320
	v_mov_b32_e32 v2, 0
	ds_read2_b64 v[8:11], v2 offset0:85 offset1:86
	ds_read_b64 v[16:17], v2 offset:696
	v_cmp_lt_u32_e32 vcc, 39, v0
	s_waitcnt vmcnt(2) lgkmcnt(1)
	v_pk_mul_f32 v[18:19], v[8:9], v[4:5] op_sel:[1,1] op_sel_hi:[0,1]
	v_mov_b32_e32 v20, v7
	v_pk_fma_f32 v[24:25], v[8:9], v[4:5], v[18:19] neg_lo:[0,0,1] neg_hi:[0,0,1]
	v_pk_fma_f32 v[4:5], v[8:9], v[4:5], v[18:19] op_sel_hi:[1,0,1]
	v_pk_mul_f32 v[8:9], v[10:11], v[20:21] op_sel:[1,0] op_sel_hi:[0,0]
	s_waitcnt vmcnt(1) lgkmcnt(0)
	v_pk_mul_f32 v[22:23], v[16:17], v[12:13] op_sel:[1,1] op_sel_hi:[0,1]
	v_mov_b32_e32 v25, v5
	v_pk_fma_f32 v[4:5], v[10:11], v[6:7], v[8:9] neg_lo:[0,0,1] neg_hi:[0,0,1]
	v_pk_fma_f32 v[6:7], v[10:11], v[6:7], v[8:9] op_sel_hi:[1,0,1]
	v_pk_fma_f32 v[18:19], v[16:17], v[12:13], v[22:23] neg_lo:[0,0,1] neg_hi:[0,0,1]
	v_pk_fma_f32 v[12:13], v[16:17], v[12:13], v[22:23] op_sel_hi:[1,0,1]
	v_pk_add_f32 v[8:9], v[24:25], 0 op_sel_hi:[1,0]
	v_mov_b32_e32 v5, v7
	v_mov_b32_e32 v19, v13
	v_pk_add_f32 v[4:5], v[8:9], v[4:5]
	s_nop 0
	v_pk_add_f32 v[4:5], v[4:5], v[18:19]
	s_waitcnt vmcnt(0)
	v_pk_add_f32 v[4:5], v[14:15], v[4:5] neg_lo:[0,1] neg_hi:[0,1]
	scratch_store_dwordx2 off, v[4:5], off offset:320
	s_and_saveexec_b64 s[0:1], vcc
	s_cbranch_execz .LBB107_199
; %bb.198:
	scratch_load_dwordx2 v[4:5], off, off offset:312
	v_mov_b32_e32 v3, v2
	scratch_store_dwordx2 off, v[2:3], off offset:312
	s_waitcnt vmcnt(1)
	ds_write_b64 v1, v[4:5]
.LBB107_199:
	s_or_b64 exec, exec, s[0:1]
	s_waitcnt lgkmcnt(0)
	; wave barrier
	scratch_load_dwordx4 v[4:7], off, off offset:320
	scratch_load_dwordx4 v[8:11], off, off offset:336
	scratch_load_dwordx2 v[20:21], off, off offset:312
	ds_read_b128 v[12:15], v2 offset:672
	ds_read_b128 v[16:19], v2 offset:688
	v_cmp_lt_u32_e32 vcc, 38, v0
	s_waitcnt vmcnt(2) lgkmcnt(1)
	v_pk_mul_f32 v[2:3], v[12:13], v[4:5] op_sel:[1,1] op_sel_hi:[0,1]
	v_mov_b32_e32 v22, v7
	s_waitcnt vmcnt(1) lgkmcnt(0)
	v_pk_mul_f32 v[24:25], v[16:17], v[8:9] op_sel:[1,1] op_sel_hi:[0,1]
	v_mov_b32_e32 v26, v11
	v_pk_fma_f32 v[28:29], v[12:13], v[4:5], v[2:3] neg_lo:[0,0,1] neg_hi:[0,0,1]
	v_pk_fma_f32 v[2:3], v[12:13], v[4:5], v[2:3] op_sel_hi:[1,0,1]
	v_pk_mul_f32 v[4:5], v[14:15], v[22:23] op_sel:[1,0] op_sel_hi:[0,0]
	v_pk_fma_f32 v[12:13], v[16:17], v[8:9], v[24:25] neg_lo:[0,0,1] neg_hi:[0,0,1]
	v_pk_fma_f32 v[8:9], v[16:17], v[8:9], v[24:25] op_sel_hi:[1,0,1]
	v_pk_mul_f32 v[16:17], v[18:19], v[26:27] op_sel:[1,0] op_sel_hi:[0,0]
	v_mov_b32_e32 v29, v3
	v_pk_fma_f32 v[2:3], v[14:15], v[6:7], v[4:5] neg_lo:[0,0,1] neg_hi:[0,0,1]
	v_pk_fma_f32 v[4:5], v[14:15], v[6:7], v[4:5] op_sel_hi:[1,0,1]
	v_mov_b32_e32 v13, v9
	v_pk_fma_f32 v[6:7], v[18:19], v[10:11], v[16:17] neg_lo:[0,0,1] neg_hi:[0,0,1]
	v_pk_fma_f32 v[8:9], v[18:19], v[10:11], v[16:17] op_sel_hi:[1,0,1]
	v_pk_add_f32 v[10:11], v[28:29], 0 op_sel_hi:[1,0]
	v_mov_b32_e32 v3, v5
	v_pk_add_f32 v[2:3], v[10:11], v[2:3]
	v_mov_b32_e32 v7, v9
	v_pk_add_f32 v[2:3], v[2:3], v[12:13]
	s_nop 0
	v_pk_add_f32 v[2:3], v[2:3], v[6:7]
	s_waitcnt vmcnt(0)
	v_pk_add_f32 v[2:3], v[20:21], v[2:3] neg_lo:[0,1] neg_hi:[0,1]
	scratch_store_dwordx2 off, v[2:3], off offset:312
	s_and_saveexec_b64 s[0:1], vcc
	s_cbranch_execz .LBB107_201
; %bb.200:
	scratch_load_dwordx2 v[2:3], off, off offset:304
	v_mov_b32_e32 v4, 0
	v_mov_b32_e32 v5, v4
	scratch_store_dwordx2 off, v[4:5], off offset:304
	s_waitcnt vmcnt(1)
	ds_write_b64 v1, v[2:3]
.LBB107_201:
	s_or_b64 exec, exec, s[0:1]
	s_waitcnt lgkmcnt(0)
	; wave barrier
	scratch_load_dwordx4 v[4:7], off, off offset:312
	scratch_load_dwordx4 v[8:11], off, off offset:328
	scratch_load_dwordx2 v[20:21], off, off offset:344
	scratch_load_dwordx2 v[22:23], off, off offset:304
	v_mov_b32_e32 v2, 0
	ds_read2_b64 v[12:15], v2 offset0:83 offset1:84
	ds_read2_b64 v[16:19], v2 offset0:85 offset1:86
	ds_read_b64 v[24:25], v2 offset:696
	v_cmp_lt_u32_e32 vcc, 37, v0
	s_waitcnt vmcnt(3) lgkmcnt(2)
	v_pk_mul_f32 v[26:27], v[12:13], v[4:5] op_sel:[1,1] op_sel_hi:[0,1]
	v_mov_b32_e32 v28, v7
	v_pk_fma_f32 v[36:37], v[12:13], v[4:5], v[26:27] neg_lo:[0,0,1] neg_hi:[0,0,1]
	v_pk_fma_f32 v[4:5], v[12:13], v[4:5], v[26:27] op_sel_hi:[1,0,1]
	v_pk_mul_f32 v[12:13], v[14:15], v[28:29] op_sel:[1,0] op_sel_hi:[0,0]
	s_waitcnt vmcnt(2) lgkmcnt(1)
	v_pk_mul_f32 v[30:31], v[16:17], v[8:9] op_sel:[1,1] op_sel_hi:[0,1]
	v_mov_b32_e32 v32, v11
	v_mov_b32_e32 v37, v5
	v_pk_fma_f32 v[4:5], v[14:15], v[6:7], v[12:13] neg_lo:[0,0,1] neg_hi:[0,0,1]
	v_pk_fma_f32 v[6:7], v[14:15], v[6:7], v[12:13] op_sel_hi:[1,0,1]
	v_pk_fma_f32 v[26:27], v[16:17], v[8:9], v[30:31] neg_lo:[0,0,1] neg_hi:[0,0,1]
	v_pk_fma_f32 v[8:9], v[16:17], v[8:9], v[30:31] op_sel_hi:[1,0,1]
	v_pk_mul_f32 v[16:17], v[18:19], v[32:33] op_sel:[1,0] op_sel_hi:[0,0]
	v_pk_add_f32 v[12:13], v[36:37], 0 op_sel_hi:[1,0]
	v_mov_b32_e32 v5, v7
	s_waitcnt vmcnt(1) lgkmcnt(0)
	v_pk_mul_f32 v[34:35], v[24:25], v[20:21] op_sel:[1,1] op_sel_hi:[0,1]
	v_mov_b32_e32 v27, v9
	v_pk_fma_f32 v[8:9], v[18:19], v[10:11], v[16:17] neg_lo:[0,0,1] neg_hi:[0,0,1]
	v_pk_fma_f32 v[10:11], v[18:19], v[10:11], v[16:17] op_sel_hi:[1,0,1]
	v_pk_add_f32 v[4:5], v[12:13], v[4:5]
	v_pk_fma_f32 v[28:29], v[24:25], v[20:21], v[34:35] neg_lo:[0,0,1] neg_hi:[0,0,1]
	v_pk_fma_f32 v[20:21], v[24:25], v[20:21], v[34:35] op_sel_hi:[1,0,1]
	v_mov_b32_e32 v9, v11
	v_pk_add_f32 v[4:5], v[4:5], v[26:27]
	v_mov_b32_e32 v29, v21
	v_pk_add_f32 v[4:5], v[4:5], v[8:9]
	s_nop 0
	v_pk_add_f32 v[4:5], v[4:5], v[28:29]
	s_waitcnt vmcnt(0)
	v_pk_add_f32 v[4:5], v[22:23], v[4:5] neg_lo:[0,1] neg_hi:[0,1]
	scratch_store_dwordx2 off, v[4:5], off offset:304
	s_and_saveexec_b64 s[0:1], vcc
	s_cbranch_execz .LBB107_203
; %bb.202:
	scratch_load_dwordx2 v[4:5], off, off offset:296
	v_mov_b32_e32 v3, v2
	scratch_store_dwordx2 off, v[2:3], off offset:296
	s_waitcnt vmcnt(1)
	ds_write_b64 v1, v[4:5]
.LBB107_203:
	s_or_b64 exec, exec, s[0:1]
	s_waitcnt lgkmcnt(0)
	; wave barrier
	scratch_load_dwordx4 v[4:7], off, off offset:304
	scratch_load_dwordx4 v[8:11], off, off offset:320
	;; [unrolled: 1-line block ×3, first 2 shown]
	scratch_load_dwordx2 v[28:29], off, off offset:296
	ds_read_b128 v[16:19], v2 offset:656
	ds_read_b128 v[20:23], v2 offset:672
	;; [unrolled: 1-line block ×3, first 2 shown]
	v_cmp_lt_u32_e32 vcc, 36, v0
	s_waitcnt vmcnt(3) lgkmcnt(2)
	v_pk_mul_f32 v[2:3], v[16:17], v[4:5] op_sel:[1,1] op_sel_hi:[0,1]
	v_mov_b32_e32 v30, v7
	s_waitcnt vmcnt(2) lgkmcnt(1)
	v_pk_mul_f32 v[32:33], v[20:21], v[8:9] op_sel:[1,1] op_sel_hi:[0,1]
	v_mov_b32_e32 v34, v11
	;; [unrolled: 3-line block ×3, first 2 shown]
	v_pk_fma_f32 v[40:41], v[16:17], v[4:5], v[2:3] neg_lo:[0,0,1] neg_hi:[0,0,1]
	v_pk_fma_f32 v[2:3], v[16:17], v[4:5], v[2:3] op_sel_hi:[1,0,1]
	v_pk_mul_f32 v[4:5], v[18:19], v[30:31] op_sel:[1,0] op_sel_hi:[0,0]
	v_pk_fma_f32 v[16:17], v[20:21], v[8:9], v[32:33] neg_lo:[0,0,1] neg_hi:[0,0,1]
	v_pk_fma_f32 v[8:9], v[20:21], v[8:9], v[32:33] op_sel_hi:[1,0,1]
	v_pk_mul_f32 v[20:21], v[22:23], v[34:35] op_sel:[1,0] op_sel_hi:[0,0]
	v_pk_fma_f32 v[30:31], v[24:25], v[12:13], v[36:37] neg_lo:[0,0,1] neg_hi:[0,0,1]
	v_pk_fma_f32 v[12:13], v[24:25], v[12:13], v[36:37] op_sel_hi:[1,0,1]
	v_pk_mul_f32 v[24:25], v[26:27], v[38:39] op_sel:[1,0] op_sel_hi:[0,0]
	v_mov_b32_e32 v41, v3
	v_pk_fma_f32 v[2:3], v[18:19], v[6:7], v[4:5] neg_lo:[0,0,1] neg_hi:[0,0,1]
	v_pk_fma_f32 v[4:5], v[18:19], v[6:7], v[4:5] op_sel_hi:[1,0,1]
	v_mov_b32_e32 v17, v9
	v_pk_fma_f32 v[6:7], v[22:23], v[10:11], v[20:21] neg_lo:[0,0,1] neg_hi:[0,0,1]
	v_pk_fma_f32 v[8:9], v[22:23], v[10:11], v[20:21] op_sel_hi:[1,0,1]
	;; [unrolled: 3-line block ×3, first 2 shown]
	v_pk_add_f32 v[14:15], v[40:41], 0 op_sel_hi:[1,0]
	v_mov_b32_e32 v3, v5
	v_pk_add_f32 v[2:3], v[14:15], v[2:3]
	v_mov_b32_e32 v7, v9
	v_pk_add_f32 v[2:3], v[2:3], v[16:17]
	;; [unrolled: 2-line block ×3, first 2 shown]
	s_nop 0
	v_pk_add_f32 v[2:3], v[2:3], v[30:31]
	s_nop 0
	v_pk_add_f32 v[2:3], v[2:3], v[10:11]
	s_waitcnt vmcnt(0)
	v_pk_add_f32 v[2:3], v[28:29], v[2:3] neg_lo:[0,1] neg_hi:[0,1]
	scratch_store_dwordx2 off, v[2:3], off offset:296
	s_and_saveexec_b64 s[0:1], vcc
	s_cbranch_execz .LBB107_205
; %bb.204:
	scratch_load_dwordx2 v[2:3], off, off offset:288
	v_mov_b32_e32 v4, 0
	v_mov_b32_e32 v5, v4
	scratch_store_dwordx2 off, v[4:5], off offset:288
	s_waitcnt vmcnt(1)
	ds_write_b64 v1, v[2:3]
.LBB107_205:
	s_or_b64 exec, exec, s[0:1]
	s_waitcnt lgkmcnt(0)
	; wave barrier
	scratch_load_dwordx4 v[4:7], off, off offset:296
	scratch_load_dwordx4 v[8:11], off, off offset:312
	;; [unrolled: 1-line block ×3, first 2 shown]
	scratch_load_dwordx2 v[28:29], off, off offset:344
	v_mov_b32_e32 v2, 0
	ds_read2_b64 v[16:19], v2 offset0:81 offset1:82
	ds_read2_b64 v[20:23], v2 offset0:83 offset1:84
	;; [unrolled: 1-line block ×3, first 2 shown]
	ds_read_b64 v[30:31], v2 offset:696
	v_cmp_lt_u32_e32 vcc, 35, v0
	s_waitcnt vmcnt(3) lgkmcnt(3)
	v_pk_mul_f32 v[32:33], v[16:17], v[4:5] op_sel:[1,1] op_sel_hi:[0,1]
	v_pk_fma_f32 v[34:35], v[16:17], v[4:5], v[32:33] neg_lo:[0,0,1] neg_hi:[0,0,1]
	v_pk_fma_f32 v[4:5], v[16:17], v[4:5], v[32:33] op_sel_hi:[1,0,1]
	v_mov_b32_e32 v16, v7
	v_pk_mul_f32 v[16:17], v[18:19], v[16:17] op_sel:[1,0] op_sel_hi:[0,0]
	v_pk_fma_f32 v[32:33], v[18:19], v[6:7], v[16:17] neg_lo:[0,0,1] neg_hi:[0,0,1]
	v_pk_fma_f32 v[6:7], v[18:19], v[6:7], v[16:17] op_sel_hi:[1,0,1]
	v_mov_b32_e32 v35, v5
	v_mov_b32_e32 v33, v7
	s_waitcnt vmcnt(2) lgkmcnt(2)
	v_pk_mul_f32 v[6:7], v[20:21], v[8:9] op_sel:[1,1] op_sel_hi:[0,1]
	v_pk_fma_f32 v[16:17], v[20:21], v[8:9], v[6:7] neg_lo:[0,0,1] neg_hi:[0,0,1]
	v_pk_fma_f32 v[6:7], v[20:21], v[8:9], v[6:7] op_sel_hi:[1,0,1]
	v_pk_add_f32 v[4:5], v[34:35], 0 op_sel_hi:[1,0]
	v_mov_b32_e32 v6, v11
	v_mov_b32_e32 v17, v7
	v_pk_mul_f32 v[6:7], v[22:23], v[6:7] op_sel:[1,0] op_sel_hi:[0,0]
	v_pk_add_f32 v[4:5], v[4:5], v[32:33]
	v_pk_fma_f32 v[8:9], v[22:23], v[10:11], v[6:7] neg_lo:[0,0,1] neg_hi:[0,0,1]
	v_pk_fma_f32 v[6:7], v[22:23], v[10:11], v[6:7] op_sel_hi:[1,0,1]
	v_pk_add_f32 v[4:5], v[4:5], v[16:17]
	v_mov_b32_e32 v9, v7
	s_waitcnt vmcnt(1) lgkmcnt(1)
	v_pk_mul_f32 v[6:7], v[24:25], v[12:13] op_sel:[1,1] op_sel_hi:[0,1]
	v_pk_add_f32 v[4:5], v[4:5], v[8:9]
	v_pk_fma_f32 v[8:9], v[24:25], v[12:13], v[6:7] neg_lo:[0,0,1] neg_hi:[0,0,1]
	v_pk_fma_f32 v[6:7], v[24:25], v[12:13], v[6:7] op_sel_hi:[1,0,1]
	s_nop 0
	v_mov_b32_e32 v6, v15
	v_mov_b32_e32 v9, v7
	v_pk_mul_f32 v[6:7], v[26:27], v[6:7] op_sel:[1,0] op_sel_hi:[0,0]
	v_pk_add_f32 v[4:5], v[4:5], v[8:9]
	v_pk_fma_f32 v[8:9], v[26:27], v[14:15], v[6:7] neg_lo:[0,0,1] neg_hi:[0,0,1]
	v_pk_fma_f32 v[6:7], v[26:27], v[14:15], v[6:7] op_sel_hi:[1,0,1]
	s_nop 0
	v_mov_b32_e32 v9, v7
	s_waitcnt vmcnt(0) lgkmcnt(0)
	v_pk_mul_f32 v[6:7], v[30:31], v[28:29] op_sel:[1,1] op_sel_hi:[0,1]
	v_pk_add_f32 v[4:5], v[4:5], v[8:9]
	v_pk_fma_f32 v[8:9], v[30:31], v[28:29], v[6:7] neg_lo:[0,0,1] neg_hi:[0,0,1]
	v_pk_fma_f32 v[6:7], v[30:31], v[28:29], v[6:7] op_sel_hi:[1,0,1]
	s_nop 0
	v_mov_b32_e32 v9, v7
	scratch_load_dwordx2 v[6:7], off, off offset:288
	v_pk_add_f32 v[4:5], v[4:5], v[8:9]
	s_waitcnt vmcnt(0)
	v_pk_add_f32 v[4:5], v[6:7], v[4:5] neg_lo:[0,1] neg_hi:[0,1]
	scratch_store_dwordx2 off, v[4:5], off offset:288
	s_and_saveexec_b64 s[0:1], vcc
	s_cbranch_execz .LBB107_207
; %bb.206:
	scratch_load_dwordx2 v[4:5], off, off offset:280
	v_mov_b32_e32 v3, v2
	scratch_store_dwordx2 off, v[2:3], off offset:280
	s_waitcnt vmcnt(1)
	ds_write_b64 v1, v[4:5]
.LBB107_207:
	s_or_b64 exec, exec, s[0:1]
	s_waitcnt lgkmcnt(0)
	; wave barrier
	scratch_load_dwordx4 v[4:7], off, off offset:288
	scratch_load_dwordx4 v[8:11], off, off offset:304
	;; [unrolled: 1-line block ×4, first 2 shown]
	ds_read_b128 v[20:23], v2 offset:640
	ds_read_b128 v[24:27], v2 offset:656
	;; [unrolled: 1-line block ×4, first 2 shown]
	v_cmp_lt_u32_e32 vcc, 34, v0
	s_waitcnt vmcnt(3) lgkmcnt(3)
	v_pk_mul_f32 v[2:3], v[20:21], v[4:5] op_sel:[1,1] op_sel_hi:[0,1]
	v_pk_fma_f32 v[36:37], v[20:21], v[4:5], v[2:3] neg_lo:[0,0,1] neg_hi:[0,0,1]
	v_pk_fma_f32 v[2:3], v[20:21], v[4:5], v[2:3] op_sel_hi:[1,0,1]
	v_mov_b32_e32 v4, v7
	v_pk_mul_f32 v[4:5], v[22:23], v[4:5] op_sel:[1,0] op_sel_hi:[0,0]
	v_pk_fma_f32 v[20:21], v[22:23], v[6:7], v[4:5] neg_lo:[0,0,1] neg_hi:[0,0,1]
	v_pk_fma_f32 v[4:5], v[22:23], v[6:7], v[4:5] op_sel_hi:[1,0,1]
	v_mov_b32_e32 v37, v3
	v_mov_b32_e32 v21, v5
	s_waitcnt vmcnt(2) lgkmcnt(2)
	v_pk_mul_f32 v[4:5], v[24:25], v[8:9] op_sel:[1,1] op_sel_hi:[0,1]
	v_pk_fma_f32 v[6:7], v[24:25], v[8:9], v[4:5] neg_lo:[0,0,1] neg_hi:[0,0,1]
	v_pk_fma_f32 v[4:5], v[24:25], v[8:9], v[4:5] op_sel_hi:[1,0,1]
	v_pk_add_f32 v[2:3], v[36:37], 0 op_sel_hi:[1,0]
	v_mov_b32_e32 v4, v11
	v_pk_add_f32 v[2:3], v[2:3], v[20:21]
	v_mov_b32_e32 v7, v5
	v_pk_mul_f32 v[4:5], v[26:27], v[4:5] op_sel:[1,0] op_sel_hi:[0,0]
	v_pk_add_f32 v[2:3], v[2:3], v[6:7]
	v_pk_fma_f32 v[6:7], v[26:27], v[10:11], v[4:5] neg_lo:[0,0,1] neg_hi:[0,0,1]
	v_pk_fma_f32 v[4:5], v[26:27], v[10:11], v[4:5] op_sel_hi:[1,0,1]
	s_nop 0
	v_mov_b32_e32 v7, v5
	s_waitcnt vmcnt(1) lgkmcnt(1)
	v_pk_mul_f32 v[4:5], v[28:29], v[12:13] op_sel:[1,1] op_sel_hi:[0,1]
	v_pk_add_f32 v[2:3], v[2:3], v[6:7]
	v_pk_fma_f32 v[6:7], v[28:29], v[12:13], v[4:5] neg_lo:[0,0,1] neg_hi:[0,0,1]
	v_pk_fma_f32 v[4:5], v[28:29], v[12:13], v[4:5] op_sel_hi:[1,0,1]
	s_nop 0
	v_mov_b32_e32 v4, v15
	v_mov_b32_e32 v7, v5
	v_pk_mul_f32 v[4:5], v[30:31], v[4:5] op_sel:[1,0] op_sel_hi:[0,0]
	v_pk_add_f32 v[2:3], v[2:3], v[6:7]
	v_pk_fma_f32 v[6:7], v[30:31], v[14:15], v[4:5] neg_lo:[0,0,1] neg_hi:[0,0,1]
	v_pk_fma_f32 v[4:5], v[30:31], v[14:15], v[4:5] op_sel_hi:[1,0,1]
	s_nop 0
	v_mov_b32_e32 v7, v5
	s_waitcnt vmcnt(0) lgkmcnt(0)
	v_pk_mul_f32 v[4:5], v[32:33], v[16:17] op_sel:[1,1] op_sel_hi:[0,1]
	v_pk_add_f32 v[2:3], v[2:3], v[6:7]
	v_pk_fma_f32 v[6:7], v[32:33], v[16:17], v[4:5] neg_lo:[0,0,1] neg_hi:[0,0,1]
	v_pk_fma_f32 v[4:5], v[32:33], v[16:17], v[4:5] op_sel_hi:[1,0,1]
	s_nop 0
	v_mov_b32_e32 v4, v19
	v_mov_b32_e32 v7, v5
	v_pk_mul_f32 v[4:5], v[34:35], v[4:5] op_sel:[1,0] op_sel_hi:[0,0]
	v_pk_add_f32 v[2:3], v[2:3], v[6:7]
	v_pk_fma_f32 v[6:7], v[34:35], v[18:19], v[4:5] neg_lo:[0,0,1] neg_hi:[0,0,1]
	v_pk_fma_f32 v[4:5], v[34:35], v[18:19], v[4:5] op_sel_hi:[1,0,1]
	s_nop 0
	v_mov_b32_e32 v7, v5
	scratch_load_dwordx2 v[4:5], off, off offset:280
	v_pk_add_f32 v[2:3], v[2:3], v[6:7]
	s_waitcnt vmcnt(0)
	v_pk_add_f32 v[2:3], v[4:5], v[2:3] neg_lo:[0,1] neg_hi:[0,1]
	scratch_store_dwordx2 off, v[2:3], off offset:280
	s_and_saveexec_b64 s[0:1], vcc
	s_cbranch_execz .LBB107_209
; %bb.208:
	scratch_load_dwordx2 v[2:3], off, off offset:272
	v_mov_b32_e32 v4, 0
	v_mov_b32_e32 v5, v4
	scratch_store_dwordx2 off, v[4:5], off offset:272
	s_waitcnt vmcnt(1)
	ds_write_b64 v1, v[2:3]
.LBB107_209:
	s_or_b64 exec, exec, s[0:1]
	s_waitcnt lgkmcnt(0)
	; wave barrier
	scratch_load_dwordx4 v[4:7], off, off offset:280
	scratch_load_dwordx4 v[8:11], off, off offset:296
	scratch_load_dwordx4 v[12:15], off, off offset:312
	scratch_load_dwordx4 v[16:19], off, off offset:328
	scratch_load_dwordx2 v[36:37], off, off offset:344
	scratch_load_dwordx2 v[38:39], off, off offset:272
	v_mov_b32_e32 v2, 0
	ds_read2_b64 v[20:23], v2 offset0:79 offset1:80
	ds_read2_b64 v[24:27], v2 offset0:81 offset1:82
	;; [unrolled: 1-line block ×4, first 2 shown]
	ds_read_b64 v[40:41], v2 offset:696
	v_cmp_lt_u32_e32 vcc, 33, v0
	s_waitcnt vmcnt(5) lgkmcnt(4)
	v_mul_f32_e32 v43, v20, v5
	v_mul_f32_e32 v3, v21, v5
	v_mov_b32_e32 v44, v7
	s_waitcnt vmcnt(4) lgkmcnt(3)
	v_pk_mul_f32 v[46:47], v[24:25], v[8:9] op_sel:[1,1] op_sel_hi:[0,1]
	v_mov_b32_e32 v48, v11
	s_waitcnt vmcnt(1) lgkmcnt(0)
	v_pk_mul_f32 v[58:59], v[40:41], v[36:37] op_sel:[1,1] op_sel_hi:[0,1]
	v_fmac_f32_e32 v43, v21, v4
	v_fma_f32 v42, v20, v4, -v3
	v_pk_mul_f32 v[4:5], v[22:23], v[44:45] op_sel:[1,0] op_sel_hi:[0,0]
	v_pk_fma_f32 v[20:21], v[24:25], v[8:9], v[46:47] neg_lo:[0,0,1] neg_hi:[0,0,1]
	v_pk_fma_f32 v[8:9], v[24:25], v[8:9], v[46:47] op_sel_hi:[1,0,1]
	v_pk_mul_f32 v[24:25], v[26:27], v[48:49] op_sel:[1,0] op_sel_hi:[0,0]
	v_pk_fma_f32 v[48:49], v[40:41], v[36:37], v[58:59] neg_lo:[0,0,1] neg_hi:[0,0,1]
	v_pk_fma_f32 v[36:37], v[40:41], v[36:37], v[58:59] op_sel_hi:[1,0,1]
	v_pk_add_f32 v[40:41], v[42:43], 0 op_sel_hi:[1,0]
	v_pk_fma_f32 v[42:43], v[22:23], v[6:7], v[4:5] neg_lo:[0,0,1] neg_hi:[0,0,1]
	v_pk_fma_f32 v[4:5], v[22:23], v[6:7], v[4:5] op_sel_hi:[1,0,1]
	v_pk_mul_f32 v[50:51], v[28:29], v[12:13] op_sel:[1,1] op_sel_hi:[0,1]
	v_mov_b32_e32 v43, v5
	v_mov_b32_e32 v52, v15
	v_mov_b32_e32 v21, v9
	v_pk_fma_f32 v[6:7], v[26:27], v[10:11], v[24:25] neg_lo:[0,0,1] neg_hi:[0,0,1]
	v_pk_fma_f32 v[8:9], v[26:27], v[10:11], v[24:25] op_sel_hi:[1,0,1]
	v_pk_add_f32 v[4:5], v[40:41], v[42:43]
	v_pk_fma_f32 v[44:45], v[28:29], v[12:13], v[50:51] neg_lo:[0,0,1] neg_hi:[0,0,1]
	v_pk_fma_f32 v[12:13], v[28:29], v[12:13], v[50:51] op_sel_hi:[1,0,1]
	v_pk_mul_f32 v[28:29], v[30:31], v[52:53] op_sel:[1,0] op_sel_hi:[0,0]
	v_mov_b32_e32 v7, v9
	v_pk_add_f32 v[4:5], v[4:5], v[20:21]
	v_pk_mul_f32 v[54:55], v[32:33], v[16:17] op_sel:[1,1] op_sel_hi:[0,1]
	v_mov_b32_e32 v56, v19
	v_mov_b32_e32 v45, v13
	v_pk_fma_f32 v[10:11], v[30:31], v[14:15], v[28:29] neg_lo:[0,0,1] neg_hi:[0,0,1]
	v_pk_fma_f32 v[12:13], v[30:31], v[14:15], v[28:29] op_sel_hi:[1,0,1]
	v_pk_add_f32 v[4:5], v[4:5], v[6:7]
	v_pk_fma_f32 v[46:47], v[32:33], v[16:17], v[54:55] neg_lo:[0,0,1] neg_hi:[0,0,1]
	v_pk_fma_f32 v[16:17], v[32:33], v[16:17], v[54:55] op_sel_hi:[1,0,1]
	v_pk_mul_f32 v[32:33], v[34:35], v[56:57] op_sel:[1,0] op_sel_hi:[0,0]
	v_mov_b32_e32 v11, v13
	v_pk_add_f32 v[4:5], v[4:5], v[44:45]
	v_mov_b32_e32 v47, v17
	v_pk_fma_f32 v[14:15], v[34:35], v[18:19], v[32:33] neg_lo:[0,0,1] neg_hi:[0,0,1]
	v_pk_fma_f32 v[16:17], v[34:35], v[18:19], v[32:33] op_sel_hi:[1,0,1]
	v_pk_add_f32 v[4:5], v[4:5], v[10:11]
	v_mov_b32_e32 v15, v17
	v_pk_add_f32 v[4:5], v[4:5], v[46:47]
	v_mov_b32_e32 v49, v37
	v_pk_add_f32 v[4:5], v[4:5], v[14:15]
	s_nop 0
	v_pk_add_f32 v[4:5], v[4:5], v[48:49]
	s_waitcnt vmcnt(0)
	v_pk_add_f32 v[4:5], v[38:39], v[4:5] neg_lo:[0,1] neg_hi:[0,1]
	scratch_store_dwordx2 off, v[4:5], off offset:272
	s_and_saveexec_b64 s[0:1], vcc
	s_cbranch_execz .LBB107_211
; %bb.210:
	scratch_load_dwordx2 v[4:5], off, off offset:264
	v_mov_b32_e32 v3, v2
	scratch_store_dwordx2 off, v[2:3], off offset:264
	s_waitcnt vmcnt(1)
	ds_write_b64 v1, v[4:5]
.LBB107_211:
	s_or_b64 exec, exec, s[0:1]
	s_waitcnt lgkmcnt(0)
	; wave barrier
	scratch_load_dwordx4 v[4:7], off, off offset:272
	scratch_load_dwordx4 v[8:11], off, off offset:288
	;; [unrolled: 1-line block ×5, first 2 shown]
	scratch_load_dwordx2 v[44:45], off, off offset:264
	ds_read_b128 v[24:27], v2 offset:624
	ds_read_b128 v[28:31], v2 offset:640
	ds_read_b128 v[32:35], v2 offset:656
	ds_read_b128 v[36:39], v2 offset:672
	ds_read_b128 v[40:43], v2 offset:688
	v_cmp_lt_u32_e32 vcc, 32, v0
	s_waitcnt vmcnt(5) lgkmcnt(4)
	v_mul_f32_e32 v3, v24, v5
	v_mul_f32_e32 v2, v25, v5
	;; [unrolled: 1-line block ×4, first 2 shown]
	s_waitcnt vmcnt(4) lgkmcnt(3)
	v_pk_mul_f32 v[48:49], v[28:29], v[8:9] op_sel:[1,1] op_sel_hi:[0,1]
	v_mov_b32_e32 v50, v11
	v_fmac_f32_e32 v3, v25, v4
	v_fma_f32 v2, v24, v4, -v2
	v_fmac_f32_e32 v47, v27, v6
	v_fma_f32 v46, v26, v6, -v5
	v_pk_fma_f32 v[4:5], v[28:29], v[8:9], v[48:49] neg_lo:[0,0,1] neg_hi:[0,0,1]
	v_pk_fma_f32 v[6:7], v[28:29], v[8:9], v[48:49] op_sel_hi:[1,0,1]
	v_pk_mul_f32 v[8:9], v[30:31], v[50:51] op_sel:[1,0] op_sel_hi:[0,0]
	v_pk_add_f32 v[2:3], v[2:3], 0 op_sel_hi:[1,0]
	s_waitcnt vmcnt(3) lgkmcnt(2)
	v_pk_mul_f32 v[52:53], v[32:33], v[12:13] op_sel:[1,1] op_sel_hi:[0,1]
	v_mov_b32_e32 v54, v15
	v_mov_b32_e32 v5, v7
	v_pk_fma_f32 v[6:7], v[30:31], v[10:11], v[8:9] neg_lo:[0,0,1] neg_hi:[0,0,1]
	v_pk_fma_f32 v[8:9], v[30:31], v[10:11], v[8:9] op_sel_hi:[1,0,1]
	v_pk_add_f32 v[2:3], v[2:3], v[46:47]
	v_pk_fma_f32 v[24:25], v[32:33], v[12:13], v[52:53] neg_lo:[0,0,1] neg_hi:[0,0,1]
	v_pk_fma_f32 v[12:13], v[32:33], v[12:13], v[52:53] op_sel_hi:[1,0,1]
	v_pk_mul_f32 v[26:27], v[34:35], v[54:55] op_sel:[1,0] op_sel_hi:[0,0]
	v_mov_b32_e32 v7, v9
	v_pk_add_f32 v[2:3], v[2:3], v[4:5]
	s_waitcnt vmcnt(2) lgkmcnt(1)
	v_pk_mul_f32 v[56:57], v[36:37], v[16:17] op_sel:[1,1] op_sel_hi:[0,1]
	v_mov_b32_e32 v58, v19
	v_mov_b32_e32 v25, v13
	v_pk_fma_f32 v[10:11], v[34:35], v[14:15], v[26:27] neg_lo:[0,0,1] neg_hi:[0,0,1]
	v_pk_fma_f32 v[12:13], v[34:35], v[14:15], v[26:27] op_sel_hi:[1,0,1]
	v_pk_add_f32 v[2:3], v[2:3], v[6:7]
	v_pk_fma_f32 v[28:29], v[36:37], v[16:17], v[56:57] neg_lo:[0,0,1] neg_hi:[0,0,1]
	v_pk_fma_f32 v[16:17], v[36:37], v[16:17], v[56:57] op_sel_hi:[1,0,1]
	v_pk_mul_f32 v[32:33], v[38:39], v[58:59] op_sel:[1,0] op_sel_hi:[0,0]
	v_mov_b32_e32 v11, v13
	v_pk_add_f32 v[2:3], v[2:3], v[24:25]
	;; [unrolled: 12-line block ×3, first 2 shown]
	v_mov_b32_e32 v37, v21
	v_pk_fma_f32 v[18:19], v[42:43], v[22:23], v[40:41] neg_lo:[0,0,1] neg_hi:[0,0,1]
	v_pk_fma_f32 v[20:21], v[42:43], v[22:23], v[40:41] op_sel_hi:[1,0,1]
	v_pk_add_f32 v[2:3], v[2:3], v[14:15]
	v_mov_b32_e32 v19, v21
	v_pk_add_f32 v[2:3], v[2:3], v[36:37]
	s_nop 0
	v_pk_add_f32 v[2:3], v[2:3], v[18:19]
	s_waitcnt vmcnt(0)
	v_pk_add_f32 v[2:3], v[44:45], v[2:3] neg_lo:[0,1] neg_hi:[0,1]
	scratch_store_dwordx2 off, v[2:3], off offset:264
	s_and_saveexec_b64 s[0:1], vcc
	s_cbranch_execz .LBB107_213
; %bb.212:
	scratch_load_dwordx2 v[2:3], off, off offset:256
	v_mov_b32_e32 v4, 0
	v_mov_b32_e32 v5, v4
	scratch_store_dwordx2 off, v[4:5], off offset:256
	s_waitcnt vmcnt(1)
	ds_write_b64 v1, v[2:3]
.LBB107_213:
	s_or_b64 exec, exec, s[0:1]
	s_waitcnt lgkmcnt(0)
	; wave barrier
	scratch_load_dwordx4 v[4:7], off, off offset:264
	scratch_load_dwordx4 v[8:11], off, off offset:280
	;; [unrolled: 1-line block ×5, first 2 shown]
	scratch_load_dwordx2 v[44:45], off, off offset:344
	scratch_load_dwordx2 v[46:47], off, off offset:256
	v_mov_b32_e32 v2, 0
	ds_read2_b64 v[24:27], v2 offset0:77 offset1:78
	ds_read2_b64 v[28:31], v2 offset0:79 offset1:80
	;; [unrolled: 1-line block ×5, first 2 shown]
	ds_read_b64 v[48:49], v2 offset:696
	v_cmp_lt_u32_e32 vcc, 31, v0
	s_waitcnt vmcnt(6) lgkmcnt(5)
	v_mul_f32_e32 v3, v24, v5
	v_mul_f32_e32 v5, v25, v5
	;; [unrolled: 1-line block ×3, first 2 shown]
	s_waitcnt vmcnt(5) lgkmcnt(4)
	v_mul_f32_e32 v53, v28, v9
	v_mul_f32_e32 v7, v27, v7
	;; [unrolled: 1-line block ×3, first 2 shown]
	v_mov_b32_e32 v54, v11
	s_waitcnt vmcnt(3) lgkmcnt(2)
	v_pk_mul_f32 v[60:61], v[36:37], v[16:17] op_sel:[1,1] op_sel_hi:[0,1]
	s_waitcnt vmcnt(2) lgkmcnt(1)
	v_pk_mul_f32 v[64:65], v[40:41], v[20:21] op_sel:[1,1] op_sel_hi:[0,1]
	;; [unrolled: 2-line block ×3, first 2 shown]
	v_fmac_f32_e32 v3, v25, v4
	v_fma_f32 v55, v24, v4, -v5
	v_fmac_f32_e32 v51, v27, v6
	v_fmac_f32_e32 v53, v29, v8
	v_fma_f32 v50, v26, v6, -v7
	v_fma_f32 v52, v28, v8, -v9
	v_pk_mul_f32 v[4:5], v[30:31], v[54:55] op_sel:[1,0] op_sel_hi:[0,0]
	v_pk_fma_f32 v[24:25], v[36:37], v[16:17], v[60:61] neg_lo:[0,0,1] neg_hi:[0,0,1]
	v_pk_fma_f32 v[16:17], v[36:37], v[16:17], v[60:61] op_sel_hi:[1,0,1]
	v_pk_fma_f32 v[28:29], v[40:41], v[20:21], v[64:65] neg_lo:[0,0,1] neg_hi:[0,0,1]
	v_pk_fma_f32 v[20:21], v[40:41], v[20:21], v[64:65] op_sel_hi:[1,0,1]
	;; [unrolled: 2-line block ×3, first 2 shown]
	v_add_f32_e32 v45, 0, v3
	v_add_f32_e32 v44, 0, v55
	v_pk_mul_f32 v[56:57], v[32:33], v[12:13] op_sel:[1,1] op_sel_hi:[0,1]
	v_mov_b32_e32 v58, v15
	v_pk_fma_f32 v[48:49], v[30:31], v[10:11], v[4:5] neg_lo:[0,0,1] neg_hi:[0,0,1]
	v_pk_fma_f32 v[4:5], v[30:31], v[10:11], v[4:5] op_sel_hi:[1,0,1]
	v_mov_b32_e32 v29, v21
	v_pk_add_f32 v[20:21], v[44:45], v[50:51]
	v_pk_fma_f32 v[6:7], v[32:33], v[12:13], v[56:57] neg_lo:[0,0,1] neg_hi:[0,0,1]
	v_pk_fma_f32 v[8:9], v[32:33], v[12:13], v[56:57] op_sel_hi:[1,0,1]
	v_pk_mul_f32 v[12:13], v[34:35], v[58:59] op_sel:[1,0] op_sel_hi:[0,0]
	v_mov_b32_e32 v49, v5
	v_pk_add_f32 v[4:5], v[20:21], v[52:53]
	v_mov_b32_e32 v62, v19
	v_mov_b32_e32 v7, v9
	v_pk_fma_f32 v[8:9], v[34:35], v[14:15], v[12:13] neg_lo:[0,0,1] neg_hi:[0,0,1]
	v_pk_fma_f32 v[10:11], v[34:35], v[14:15], v[12:13] op_sel_hi:[1,0,1]
	v_pk_add_f32 v[4:5], v[4:5], v[48:49]
	v_pk_mul_f32 v[26:27], v[38:39], v[62:63] op_sel:[1,0] op_sel_hi:[0,0]
	v_mov_b32_e32 v9, v11
	v_pk_add_f32 v[4:5], v[4:5], v[6:7]
	v_mov_b32_e32 v66, v23
	v_mov_b32_e32 v25, v17
	v_pk_fma_f32 v[12:13], v[38:39], v[18:19], v[26:27] neg_lo:[0,0,1] neg_hi:[0,0,1]
	v_pk_fma_f32 v[14:15], v[38:39], v[18:19], v[26:27] op_sel_hi:[1,0,1]
	v_pk_add_f32 v[4:5], v[4:5], v[8:9]
	v_pk_mul_f32 v[32:33], v[42:43], v[66:67] op_sel:[1,0] op_sel_hi:[0,0]
	v_mov_b32_e32 v13, v15
	v_pk_add_f32 v[4:5], v[4:5], v[24:25]
	v_pk_fma_f32 v[16:17], v[42:43], v[22:23], v[32:33] neg_lo:[0,0,1] neg_hi:[0,0,1]
	v_pk_fma_f32 v[18:19], v[42:43], v[22:23], v[32:33] op_sel_hi:[1,0,1]
	v_pk_add_f32 v[4:5], v[4:5], v[12:13]
	v_mov_b32_e32 v17, v19
	v_pk_add_f32 v[4:5], v[4:5], v[28:29]
	v_mov_b32_e32 v37, v41
	v_pk_add_f32 v[4:5], v[4:5], v[16:17]
	s_nop 0
	v_pk_add_f32 v[4:5], v[4:5], v[36:37]
	s_waitcnt vmcnt(0)
	v_pk_add_f32 v[4:5], v[46:47], v[4:5] neg_lo:[0,1] neg_hi:[0,1]
	scratch_store_dwordx2 off, v[4:5], off offset:256
	s_and_saveexec_b64 s[0:1], vcc
	s_cbranch_execz .LBB107_215
; %bb.214:
	scratch_load_dwordx2 v[4:5], off, off offset:248
	v_mov_b32_e32 v3, v2
	scratch_store_dwordx2 off, v[2:3], off offset:248
	s_waitcnt vmcnt(1)
	ds_write_b64 v1, v[4:5]
.LBB107_215:
	s_or_b64 exec, exec, s[0:1]
	s_waitcnt lgkmcnt(0)
	; wave barrier
	scratch_load_dwordx4 v[4:7], off, off offset:256
	scratch_load_dwordx4 v[8:11], off, off offset:272
	;; [unrolled: 1-line block ×6, first 2 shown]
	scratch_load_dwordx2 v[52:53], off, off offset:248
	ds_read_b128 v[28:31], v2 offset:608
	ds_read_b128 v[32:35], v2 offset:624
	;; [unrolled: 1-line block ×6, first 2 shown]
	v_cmp_lt_u32_e32 vcc, 30, v0
	s_waitcnt vmcnt(6) lgkmcnt(5)
	v_mul_f32_e32 v59, v28, v5
	v_mul_f32_e32 v63, v30, v7
	s_waitcnt vmcnt(5) lgkmcnt(4)
	v_mul_f32_e32 v3, v32, v9
	v_mul_f32_e32 v2, v29, v5
	;; [unrolled: 1-line block ×4, first 2 shown]
	s_waitcnt vmcnt(1) lgkmcnt(0)
	v_pk_mul_f32 v[68:69], v[48:49], v[24:25] op_sel:[1,1] op_sel_hi:[0,1]
	v_pk_mul_f32 v[56:57], v[36:37], v[12:13] op_sel:[1,1] op_sel_hi:[0,1]
	v_fmac_f32_e32 v59, v29, v4
	v_fmac_f32_e32 v3, v33, v8
	v_fma_f32 v67, v28, v4, -v2
	v_fma_f32 v2, v32, v8, -v7
	v_pk_fma_f32 v[32:33], v[48:49], v[24:25], v[68:69] neg_lo:[0,0,1] neg_hi:[0,0,1]
	v_pk_fma_f32 v[24:25], v[48:49], v[24:25], v[68:69] op_sel_hi:[1,0,1]
	v_fmac_f32_e32 v63, v31, v6
	v_fma_f32 v71, v30, v6, -v5
	v_pk_fma_f32 v[4:5], v[36:37], v[12:13], v[56:57] neg_lo:[0,0,1] neg_hi:[0,0,1]
	v_pk_fma_f32 v[6:7], v[36:37], v[12:13], v[56:57] op_sel_hi:[1,0,1]
	v_add_f32_e32 v24, 0, v59
	v_add_f32_e32 v36, 0, v67
	v_mul_f32_e32 v55, v34, v11
	v_mul_f32_e32 v9, v35, v11
	v_mov_b32_e32 v58, v15
	v_mov_b32_e32 v33, v25
	v_add_f32_e32 v25, v24, v63
	v_add_f32_e32 v24, v36, v71
	v_fmac_f32_e32 v55, v35, v10
	v_fma_f32 v54, v34, v10, -v9
	v_pk_mul_f32 v[8:9], v[38:39], v[58:59] op_sel:[1,0] op_sel_hi:[0,0]
	v_pk_add_f32 v[2:3], v[24:25], v[2:3]
	v_pk_mul_f32 v[60:61], v[40:41], v[16:17] op_sel:[1,1] op_sel_hi:[0,1]
	v_mov_b32_e32 v62, v19
	v_mov_b32_e32 v5, v7
	v_pk_fma_f32 v[6:7], v[38:39], v[14:15], v[8:9] neg_lo:[0,0,1] neg_hi:[0,0,1]
	v_pk_fma_f32 v[8:9], v[38:39], v[14:15], v[8:9] op_sel_hi:[1,0,1]
	v_pk_add_f32 v[2:3], v[2:3], v[54:55]
	v_pk_fma_f32 v[10:11], v[40:41], v[16:17], v[60:61] neg_lo:[0,0,1] neg_hi:[0,0,1]
	v_pk_fma_f32 v[12:13], v[40:41], v[16:17], v[60:61] op_sel_hi:[1,0,1]
	v_pk_mul_f32 v[16:17], v[42:43], v[62:63] op_sel:[1,0] op_sel_hi:[0,0]
	v_mov_b32_e32 v7, v9
	v_pk_add_f32 v[2:3], v[2:3], v[4:5]
	v_pk_mul_f32 v[64:65], v[44:45], v[20:21] op_sel:[1,1] op_sel_hi:[0,1]
	v_mov_b32_e32 v66, v23
	v_mov_b32_e32 v11, v13
	v_pk_fma_f32 v[12:13], v[42:43], v[18:19], v[16:17] neg_lo:[0,0,1] neg_hi:[0,0,1]
	v_pk_fma_f32 v[14:15], v[42:43], v[18:19], v[16:17] op_sel_hi:[1,0,1]
	v_pk_add_f32 v[2:3], v[2:3], v[6:7]
	v_pk_fma_f32 v[28:29], v[44:45], v[20:21], v[64:65] neg_lo:[0,0,1] neg_hi:[0,0,1]
	v_pk_fma_f32 v[20:21], v[44:45], v[20:21], v[64:65] op_sel_hi:[1,0,1]
	v_pk_mul_f32 v[30:31], v[46:47], v[66:67] op_sel:[1,0] op_sel_hi:[0,0]
	v_mov_b32_e32 v13, v15
	v_pk_add_f32 v[2:3], v[2:3], v[10:11]
	v_mov_b32_e32 v70, v27
	v_mov_b32_e32 v29, v21
	v_pk_fma_f32 v[16:17], v[46:47], v[22:23], v[30:31] neg_lo:[0,0,1] neg_hi:[0,0,1]
	v_pk_fma_f32 v[18:19], v[46:47], v[22:23], v[30:31] op_sel_hi:[1,0,1]
	v_pk_add_f32 v[2:3], v[2:3], v[12:13]
	v_pk_mul_f32 v[34:35], v[50:51], v[70:71] op_sel:[1,0] op_sel_hi:[0,0]
	v_mov_b32_e32 v17, v19
	v_pk_add_f32 v[2:3], v[2:3], v[28:29]
	v_pk_fma_f32 v[20:21], v[50:51], v[26:27], v[34:35] neg_lo:[0,0,1] neg_hi:[0,0,1]
	v_pk_fma_f32 v[22:23], v[50:51], v[26:27], v[34:35] op_sel_hi:[1,0,1]
	v_pk_add_f32 v[2:3], v[2:3], v[16:17]
	v_mov_b32_e32 v21, v23
	v_pk_add_f32 v[2:3], v[2:3], v[32:33]
	s_nop 0
	v_pk_add_f32 v[2:3], v[2:3], v[20:21]
	s_waitcnt vmcnt(0)
	v_pk_add_f32 v[2:3], v[52:53], v[2:3] neg_lo:[0,1] neg_hi:[0,1]
	scratch_store_dwordx2 off, v[2:3], off offset:248
	s_and_saveexec_b64 s[0:1], vcc
	s_cbranch_execz .LBB107_217
; %bb.216:
	scratch_load_dwordx2 v[2:3], off, off offset:240
	v_mov_b32_e32 v4, 0
	v_mov_b32_e32 v5, v4
	scratch_store_dwordx2 off, v[4:5], off offset:240
	s_waitcnt vmcnt(1)
	ds_write_b64 v1, v[2:3]
.LBB107_217:
	s_or_b64 exec, exec, s[0:1]
	s_waitcnt lgkmcnt(0)
	; wave barrier
	scratch_load_dwordx4 v[4:7], off, off offset:248
	scratch_load_dwordx4 v[8:11], off, off offset:264
	;; [unrolled: 1-line block ×6, first 2 shown]
	scratch_load_dwordx2 v[52:53], off, off offset:344
	scratch_load_dwordx2 v[54:55], off, off offset:240
	v_mov_b32_e32 v2, 0
	ds_read2_b64 v[28:31], v2 offset0:75 offset1:76
	ds_read2_b64 v[32:35], v2 offset0:77 offset1:78
	;; [unrolled: 1-line block ×6, first 2 shown]
	ds_read_b64 v[56:57], v2 offset:696
	v_cmp_lt_u32_e32 vcc, 29, v0
	s_waitcnt vmcnt(7) lgkmcnt(6)
	v_mul_f32_e32 v63, v30, v7
	v_mul_f32_e32 v3, v28, v5
	s_waitcnt vmcnt(5) lgkmcnt(4)
	v_mul_f32_e32 v61, v36, v13
	v_mul_f32_e32 v5, v29, v5
	v_mov_b32_e32 v62, v15
	s_waitcnt vmcnt(2) lgkmcnt(1)
	v_pk_mul_f32 v[72:73], v[48:49], v[24:25] op_sel:[1,1] op_sel_hi:[0,1]
	v_fmac_f32_e32 v63, v31, v6
	v_mul_f32_e32 v7, v31, v7
	v_mul_f32_e32 v13, v37, v13
	v_fmac_f32_e32 v3, v29, v4
	v_fmac_f32_e32 v61, v37, v12
	v_fma_f32 v37, v28, v4, -v5
	v_pk_mul_f32 v[4:5], v[38:39], v[62:63] op_sel:[1,0] op_sel_hi:[0,0]
	v_pk_fma_f32 v[28:29], v[48:49], v[24:25], v[72:73] neg_lo:[0,0,1] neg_hi:[0,0,1]
	v_pk_fma_f32 v[24:25], v[48:49], v[24:25], v[72:73] op_sel_hi:[1,0,1]
	v_mul_f32_e32 v67, v32, v9
	v_mul_f32_e32 v9, v33, v9
	v_fma_f32 v71, v30, v6, -v7
	v_fma_f32 v60, v36, v12, -v13
	v_add_f32_e32 v3, 0, v3
	v_add_f32_e32 v24, 0, v37
	v_pk_fma_f32 v[36:37], v[38:39], v[14:15], v[4:5] neg_lo:[0,0,1] neg_hi:[0,0,1]
	v_pk_fma_f32 v[4:5], v[38:39], v[14:15], v[4:5] op_sel_hi:[1,0,1]
	v_mul_f32_e32 v59, v34, v11
	v_mul_f32_e32 v11, v35, v11
	v_fmac_f32_e32 v67, v33, v8
	v_fma_f32 v75, v32, v8, -v9
	v_add_f32_e32 v3, v3, v63
	v_add_f32_e32 v4, v24, v71
	v_fmac_f32_e32 v59, v35, v10
	v_fma_f32 v58, v34, v10, -v11
	v_mov_b32_e32 v37, v5
	v_add_f32_e32 v5, v3, v67
	v_add_f32_e32 v4, v4, v75
	v_pk_mul_f32 v[64:65], v[40:41], v[16:17] op_sel:[1,1] op_sel_hi:[0,1]
	v_mov_b32_e32 v66, v19
	v_pk_add_f32 v[4:5], v[4:5], v[58:59]
	v_pk_fma_f32 v[6:7], v[40:41], v[16:17], v[64:65] neg_lo:[0,0,1] neg_hi:[0,0,1]
	v_pk_fma_f32 v[8:9], v[40:41], v[16:17], v[64:65] op_sel_hi:[1,0,1]
	v_pk_mul_f32 v[10:11], v[42:43], v[66:67] op_sel:[1,0] op_sel_hi:[0,0]
	v_pk_add_f32 v[4:5], v[4:5], v[60:61]
	v_pk_mul_f32 v[68:69], v[44:45], v[20:21] op_sel:[1,1] op_sel_hi:[0,1]
	v_mov_b32_e32 v70, v23
	v_mov_b32_e32 v7, v9
	v_pk_fma_f32 v[8:9], v[42:43], v[18:19], v[10:11] neg_lo:[0,0,1] neg_hi:[0,0,1]
	v_pk_fma_f32 v[10:11], v[42:43], v[18:19], v[10:11] op_sel_hi:[1,0,1]
	v_pk_add_f32 v[4:5], v[4:5], v[36:37]
	v_pk_fma_f32 v[12:13], v[44:45], v[20:21], v[68:69] neg_lo:[0,0,1] neg_hi:[0,0,1]
	v_pk_fma_f32 v[16:17], v[44:45], v[20:21], v[68:69] op_sel_hi:[1,0,1]
	v_pk_mul_f32 v[20:21], v[46:47], v[70:71] op_sel:[1,0] op_sel_hi:[0,0]
	v_mov_b32_e32 v9, v11
	v_pk_add_f32 v[4:5], v[4:5], v[6:7]
	v_mov_b32_e32 v74, v27
	v_mov_b32_e32 v13, v17
	v_pk_fma_f32 v[14:15], v[46:47], v[22:23], v[20:21] neg_lo:[0,0,1] neg_hi:[0,0,1]
	v_pk_fma_f32 v[16:17], v[46:47], v[22:23], v[20:21] op_sel_hi:[1,0,1]
	v_pk_add_f32 v[4:5], v[4:5], v[8:9]
	v_pk_mul_f32 v[30:31], v[50:51], v[74:75] op_sel:[1,0] op_sel_hi:[0,0]
	v_mov_b32_e32 v15, v17
	v_pk_add_f32 v[4:5], v[4:5], v[12:13]
	s_waitcnt vmcnt(1) lgkmcnt(0)
	v_pk_mul_f32 v[76:77], v[56:57], v[52:53] op_sel:[1,1] op_sel_hi:[0,1]
	v_mov_b32_e32 v29, v25
	v_pk_fma_f32 v[18:19], v[50:51], v[26:27], v[30:31] neg_lo:[0,0,1] neg_hi:[0,0,1]
	v_pk_fma_f32 v[20:21], v[50:51], v[26:27], v[30:31] op_sel_hi:[1,0,1]
	v_pk_add_f32 v[4:5], v[4:5], v[14:15]
	v_pk_fma_f32 v[32:33], v[56:57], v[52:53], v[76:77] neg_lo:[0,0,1] neg_hi:[0,0,1]
	v_pk_fma_f32 v[34:35], v[56:57], v[52:53], v[76:77] op_sel_hi:[1,0,1]
	v_mov_b32_e32 v19, v21
	v_pk_add_f32 v[4:5], v[4:5], v[28:29]
	v_mov_b32_e32 v33, v35
	v_pk_add_f32 v[4:5], v[4:5], v[18:19]
	s_nop 0
	v_pk_add_f32 v[4:5], v[4:5], v[32:33]
	s_waitcnt vmcnt(0)
	v_pk_add_f32 v[4:5], v[54:55], v[4:5] neg_lo:[0,1] neg_hi:[0,1]
	scratch_store_dwordx2 off, v[4:5], off offset:240
	s_and_saveexec_b64 s[0:1], vcc
	s_cbranch_execz .LBB107_219
; %bb.218:
	scratch_load_dwordx2 v[4:5], off, off offset:232
	v_mov_b32_e32 v3, v2
	scratch_store_dwordx2 off, v[2:3], off offset:232
	s_waitcnt vmcnt(1)
	ds_write_b64 v1, v[4:5]
.LBB107_219:
	s_or_b64 exec, exec, s[0:1]
	s_waitcnt lgkmcnt(0)
	; wave barrier
	scratch_load_dwordx4 v[4:7], off, off offset:240
	scratch_load_dwordx4 v[8:11], off, off offset:256
	scratch_load_dwordx4 v[12:15], off, off offset:272
	scratch_load_dwordx4 v[16:19], off, off offset:288
	scratch_load_dwordx4 v[20:23], off, off offset:304
	scratch_load_dwordx4 v[24:27], off, off offset:320
	scratch_load_dwordx4 v[28:31], off, off offset:336
	ds_read_b128 v[32:35], v2 offset:592
	ds_read_b128 v[36:39], v2 offset:608
	;; [unrolled: 1-line block ×6, first 2 shown]
	scratch_load_dwordx2 v[60:61], off, off offset:232
	ds_read_b128 v[56:59], v2 offset:688
	v_cmp_lt_u32_e32 vcc, 28, v0
	s_waitcnt vmcnt(7) lgkmcnt(6)
	v_mul_f32_e32 v67, v32, v5
	v_mul_f32_e32 v71, v34, v7
	s_waitcnt vmcnt(6) lgkmcnt(5)
	v_mul_f32_e32 v75, v36, v9
	v_mul_f32_e32 v79, v38, v11
	;; [unrolled: 3-line block ×3, first 2 shown]
	v_mul_f32_e32 v2, v33, v5
	v_mul_f32_e32 v5, v35, v7
	;; [unrolled: 1-line block ×6, first 2 shown]
	s_waitcnt vmcnt(4) lgkmcnt(3)
	v_pk_mul_f32 v[64:65], v[44:45], v[16:17] op_sel:[1,1] op_sel_hi:[0,1]
	v_mov_b32_e32 v66, v19
	s_waitcnt vmcnt(3) lgkmcnt(2)
	v_pk_mul_f32 v[68:69], v[48:49], v[20:21] op_sel:[1,1] op_sel_hi:[0,1]
	v_mov_b32_e32 v70, v23
	s_waitcnt vmcnt(1) lgkmcnt(0)
	v_pk_mul_f32 v[76:77], v[56:57], v[28:29] op_sel:[1,1] op_sel_hi:[0,1]
	v_fmac_f32_e32 v67, v33, v4
	v_fmac_f32_e32 v71, v35, v6
	;; [unrolled: 1-line block ×6, first 2 shown]
	v_fma_f32 v37, v32, v4, -v2
	v_fma_f32 v39, v34, v6, -v5
	;; [unrolled: 1-line block ×6, first 2 shown]
	v_pk_fma_f32 v[4:5], v[44:45], v[16:17], v[64:65] neg_lo:[0,0,1] neg_hi:[0,0,1]
	v_pk_fma_f32 v[6:7], v[44:45], v[16:17], v[64:65] op_sel_hi:[1,0,1]
	v_pk_mul_f32 v[8:9], v[46:47], v[66:67] op_sel:[1,0] op_sel_hi:[0,0]
	v_pk_fma_f32 v[10:11], v[48:49], v[20:21], v[68:69] neg_lo:[0,0,1] neg_hi:[0,0,1]
	v_pk_fma_f32 v[12:13], v[48:49], v[20:21], v[68:69] op_sel_hi:[1,0,1]
	v_pk_mul_f32 v[14:15], v[50:51], v[70:71] op_sel:[1,0] op_sel_hi:[0,0]
	v_pk_fma_f32 v[32:33], v[56:57], v[28:29], v[76:77] neg_lo:[0,0,1] neg_hi:[0,0,1]
	v_pk_fma_f32 v[28:29], v[56:57], v[28:29], v[76:77] op_sel_hi:[1,0,1]
	v_add_f32_e32 v37, 0, v37
	v_add_f32_e32 v28, 0, v67
	v_mov_b32_e32 v5, v7
	v_pk_fma_f32 v[6:7], v[46:47], v[18:19], v[8:9] neg_lo:[0,0,1] neg_hi:[0,0,1]
	v_pk_fma_f32 v[8:9], v[46:47], v[18:19], v[8:9] op_sel_hi:[1,0,1]
	v_mov_b32_e32 v11, v13
	v_pk_fma_f32 v[12:13], v[50:51], v[22:23], v[14:15] neg_lo:[0,0,1] neg_hi:[0,0,1]
	v_pk_fma_f32 v[14:15], v[50:51], v[22:23], v[14:15] op_sel_hi:[1,0,1]
	v_add_f32_e32 v8, v28, v71
	v_add_f32_e32 v14, v37, v39
	v_add_f32_e32 v8, v8, v75
	v_add_f32_e32 v14, v14, v36
	v_mov_b32_e32 v7, v9
	v_add_f32_e32 v9, v8, v79
	v_add_f32_e32 v8, v14, v38
	v_pk_add_f32 v[2:3], v[8:9], v[2:3]
	v_pk_mul_f32 v[72:73], v[52:53], v[24:25] op_sel:[1,1] op_sel_hi:[0,1]
	v_pk_add_f32 v[2:3], v[2:3], v[62:63]
	v_mov_b32_e32 v74, v27
	v_pk_add_f32 v[2:3], v[2:3], v[4:5]
	v_pk_fma_f32 v[16:17], v[52:53], v[24:25], v[72:73] neg_lo:[0,0,1] neg_hi:[0,0,1]
	v_pk_add_f32 v[2:3], v[2:3], v[6:7]
	v_pk_fma_f32 v[20:21], v[52:53], v[24:25], v[72:73] op_sel_hi:[1,0,1]
	v_pk_mul_f32 v[24:25], v[54:55], v[74:75] op_sel:[1,0] op_sel_hi:[0,0]
	v_mov_b32_e32 v13, v15
	v_pk_add_f32 v[2:3], v[2:3], v[10:11]
	v_mov_b32_e32 v78, v31
	v_mov_b32_e32 v17, v21
	v_pk_fma_f32 v[18:19], v[54:55], v[26:27], v[24:25] neg_lo:[0,0,1] neg_hi:[0,0,1]
	v_pk_fma_f32 v[20:21], v[54:55], v[26:27], v[24:25] op_sel_hi:[1,0,1]
	v_pk_add_f32 v[2:3], v[2:3], v[12:13]
	v_pk_mul_f32 v[34:35], v[58:59], v[78:79] op_sel:[1,0] op_sel_hi:[0,0]
	v_mov_b32_e32 v19, v21
	v_pk_add_f32 v[2:3], v[2:3], v[16:17]
	v_mov_b32_e32 v33, v29
	v_pk_fma_f32 v[22:23], v[58:59], v[30:31], v[34:35] neg_lo:[0,0,1] neg_hi:[0,0,1]
	v_pk_fma_f32 v[24:25], v[58:59], v[30:31], v[34:35] op_sel_hi:[1,0,1]
	v_pk_add_f32 v[2:3], v[2:3], v[18:19]
	v_mov_b32_e32 v23, v25
	v_pk_add_f32 v[2:3], v[2:3], v[32:33]
	s_nop 0
	v_pk_add_f32 v[2:3], v[2:3], v[22:23]
	s_waitcnt vmcnt(0)
	v_pk_add_f32 v[2:3], v[60:61], v[2:3] neg_lo:[0,1] neg_hi:[0,1]
	scratch_store_dwordx2 off, v[2:3], off offset:232
	s_and_saveexec_b64 s[0:1], vcc
	s_cbranch_execz .LBB107_221
; %bb.220:
	scratch_load_dwordx2 v[2:3], off, off offset:224
	v_mov_b32_e32 v4, 0
	v_mov_b32_e32 v5, v4
	scratch_store_dwordx2 off, v[4:5], off offset:224
	s_waitcnt vmcnt(1)
	ds_write_b64 v1, v[2:3]
.LBB107_221:
	s_or_b64 exec, exec, s[0:1]
	s_waitcnt lgkmcnt(0)
	; wave barrier
	scratch_load_dwordx4 v[8:11], off, off offset:232
	scratch_load_dwordx4 v[16:19], off, off offset:248
	;; [unrolled: 1-line block ×4, first 2 shown]
	v_mov_b32_e32 v2, 0
	ds_read2_b64 v[4:7], v2 offset0:73 offset1:74
	v_cmp_lt_u32_e32 vcc, 27, v0
	s_waitcnt vmcnt(3) lgkmcnt(0)
	v_mul_f32_e32 v3, v4, v9
	v_fmac_f32_e32 v3, v5, v8
	v_mul_f32_e32 v12, v6, v11
	v_add_f32_e32 v3, 0, v3
	v_fmac_f32_e32 v12, v7, v10
	v_add_f32_e32 v3, v3, v12
	ds_read2_b64 v[12:15], v2 offset0:75 offset1:76
	s_waitcnt vmcnt(2) lgkmcnt(0)
	v_mul_f32_e32 v20, v12, v17
	v_fmac_f32_e32 v20, v13, v16
	v_add_f32_e32 v3, v3, v20
	v_mul_f32_e32 v20, v14, v19
	v_fmac_f32_e32 v20, v15, v18
	v_add_f32_e32 v3, v3, v20
	ds_read2_b64 v[20:23], v2 offset0:77 offset1:78
	s_waitcnt vmcnt(1) lgkmcnt(0)
	v_mul_f32_e32 v28, v20, v25
	v_fmac_f32_e32 v28, v21, v24
	v_add_f32_e32 v49, v3, v28
	ds_read2_b64 v[28:31], v2 offset0:79 offset1:80
	scratch_load_dwordx4 v[36:39], off, off offset:296
	scratch_load_dwordx4 v[40:43], off, off offset:312
	;; [unrolled: 1-line block ×3, first 2 shown]
	scratch_load_dwordx2 v[54:55], off, off offset:344
	v_mul_f32_e32 v3, v5, v9
	v_fma_f32 v3, v4, v8, -v3
	v_mul_f32_e32 v4, v7, v11
	v_add_f32_e32 v3, 0, v3
	v_fma_f32 v4, v6, v10, -v4
	v_add_f32_e32 v3, v3, v4
	v_mul_f32_e32 v4, v13, v17
	v_fma_f32 v4, v12, v16, -v4
	v_add_f32_e32 v3, v3, v4
	v_mul_f32_e32 v4, v15, v19
	v_fma_f32 v4, v14, v18, -v4
	v_add_f32_e32 v3, v3, v4
	v_mul_f32_e32 v4, v21, v25
	v_fma_f32 v4, v20, v24, -v4
	v_mul_f32_e32 v51, v22, v27
	v_add_f32_e32 v48, v3, v4
	v_mul_f32_e32 v3, v23, v27
	s_waitcnt vmcnt(4)
	v_mov_b32_e32 v20, v35
	v_fmac_f32_e32 v51, v23, v26
	s_waitcnt lgkmcnt(0)
	v_mul_f32_e32 v53, v28, v33
	v_fma_f32 v50, v22, v26, -v3
	v_mul_f32_e32 v3, v29, v33
	ds_read2_b64 v[4:7], v2 offset0:81 offset1:82
	ds_read2_b64 v[8:11], v2 offset0:83 offset1:84
	;; [unrolled: 1-line block ×3, first 2 shown]
	ds_read_b64 v[16:17], v2 offset:696
	v_pk_mul_f32 v[20:21], v[30:31], v[20:21] op_sel:[1,0] op_sel_hi:[0,0]
	v_fmac_f32_e32 v53, v29, v32
	v_fma_f32 v52, v28, v32, -v3
	v_pk_add_f32 v[18:19], v[48:49], v[50:51]
	v_pk_fma_f32 v[22:23], v[30:31], v[34:35], v[20:21] neg_lo:[0,0,1] neg_hi:[0,0,1]
	v_pk_fma_f32 v[20:21], v[30:31], v[34:35], v[20:21] op_sel_hi:[1,0,1]
	v_pk_add_f32 v[18:19], v[18:19], v[52:53]
	v_mov_b32_e32 v23, v21
	v_pk_add_f32 v[18:19], v[18:19], v[22:23]
	s_waitcnt vmcnt(3) lgkmcnt(3)
	v_pk_mul_f32 v[20:21], v[4:5], v[36:37] op_sel:[1,1] op_sel_hi:[0,1]
	v_pk_fma_f32 v[22:23], v[4:5], v[36:37], v[20:21] neg_lo:[0,0,1] neg_hi:[0,0,1]
	v_pk_fma_f32 v[4:5], v[4:5], v[36:37], v[20:21] op_sel_hi:[1,0,1]
	s_nop 0
	v_mov_b32_e32 v23, v5
	v_pk_add_f32 v[4:5], v[18:19], v[22:23]
	v_mov_b32_e32 v18, v39
	v_pk_mul_f32 v[18:19], v[6:7], v[18:19] op_sel:[1,0] op_sel_hi:[0,0]
	v_pk_fma_f32 v[20:21], v[6:7], v[38:39], v[18:19] neg_lo:[0,0,1] neg_hi:[0,0,1]
	v_pk_fma_f32 v[6:7], v[6:7], v[38:39], v[18:19] op_sel_hi:[1,0,1]
	s_nop 0
	v_mov_b32_e32 v21, v7
	s_waitcnt vmcnt(2) lgkmcnt(2)
	v_pk_mul_f32 v[6:7], v[8:9], v[40:41] op_sel:[1,1] op_sel_hi:[0,1]
	v_pk_fma_f32 v[18:19], v[8:9], v[40:41], v[6:7] neg_lo:[0,0,1] neg_hi:[0,0,1]
	v_pk_fma_f32 v[6:7], v[8:9], v[40:41], v[6:7] op_sel_hi:[1,0,1]
	v_pk_add_f32 v[4:5], v[4:5], v[20:21]
	v_mov_b32_e32 v6, v43
	v_mov_b32_e32 v19, v7
	v_pk_mul_f32 v[6:7], v[10:11], v[6:7] op_sel:[1,0] op_sel_hi:[0,0]
	v_pk_fma_f32 v[8:9], v[10:11], v[42:43], v[6:7] neg_lo:[0,0,1] neg_hi:[0,0,1]
	v_pk_fma_f32 v[6:7], v[10:11], v[42:43], v[6:7] op_sel_hi:[1,0,1]
	v_pk_add_f32 v[4:5], v[4:5], v[18:19]
	v_mov_b32_e32 v9, v7
	s_waitcnt vmcnt(1) lgkmcnt(1)
	v_pk_mul_f32 v[6:7], v[12:13], v[44:45] op_sel:[1,1] op_sel_hi:[0,1]
	v_pk_add_f32 v[4:5], v[4:5], v[8:9]
	v_pk_fma_f32 v[8:9], v[12:13], v[44:45], v[6:7] neg_lo:[0,0,1] neg_hi:[0,0,1]
	v_pk_fma_f32 v[6:7], v[12:13], v[44:45], v[6:7] op_sel_hi:[1,0,1]
	s_nop 0
	v_mov_b32_e32 v6, v47
	v_mov_b32_e32 v9, v7
	v_pk_mul_f32 v[6:7], v[14:15], v[6:7] op_sel:[1,0] op_sel_hi:[0,0]
	v_pk_add_f32 v[4:5], v[4:5], v[8:9]
	v_pk_fma_f32 v[8:9], v[14:15], v[46:47], v[6:7] neg_lo:[0,0,1] neg_hi:[0,0,1]
	v_pk_fma_f32 v[6:7], v[14:15], v[46:47], v[6:7] op_sel_hi:[1,0,1]
	s_nop 0
	v_mov_b32_e32 v9, v7
	s_waitcnt vmcnt(0) lgkmcnt(0)
	v_pk_mul_f32 v[6:7], v[16:17], v[54:55] op_sel:[1,1] op_sel_hi:[0,1]
	v_pk_add_f32 v[4:5], v[4:5], v[8:9]
	v_pk_fma_f32 v[8:9], v[16:17], v[54:55], v[6:7] neg_lo:[0,0,1] neg_hi:[0,0,1]
	v_pk_fma_f32 v[6:7], v[16:17], v[54:55], v[6:7] op_sel_hi:[1,0,1]
	s_nop 0
	v_mov_b32_e32 v9, v7
	scratch_load_dwordx2 v[6:7], off, off offset:224
	v_pk_add_f32 v[4:5], v[4:5], v[8:9]
	s_waitcnt vmcnt(0)
	v_pk_add_f32 v[4:5], v[6:7], v[4:5] neg_lo:[0,1] neg_hi:[0,1]
	scratch_store_dwordx2 off, v[4:5], off offset:224
	s_and_saveexec_b64 s[0:1], vcc
	s_cbranch_execz .LBB107_223
; %bb.222:
	scratch_load_dwordx2 v[4:5], off, off offset:216
	v_mov_b32_e32 v3, v2
	scratch_store_dwordx2 off, v[2:3], off offset:216
	s_waitcnt vmcnt(1)
	ds_write_b64 v1, v[4:5]
.LBB107_223:
	s_or_b64 exec, exec, s[0:1]
	s_waitcnt lgkmcnt(0)
	; wave barrier
	ds_read_b128 v[4:7], v2 offset:576
	ds_read_b128 v[8:11], v2 offset:592
	;; [unrolled: 1-line block ×4, first 2 shown]
	scratch_load_dwordx4 v[20:23], off, off offset:224
	v_cmp_lt_u32_e32 vcc, 26, v0
	s_waitcnt vmcnt(0) lgkmcnt(3)
	v_mul_f32_e32 v3, v4, v21
	v_fmac_f32_e32 v3, v5, v20
	v_mul_f32_e32 v24, v6, v23
	v_add_f32_e32 v3, 0, v3
	v_fmac_f32_e32 v24, v7, v22
	v_add_f32_e32 v3, v3, v24
	scratch_load_dwordx4 v[24:27], off, off offset:240
	s_waitcnt vmcnt(0) lgkmcnt(2)
	v_mul_f32_e32 v28, v8, v25
	v_fmac_f32_e32 v28, v9, v24
	v_add_f32_e32 v3, v3, v28
	v_mul_f32_e32 v28, v10, v27
	v_fmac_f32_e32 v28, v11, v26
	v_add_f32_e32 v3, v3, v28
	scratch_load_dwordx4 v[28:31], off, off offset:256
	s_waitcnt vmcnt(0) lgkmcnt(1)
	v_mul_f32_e32 v32, v12, v29
	v_fmac_f32_e32 v32, v13, v28
	v_add_f32_e32 v3, v3, v32
	v_mul_f32_e32 v32, v14, v31
	v_fmac_f32_e32 v32, v15, v30
	v_add_f32_e32 v53, v3, v32
	scratch_load_dwordx4 v[32:35], off, off offset:272
	scratch_load_dwordx4 v[36:39], off, off offset:288
	;; [unrolled: 1-line block ×5, first 2 shown]
	v_mul_f32_e32 v3, v5, v21
	v_fma_f32 v3, v4, v20, -v3
	v_mul_f32_e32 v4, v7, v23
	v_add_f32_e32 v3, 0, v3
	v_fma_f32 v4, v6, v22, -v4
	v_add_f32_e32 v3, v3, v4
	v_mul_f32_e32 v4, v9, v25
	v_fma_f32 v4, v8, v24, -v4
	v_add_f32_e32 v3, v3, v4
	v_mul_f32_e32 v4, v11, v27
	v_fma_f32 v4, v10, v26, -v4
	v_add_f32_e32 v3, v3, v4
	v_mul_f32_e32 v4, v13, v29
	v_fma_f32 v4, v12, v28, -v4
	v_add_f32_e32 v3, v3, v4
	v_mul_f32_e32 v4, v15, v31
	v_fma_f32 v4, v14, v30, -v4
	v_add_f32_e32 v52, v3, v4
	s_waitcnt vmcnt(4) lgkmcnt(0)
	v_mul_f32_e32 v3, v17, v33
	v_mul_f32_e32 v55, v16, v33
	;; [unrolled: 1-line block ×3, first 2 shown]
	v_fma_f32 v54, v16, v32, -v3
	v_mul_f32_e32 v3, v19, v35
	v_fmac_f32_e32 v55, v17, v32
	v_fmac_f32_e32 v57, v19, v34
	v_fma_f32 v56, v18, v34, -v3
	ds_read_b128 v[4:7], v2 offset:640
	ds_read_b128 v[8:11], v2 offset:656
	ds_read_b128 v[12:15], v2 offset:672
	ds_read_b128 v[16:19], v2 offset:688
	v_pk_add_f32 v[2:3], v[52:53], v[54:55]
	s_waitcnt vmcnt(3) lgkmcnt(3)
	v_pk_mul_f32 v[20:21], v[4:5], v[36:37] op_sel:[1,1] op_sel_hi:[0,1]
	v_pk_fma_f32 v[22:23], v[4:5], v[36:37], v[20:21] neg_lo:[0,0,1] neg_hi:[0,0,1]
	v_pk_fma_f32 v[4:5], v[4:5], v[36:37], v[20:21] op_sel_hi:[1,0,1]
	v_pk_add_f32 v[2:3], v[2:3], v[56:57]
	v_mov_b32_e32 v4, v39
	v_mov_b32_e32 v23, v5
	v_pk_mul_f32 v[4:5], v[6:7], v[4:5] op_sel:[1,0] op_sel_hi:[0,0]
	v_pk_fma_f32 v[20:21], v[6:7], v[38:39], v[4:5] neg_lo:[0,0,1] neg_hi:[0,0,1]
	v_pk_fma_f32 v[4:5], v[6:7], v[38:39], v[4:5] op_sel_hi:[1,0,1]
	v_pk_add_f32 v[2:3], v[2:3], v[22:23]
	v_mov_b32_e32 v21, v5
	s_waitcnt vmcnt(2) lgkmcnt(2)
	v_pk_mul_f32 v[4:5], v[8:9], v[40:41] op_sel:[1,1] op_sel_hi:[0,1]
	v_pk_fma_f32 v[6:7], v[8:9], v[40:41], v[4:5] neg_lo:[0,0,1] neg_hi:[0,0,1]
	v_pk_fma_f32 v[4:5], v[8:9], v[40:41], v[4:5] op_sel_hi:[1,0,1]
	v_pk_add_f32 v[2:3], v[2:3], v[20:21]
	v_mov_b32_e32 v4, v43
	v_mov_b32_e32 v7, v5
	v_pk_mul_f32 v[4:5], v[10:11], v[4:5] op_sel:[1,0] op_sel_hi:[0,0]
	v_pk_add_f32 v[2:3], v[2:3], v[6:7]
	v_pk_fma_f32 v[6:7], v[10:11], v[42:43], v[4:5] neg_lo:[0,0,1] neg_hi:[0,0,1]
	v_pk_fma_f32 v[4:5], v[10:11], v[42:43], v[4:5] op_sel_hi:[1,0,1]
	s_nop 0
	v_mov_b32_e32 v7, v5
	s_waitcnt vmcnt(1) lgkmcnt(1)
	v_pk_mul_f32 v[4:5], v[12:13], v[44:45] op_sel:[1,1] op_sel_hi:[0,1]
	v_pk_add_f32 v[2:3], v[2:3], v[6:7]
	v_pk_fma_f32 v[6:7], v[12:13], v[44:45], v[4:5] neg_lo:[0,0,1] neg_hi:[0,0,1]
	v_pk_fma_f32 v[4:5], v[12:13], v[44:45], v[4:5] op_sel_hi:[1,0,1]
	s_nop 0
	v_mov_b32_e32 v4, v47
	v_mov_b32_e32 v7, v5
	v_pk_mul_f32 v[4:5], v[14:15], v[4:5] op_sel:[1,0] op_sel_hi:[0,0]
	v_pk_add_f32 v[2:3], v[2:3], v[6:7]
	v_pk_fma_f32 v[6:7], v[14:15], v[46:47], v[4:5] neg_lo:[0,0,1] neg_hi:[0,0,1]
	v_pk_fma_f32 v[4:5], v[14:15], v[46:47], v[4:5] op_sel_hi:[1,0,1]
	s_nop 0
	v_mov_b32_e32 v7, v5
	s_waitcnt vmcnt(0) lgkmcnt(0)
	v_pk_mul_f32 v[4:5], v[16:17], v[48:49] op_sel:[1,1] op_sel_hi:[0,1]
	v_pk_add_f32 v[2:3], v[2:3], v[6:7]
	v_pk_fma_f32 v[6:7], v[16:17], v[48:49], v[4:5] neg_lo:[0,0,1] neg_hi:[0,0,1]
	v_pk_fma_f32 v[4:5], v[16:17], v[48:49], v[4:5] op_sel_hi:[1,0,1]
	s_nop 0
	v_mov_b32_e32 v4, v51
	v_mov_b32_e32 v7, v5
	v_pk_mul_f32 v[4:5], v[18:19], v[4:5] op_sel:[1,0] op_sel_hi:[0,0]
	v_pk_add_f32 v[2:3], v[2:3], v[6:7]
	v_pk_fma_f32 v[6:7], v[18:19], v[50:51], v[4:5] neg_lo:[0,0,1] neg_hi:[0,0,1]
	v_pk_fma_f32 v[4:5], v[18:19], v[50:51], v[4:5] op_sel_hi:[1,0,1]
	s_nop 0
	v_mov_b32_e32 v7, v5
	scratch_load_dwordx2 v[4:5], off, off offset:216
	v_pk_add_f32 v[2:3], v[2:3], v[6:7]
	s_waitcnt vmcnt(0)
	v_pk_add_f32 v[2:3], v[4:5], v[2:3] neg_lo:[0,1] neg_hi:[0,1]
	scratch_store_dwordx2 off, v[2:3], off offset:216
	s_and_saveexec_b64 s[0:1], vcc
	s_cbranch_execz .LBB107_225
; %bb.224:
	scratch_load_dwordx2 v[2:3], off, off offset:208
	v_mov_b32_e32 v4, 0
	v_mov_b32_e32 v5, v4
	scratch_store_dwordx2 off, v[4:5], off offset:208
	s_waitcnt vmcnt(1)
	ds_write_b64 v1, v[2:3]
.LBB107_225:
	s_or_b64 exec, exec, s[0:1]
	s_waitcnt lgkmcnt(0)
	; wave barrier
	scratch_load_dwordx4 v[8:11], off, off offset:216
	scratch_load_dwordx4 v[16:19], off, off offset:232
	;; [unrolled: 1-line block ×4, first 2 shown]
	v_mov_b32_e32 v2, 0
	ds_read2_b64 v[4:7], v2 offset0:71 offset1:72
	scratch_load_dwordx4 v[40:43], off, off offset:280
	v_cmp_lt_u32_e32 vcc, 25, v0
	s_waitcnt vmcnt(4) lgkmcnt(0)
	v_mul_f32_e32 v3, v4, v9
	v_fmac_f32_e32 v3, v5, v8
	v_mul_f32_e32 v12, v6, v11
	v_add_f32_e32 v3, 0, v3
	v_fmac_f32_e32 v12, v7, v10
	v_add_f32_e32 v3, v3, v12
	ds_read2_b64 v[12:15], v2 offset0:73 offset1:74
	s_waitcnt vmcnt(3) lgkmcnt(0)
	v_mul_f32_e32 v20, v12, v17
	v_fmac_f32_e32 v20, v13, v16
	v_add_f32_e32 v3, v3, v20
	v_mul_f32_e32 v20, v14, v19
	v_fmac_f32_e32 v20, v15, v18
	v_add_f32_e32 v3, v3, v20
	ds_read2_b64 v[20:23], v2 offset0:75 offset1:76
	s_waitcnt vmcnt(2) lgkmcnt(0)
	v_mul_f32_e32 v28, v20, v25
	v_fmac_f32_e32 v28, v21, v24
	v_add_f32_e32 v3, v3, v28
	v_mul_f32_e32 v28, v22, v27
	v_fmac_f32_e32 v28, v23, v26
	v_add_f32_e32 v3, v3, v28
	ds_read2_b64 v[28:31], v2 offset0:77 offset1:78
	s_waitcnt vmcnt(1) lgkmcnt(0)
	v_mul_f32_e32 v36, v28, v33
	v_fmac_f32_e32 v36, v29, v32
	v_add_f32_e32 v57, v3, v36
	ds_read2_b64 v[36:39], v2 offset0:79 offset1:80
	scratch_load_dwordx4 v[44:47], off, off offset:296
	scratch_load_dwordx4 v[48:51], off, off offset:312
	;; [unrolled: 1-line block ×3, first 2 shown]
	scratch_load_dwordx2 v[62:63], off, off offset:344
	v_mul_f32_e32 v3, v5, v9
	v_fma_f32 v3, v4, v8, -v3
	v_mul_f32_e32 v4, v7, v11
	v_add_f32_e32 v3, 0, v3
	v_fma_f32 v4, v6, v10, -v4
	v_add_f32_e32 v3, v3, v4
	v_mul_f32_e32 v4, v13, v17
	v_fma_f32 v4, v12, v16, -v4
	v_add_f32_e32 v3, v3, v4
	v_mul_f32_e32 v4, v15, v19
	;; [unrolled: 3-line block ×5, first 2 shown]
	v_fma_f32 v4, v28, v32, -v4
	v_mul_f32_e32 v59, v30, v35
	v_add_f32_e32 v56, v3, v4
	v_mul_f32_e32 v3, v31, v35
	s_waitcnt vmcnt(4)
	v_mov_b32_e32 v20, v43
	v_fmac_f32_e32 v59, v31, v34
	s_waitcnt lgkmcnt(0)
	v_mul_f32_e32 v61, v36, v41
	v_fma_f32 v58, v30, v34, -v3
	v_mul_f32_e32 v3, v37, v41
	ds_read2_b64 v[4:7], v2 offset0:81 offset1:82
	ds_read2_b64 v[8:11], v2 offset0:83 offset1:84
	;; [unrolled: 1-line block ×3, first 2 shown]
	ds_read_b64 v[16:17], v2 offset:696
	v_pk_mul_f32 v[20:21], v[38:39], v[20:21] op_sel:[1,0] op_sel_hi:[0,0]
	v_fmac_f32_e32 v61, v37, v40
	v_fma_f32 v60, v36, v40, -v3
	v_pk_add_f32 v[18:19], v[56:57], v[58:59]
	v_pk_fma_f32 v[22:23], v[38:39], v[42:43], v[20:21] neg_lo:[0,0,1] neg_hi:[0,0,1]
	v_pk_fma_f32 v[20:21], v[38:39], v[42:43], v[20:21] op_sel_hi:[1,0,1]
	v_pk_add_f32 v[18:19], v[18:19], v[60:61]
	v_mov_b32_e32 v23, v21
	v_pk_add_f32 v[18:19], v[18:19], v[22:23]
	s_waitcnt vmcnt(3) lgkmcnt(3)
	v_pk_mul_f32 v[20:21], v[4:5], v[44:45] op_sel:[1,1] op_sel_hi:[0,1]
	v_pk_fma_f32 v[22:23], v[4:5], v[44:45], v[20:21] neg_lo:[0,0,1] neg_hi:[0,0,1]
	v_pk_fma_f32 v[4:5], v[4:5], v[44:45], v[20:21] op_sel_hi:[1,0,1]
	s_nop 0
	v_mov_b32_e32 v23, v5
	v_pk_add_f32 v[4:5], v[18:19], v[22:23]
	v_mov_b32_e32 v18, v47
	v_pk_mul_f32 v[18:19], v[6:7], v[18:19] op_sel:[1,0] op_sel_hi:[0,0]
	v_pk_fma_f32 v[20:21], v[6:7], v[46:47], v[18:19] neg_lo:[0,0,1] neg_hi:[0,0,1]
	v_pk_fma_f32 v[6:7], v[6:7], v[46:47], v[18:19] op_sel_hi:[1,0,1]
	s_nop 0
	v_mov_b32_e32 v21, v7
	s_waitcnt vmcnt(2) lgkmcnt(2)
	v_pk_mul_f32 v[6:7], v[8:9], v[48:49] op_sel:[1,1] op_sel_hi:[0,1]
	v_pk_fma_f32 v[18:19], v[8:9], v[48:49], v[6:7] neg_lo:[0,0,1] neg_hi:[0,0,1]
	v_pk_fma_f32 v[6:7], v[8:9], v[48:49], v[6:7] op_sel_hi:[1,0,1]
	v_pk_add_f32 v[4:5], v[4:5], v[20:21]
	v_mov_b32_e32 v6, v51
	v_mov_b32_e32 v19, v7
	v_pk_mul_f32 v[6:7], v[10:11], v[6:7] op_sel:[1,0] op_sel_hi:[0,0]
	v_pk_fma_f32 v[8:9], v[10:11], v[50:51], v[6:7] neg_lo:[0,0,1] neg_hi:[0,0,1]
	v_pk_fma_f32 v[6:7], v[10:11], v[50:51], v[6:7] op_sel_hi:[1,0,1]
	v_pk_add_f32 v[4:5], v[4:5], v[18:19]
	v_mov_b32_e32 v9, v7
	s_waitcnt vmcnt(1) lgkmcnt(1)
	v_pk_mul_f32 v[6:7], v[12:13], v[52:53] op_sel:[1,1] op_sel_hi:[0,1]
	v_pk_add_f32 v[4:5], v[4:5], v[8:9]
	v_pk_fma_f32 v[8:9], v[12:13], v[52:53], v[6:7] neg_lo:[0,0,1] neg_hi:[0,0,1]
	v_pk_fma_f32 v[6:7], v[12:13], v[52:53], v[6:7] op_sel_hi:[1,0,1]
	s_nop 0
	v_mov_b32_e32 v6, v55
	v_mov_b32_e32 v9, v7
	v_pk_mul_f32 v[6:7], v[14:15], v[6:7] op_sel:[1,0] op_sel_hi:[0,0]
	v_pk_add_f32 v[4:5], v[4:5], v[8:9]
	v_pk_fma_f32 v[8:9], v[14:15], v[54:55], v[6:7] neg_lo:[0,0,1] neg_hi:[0,0,1]
	v_pk_fma_f32 v[6:7], v[14:15], v[54:55], v[6:7] op_sel_hi:[1,0,1]
	s_nop 0
	v_mov_b32_e32 v9, v7
	s_waitcnt vmcnt(0) lgkmcnt(0)
	v_pk_mul_f32 v[6:7], v[16:17], v[62:63] op_sel:[1,1] op_sel_hi:[0,1]
	v_pk_add_f32 v[4:5], v[4:5], v[8:9]
	v_pk_fma_f32 v[8:9], v[16:17], v[62:63], v[6:7] neg_lo:[0,0,1] neg_hi:[0,0,1]
	v_pk_fma_f32 v[6:7], v[16:17], v[62:63], v[6:7] op_sel_hi:[1,0,1]
	s_nop 0
	v_mov_b32_e32 v9, v7
	scratch_load_dwordx2 v[6:7], off, off offset:208
	v_pk_add_f32 v[4:5], v[4:5], v[8:9]
	s_waitcnt vmcnt(0)
	v_pk_add_f32 v[4:5], v[6:7], v[4:5] neg_lo:[0,1] neg_hi:[0,1]
	scratch_store_dwordx2 off, v[4:5], off offset:208
	s_and_saveexec_b64 s[0:1], vcc
	s_cbranch_execz .LBB107_227
; %bb.226:
	scratch_load_dwordx2 v[4:5], off, off offset:200
	v_mov_b32_e32 v3, v2
	scratch_store_dwordx2 off, v[2:3], off offset:200
	s_waitcnt vmcnt(1)
	ds_write_b64 v1, v[4:5]
.LBB107_227:
	s_or_b64 exec, exec, s[0:1]
	s_waitcnt lgkmcnt(0)
	; wave barrier
	ds_read_b128 v[4:7], v2 offset:560
	ds_read_b128 v[8:11], v2 offset:576
	;; [unrolled: 1-line block ×4, first 2 shown]
	scratch_load_dwordx4 v[20:23], off, off offset:208
	scratch_load_dwordx4 v[40:43], off, off offset:272
	v_cmp_lt_u32_e32 vcc, 24, v0
	s_waitcnt vmcnt(1) lgkmcnt(3)
	v_mul_f32_e32 v3, v4, v21
	v_fmac_f32_e32 v3, v5, v20
	v_mul_f32_e32 v24, v6, v23
	v_add_f32_e32 v3, 0, v3
	v_fmac_f32_e32 v24, v7, v22
	v_add_f32_e32 v3, v3, v24
	scratch_load_dwordx4 v[24:27], off, off offset:224
	s_waitcnt vmcnt(0) lgkmcnt(2)
	v_mul_f32_e32 v28, v8, v25
	v_fmac_f32_e32 v28, v9, v24
	v_add_f32_e32 v3, v3, v28
	v_mul_f32_e32 v28, v10, v27
	v_fmac_f32_e32 v28, v11, v26
	v_add_f32_e32 v3, v3, v28
	scratch_load_dwordx4 v[28:31], off, off offset:240
	s_waitcnt vmcnt(0) lgkmcnt(1)
	v_mul_f32_e32 v32, v12, v29
	v_fmac_f32_e32 v32, v13, v28
	v_add_f32_e32 v3, v3, v32
	v_mul_f32_e32 v32, v14, v31
	;; [unrolled: 8-line block ×3, first 2 shown]
	v_fmac_f32_e32 v36, v19, v34
	v_add_f32_e32 v61, v3, v36
	ds_read_b128 v[36:39], v2 offset:624
	scratch_load_dwordx4 v[44:47], off, off offset:288
	scratch_load_dwordx4 v[48:51], off, off offset:304
	;; [unrolled: 1-line block ×4, first 2 shown]
	v_mul_f32_e32 v3, v5, v21
	v_fma_f32 v3, v4, v20, -v3
	v_mul_f32_e32 v4, v7, v23
	v_add_f32_e32 v3, 0, v3
	v_fma_f32 v4, v6, v22, -v4
	v_add_f32_e32 v3, v3, v4
	v_mul_f32_e32 v4, v9, v25
	v_fma_f32 v4, v8, v24, -v4
	v_add_f32_e32 v3, v3, v4
	v_mul_f32_e32 v4, v11, v27
	;; [unrolled: 3-line block ×6, first 2 shown]
	v_fma_f32 v4, v18, v34, -v4
	v_add_f32_e32 v60, v3, v4
	ds_read_b128 v[4:7], v2 offset:640
	ds_read_b128 v[8:11], v2 offset:656
	;; [unrolled: 1-line block ×4, first 2 shown]
	s_waitcnt lgkmcnt(4)
	v_mul_f32_e32 v63, v36, v41
	v_mul_f32_e32 v3, v37, v41
	v_fmac_f32_e32 v63, v37, v40
	v_mul_f32_e32 v65, v38, v43
	v_fma_f32 v62, v36, v40, -v3
	v_mul_f32_e32 v3, v39, v43
	v_fmac_f32_e32 v65, v39, v42
	v_fma_f32 v64, v38, v42, -v3
	v_pk_add_f32 v[2:3], v[60:61], v[62:63]
	s_waitcnt vmcnt(3) lgkmcnt(3)
	v_pk_mul_f32 v[20:21], v[4:5], v[44:45] op_sel:[1,1] op_sel_hi:[0,1]
	v_pk_fma_f32 v[22:23], v[4:5], v[44:45], v[20:21] neg_lo:[0,0,1] neg_hi:[0,0,1]
	v_pk_fma_f32 v[4:5], v[4:5], v[44:45], v[20:21] op_sel_hi:[1,0,1]
	v_pk_add_f32 v[2:3], v[2:3], v[64:65]
	v_mov_b32_e32 v4, v47
	v_mov_b32_e32 v23, v5
	v_pk_mul_f32 v[4:5], v[6:7], v[4:5] op_sel:[1,0] op_sel_hi:[0,0]
	v_pk_fma_f32 v[20:21], v[6:7], v[46:47], v[4:5] neg_lo:[0,0,1] neg_hi:[0,0,1]
	v_pk_fma_f32 v[4:5], v[6:7], v[46:47], v[4:5] op_sel_hi:[1,0,1]
	v_pk_add_f32 v[2:3], v[2:3], v[22:23]
	v_mov_b32_e32 v21, v5
	s_waitcnt vmcnt(2) lgkmcnt(2)
	v_pk_mul_f32 v[4:5], v[8:9], v[48:49] op_sel:[1,1] op_sel_hi:[0,1]
	v_pk_fma_f32 v[6:7], v[8:9], v[48:49], v[4:5] neg_lo:[0,0,1] neg_hi:[0,0,1]
	v_pk_fma_f32 v[4:5], v[8:9], v[48:49], v[4:5] op_sel_hi:[1,0,1]
	v_pk_add_f32 v[2:3], v[2:3], v[20:21]
	v_mov_b32_e32 v4, v51
	v_mov_b32_e32 v7, v5
	v_pk_mul_f32 v[4:5], v[10:11], v[4:5] op_sel:[1,0] op_sel_hi:[0,0]
	v_pk_add_f32 v[2:3], v[2:3], v[6:7]
	v_pk_fma_f32 v[6:7], v[10:11], v[50:51], v[4:5] neg_lo:[0,0,1] neg_hi:[0,0,1]
	v_pk_fma_f32 v[4:5], v[10:11], v[50:51], v[4:5] op_sel_hi:[1,0,1]
	s_nop 0
	v_mov_b32_e32 v7, v5
	s_waitcnt vmcnt(1) lgkmcnt(1)
	v_pk_mul_f32 v[4:5], v[12:13], v[52:53] op_sel:[1,1] op_sel_hi:[0,1]
	v_pk_add_f32 v[2:3], v[2:3], v[6:7]
	v_pk_fma_f32 v[6:7], v[12:13], v[52:53], v[4:5] neg_lo:[0,0,1] neg_hi:[0,0,1]
	v_pk_fma_f32 v[4:5], v[12:13], v[52:53], v[4:5] op_sel_hi:[1,0,1]
	s_nop 0
	v_mov_b32_e32 v4, v55
	v_mov_b32_e32 v7, v5
	v_pk_mul_f32 v[4:5], v[14:15], v[4:5] op_sel:[1,0] op_sel_hi:[0,0]
	v_pk_add_f32 v[2:3], v[2:3], v[6:7]
	v_pk_fma_f32 v[6:7], v[14:15], v[54:55], v[4:5] neg_lo:[0,0,1] neg_hi:[0,0,1]
	v_pk_fma_f32 v[4:5], v[14:15], v[54:55], v[4:5] op_sel_hi:[1,0,1]
	s_nop 0
	v_mov_b32_e32 v7, v5
	s_waitcnt vmcnt(0) lgkmcnt(0)
	v_pk_mul_f32 v[4:5], v[16:17], v[56:57] op_sel:[1,1] op_sel_hi:[0,1]
	v_pk_add_f32 v[2:3], v[2:3], v[6:7]
	v_pk_fma_f32 v[6:7], v[16:17], v[56:57], v[4:5] neg_lo:[0,0,1] neg_hi:[0,0,1]
	v_pk_fma_f32 v[4:5], v[16:17], v[56:57], v[4:5] op_sel_hi:[1,0,1]
	s_nop 0
	v_mov_b32_e32 v4, v59
	v_mov_b32_e32 v7, v5
	v_pk_mul_f32 v[4:5], v[18:19], v[4:5] op_sel:[1,0] op_sel_hi:[0,0]
	v_pk_add_f32 v[2:3], v[2:3], v[6:7]
	v_pk_fma_f32 v[6:7], v[18:19], v[58:59], v[4:5] neg_lo:[0,0,1] neg_hi:[0,0,1]
	v_pk_fma_f32 v[4:5], v[18:19], v[58:59], v[4:5] op_sel_hi:[1,0,1]
	s_nop 0
	v_mov_b32_e32 v7, v5
	scratch_load_dwordx2 v[4:5], off, off offset:200
	v_pk_add_f32 v[2:3], v[2:3], v[6:7]
	s_waitcnt vmcnt(0)
	v_pk_add_f32 v[2:3], v[4:5], v[2:3] neg_lo:[0,1] neg_hi:[0,1]
	scratch_store_dwordx2 off, v[2:3], off offset:200
	s_and_saveexec_b64 s[0:1], vcc
	s_cbranch_execz .LBB107_229
; %bb.228:
	scratch_load_dwordx2 v[2:3], off, off offset:192
	v_mov_b32_e32 v4, 0
	v_mov_b32_e32 v5, v4
	scratch_store_dwordx2 off, v[4:5], off offset:192
	s_waitcnt vmcnt(1)
	ds_write_b64 v1, v[2:3]
.LBB107_229:
	s_or_b64 exec, exec, s[0:1]
	s_waitcnt lgkmcnt(0)
	; wave barrier
	scratch_load_dwordx4 v[8:11], off, off offset:200
	scratch_load_dwordx4 v[16:19], off, off offset:216
	;; [unrolled: 1-line block ×6, first 2 shown]
	v_mov_b32_e32 v2, 0
	ds_read2_b64 v[4:7], v2 offset0:69 offset1:70
	v_cmp_lt_u32_e32 vcc, 23, v0
	s_waitcnt vmcnt(5) lgkmcnt(0)
	v_mul_f32_e32 v3, v4, v9
	v_fmac_f32_e32 v3, v5, v8
	v_mul_f32_e32 v12, v6, v11
	v_add_f32_e32 v3, 0, v3
	v_fmac_f32_e32 v12, v7, v10
	v_add_f32_e32 v3, v3, v12
	ds_read2_b64 v[12:15], v2 offset0:71 offset1:72
	s_waitcnt vmcnt(4) lgkmcnt(0)
	v_mul_f32_e32 v20, v12, v17
	v_fmac_f32_e32 v20, v13, v16
	v_add_f32_e32 v3, v3, v20
	v_mul_f32_e32 v20, v14, v19
	v_fmac_f32_e32 v20, v15, v18
	v_add_f32_e32 v3, v3, v20
	ds_read2_b64 v[20:23], v2 offset0:73 offset1:74
	s_waitcnt vmcnt(3) lgkmcnt(0)
	v_mul_f32_e32 v28, v20, v25
	v_fmac_f32_e32 v28, v21, v24
	v_add_f32_e32 v3, v3, v28
	v_mul_f32_e32 v28, v22, v27
	;; [unrolled: 8-line block ×3, first 2 shown]
	v_fmac_f32_e32 v36, v31, v34
	v_add_f32_e32 v3, v3, v36
	ds_read2_b64 v[36:39], v2 offset0:77 offset1:78
	s_waitcnt vmcnt(1) lgkmcnt(0)
	v_mul_f32_e32 v44, v36, v41
	v_fmac_f32_e32 v44, v37, v40
	v_add_f32_e32 v65, v3, v44
	ds_read2_b64 v[44:47], v2 offset0:79 offset1:80
	scratch_load_dwordx4 v[52:55], off, off offset:296
	scratch_load_dwordx4 v[56:59], off, off offset:312
	;; [unrolled: 1-line block ×3, first 2 shown]
	scratch_load_dwordx2 v[70:71], off, off offset:344
	v_mul_f32_e32 v3, v5, v9
	v_fma_f32 v3, v4, v8, -v3
	v_mul_f32_e32 v4, v7, v11
	v_add_f32_e32 v3, 0, v3
	v_fma_f32 v4, v6, v10, -v4
	v_add_f32_e32 v3, v3, v4
	v_mul_f32_e32 v4, v13, v17
	v_fma_f32 v4, v12, v16, -v4
	v_add_f32_e32 v3, v3, v4
	v_mul_f32_e32 v4, v15, v19
	;; [unrolled: 3-line block ×7, first 2 shown]
	v_fma_f32 v4, v36, v40, -v4
	v_mul_f32_e32 v67, v38, v43
	v_add_f32_e32 v64, v3, v4
	v_mul_f32_e32 v3, v39, v43
	s_waitcnt vmcnt(4)
	v_mov_b32_e32 v20, v51
	v_fmac_f32_e32 v67, v39, v42
	s_waitcnt lgkmcnt(0)
	v_mul_f32_e32 v69, v44, v49
	v_fma_f32 v66, v38, v42, -v3
	v_mul_f32_e32 v3, v45, v49
	ds_read2_b64 v[4:7], v2 offset0:81 offset1:82
	ds_read2_b64 v[8:11], v2 offset0:83 offset1:84
	;; [unrolled: 1-line block ×3, first 2 shown]
	ds_read_b64 v[16:17], v2 offset:696
	v_pk_mul_f32 v[20:21], v[46:47], v[20:21] op_sel:[1,0] op_sel_hi:[0,0]
	v_fmac_f32_e32 v69, v45, v48
	v_fma_f32 v68, v44, v48, -v3
	v_pk_add_f32 v[18:19], v[64:65], v[66:67]
	v_pk_fma_f32 v[22:23], v[46:47], v[50:51], v[20:21] neg_lo:[0,0,1] neg_hi:[0,0,1]
	v_pk_fma_f32 v[20:21], v[46:47], v[50:51], v[20:21] op_sel_hi:[1,0,1]
	v_pk_add_f32 v[18:19], v[18:19], v[68:69]
	v_mov_b32_e32 v23, v21
	v_pk_add_f32 v[18:19], v[18:19], v[22:23]
	s_waitcnt vmcnt(3) lgkmcnt(3)
	v_pk_mul_f32 v[20:21], v[4:5], v[52:53] op_sel:[1,1] op_sel_hi:[0,1]
	v_pk_fma_f32 v[22:23], v[4:5], v[52:53], v[20:21] neg_lo:[0,0,1] neg_hi:[0,0,1]
	v_pk_fma_f32 v[4:5], v[4:5], v[52:53], v[20:21] op_sel_hi:[1,0,1]
	s_nop 0
	v_mov_b32_e32 v23, v5
	v_pk_add_f32 v[4:5], v[18:19], v[22:23]
	v_mov_b32_e32 v18, v55
	v_pk_mul_f32 v[18:19], v[6:7], v[18:19] op_sel:[1,0] op_sel_hi:[0,0]
	v_pk_fma_f32 v[20:21], v[6:7], v[54:55], v[18:19] neg_lo:[0,0,1] neg_hi:[0,0,1]
	v_pk_fma_f32 v[6:7], v[6:7], v[54:55], v[18:19] op_sel_hi:[1,0,1]
	s_nop 0
	v_mov_b32_e32 v21, v7
	s_waitcnt vmcnt(2) lgkmcnt(2)
	v_pk_mul_f32 v[6:7], v[8:9], v[56:57] op_sel:[1,1] op_sel_hi:[0,1]
	v_pk_fma_f32 v[18:19], v[8:9], v[56:57], v[6:7] neg_lo:[0,0,1] neg_hi:[0,0,1]
	v_pk_fma_f32 v[6:7], v[8:9], v[56:57], v[6:7] op_sel_hi:[1,0,1]
	v_pk_add_f32 v[4:5], v[4:5], v[20:21]
	v_mov_b32_e32 v6, v59
	v_mov_b32_e32 v19, v7
	v_pk_mul_f32 v[6:7], v[10:11], v[6:7] op_sel:[1,0] op_sel_hi:[0,0]
	v_pk_fma_f32 v[8:9], v[10:11], v[58:59], v[6:7] neg_lo:[0,0,1] neg_hi:[0,0,1]
	v_pk_fma_f32 v[6:7], v[10:11], v[58:59], v[6:7] op_sel_hi:[1,0,1]
	v_pk_add_f32 v[4:5], v[4:5], v[18:19]
	v_mov_b32_e32 v9, v7
	s_waitcnt vmcnt(1) lgkmcnt(1)
	v_pk_mul_f32 v[6:7], v[12:13], v[60:61] op_sel:[1,1] op_sel_hi:[0,1]
	v_pk_add_f32 v[4:5], v[4:5], v[8:9]
	v_pk_fma_f32 v[8:9], v[12:13], v[60:61], v[6:7] neg_lo:[0,0,1] neg_hi:[0,0,1]
	v_pk_fma_f32 v[6:7], v[12:13], v[60:61], v[6:7] op_sel_hi:[1,0,1]
	s_nop 0
	v_mov_b32_e32 v6, v63
	v_mov_b32_e32 v9, v7
	v_pk_mul_f32 v[6:7], v[14:15], v[6:7] op_sel:[1,0] op_sel_hi:[0,0]
	v_pk_add_f32 v[4:5], v[4:5], v[8:9]
	v_pk_fma_f32 v[8:9], v[14:15], v[62:63], v[6:7] neg_lo:[0,0,1] neg_hi:[0,0,1]
	v_pk_fma_f32 v[6:7], v[14:15], v[62:63], v[6:7] op_sel_hi:[1,0,1]
	s_nop 0
	v_mov_b32_e32 v9, v7
	s_waitcnt vmcnt(0) lgkmcnt(0)
	v_pk_mul_f32 v[6:7], v[16:17], v[70:71] op_sel:[1,1] op_sel_hi:[0,1]
	v_pk_add_f32 v[4:5], v[4:5], v[8:9]
	v_pk_fma_f32 v[8:9], v[16:17], v[70:71], v[6:7] neg_lo:[0,0,1] neg_hi:[0,0,1]
	v_pk_fma_f32 v[6:7], v[16:17], v[70:71], v[6:7] op_sel_hi:[1,0,1]
	s_nop 0
	v_mov_b32_e32 v9, v7
	scratch_load_dwordx2 v[6:7], off, off offset:192
	v_pk_add_f32 v[4:5], v[4:5], v[8:9]
	s_waitcnt vmcnt(0)
	v_pk_add_f32 v[4:5], v[6:7], v[4:5] neg_lo:[0,1] neg_hi:[0,1]
	scratch_store_dwordx2 off, v[4:5], off offset:192
	s_and_saveexec_b64 s[0:1], vcc
	s_cbranch_execz .LBB107_231
; %bb.230:
	scratch_load_dwordx2 v[4:5], off, off offset:184
	v_mov_b32_e32 v3, v2
	scratch_store_dwordx2 off, v[2:3], off offset:184
	s_waitcnt vmcnt(1)
	ds_write_b64 v1, v[4:5]
.LBB107_231:
	s_or_b64 exec, exec, s[0:1]
	s_waitcnt lgkmcnt(0)
	; wave barrier
	ds_read_b128 v[4:7], v2 offset:544
	ds_read_b128 v[8:11], v2 offset:560
	;; [unrolled: 1-line block ×4, first 2 shown]
	scratch_load_dwordx4 v[20:23], off, off offset:192
	scratch_load_dwordx4 v[40:43], off, off offset:256
	v_cmp_lt_u32_e32 vcc, 22, v0
	scratch_load_dwordx4 v[48:51], off, off offset:272
	s_waitcnt vmcnt(2) lgkmcnt(3)
	v_mul_f32_e32 v3, v4, v21
	v_fmac_f32_e32 v3, v5, v20
	v_mul_f32_e32 v24, v6, v23
	v_add_f32_e32 v3, 0, v3
	v_fmac_f32_e32 v24, v7, v22
	v_add_f32_e32 v3, v3, v24
	scratch_load_dwordx4 v[24:27], off, off offset:208
	s_waitcnt vmcnt(0) lgkmcnt(2)
	v_mul_f32_e32 v28, v8, v25
	v_fmac_f32_e32 v28, v9, v24
	v_add_f32_e32 v3, v3, v28
	v_mul_f32_e32 v28, v10, v27
	v_fmac_f32_e32 v28, v11, v26
	v_add_f32_e32 v3, v3, v28
	scratch_load_dwordx4 v[28:31], off, off offset:224
	s_waitcnt vmcnt(0) lgkmcnt(1)
	v_mul_f32_e32 v32, v12, v29
	v_fmac_f32_e32 v32, v13, v28
	v_add_f32_e32 v3, v3, v32
	v_mul_f32_e32 v32, v14, v31
	;; [unrolled: 8-line block ×3, first 2 shown]
	v_fmac_f32_e32 v36, v19, v34
	v_add_f32_e32 v3, v3, v36
	ds_read_b128 v[36:39], v2 offset:608
	s_waitcnt lgkmcnt(0)
	v_mul_f32_e32 v44, v36, v41
	v_fmac_f32_e32 v44, v37, v40
	v_add_f32_e32 v3, v3, v44
	v_mul_f32_e32 v44, v38, v43
	v_fmac_f32_e32 v44, v39, v42
	v_add_f32_e32 v69, v3, v44
	ds_read_b128 v[44:47], v2 offset:624
	scratch_load_dwordx4 v[52:55], off, off offset:288
	scratch_load_dwordx4 v[56:59], off, off offset:304
	;; [unrolled: 1-line block ×4, first 2 shown]
	v_mul_f32_e32 v3, v5, v21
	v_fma_f32 v3, v4, v20, -v3
	v_mul_f32_e32 v4, v7, v23
	v_add_f32_e32 v3, 0, v3
	v_fma_f32 v4, v6, v22, -v4
	v_add_f32_e32 v3, v3, v4
	v_mul_f32_e32 v4, v9, v25
	v_fma_f32 v4, v8, v24, -v4
	v_add_f32_e32 v3, v3, v4
	v_mul_f32_e32 v4, v11, v27
	;; [unrolled: 3-line block ×8, first 2 shown]
	v_fma_f32 v4, v38, v42, -v4
	v_add_f32_e32 v68, v3, v4
	ds_read_b128 v[4:7], v2 offset:640
	ds_read_b128 v[8:11], v2 offset:656
	;; [unrolled: 1-line block ×4, first 2 shown]
	s_waitcnt lgkmcnt(4)
	v_mul_f32_e32 v71, v44, v49
	v_mul_f32_e32 v3, v45, v49
	v_fmac_f32_e32 v71, v45, v48
	v_mul_f32_e32 v73, v46, v51
	v_fma_f32 v70, v44, v48, -v3
	v_mul_f32_e32 v3, v47, v51
	v_fmac_f32_e32 v73, v47, v50
	v_fma_f32 v72, v46, v50, -v3
	v_pk_add_f32 v[2:3], v[68:69], v[70:71]
	s_waitcnt vmcnt(3) lgkmcnt(3)
	v_pk_mul_f32 v[20:21], v[4:5], v[52:53] op_sel:[1,1] op_sel_hi:[0,1]
	v_pk_fma_f32 v[22:23], v[4:5], v[52:53], v[20:21] neg_lo:[0,0,1] neg_hi:[0,0,1]
	v_pk_fma_f32 v[4:5], v[4:5], v[52:53], v[20:21] op_sel_hi:[1,0,1]
	v_pk_add_f32 v[2:3], v[2:3], v[72:73]
	v_mov_b32_e32 v4, v55
	v_mov_b32_e32 v23, v5
	v_pk_mul_f32 v[4:5], v[6:7], v[4:5] op_sel:[1,0] op_sel_hi:[0,0]
	v_pk_fma_f32 v[20:21], v[6:7], v[54:55], v[4:5] neg_lo:[0,0,1] neg_hi:[0,0,1]
	v_pk_fma_f32 v[4:5], v[6:7], v[54:55], v[4:5] op_sel_hi:[1,0,1]
	v_pk_add_f32 v[2:3], v[2:3], v[22:23]
	v_mov_b32_e32 v21, v5
	s_waitcnt vmcnt(2) lgkmcnt(2)
	v_pk_mul_f32 v[4:5], v[8:9], v[56:57] op_sel:[1,1] op_sel_hi:[0,1]
	v_pk_fma_f32 v[6:7], v[8:9], v[56:57], v[4:5] neg_lo:[0,0,1] neg_hi:[0,0,1]
	v_pk_fma_f32 v[4:5], v[8:9], v[56:57], v[4:5] op_sel_hi:[1,0,1]
	v_pk_add_f32 v[2:3], v[2:3], v[20:21]
	v_mov_b32_e32 v4, v59
	v_mov_b32_e32 v7, v5
	v_pk_mul_f32 v[4:5], v[10:11], v[4:5] op_sel:[1,0] op_sel_hi:[0,0]
	v_pk_add_f32 v[2:3], v[2:3], v[6:7]
	v_pk_fma_f32 v[6:7], v[10:11], v[58:59], v[4:5] neg_lo:[0,0,1] neg_hi:[0,0,1]
	v_pk_fma_f32 v[4:5], v[10:11], v[58:59], v[4:5] op_sel_hi:[1,0,1]
	s_nop 0
	v_mov_b32_e32 v7, v5
	s_waitcnt vmcnt(1) lgkmcnt(1)
	v_pk_mul_f32 v[4:5], v[12:13], v[60:61] op_sel:[1,1] op_sel_hi:[0,1]
	v_pk_add_f32 v[2:3], v[2:3], v[6:7]
	v_pk_fma_f32 v[6:7], v[12:13], v[60:61], v[4:5] neg_lo:[0,0,1] neg_hi:[0,0,1]
	v_pk_fma_f32 v[4:5], v[12:13], v[60:61], v[4:5] op_sel_hi:[1,0,1]
	s_nop 0
	v_mov_b32_e32 v4, v63
	v_mov_b32_e32 v7, v5
	v_pk_mul_f32 v[4:5], v[14:15], v[4:5] op_sel:[1,0] op_sel_hi:[0,0]
	v_pk_add_f32 v[2:3], v[2:3], v[6:7]
	v_pk_fma_f32 v[6:7], v[14:15], v[62:63], v[4:5] neg_lo:[0,0,1] neg_hi:[0,0,1]
	v_pk_fma_f32 v[4:5], v[14:15], v[62:63], v[4:5] op_sel_hi:[1,0,1]
	s_nop 0
	v_mov_b32_e32 v7, v5
	s_waitcnt vmcnt(0) lgkmcnt(0)
	v_pk_mul_f32 v[4:5], v[16:17], v[64:65] op_sel:[1,1] op_sel_hi:[0,1]
	v_pk_add_f32 v[2:3], v[2:3], v[6:7]
	v_pk_fma_f32 v[6:7], v[16:17], v[64:65], v[4:5] neg_lo:[0,0,1] neg_hi:[0,0,1]
	v_pk_fma_f32 v[4:5], v[16:17], v[64:65], v[4:5] op_sel_hi:[1,0,1]
	s_nop 0
	v_mov_b32_e32 v4, v67
	v_mov_b32_e32 v7, v5
	v_pk_mul_f32 v[4:5], v[18:19], v[4:5] op_sel:[1,0] op_sel_hi:[0,0]
	v_pk_add_f32 v[2:3], v[2:3], v[6:7]
	v_pk_fma_f32 v[6:7], v[18:19], v[66:67], v[4:5] neg_lo:[0,0,1] neg_hi:[0,0,1]
	v_pk_fma_f32 v[4:5], v[18:19], v[66:67], v[4:5] op_sel_hi:[1,0,1]
	s_nop 0
	v_mov_b32_e32 v7, v5
	scratch_load_dwordx2 v[4:5], off, off offset:184
	v_pk_add_f32 v[2:3], v[2:3], v[6:7]
	s_waitcnt vmcnt(0)
	v_pk_add_f32 v[2:3], v[4:5], v[2:3] neg_lo:[0,1] neg_hi:[0,1]
	scratch_store_dwordx2 off, v[2:3], off offset:184
	s_and_saveexec_b64 s[0:1], vcc
	s_cbranch_execz .LBB107_233
; %bb.232:
	scratch_load_dwordx2 v[2:3], off, off offset:176
	v_mov_b32_e32 v4, 0
	v_mov_b32_e32 v5, v4
	scratch_store_dwordx2 off, v[4:5], off offset:176
	s_waitcnt vmcnt(1)
	ds_write_b64 v1, v[2:3]
.LBB107_233:
	s_or_b64 exec, exec, s[0:1]
	s_waitcnt lgkmcnt(0)
	; wave barrier
	scratch_load_dwordx4 v[8:11], off, off offset:184
	scratch_load_dwordx4 v[16:19], off, off offset:200
	;; [unrolled: 1-line block ×6, first 2 shown]
	v_mov_b32_e32 v2, 0
	ds_read2_b64 v[4:7], v2 offset0:67 offset1:68
	scratch_load_dwordx4 v[56:59], off, off offset:280
	v_cmp_lt_u32_e32 vcc, 21, v0
	s_waitcnt vmcnt(6) lgkmcnt(0)
	v_mul_f32_e32 v3, v4, v9
	v_fmac_f32_e32 v3, v5, v8
	v_mul_f32_e32 v12, v6, v11
	v_add_f32_e32 v3, 0, v3
	v_fmac_f32_e32 v12, v7, v10
	v_add_f32_e32 v3, v3, v12
	ds_read2_b64 v[12:15], v2 offset0:69 offset1:70
	s_waitcnt vmcnt(5) lgkmcnt(0)
	v_mul_f32_e32 v20, v12, v17
	v_fmac_f32_e32 v20, v13, v16
	v_add_f32_e32 v3, v3, v20
	v_mul_f32_e32 v20, v14, v19
	v_fmac_f32_e32 v20, v15, v18
	v_add_f32_e32 v3, v3, v20
	ds_read2_b64 v[20:23], v2 offset0:71 offset1:72
	s_waitcnt vmcnt(4) lgkmcnt(0)
	v_mul_f32_e32 v28, v20, v25
	v_fmac_f32_e32 v28, v21, v24
	v_add_f32_e32 v3, v3, v28
	v_mul_f32_e32 v28, v22, v27
	v_fmac_f32_e32 v28, v23, v26
	v_add_f32_e32 v3, v3, v28
	ds_read2_b64 v[28:31], v2 offset0:73 offset1:74
	s_waitcnt vmcnt(3) lgkmcnt(0)
	v_mul_f32_e32 v36, v28, v33
	v_fmac_f32_e32 v36, v29, v32
	v_add_f32_e32 v3, v3, v36
	v_mul_f32_e32 v36, v30, v35
	v_fmac_f32_e32 v36, v31, v34
	v_add_f32_e32 v3, v3, v36
	ds_read2_b64 v[36:39], v2 offset0:75 offset1:76
	s_waitcnt vmcnt(2) lgkmcnt(0)
	v_mul_f32_e32 v44, v36, v41
	v_fmac_f32_e32 v44, v37, v40
	v_add_f32_e32 v3, v3, v44
	v_mul_f32_e32 v44, v38, v43
	v_fmac_f32_e32 v44, v39, v42
	v_add_f32_e32 v3, v3, v44
	ds_read2_b64 v[44:47], v2 offset0:77 offset1:78
	s_waitcnt vmcnt(1) lgkmcnt(0)
	v_mul_f32_e32 v52, v44, v49
	v_fmac_f32_e32 v52, v45, v48
	v_add_f32_e32 v73, v3, v52
	ds_read2_b64 v[52:55], v2 offset0:79 offset1:80
	scratch_load_dwordx4 v[60:63], off, off offset:296
	scratch_load_dwordx4 v[64:67], off, off offset:312
	;; [unrolled: 1-line block ×3, first 2 shown]
	scratch_load_dwordx2 v[78:79], off, off offset:344
	v_mul_f32_e32 v3, v5, v9
	v_fma_f32 v3, v4, v8, -v3
	v_mul_f32_e32 v4, v7, v11
	v_add_f32_e32 v3, 0, v3
	v_fma_f32 v4, v6, v10, -v4
	v_add_f32_e32 v3, v3, v4
	v_mul_f32_e32 v4, v13, v17
	v_fma_f32 v4, v12, v16, -v4
	v_add_f32_e32 v3, v3, v4
	v_mul_f32_e32 v4, v15, v19
	;; [unrolled: 3-line block ×9, first 2 shown]
	v_fma_f32 v4, v44, v48, -v4
	v_mul_f32_e32 v75, v46, v51
	v_add_f32_e32 v72, v3, v4
	v_mul_f32_e32 v3, v47, v51
	s_waitcnt vmcnt(4)
	v_mov_b32_e32 v20, v59
	v_fmac_f32_e32 v75, v47, v50
	s_waitcnt lgkmcnt(0)
	v_mul_f32_e32 v77, v52, v57
	v_fma_f32 v74, v46, v50, -v3
	v_mul_f32_e32 v3, v53, v57
	ds_read2_b64 v[4:7], v2 offset0:81 offset1:82
	ds_read2_b64 v[8:11], v2 offset0:83 offset1:84
	;; [unrolled: 1-line block ×3, first 2 shown]
	ds_read_b64 v[16:17], v2 offset:696
	v_pk_mul_f32 v[20:21], v[54:55], v[20:21] op_sel:[1,0] op_sel_hi:[0,0]
	v_fmac_f32_e32 v77, v53, v56
	v_fma_f32 v76, v52, v56, -v3
	v_pk_add_f32 v[18:19], v[72:73], v[74:75]
	v_pk_fma_f32 v[22:23], v[54:55], v[58:59], v[20:21] neg_lo:[0,0,1] neg_hi:[0,0,1]
	v_pk_fma_f32 v[20:21], v[54:55], v[58:59], v[20:21] op_sel_hi:[1,0,1]
	v_pk_add_f32 v[18:19], v[18:19], v[76:77]
	v_mov_b32_e32 v23, v21
	v_pk_add_f32 v[18:19], v[18:19], v[22:23]
	s_waitcnt vmcnt(3) lgkmcnt(3)
	v_pk_mul_f32 v[20:21], v[4:5], v[60:61] op_sel:[1,1] op_sel_hi:[0,1]
	v_pk_fma_f32 v[22:23], v[4:5], v[60:61], v[20:21] neg_lo:[0,0,1] neg_hi:[0,0,1]
	v_pk_fma_f32 v[4:5], v[4:5], v[60:61], v[20:21] op_sel_hi:[1,0,1]
	s_nop 0
	v_mov_b32_e32 v23, v5
	v_pk_add_f32 v[4:5], v[18:19], v[22:23]
	v_mov_b32_e32 v18, v63
	v_pk_mul_f32 v[18:19], v[6:7], v[18:19] op_sel:[1,0] op_sel_hi:[0,0]
	v_pk_fma_f32 v[20:21], v[6:7], v[62:63], v[18:19] neg_lo:[0,0,1] neg_hi:[0,0,1]
	v_pk_fma_f32 v[6:7], v[6:7], v[62:63], v[18:19] op_sel_hi:[1,0,1]
	s_nop 0
	v_mov_b32_e32 v21, v7
	s_waitcnt vmcnt(2) lgkmcnt(2)
	v_pk_mul_f32 v[6:7], v[8:9], v[64:65] op_sel:[1,1] op_sel_hi:[0,1]
	v_pk_fma_f32 v[18:19], v[8:9], v[64:65], v[6:7] neg_lo:[0,0,1] neg_hi:[0,0,1]
	v_pk_fma_f32 v[6:7], v[8:9], v[64:65], v[6:7] op_sel_hi:[1,0,1]
	v_pk_add_f32 v[4:5], v[4:5], v[20:21]
	v_mov_b32_e32 v6, v67
	v_mov_b32_e32 v19, v7
	v_pk_mul_f32 v[6:7], v[10:11], v[6:7] op_sel:[1,0] op_sel_hi:[0,0]
	v_pk_fma_f32 v[8:9], v[10:11], v[66:67], v[6:7] neg_lo:[0,0,1] neg_hi:[0,0,1]
	v_pk_fma_f32 v[6:7], v[10:11], v[66:67], v[6:7] op_sel_hi:[1,0,1]
	v_pk_add_f32 v[4:5], v[4:5], v[18:19]
	v_mov_b32_e32 v9, v7
	s_waitcnt vmcnt(1) lgkmcnt(1)
	v_pk_mul_f32 v[6:7], v[12:13], v[68:69] op_sel:[1,1] op_sel_hi:[0,1]
	v_pk_add_f32 v[4:5], v[4:5], v[8:9]
	v_pk_fma_f32 v[8:9], v[12:13], v[68:69], v[6:7] neg_lo:[0,0,1] neg_hi:[0,0,1]
	v_pk_fma_f32 v[6:7], v[12:13], v[68:69], v[6:7] op_sel_hi:[1,0,1]
	s_nop 0
	v_mov_b32_e32 v6, v71
	v_mov_b32_e32 v9, v7
	v_pk_mul_f32 v[6:7], v[14:15], v[6:7] op_sel:[1,0] op_sel_hi:[0,0]
	v_pk_add_f32 v[4:5], v[4:5], v[8:9]
	v_pk_fma_f32 v[8:9], v[14:15], v[70:71], v[6:7] neg_lo:[0,0,1] neg_hi:[0,0,1]
	v_pk_fma_f32 v[6:7], v[14:15], v[70:71], v[6:7] op_sel_hi:[1,0,1]
	s_nop 0
	v_mov_b32_e32 v9, v7
	s_waitcnt vmcnt(0) lgkmcnt(0)
	v_pk_mul_f32 v[6:7], v[16:17], v[78:79] op_sel:[1,1] op_sel_hi:[0,1]
	v_pk_add_f32 v[4:5], v[4:5], v[8:9]
	v_pk_fma_f32 v[8:9], v[16:17], v[78:79], v[6:7] neg_lo:[0,0,1] neg_hi:[0,0,1]
	v_pk_fma_f32 v[6:7], v[16:17], v[78:79], v[6:7] op_sel_hi:[1,0,1]
	s_nop 0
	v_mov_b32_e32 v9, v7
	scratch_load_dwordx2 v[6:7], off, off offset:176
	v_pk_add_f32 v[4:5], v[4:5], v[8:9]
	s_waitcnt vmcnt(0)
	v_pk_add_f32 v[4:5], v[6:7], v[4:5] neg_lo:[0,1] neg_hi:[0,1]
	scratch_store_dwordx2 off, v[4:5], off offset:176
	s_and_saveexec_b64 s[0:1], vcc
	s_cbranch_execz .LBB107_235
; %bb.234:
	scratch_load_dwordx2 v[4:5], off, off offset:168
	v_mov_b32_e32 v3, v2
	scratch_store_dwordx2 off, v[2:3], off offset:168
	s_waitcnt vmcnt(1)
	ds_write_b64 v1, v[4:5]
.LBB107_235:
	s_or_b64 exec, exec, s[0:1]
	s_waitcnt lgkmcnt(0)
	; wave barrier
	ds_read_b128 v[4:7], v2 offset:528
	ds_read_b128 v[8:11], v2 offset:544
	;; [unrolled: 1-line block ×4, first 2 shown]
	scratch_load_dwordx4 v[20:23], off, off offset:176
	scratch_load_dwordx4 v[40:43], off, off offset:240
	v_cmp_lt_u32_e32 vcc, 20, v0
	scratch_load_dwordx4 v[48:51], off, off offset:256
	scratch_load_dwordx4 v[56:59], off, off offset:272
	s_waitcnt vmcnt(3) lgkmcnt(3)
	v_mul_f32_e32 v3, v4, v21
	v_fmac_f32_e32 v3, v5, v20
	v_mul_f32_e32 v24, v6, v23
	v_add_f32_e32 v3, 0, v3
	v_fmac_f32_e32 v24, v7, v22
	v_add_f32_e32 v3, v3, v24
	scratch_load_dwordx4 v[24:27], off, off offset:192
	s_waitcnt vmcnt(0) lgkmcnt(2)
	v_mul_f32_e32 v28, v8, v25
	v_fmac_f32_e32 v28, v9, v24
	v_add_f32_e32 v3, v3, v28
	v_mul_f32_e32 v28, v10, v27
	v_fmac_f32_e32 v28, v11, v26
	v_add_f32_e32 v3, v3, v28
	scratch_load_dwordx4 v[28:31], off, off offset:208
	s_waitcnt vmcnt(0) lgkmcnt(1)
	v_mul_f32_e32 v32, v12, v29
	v_fmac_f32_e32 v32, v13, v28
	v_add_f32_e32 v3, v3, v32
	v_mul_f32_e32 v32, v14, v31
	;; [unrolled: 8-line block ×3, first 2 shown]
	v_fmac_f32_e32 v36, v19, v34
	v_add_f32_e32 v3, v3, v36
	ds_read_b128 v[36:39], v2 offset:592
	s_waitcnt lgkmcnt(0)
	v_mul_f32_e32 v44, v36, v41
	v_fmac_f32_e32 v44, v37, v40
	v_add_f32_e32 v3, v3, v44
	v_mul_f32_e32 v44, v38, v43
	v_fmac_f32_e32 v44, v39, v42
	v_add_f32_e32 v3, v3, v44
	ds_read_b128 v[44:47], v2 offset:608
	s_waitcnt lgkmcnt(0)
	v_mul_f32_e32 v52, v44, v49
	v_fmac_f32_e32 v52, v45, v48
	v_add_f32_e32 v3, v3, v52
	v_mul_f32_e32 v52, v46, v51
	v_fmac_f32_e32 v52, v47, v50
	v_add_f32_e32 v77, v3, v52
	ds_read_b128 v[52:55], v2 offset:624
	scratch_load_dwordx4 v[60:63], off, off offset:288
	scratch_load_dwordx4 v[64:67], off, off offset:304
	;; [unrolled: 1-line block ×4, first 2 shown]
	v_mul_f32_e32 v3, v5, v21
	v_fma_f32 v3, v4, v20, -v3
	v_mul_f32_e32 v4, v7, v23
	v_add_f32_e32 v3, 0, v3
	v_fma_f32 v4, v6, v22, -v4
	v_add_f32_e32 v3, v3, v4
	v_mul_f32_e32 v4, v9, v25
	v_fma_f32 v4, v8, v24, -v4
	v_add_f32_e32 v3, v3, v4
	v_mul_f32_e32 v4, v11, v27
	;; [unrolled: 3-line block ×10, first 2 shown]
	v_fma_f32 v4, v46, v50, -v4
	v_add_f32_e32 v76, v3, v4
	ds_read_b128 v[4:7], v2 offset:640
	ds_read_b128 v[8:11], v2 offset:656
	ds_read_b128 v[12:15], v2 offset:672
	ds_read_b128 v[16:19], v2 offset:688
	s_waitcnt lgkmcnt(4)
	v_mul_f32_e32 v79, v52, v57
	v_mul_f32_e32 v3, v53, v57
	v_fmac_f32_e32 v79, v53, v56
	v_mul_f32_e32 v81, v54, v59
	v_fma_f32 v78, v52, v56, -v3
	v_mul_f32_e32 v3, v55, v59
	v_fmac_f32_e32 v81, v55, v58
	v_fma_f32 v80, v54, v58, -v3
	v_pk_add_f32 v[2:3], v[76:77], v[78:79]
	s_waitcnt vmcnt(3) lgkmcnt(3)
	v_pk_mul_f32 v[20:21], v[4:5], v[60:61] op_sel:[1,1] op_sel_hi:[0,1]
	v_pk_fma_f32 v[22:23], v[4:5], v[60:61], v[20:21] neg_lo:[0,0,1] neg_hi:[0,0,1]
	v_pk_fma_f32 v[4:5], v[4:5], v[60:61], v[20:21] op_sel_hi:[1,0,1]
	v_pk_add_f32 v[2:3], v[2:3], v[80:81]
	v_mov_b32_e32 v4, v63
	v_mov_b32_e32 v23, v5
	v_pk_mul_f32 v[4:5], v[6:7], v[4:5] op_sel:[1,0] op_sel_hi:[0,0]
	v_pk_fma_f32 v[20:21], v[6:7], v[62:63], v[4:5] neg_lo:[0,0,1] neg_hi:[0,0,1]
	v_pk_fma_f32 v[4:5], v[6:7], v[62:63], v[4:5] op_sel_hi:[1,0,1]
	v_pk_add_f32 v[2:3], v[2:3], v[22:23]
	v_mov_b32_e32 v21, v5
	s_waitcnt vmcnt(2) lgkmcnt(2)
	v_pk_mul_f32 v[4:5], v[8:9], v[64:65] op_sel:[1,1] op_sel_hi:[0,1]
	v_pk_fma_f32 v[6:7], v[8:9], v[64:65], v[4:5] neg_lo:[0,0,1] neg_hi:[0,0,1]
	v_pk_fma_f32 v[4:5], v[8:9], v[64:65], v[4:5] op_sel_hi:[1,0,1]
	v_pk_add_f32 v[2:3], v[2:3], v[20:21]
	v_mov_b32_e32 v4, v67
	v_mov_b32_e32 v7, v5
	v_pk_mul_f32 v[4:5], v[10:11], v[4:5] op_sel:[1,0] op_sel_hi:[0,0]
	v_pk_add_f32 v[2:3], v[2:3], v[6:7]
	v_pk_fma_f32 v[6:7], v[10:11], v[66:67], v[4:5] neg_lo:[0,0,1] neg_hi:[0,0,1]
	v_pk_fma_f32 v[4:5], v[10:11], v[66:67], v[4:5] op_sel_hi:[1,0,1]
	s_nop 0
	v_mov_b32_e32 v7, v5
	s_waitcnt vmcnt(1) lgkmcnt(1)
	v_pk_mul_f32 v[4:5], v[12:13], v[68:69] op_sel:[1,1] op_sel_hi:[0,1]
	v_pk_add_f32 v[2:3], v[2:3], v[6:7]
	v_pk_fma_f32 v[6:7], v[12:13], v[68:69], v[4:5] neg_lo:[0,0,1] neg_hi:[0,0,1]
	v_pk_fma_f32 v[4:5], v[12:13], v[68:69], v[4:5] op_sel_hi:[1,0,1]
	s_nop 0
	v_mov_b32_e32 v4, v71
	v_mov_b32_e32 v7, v5
	v_pk_mul_f32 v[4:5], v[14:15], v[4:5] op_sel:[1,0] op_sel_hi:[0,0]
	v_pk_add_f32 v[2:3], v[2:3], v[6:7]
	v_pk_fma_f32 v[6:7], v[14:15], v[70:71], v[4:5] neg_lo:[0,0,1] neg_hi:[0,0,1]
	v_pk_fma_f32 v[4:5], v[14:15], v[70:71], v[4:5] op_sel_hi:[1,0,1]
	s_nop 0
	v_mov_b32_e32 v7, v5
	s_waitcnt vmcnt(0) lgkmcnt(0)
	v_pk_mul_f32 v[4:5], v[16:17], v[72:73] op_sel:[1,1] op_sel_hi:[0,1]
	v_pk_add_f32 v[2:3], v[2:3], v[6:7]
	v_pk_fma_f32 v[6:7], v[16:17], v[72:73], v[4:5] neg_lo:[0,0,1] neg_hi:[0,0,1]
	v_pk_fma_f32 v[4:5], v[16:17], v[72:73], v[4:5] op_sel_hi:[1,0,1]
	s_nop 0
	v_mov_b32_e32 v4, v75
	v_mov_b32_e32 v7, v5
	v_pk_mul_f32 v[4:5], v[18:19], v[4:5] op_sel:[1,0] op_sel_hi:[0,0]
	v_pk_add_f32 v[2:3], v[2:3], v[6:7]
	v_pk_fma_f32 v[6:7], v[18:19], v[74:75], v[4:5] neg_lo:[0,0,1] neg_hi:[0,0,1]
	v_pk_fma_f32 v[4:5], v[18:19], v[74:75], v[4:5] op_sel_hi:[1,0,1]
	s_nop 0
	v_mov_b32_e32 v7, v5
	scratch_load_dwordx2 v[4:5], off, off offset:168
	v_pk_add_f32 v[2:3], v[2:3], v[6:7]
	s_waitcnt vmcnt(0)
	v_pk_add_f32 v[2:3], v[4:5], v[2:3] neg_lo:[0,1] neg_hi:[0,1]
	scratch_store_dwordx2 off, v[2:3], off offset:168
	s_and_saveexec_b64 s[0:1], vcc
	s_cbranch_execz .LBB107_237
; %bb.236:
	scratch_load_dwordx2 v[2:3], off, off offset:160
	v_mov_b32_e32 v4, 0
	v_mov_b32_e32 v5, v4
	scratch_store_dwordx2 off, v[4:5], off offset:160
	s_waitcnt vmcnt(1)
	ds_write_b64 v1, v[2:3]
.LBB107_237:
	s_or_b64 exec, exec, s[0:1]
	s_waitcnt lgkmcnt(0)
	; wave barrier
	scratch_load_dwordx4 v[2:5], off, off offset:168
	scratch_load_dwordx4 v[14:17], off, off offset:184
	;; [unrolled: 1-line block ×11, first 2 shown]
	scratch_load_dwordx2 v[22:23], off, off offset:344
	scratch_load_dwordx2 v[36:37], off, off offset:160
	v_mov_b32_e32 v38, 0
	ds_read2_b64 v[52:55], v38 offset0:65 offset1:66
	ds_read2_b64 v[56:59], v38 offset0:67 offset1:68
	ds_read2_b64 v[60:63], v38 offset0:69 offset1:70
	ds_read2_b64 v[64:67], v38 offset0:71 offset1:72
	ds_read2_b64 v[68:71], v38 offset0:73 offset1:74
	ds_read2_b64 v[72:75], v38 offset0:75 offset1:76
	ds_read2_b64 v[76:79], v38 offset0:77 offset1:78
	ds_read2_b64 v[80:83], v38 offset0:79 offset1:80
	v_cmp_lt_u32_e32 vcc, 19, v0
	s_waitcnt vmcnt(12) lgkmcnt(7)
	v_mul_f32_e32 v39, v52, v3
	v_mul_f32_e32 v84, v54, v5
	;; [unrolled: 1-line block ×3, first 2 shown]
	v_fmac_f32_e32 v39, v53, v2
	s_waitcnt vmcnt(8) lgkmcnt(3)
	v_mul_f32_e32 v93, v68, v19
	v_mul_f32_e32 v19, v69, v19
	;; [unrolled: 1-line block ×4, first 2 shown]
	v_fmac_f32_e32 v84, v55, v4
	v_fmac_f32_e32 v93, v69, v18
	v_fma_f32 v2, v52, v2, -v3
	v_fma_f32 v18, v68, v18, -v19
	v_add_f32_e32 v19, 0, v39
	v_mul_f32_e32 v88, v58, v17
	v_fmac_f32_e32 v86, v57, v14
	v_fma_f32 v3, v54, v4, -v5
	v_add_f32_e32 v2, 0, v2
	v_add_f32_e32 v19, v19, v84
	v_mul_f32_e32 v89, v60, v25
	v_fmac_f32_e32 v88, v59, v16
	v_add_f32_e32 v2, v2, v3
	v_add_f32_e32 v3, v19, v86
	v_mul_f32_e32 v90, v62, v27
	v_fmac_f32_e32 v89, v61, v24
	v_add_f32_e32 v3, v3, v88
	v_mul_f32_e32 v91, v64, v29
	v_mul_f32_e32 v15, v57, v15
	v_fmac_f32_e32 v90, v63, v26
	v_add_f32_e32 v3, v3, v89
	v_mul_f32_e32 v92, v66, v31
	v_mul_f32_e32 v17, v59, v17
	v_fmac_f32_e32 v91, v65, v28
	v_fma_f32 v4, v56, v14, -v15
	v_add_f32_e32 v3, v3, v90
	v_mul_f32_e32 v25, v61, v25
	v_fmac_f32_e32 v92, v67, v30
	v_fma_f32 v5, v58, v16, -v17
	v_add_f32_e32 v2, v2, v4
	v_add_f32_e32 v3, v3, v91
	v_mul_f32_e32 v94, v70, v21
	v_mul_f32_e32 v27, v63, v27
	v_fma_f32 v14, v60, v24, -v25
	v_add_f32_e32 v2, v2, v5
	v_add_f32_e32 v3, v3, v92
	s_waitcnt vmcnt(7) lgkmcnt(2)
	v_mul_f32_e32 v95, v72, v33
	v_mul_f32_e32 v29, v65, v29
	v_fmac_f32_e32 v94, v71, v20
	v_fma_f32 v15, v62, v26, -v27
	v_add_f32_e32 v2, v2, v14
	v_add_f32_e32 v3, v3, v93
	v_mul_f32_e32 v96, v74, v35
	v_mul_f32_e32 v31, v67, v31
	v_fmac_f32_e32 v95, v73, v32
	v_fma_f32 v16, v64, v28, -v29
	v_add_f32_e32 v2, v2, v15
	v_add_f32_e32 v3, v3, v94
	s_waitcnt vmcnt(6) lgkmcnt(1)
	v_mul_f32_e32 v97, v76, v41
	v_fmac_f32_e32 v96, v75, v34
	v_fma_f32 v17, v66, v30, -v31
	v_add_f32_e32 v2, v2, v16
	v_add_f32_e32 v3, v3, v95
	v_mul_f32_e32 v21, v71, v21
	v_fmac_f32_e32 v97, v77, v40
	v_add_f32_e32 v2, v2, v17
	v_add_f32_e32 v3, v3, v96
	;; [unrolled: 1-line block ×4, first 2 shown]
	v_fma_f32 v3, v70, v20, -v21
	v_add_f32_e32 v2, v2, v3
	v_mul_f32_e32 v3, v73, v33
	v_fma_f32 v3, v72, v32, -v3
	v_add_f32_e32 v2, v2, v3
	v_mul_f32_e32 v3, v75, v35
	;; [unrolled: 3-line block ×4, first 2 shown]
	v_mul_f32_e32 v85, v78, v43
	v_fma_f32 v84, v78, v42, -v2
	s_waitcnt vmcnt(5) lgkmcnt(0)
	v_mul_f32_e32 v2, v81, v45
	v_mov_b32_e32 v28, v47
	v_mul_f32_e32 v87, v80, v45
	v_fmac_f32_e32 v85, v79, v42
	v_fma_f32 v86, v80, v44, -v2
	ds_read2_b64 v[2:5], v38 offset0:81 offset1:82
	ds_read2_b64 v[14:17], v38 offset0:83 offset1:84
	ds_read2_b64 v[18:21], v38 offset0:85 offset1:86
	ds_read_b64 v[26:27], v38 offset:696
	v_pk_mul_f32 v[28:29], v[82:83], v[28:29] op_sel:[1,0] op_sel_hi:[0,0]
	v_fmac_f32_e32 v87, v81, v44
	v_pk_add_f32 v[24:25], v[24:25], v[84:85]
	v_pk_fma_f32 v[30:31], v[82:83], v[46:47], v[28:29] neg_lo:[0,0,1] neg_hi:[0,0,1]
	v_pk_fma_f32 v[28:29], v[82:83], v[46:47], v[28:29] op_sel_hi:[1,0,1]
	v_pk_add_f32 v[24:25], v[24:25], v[86:87]
	v_mov_b32_e32 v31, v29
	s_waitcnt vmcnt(4) lgkmcnt(3)
	v_pk_mul_f32 v[28:29], v[2:3], v[48:49] op_sel:[1,1] op_sel_hi:[0,1]
	v_pk_add_f32 v[24:25], v[24:25], v[30:31]
	v_pk_fma_f32 v[30:31], v[2:3], v[48:49], v[28:29] neg_lo:[0,0,1] neg_hi:[0,0,1]
	v_pk_fma_f32 v[2:3], v[2:3], v[48:49], v[28:29] op_sel_hi:[1,0,1]
	s_nop 0
	v_mov_b32_e32 v31, v3
	v_pk_add_f32 v[2:3], v[24:25], v[30:31]
	v_mov_b32_e32 v24, v51
	v_pk_mul_f32 v[24:25], v[4:5], v[24:25] op_sel:[1,0] op_sel_hi:[0,0]
	v_pk_fma_f32 v[28:29], v[4:5], v[50:51], v[24:25] neg_lo:[0,0,1] neg_hi:[0,0,1]
	v_pk_fma_f32 v[4:5], v[4:5], v[50:51], v[24:25] op_sel_hi:[1,0,1]
	s_nop 0
	v_mov_b32_e32 v29, v5
	s_waitcnt vmcnt(3) lgkmcnt(2)
	v_pk_mul_f32 v[4:5], v[14:15], v[10:11] op_sel:[1,1] op_sel_hi:[0,1]
	v_pk_fma_f32 v[24:25], v[14:15], v[10:11], v[4:5] neg_lo:[0,0,1] neg_hi:[0,0,1]
	v_pk_fma_f32 v[4:5], v[14:15], v[10:11], v[4:5] op_sel_hi:[1,0,1]
	v_pk_add_f32 v[2:3], v[2:3], v[28:29]
	v_mov_b32_e32 v4, v13
	v_mov_b32_e32 v25, v5
	v_pk_mul_f32 v[4:5], v[16:17], v[4:5] op_sel:[1,0] op_sel_hi:[0,0]
	v_pk_fma_f32 v[10:11], v[16:17], v[12:13], v[4:5] neg_lo:[0,0,1] neg_hi:[0,0,1]
	v_pk_fma_f32 v[4:5], v[16:17], v[12:13], v[4:5] op_sel_hi:[1,0,1]
	v_pk_add_f32 v[2:3], v[2:3], v[24:25]
	v_mov_b32_e32 v11, v5
	s_waitcnt vmcnt(2) lgkmcnt(1)
	v_pk_mul_f32 v[4:5], v[18:19], v[6:7] op_sel:[1,1] op_sel_hi:[0,1]
	v_pk_add_f32 v[2:3], v[2:3], v[10:11]
	v_pk_fma_f32 v[10:11], v[18:19], v[6:7], v[4:5] neg_lo:[0,0,1] neg_hi:[0,0,1]
	v_pk_fma_f32 v[4:5], v[18:19], v[6:7], v[4:5] op_sel_hi:[1,0,1]
	s_nop 0
	v_mov_b32_e32 v4, v9
	v_mov_b32_e32 v11, v5
	v_pk_mul_f32 v[4:5], v[20:21], v[4:5] op_sel:[1,0] op_sel_hi:[0,0]
	v_pk_fma_f32 v[6:7], v[20:21], v[8:9], v[4:5] neg_lo:[0,0,1] neg_hi:[0,0,1]
	v_pk_fma_f32 v[4:5], v[20:21], v[8:9], v[4:5] op_sel_hi:[1,0,1]
	v_pk_add_f32 v[2:3], v[2:3], v[10:11]
	v_mov_b32_e32 v7, v5
	s_waitcnt vmcnt(1) lgkmcnt(0)
	v_pk_mul_f32 v[4:5], v[26:27], v[22:23] op_sel:[1,1] op_sel_hi:[0,1]
	v_pk_add_f32 v[2:3], v[2:3], v[6:7]
	v_pk_fma_f32 v[6:7], v[26:27], v[22:23], v[4:5] neg_lo:[0,0,1] neg_hi:[0,0,1]
	v_pk_fma_f32 v[4:5], v[26:27], v[22:23], v[4:5] op_sel_hi:[1,0,1]
	s_nop 0
	v_mov_b32_e32 v7, v5
	v_pk_add_f32 v[2:3], v[2:3], v[6:7]
	s_waitcnt vmcnt(0)
	v_pk_add_f32 v[2:3], v[36:37], v[2:3] neg_lo:[0,1] neg_hi:[0,1]
	scratch_store_dwordx2 off, v[2:3], off offset:160
	s_and_saveexec_b64 s[0:1], vcc
	s_cbranch_execz .LBB107_239
; %bb.238:
	scratch_load_dwordx2 v[2:3], off, off offset:152
	v_mov_b32_e32 v39, v38
	scratch_store_dwordx2 off, v[38:39], off offset:152
	s_waitcnt vmcnt(1)
	ds_write_b64 v1, v[2:3]
.LBB107_239:
	s_or_b64 exec, exec, s[0:1]
	s_waitcnt lgkmcnt(0)
	; wave barrier
	scratch_load_dwordx4 v[6:9], off, off offset:160
	scratch_load_dwordx4 v[18:21], off, off offset:176
	;; [unrolled: 1-line block ×8, first 2 shown]
	ds_read_b128 v[48:51], v38 offset:512
	ds_read_b128 v[52:55], v38 offset:528
	;; [unrolled: 1-line block ×8, first 2 shown]
	scratch_load_dwordx4 v[80:83], off, off offset:288
	scratch_load_dwordx4 v[26:29], off, off offset:304
	;; [unrolled: 1-line block ×4, first 2 shown]
	scratch_load_dwordx2 v[84:85], off, off offset:152
	v_cmp_lt_u32_e32 vcc, 18, v0
	s_waitcnt vmcnt(12) lgkmcnt(7)
	v_mul_f32_e32 v39, v48, v7
	v_mul_f32_e32 v86, v50, v9
	;; [unrolled: 1-line block ×3, first 2 shown]
	v_fmac_f32_e32 v39, v49, v6
	s_waitcnt vmcnt(8) lgkmcnt(3)
	v_mul_f32_e32 v95, v64, v15
	v_mul_f32_e32 v15, v65, v15
	;; [unrolled: 1-line block ×4, first 2 shown]
	v_fmac_f32_e32 v86, v51, v8
	v_fmac_f32_e32 v95, v65, v14
	v_fma_f32 v6, v48, v6, -v7
	v_fma_f32 v14, v64, v14, -v15
	v_add_f32_e32 v15, 0, v39
	v_mul_f32_e32 v90, v54, v21
	v_fmac_f32_e32 v88, v53, v18
	v_fma_f32 v7, v50, v8, -v9
	v_add_f32_e32 v6, 0, v6
	v_add_f32_e32 v15, v15, v86
	v_mul_f32_e32 v91, v56, v35
	v_fmac_f32_e32 v90, v55, v20
	v_add_f32_e32 v6, v6, v7
	v_add_f32_e32 v7, v15, v88
	v_mul_f32_e32 v92, v58, v37
	v_fmac_f32_e32 v91, v57, v34
	v_add_f32_e32 v7, v7, v90
	v_mul_f32_e32 v93, v60, v41
	v_fmac_f32_e32 v92, v59, v36
	;; [unrolled: 3-line block ×4, first 2 shown]
	v_add_f32_e32 v7, v7, v93
	v_mul_f32_e32 v96, v66, v17
	v_mul_f32_e32 v21, v55, v21
	v_fma_f32 v8, v52, v18, -v19
	v_add_f32_e32 v7, v7, v94
	s_waitcnt vmcnt(7) lgkmcnt(2)
	v_mul_f32_e32 v97, v68, v23
	v_mul_f32_e32 v35, v57, v35
	v_fmac_f32_e32 v96, v67, v16
	v_fma_f32 v9, v54, v20, -v21
	v_add_f32_e32 v6, v6, v8
	v_add_f32_e32 v7, v7, v95
	v_mul_f32_e32 v98, v70, v25
	v_mul_f32_e32 v37, v59, v37
	v_fmac_f32_e32 v97, v69, v22
	v_fma_f32 v18, v56, v34, -v35
	v_add_f32_e32 v6, v6, v9
	v_add_f32_e32 v7, v7, v96
	s_waitcnt vmcnt(6) lgkmcnt(1)
	v_mul_f32_e32 v99, v72, v31
	v_mul_f32_e32 v41, v61, v41
	v_fmac_f32_e32 v98, v71, v24
	v_fma_f32 v19, v58, v36, -v37
	v_add_f32_e32 v6, v6, v18
	v_add_f32_e32 v7, v7, v97
	v_mul_f32_e32 v100, v74, v33
	v_mul_f32_e32 v43, v63, v43
	v_fmac_f32_e32 v99, v73, v30
	v_fma_f32 v20, v60, v40, -v41
	v_add_f32_e32 v6, v6, v19
	v_add_f32_e32 v7, v7, v98
	v_fmac_f32_e32 v100, v75, v32
	v_fma_f32 v21, v62, v42, -v43
	v_add_f32_e32 v6, v6, v20
	v_add_f32_e32 v7, v7, v99
	;; [unrolled: 1-line block ×4, first 2 shown]
	v_mul_f32_e32 v7, v67, v17
	v_add_f32_e32 v6, v6, v14
	v_fma_f32 v7, v66, v16, -v7
	v_add_f32_e32 v6, v6, v7
	v_mul_f32_e32 v7, v69, v23
	v_fma_f32 v7, v68, v22, -v7
	v_add_f32_e32 v6, v6, v7
	v_mul_f32_e32 v7, v71, v25
	;; [unrolled: 3-line block ×4, first 2 shown]
	v_fma_f32 v7, v74, v32, -v7
	v_add_f32_e32 v34, v6, v7
	s_waitcnt vmcnt(5) lgkmcnt(0)
	v_mul_f32_e32 v6, v77, v45
	v_fma_f32 v86, v76, v44, -v6
	v_mul_f32_e32 v6, v79, v47
	v_fma_f32 v88, v78, v46, -v6
	ds_read_b128 v[6:9], v38 offset:640
	ds_read_b128 v[14:17], v38 offset:656
	;; [unrolled: 1-line block ×4, first 2 shown]
	v_mul_f32_e32 v87, v76, v45
	v_mul_f32_e32 v89, v78, v47
	v_fmac_f32_e32 v87, v77, v44
	s_waitcnt vmcnt(4) lgkmcnt(3)
	v_pk_mul_f32 v[32:33], v[6:7], v[80:81] op_sel:[1,1] op_sel_hi:[0,1]
	v_fmac_f32_e32 v89, v79, v46
	v_pk_add_f32 v[30:31], v[34:35], v[86:87]
	v_pk_fma_f32 v[34:35], v[6:7], v[80:81], v[32:33] neg_lo:[0,0,1] neg_hi:[0,0,1]
	v_pk_fma_f32 v[6:7], v[6:7], v[80:81], v[32:33] op_sel_hi:[1,0,1]
	v_pk_add_f32 v[30:31], v[30:31], v[88:89]
	v_mov_b32_e32 v35, v7
	v_pk_add_f32 v[6:7], v[30:31], v[34:35]
	v_mov_b32_e32 v30, v83
	v_pk_mul_f32 v[30:31], v[8:9], v[30:31] op_sel:[1,0] op_sel_hi:[0,0]
	v_pk_fma_f32 v[32:33], v[8:9], v[82:83], v[30:31] neg_lo:[0,0,1] neg_hi:[0,0,1]
	v_pk_fma_f32 v[8:9], v[8:9], v[82:83], v[30:31] op_sel_hi:[1,0,1]
	s_nop 0
	v_mov_b32_e32 v33, v9
	s_waitcnt vmcnt(3) lgkmcnt(2)
	v_pk_mul_f32 v[8:9], v[14:15], v[26:27] op_sel:[1,1] op_sel_hi:[0,1]
	v_pk_fma_f32 v[30:31], v[14:15], v[26:27], v[8:9] neg_lo:[0,0,1] neg_hi:[0,0,1]
	v_pk_fma_f32 v[8:9], v[14:15], v[26:27], v[8:9] op_sel_hi:[1,0,1]
	v_pk_add_f32 v[6:7], v[6:7], v[32:33]
	v_mov_b32_e32 v8, v29
	v_mov_b32_e32 v31, v9
	v_pk_mul_f32 v[8:9], v[16:17], v[8:9] op_sel:[1,0] op_sel_hi:[0,0]
	v_pk_fma_f32 v[14:15], v[16:17], v[28:29], v[8:9] neg_lo:[0,0,1] neg_hi:[0,0,1]
	v_pk_fma_f32 v[8:9], v[16:17], v[28:29], v[8:9] op_sel_hi:[1,0,1]
	v_pk_add_f32 v[6:7], v[6:7], v[30:31]
	v_mov_b32_e32 v15, v9
	s_waitcnt vmcnt(2) lgkmcnt(1)
	v_pk_mul_f32 v[8:9], v[18:19], v[10:11] op_sel:[1,1] op_sel_hi:[0,1]
	v_pk_add_f32 v[6:7], v[6:7], v[14:15]
	v_pk_fma_f32 v[14:15], v[18:19], v[10:11], v[8:9] neg_lo:[0,0,1] neg_hi:[0,0,1]
	v_pk_fma_f32 v[8:9], v[18:19], v[10:11], v[8:9] op_sel_hi:[1,0,1]
	s_nop 0
	v_mov_b32_e32 v8, v13
	v_mov_b32_e32 v15, v9
	v_pk_mul_f32 v[8:9], v[20:21], v[8:9] op_sel:[1,0] op_sel_hi:[0,0]
	v_pk_fma_f32 v[10:11], v[20:21], v[12:13], v[8:9] neg_lo:[0,0,1] neg_hi:[0,0,1]
	v_pk_fma_f32 v[8:9], v[20:21], v[12:13], v[8:9] op_sel_hi:[1,0,1]
	v_pk_add_f32 v[6:7], v[6:7], v[14:15]
	v_mov_b32_e32 v11, v9
	s_waitcnt vmcnt(1) lgkmcnt(0)
	v_pk_mul_f32 v[8:9], v[22:23], v[2:3] op_sel:[1,1] op_sel_hi:[0,1]
	v_pk_add_f32 v[6:7], v[6:7], v[10:11]
	v_pk_fma_f32 v[10:11], v[22:23], v[2:3], v[8:9] neg_lo:[0,0,1] neg_hi:[0,0,1]
	v_pk_fma_f32 v[2:3], v[22:23], v[2:3], v[8:9] op_sel_hi:[1,0,1]
	s_nop 0
	v_mov_b32_e32 v11, v3
	v_pk_add_f32 v[2:3], v[6:7], v[10:11]
	v_mov_b32_e32 v6, v5
	v_pk_mul_f32 v[6:7], v[24:25], v[6:7] op_sel:[1,0] op_sel_hi:[0,0]
	v_pk_fma_f32 v[8:9], v[24:25], v[4:5], v[6:7] neg_lo:[0,0,1] neg_hi:[0,0,1]
	v_pk_fma_f32 v[4:5], v[24:25], v[4:5], v[6:7] op_sel_hi:[1,0,1]
	s_nop 0
	v_mov_b32_e32 v9, v5
	v_pk_add_f32 v[2:3], v[2:3], v[8:9]
	s_waitcnt vmcnt(0)
	v_pk_add_f32 v[2:3], v[84:85], v[2:3] neg_lo:[0,1] neg_hi:[0,1]
	scratch_store_dwordx2 off, v[2:3], off offset:152
	s_and_saveexec_b64 s[0:1], vcc
	s_cbranch_execz .LBB107_241
; %bb.240:
	scratch_load_dwordx2 v[2:3], off, off offset:144
	v_mov_b32_e32 v4, 0
	v_mov_b32_e32 v5, v4
	scratch_store_dwordx2 off, v[4:5], off offset:144
	s_waitcnt vmcnt(1)
	ds_write_b64 v1, v[2:3]
.LBB107_241:
	s_or_b64 exec, exec, s[0:1]
	s_waitcnt lgkmcnt(0)
	; wave barrier
	scratch_load_dwordx4 v[2:5], off, off offset:152
	scratch_load_dwordx4 v[22:25], off, off offset:168
	;; [unrolled: 1-line block ×12, first 2 shown]
	scratch_load_dwordx2 v[50:51], off, off offset:344
	scratch_load_dwordx2 v[56:57], off, off offset:144
	v_mov_b32_e32 v58, 0
	ds_read2_b64 v[52:55], v58 offset0:63 offset1:64
	ds_read2_b64 v[60:63], v58 offset0:65 offset1:66
	;; [unrolled: 1-line block ×10, first 2 shown]
	v_cmp_lt_u32_e32 vcc, 17, v0
	s_waitcnt vmcnt(13) lgkmcnt(9)
	v_mul_f32_e32 v59, v52, v3
	v_mul_f32_e32 v96, v54, v5
	;; [unrolled: 1-line block ×3, first 2 shown]
	s_waitcnt vmcnt(10) lgkmcnt(6)
	v_mul_f32_e32 v103, v68, v11
	v_mul_f32_e32 v11, v69, v11
	v_fmac_f32_e32 v59, v53, v2
	v_mul_f32_e32 v98, v60, v23
	v_mul_f32_e32 v5, v55, v5
	v_fmac_f32_e32 v96, v55, v4
	v_fmac_f32_e32 v103, v69, v10
	v_fma_f32 v2, v52, v2, -v3
	v_fma_f32 v10, v68, v10, -v11
	v_add_f32_e32 v11, 0, v59
	v_mul_f32_e32 v100, v62, v25
	v_fmac_f32_e32 v98, v61, v22
	v_fma_f32 v3, v54, v4, -v5
	v_add_f32_e32 v2, 0, v2
	v_add_f32_e32 v11, v11, v96
	v_mul_f32_e32 v101, v64, v39
	v_fmac_f32_e32 v100, v63, v24
	v_add_f32_e32 v2, v2, v3
	v_add_f32_e32 v3, v11, v98
	v_mul_f32_e32 v102, v66, v41
	v_fmac_f32_e32 v101, v65, v38
	v_add_f32_e32 v3, v3, v100
	v_fmac_f32_e32 v102, v67, v40
	v_add_f32_e32 v3, v3, v101
	v_mul_f32_e32 v104, v70, v13
	v_add_f32_e32 v3, v3, v102
	s_waitcnt vmcnt(9) lgkmcnt(5)
	v_mul_f32_e32 v105, v72, v15
	v_fmac_f32_e32 v104, v71, v12
	v_add_f32_e32 v3, v3, v103
	v_mul_f32_e32 v106, v74, v17
	v_fmac_f32_e32 v105, v73, v14
	v_add_f32_e32 v3, v3, v104
	s_waitcnt vmcnt(8) lgkmcnt(4)
	v_mul_f32_e32 v107, v76, v27
	v_fmac_f32_e32 v106, v75, v16
	v_add_f32_e32 v3, v3, v105
	v_mul_f32_e32 v108, v78, v29
	v_mul_f32_e32 v23, v61, v23
	v_fmac_f32_e32 v107, v77, v26
	v_add_f32_e32 v3, v3, v106
	s_waitcnt vmcnt(7) lgkmcnt(3)
	v_mul_f32_e32 v109, v80, v31
	v_mul_f32_e32 v25, v63, v25
	v_fmac_f32_e32 v108, v79, v28
	v_fma_f32 v4, v60, v22, -v23
	v_add_f32_e32 v3, v3, v107
	v_mul_f32_e32 v110, v82, v33
	v_mul_f32_e32 v39, v65, v39
	v_fmac_f32_e32 v109, v81, v30
	v_fma_f32 v5, v62, v24, -v25
	v_add_f32_e32 v2, v2, v4
	v_add_f32_e32 v3, v3, v108
	s_waitcnt vmcnt(6) lgkmcnt(2)
	v_mul_f32_e32 v111, v84, v43
	v_mul_f32_e32 v41, v67, v41
	v_fmac_f32_e32 v110, v83, v32
	v_fma_f32 v22, v64, v38, -v39
	v_add_f32_e32 v2, v2, v5
	v_add_f32_e32 v3, v3, v109
	v_fmac_f32_e32 v111, v85, v42
	v_fma_f32 v23, v66, v40, -v41
	v_add_f32_e32 v2, v2, v22
	v_add_f32_e32 v3, v3, v110
	;; [unrolled: 1-line block ×4, first 2 shown]
	v_mul_f32_e32 v3, v71, v13
	v_add_f32_e32 v2, v2, v10
	v_fma_f32 v3, v70, v12, -v3
	v_add_f32_e32 v2, v2, v3
	v_mul_f32_e32 v3, v73, v15
	v_fma_f32 v3, v72, v14, -v3
	v_add_f32_e32 v2, v2, v3
	v_mul_f32_e32 v3, v75, v17
	v_fma_f32 v3, v74, v16, -v3
	v_add_f32_e32 v2, v2, v3
	v_mul_f32_e32 v3, v77, v27
	v_fma_f32 v3, v76, v26, -v3
	v_add_f32_e32 v2, v2, v3
	v_mul_f32_e32 v3, v79, v29
	v_fma_f32 v3, v78, v28, -v3
	v_add_f32_e32 v2, v2, v3
	v_mul_f32_e32 v3, v81, v31
	v_fma_f32 v3, v80, v30, -v3
	v_add_f32_e32 v2, v2, v3
	v_mul_f32_e32 v3, v83, v33
	v_fma_f32 v3, v82, v32, -v3
	v_add_f32_e32 v2, v2, v3
	v_mul_f32_e32 v3, v85, v43
	v_fma_f32 v3, v84, v42, -v3
	v_mul_f32_e32 v97, v86, v45
	v_add_f32_e32 v22, v2, v3
	v_mul_f32_e32 v2, v87, v45
	v_fmac_f32_e32 v97, v87, v44
	v_fma_f32 v96, v86, v44, -v2
	v_pk_add_f32 v[16:17], v[22:23], v[96:97]
	s_waitcnt vmcnt(5)
	v_mov_b32_e32 v22, v49
	s_waitcnt lgkmcnt(1)
	v_mul_f32_e32 v99, v88, v47
	v_mul_f32_e32 v2, v89, v47
	v_pk_mul_f32 v[22:23], v[90:91], v[22:23] op_sel:[1,0] op_sel_hi:[0,0]
	v_fmac_f32_e32 v99, v89, v46
	v_fma_f32 v98, v88, v46, -v2
	v_pk_fma_f32 v[24:25], v[90:91], v[48:49], v[22:23] neg_lo:[0,0,1] neg_hi:[0,0,1]
	v_pk_fma_f32 v[22:23], v[90:91], v[48:49], v[22:23] op_sel_hi:[1,0,1]
	v_pk_add_f32 v[16:17], v[16:17], v[98:99]
	v_mov_b32_e32 v25, v23
	s_waitcnt vmcnt(4) lgkmcnt(0)
	v_pk_mul_f32 v[22:23], v[92:93], v[34:35] op_sel:[1,1] op_sel_hi:[0,1]
	v_pk_add_f32 v[16:17], v[16:17], v[24:25]
	v_pk_fma_f32 v[24:25], v[92:93], v[34:35], v[22:23] neg_lo:[0,0,1] neg_hi:[0,0,1]
	v_pk_fma_f32 v[22:23], v[92:93], v[34:35], v[22:23] op_sel_hi:[1,0,1]
	ds_read2_b64 v[2:5], v58 offset0:83 offset1:84
	ds_read2_b64 v[10:13], v58 offset0:85 offset1:86
	ds_read_b64 v[14:15], v58 offset:696
	v_mov_b32_e32 v22, v37
	v_mov_b32_e32 v25, v23
	v_pk_mul_f32 v[22:23], v[94:95], v[22:23] op_sel:[1,0] op_sel_hi:[0,0]
	v_pk_add_f32 v[16:17], v[16:17], v[24:25]
	v_pk_fma_f32 v[24:25], v[94:95], v[36:37], v[22:23] neg_lo:[0,0,1] neg_hi:[0,0,1]
	v_pk_fma_f32 v[22:23], v[94:95], v[36:37], v[22:23] op_sel_hi:[1,0,1]
	s_nop 0
	v_mov_b32_e32 v25, v23
	s_waitcnt vmcnt(3) lgkmcnt(2)
	v_pk_mul_f32 v[22:23], v[2:3], v[18:19] op_sel:[1,1] op_sel_hi:[0,1]
	v_pk_add_f32 v[16:17], v[16:17], v[24:25]
	v_pk_fma_f32 v[24:25], v[2:3], v[18:19], v[22:23] neg_lo:[0,0,1] neg_hi:[0,0,1]
	v_pk_fma_f32 v[2:3], v[2:3], v[18:19], v[22:23] op_sel_hi:[1,0,1]
	s_nop 0
	v_mov_b32_e32 v25, v3
	v_pk_add_f32 v[2:3], v[16:17], v[24:25]
	v_mov_b32_e32 v16, v21
	v_pk_mul_f32 v[16:17], v[4:5], v[16:17] op_sel:[1,0] op_sel_hi:[0,0]
	v_pk_fma_f32 v[18:19], v[4:5], v[20:21], v[16:17] neg_lo:[0,0,1] neg_hi:[0,0,1]
	v_pk_fma_f32 v[4:5], v[4:5], v[20:21], v[16:17] op_sel_hi:[1,0,1]
	s_nop 0
	v_mov_b32_e32 v19, v5
	s_waitcnt vmcnt(2) lgkmcnt(1)
	v_pk_mul_f32 v[4:5], v[10:11], v[6:7] op_sel:[1,1] op_sel_hi:[0,1]
	v_pk_fma_f32 v[16:17], v[10:11], v[6:7], v[4:5] neg_lo:[0,0,1] neg_hi:[0,0,1]
	v_pk_fma_f32 v[4:5], v[10:11], v[6:7], v[4:5] op_sel_hi:[1,0,1]
	v_pk_add_f32 v[2:3], v[2:3], v[18:19]
	v_mov_b32_e32 v4, v9
	v_mov_b32_e32 v17, v5
	v_pk_mul_f32 v[4:5], v[12:13], v[4:5] op_sel:[1,0] op_sel_hi:[0,0]
	v_pk_fma_f32 v[6:7], v[12:13], v[8:9], v[4:5] neg_lo:[0,0,1] neg_hi:[0,0,1]
	v_pk_fma_f32 v[4:5], v[12:13], v[8:9], v[4:5] op_sel_hi:[1,0,1]
	v_pk_add_f32 v[2:3], v[2:3], v[16:17]
	v_mov_b32_e32 v7, v5
	s_waitcnt vmcnt(1) lgkmcnt(0)
	v_pk_mul_f32 v[4:5], v[14:15], v[50:51] op_sel:[1,1] op_sel_hi:[0,1]
	v_pk_add_f32 v[2:3], v[2:3], v[6:7]
	v_pk_fma_f32 v[6:7], v[14:15], v[50:51], v[4:5] neg_lo:[0,0,1] neg_hi:[0,0,1]
	v_pk_fma_f32 v[4:5], v[14:15], v[50:51], v[4:5] op_sel_hi:[1,0,1]
	s_nop 0
	v_mov_b32_e32 v7, v5
	v_pk_add_f32 v[2:3], v[2:3], v[6:7]
	s_waitcnt vmcnt(0)
	v_pk_add_f32 v[2:3], v[56:57], v[2:3] neg_lo:[0,1] neg_hi:[0,1]
	scratch_store_dwordx2 off, v[2:3], off offset:144
	s_and_saveexec_b64 s[0:1], vcc
	s_cbranch_execz .LBB107_243
; %bb.242:
	scratch_load_dwordx2 v[2:3], off, off offset:136
	v_mov_b32_e32 v59, v58
	scratch_store_dwordx2 off, v[58:59], off offset:136
	s_waitcnt vmcnt(1)
	ds_write_b64 v1, v[2:3]
.LBB107_243:
	s_or_b64 exec, exec, s[0:1]
	s_waitcnt lgkmcnt(0)
	; wave barrier
	scratch_load_dwordx4 v[10:13], off, off offset:144
	scratch_load_dwordx4 v[26:29], off, off offset:160
	;; [unrolled: 1-line block ×9, first 2 shown]
	ds_read_b128 v[60:63], v58 offset:496
	ds_read_b128 v[64:67], v58 offset:512
	;; [unrolled: 1-line block ×8, first 2 shown]
	scratch_load_dwordx4 v[50:53], off, off offset:288
	scratch_load_dwordx4 v[34:37], off, off offset:304
	;; [unrolled: 1-line block ×4, first 2 shown]
	ds_read_b128 v[88:91], v58 offset:624
	ds_read_b128 v[92:95], v58 offset:640
	scratch_load_dwordx2 v[96:97], off, off offset:136
	v_cmp_lt_u32_e32 vcc, 16, v0
	s_waitcnt vmcnt(13) lgkmcnt(9)
	v_mul_f32_e32 v59, v60, v11
	v_mul_f32_e32 v98, v62, v13
	v_fmac_f32_e32 v59, v61, v10
	s_waitcnt vmcnt(10) lgkmcnt(6)
	v_mul_f32_e32 v105, v72, v3
	v_mul_f32_e32 v3, v73, v3
	;; [unrolled: 1-line block ×3, first 2 shown]
	v_fmac_f32_e32 v98, v63, v12
	v_fmac_f32_e32 v105, v73, v2
	v_fma_f32 v2, v72, v2, -v3
	v_add_f32_e32 v3, 0, v59
	v_mul_f32_e32 v102, v66, v29
	v_fmac_f32_e32 v100, v65, v26
	v_add_f32_e32 v3, v3, v98
	v_mul_f32_e32 v103, v68, v43
	v_fmac_f32_e32 v102, v67, v28
	v_add_f32_e32 v3, v3, v100
	v_mul_f32_e32 v104, v70, v45
	v_fmac_f32_e32 v103, v69, v42
	v_add_f32_e32 v3, v3, v102
	v_fmac_f32_e32 v104, v71, v44
	v_add_f32_e32 v3, v3, v103
	v_mul_f32_e32 v106, v74, v5
	v_add_f32_e32 v3, v3, v104
	s_waitcnt vmcnt(9) lgkmcnt(5)
	v_mul_f32_e32 v107, v76, v15
	v_fmac_f32_e32 v106, v75, v4
	v_add_f32_e32 v3, v3, v105
	v_mul_f32_e32 v108, v78, v17
	v_fmac_f32_e32 v107, v77, v14
	v_add_f32_e32 v3, v3, v106
	s_waitcnt vmcnt(8) lgkmcnt(4)
	v_mul_f32_e32 v109, v80, v19
	v_mul_f32_e32 v11, v61, v11
	v_fmac_f32_e32 v108, v79, v16
	v_add_f32_e32 v3, v3, v107
	v_mul_f32_e32 v110, v82, v21
	v_mul_f32_e32 v13, v63, v13
	v_fmac_f32_e32 v109, v81, v18
	v_fma_f32 v10, v60, v10, -v11
	v_add_f32_e32 v3, v3, v108
	s_waitcnt vmcnt(7) lgkmcnt(3)
	v_mul_f32_e32 v111, v84, v31
	v_mul_f32_e32 v27, v65, v27
	v_fmac_f32_e32 v110, v83, v20
	v_fma_f32 v11, v62, v12, -v13
	v_add_f32_e32 v10, 0, v10
	v_add_f32_e32 v3, v3, v109
	v_mul_f32_e32 v112, v86, v33
	v_mul_f32_e32 v29, v67, v29
	v_fmac_f32_e32 v111, v85, v30
	v_fma_f32 v12, v64, v26, -v27
	v_add_f32_e32 v10, v10, v11
	v_add_f32_e32 v3, v3, v110
	s_waitcnt vmcnt(6) lgkmcnt(2)
	v_mul_f32_e32 v113, v54, v39
	v_mul_f32_e32 v43, v69, v43
	v_fmac_f32_e32 v112, v87, v32
	v_fma_f32 v13, v66, v28, -v29
	v_add_f32_e32 v10, v10, v12
	v_add_f32_e32 v3, v3, v111
	v_mul_f32_e32 v114, v56, v41
	v_mul_f32_e32 v45, v71, v45
	v_fmac_f32_e32 v113, v55, v38
	v_fma_f32 v26, v68, v42, -v43
	v_add_f32_e32 v10, v10, v13
	v_add_f32_e32 v3, v3, v112
	v_fmac_f32_e32 v114, v57, v40
	v_fma_f32 v27, v70, v44, -v45
	v_add_f32_e32 v10, v10, v26
	v_add_f32_e32 v3, v3, v113
	;; [unrolled: 1-line block ×4, first 2 shown]
	v_mul_f32_e32 v3, v75, v5
	v_add_f32_e32 v2, v10, v2
	v_fma_f32 v3, v74, v4, -v3
	v_add_f32_e32 v2, v2, v3
	v_mul_f32_e32 v3, v77, v15
	v_fma_f32 v3, v76, v14, -v3
	v_add_f32_e32 v2, v2, v3
	v_mul_f32_e32 v3, v79, v17
	v_fma_f32 v3, v78, v16, -v3
	v_add_f32_e32 v2, v2, v3
	v_mul_f32_e32 v3, v81, v19
	v_fma_f32 v3, v80, v18, -v3
	v_add_f32_e32 v2, v2, v3
	v_mul_f32_e32 v3, v83, v21
	v_fma_f32 v3, v82, v20, -v3
	v_add_f32_e32 v2, v2, v3
	v_mul_f32_e32 v3, v85, v31
	v_fma_f32 v3, v84, v30, -v3
	v_add_f32_e32 v2, v2, v3
	v_mul_f32_e32 v3, v87, v33
	v_fma_f32 v3, v86, v32, -v3
	v_add_f32_e32 v2, v2, v3
	v_mul_f32_e32 v3, v55, v39
	v_fma_f32 v3, v54, v38, -v3
	v_add_f32_e32 v2, v2, v3
	v_mul_f32_e32 v3, v57, v41
	v_fma_f32 v3, v56, v40, -v3
	s_waitcnt vmcnt(5) lgkmcnt(1)
	v_mul_f32_e32 v99, v88, v47
	v_add_f32_e32 v26, v2, v3
	v_mul_f32_e32 v2, v89, v47
	v_fmac_f32_e32 v99, v89, v46
	v_fma_f32 v98, v88, v46, -v2
	s_waitcnt vmcnt(4) lgkmcnt(0)
	v_pk_mul_f32 v[20:21], v[92:93], v[50:51] op_sel:[1,1] op_sel_hi:[0,1]
	v_mul_f32_e32 v101, v90, v49
	v_mul_f32_e32 v2, v91, v49
	v_pk_add_f32 v[18:19], v[26:27], v[98:99]
	v_pk_fma_f32 v[26:27], v[92:93], v[50:51], v[20:21] neg_lo:[0,0,1] neg_hi:[0,0,1]
	v_pk_fma_f32 v[20:21], v[92:93], v[50:51], v[20:21] op_sel_hi:[1,0,1]
	v_fmac_f32_e32 v101, v91, v48
	v_fma_f32 v100, v90, v48, -v2
	ds_read_b128 v[2:5], v58 offset:656
	ds_read_b128 v[10:13], v58 offset:672
	;; [unrolled: 1-line block ×3, first 2 shown]
	v_mov_b32_e32 v20, v53
	v_pk_add_f32 v[18:19], v[18:19], v[100:101]
	v_mov_b32_e32 v27, v21
	v_pk_mul_f32 v[20:21], v[94:95], v[20:21] op_sel:[1,0] op_sel_hi:[0,0]
	v_pk_add_f32 v[18:19], v[18:19], v[26:27]
	v_pk_fma_f32 v[26:27], v[94:95], v[52:53], v[20:21] neg_lo:[0,0,1] neg_hi:[0,0,1]
	v_pk_fma_f32 v[20:21], v[94:95], v[52:53], v[20:21] op_sel_hi:[1,0,1]
	s_nop 0
	v_mov_b32_e32 v27, v21
	s_waitcnt vmcnt(3) lgkmcnt(2)
	v_pk_mul_f32 v[20:21], v[2:3], v[34:35] op_sel:[1,1] op_sel_hi:[0,1]
	v_pk_add_f32 v[18:19], v[18:19], v[26:27]
	v_pk_fma_f32 v[26:27], v[2:3], v[34:35], v[20:21] neg_lo:[0,0,1] neg_hi:[0,0,1]
	v_pk_fma_f32 v[2:3], v[2:3], v[34:35], v[20:21] op_sel_hi:[1,0,1]
	s_nop 0
	v_mov_b32_e32 v27, v3
	v_pk_add_f32 v[2:3], v[18:19], v[26:27]
	v_mov_b32_e32 v18, v37
	v_pk_mul_f32 v[18:19], v[4:5], v[18:19] op_sel:[1,0] op_sel_hi:[0,0]
	v_pk_fma_f32 v[20:21], v[4:5], v[36:37], v[18:19] neg_lo:[0,0,1] neg_hi:[0,0,1]
	v_pk_fma_f32 v[4:5], v[4:5], v[36:37], v[18:19] op_sel_hi:[1,0,1]
	s_nop 0
	v_mov_b32_e32 v21, v5
	s_waitcnt vmcnt(2) lgkmcnt(1)
	v_pk_mul_f32 v[4:5], v[10:11], v[22:23] op_sel:[1,1] op_sel_hi:[0,1]
	v_pk_fma_f32 v[18:19], v[10:11], v[22:23], v[4:5] neg_lo:[0,0,1] neg_hi:[0,0,1]
	v_pk_fma_f32 v[4:5], v[10:11], v[22:23], v[4:5] op_sel_hi:[1,0,1]
	v_pk_add_f32 v[2:3], v[2:3], v[20:21]
	v_mov_b32_e32 v4, v25
	v_mov_b32_e32 v19, v5
	v_pk_mul_f32 v[4:5], v[12:13], v[4:5] op_sel:[1,0] op_sel_hi:[0,0]
	v_pk_fma_f32 v[10:11], v[12:13], v[24:25], v[4:5] neg_lo:[0,0,1] neg_hi:[0,0,1]
	v_pk_fma_f32 v[4:5], v[12:13], v[24:25], v[4:5] op_sel_hi:[1,0,1]
	v_pk_add_f32 v[2:3], v[2:3], v[18:19]
	v_mov_b32_e32 v11, v5
	s_waitcnt vmcnt(1) lgkmcnt(0)
	v_pk_mul_f32 v[4:5], v[14:15], v[6:7] op_sel:[1,1] op_sel_hi:[0,1]
	v_pk_add_f32 v[2:3], v[2:3], v[10:11]
	v_pk_fma_f32 v[10:11], v[14:15], v[6:7], v[4:5] neg_lo:[0,0,1] neg_hi:[0,0,1]
	v_pk_fma_f32 v[4:5], v[14:15], v[6:7], v[4:5] op_sel_hi:[1,0,1]
	s_nop 0
	v_mov_b32_e32 v4, v9
	v_mov_b32_e32 v11, v5
	v_pk_mul_f32 v[4:5], v[16:17], v[4:5] op_sel:[1,0] op_sel_hi:[0,0]
	v_pk_fma_f32 v[6:7], v[16:17], v[8:9], v[4:5] neg_lo:[0,0,1] neg_hi:[0,0,1]
	v_pk_fma_f32 v[4:5], v[16:17], v[8:9], v[4:5] op_sel_hi:[1,0,1]
	v_pk_add_f32 v[2:3], v[2:3], v[10:11]
	v_mov_b32_e32 v7, v5
	v_pk_add_f32 v[2:3], v[2:3], v[6:7]
	s_waitcnt vmcnt(0)
	v_pk_add_f32 v[2:3], v[96:97], v[2:3] neg_lo:[0,1] neg_hi:[0,1]
	scratch_store_dwordx2 off, v[2:3], off offset:136
	s_and_saveexec_b64 s[0:1], vcc
	s_cbranch_execz .LBB107_245
; %bb.244:
	scratch_load_dwordx2 v[2:3], off, off offset:128
	v_mov_b32_e32 v4, 0
	v_mov_b32_e32 v5, v4
	scratch_store_dwordx2 off, v[4:5], off offset:128
	s_waitcnt vmcnt(1)
	ds_write_b64 v1, v[2:3]
.LBB107_245:
	s_or_b64 exec, exec, s[0:1]
	s_waitcnt lgkmcnt(0)
	; wave barrier
	scratch_load_dwordx4 v[10:13], off, off offset:136
	scratch_load_dwordx4 v[30:33], off, off offset:152
	;; [unrolled: 1-line block ×13, first 2 shown]
	scratch_load_dwordx2 v[54:55], off, off offset:344
	scratch_load_dwordx2 v[80:81], off, off offset:128
	v_mov_b32_e32 v82, 0
	ds_read2_b64 v[56:59], v82 offset0:61 offset1:62
	ds_read2_b64 v[60:63], v82 offset0:63 offset1:64
	;; [unrolled: 1-line block ×10, first 2 shown]
	v_cmp_lt_u32_e32 vcc, 15, v0
	s_waitcnt vmcnt(14) lgkmcnt(9)
	v_mul_f32_e32 v83, v56, v11
	v_mul_f32_e32 v100, v58, v13
	s_waitcnt vmcnt(12) lgkmcnt(7)
	v_mul_f32_e32 v105, v64, v3
	v_mul_f32_e32 v3, v65, v3
	v_fmac_f32_e32 v83, v57, v10
	v_mul_f32_e32 v102, v60, v31
	v_fmac_f32_e32 v100, v59, v12
	v_fmac_f32_e32 v105, v65, v2
	v_fma_f32 v2, v64, v2, -v3
	v_add_f32_e32 v3, 0, v83
	v_mul_f32_e32 v104, v62, v33
	v_fmac_f32_e32 v102, v61, v30
	v_add_f32_e32 v3, v3, v100
	v_fmac_f32_e32 v104, v63, v32
	v_add_f32_e32 v3, v3, v102
	v_mul_f32_e32 v106, v66, v5
	v_add_f32_e32 v3, v3, v104
	s_waitcnt vmcnt(11) lgkmcnt(6)
	v_mul_f32_e32 v107, v68, v7
	v_fmac_f32_e32 v106, v67, v4
	v_add_f32_e32 v3, v3, v105
	v_mul_f32_e32 v108, v70, v9
	v_fmac_f32_e32 v107, v69, v6
	v_add_f32_e32 v3, v3, v106
	s_waitcnt vmcnt(10) lgkmcnt(5)
	v_mul_f32_e32 v109, v72, v19
	v_fmac_f32_e32 v108, v71, v8
	v_add_f32_e32 v3, v3, v107
	v_mul_f32_e32 v110, v74, v21
	v_fmac_f32_e32 v109, v73, v18
	;; [unrolled: 7-line block ×3, first 2 shown]
	v_add_f32_e32 v3, v3, v110
	s_waitcnt vmcnt(8) lgkmcnt(3)
	v_mul_f32_e32 v113, v84, v35
	v_mul_f32_e32 v11, v57, v11
	v_fmac_f32_e32 v112, v79, v24
	v_add_f32_e32 v3, v3, v111
	v_mul_f32_e32 v114, v86, v37
	v_mul_f32_e32 v13, v59, v13
	v_fmac_f32_e32 v113, v85, v34
	v_fma_f32 v10, v56, v10, -v11
	v_add_f32_e32 v3, v3, v112
	s_waitcnt vmcnt(7) lgkmcnt(2)
	v_mul_f32_e32 v115, v88, v39
	v_mul_f32_e32 v31, v61, v31
	v_fmac_f32_e32 v114, v87, v36
	v_fma_f32 v11, v58, v12, -v13
	v_add_f32_e32 v10, 0, v10
	v_add_f32_e32 v3, v3, v113
	v_mul_f32_e32 v116, v90, v41
	v_mul_f32_e32 v33, v63, v33
	v_fmac_f32_e32 v115, v89, v38
	v_fma_f32 v12, v60, v30, -v31
	v_add_f32_e32 v10, v10, v11
	v_add_f32_e32 v3, v3, v114
	s_waitcnt vmcnt(6) lgkmcnt(1)
	v_mul_f32_e32 v117, v92, v51
	v_fmac_f32_e32 v116, v91, v40
	v_fma_f32 v13, v62, v32, -v33
	v_add_f32_e32 v10, v10, v12
	v_add_f32_e32 v3, v3, v115
	v_mul_f32_e32 v5, v67, v5
	v_fmac_f32_e32 v117, v93, v50
	v_add_f32_e32 v10, v10, v13
	v_add_f32_e32 v3, v3, v116
	;; [unrolled: 1-line block ×4, first 2 shown]
	v_fma_f32 v3, v66, v4, -v5
	v_add_f32_e32 v2, v2, v3
	v_mul_f32_e32 v3, v69, v7
	v_fma_f32 v3, v68, v6, -v3
	v_add_f32_e32 v2, v2, v3
	v_mul_f32_e32 v3, v71, v9
	v_fma_f32 v3, v70, v8, -v3
	v_add_f32_e32 v2, v2, v3
	v_mul_f32_e32 v3, v73, v19
	v_fma_f32 v3, v72, v18, -v3
	v_add_f32_e32 v2, v2, v3
	v_mul_f32_e32 v3, v75, v21
	v_fma_f32 v3, v74, v20, -v3
	v_add_f32_e32 v2, v2, v3
	v_mul_f32_e32 v3, v77, v23
	v_fma_f32 v3, v76, v22, -v3
	v_add_f32_e32 v2, v2, v3
	v_mul_f32_e32 v3, v79, v25
	v_fma_f32 v3, v78, v24, -v3
	v_add_f32_e32 v2, v2, v3
	v_mul_f32_e32 v3, v85, v35
	v_fma_f32 v3, v84, v34, -v3
	v_add_f32_e32 v2, v2, v3
	v_mul_f32_e32 v3, v87, v37
	v_fma_f32 v3, v86, v36, -v3
	v_add_f32_e32 v2, v2, v3
	v_mul_f32_e32 v3, v89, v39
	v_fma_f32 v3, v88, v38, -v3
	v_add_f32_e32 v2, v2, v3
	v_mul_f32_e32 v3, v91, v41
	v_fma_f32 v3, v90, v40, -v3
	v_add_f32_e32 v2, v2, v3
	v_mul_f32_e32 v3, v93, v51
	v_fma_f32 v3, v92, v50, -v3
	v_add_f32_e32 v30, v2, v3
	v_mul_f32_e32 v2, v95, v53
	v_mul_f32_e32 v101, v94, v53
	v_fma_f32 v100, v94, v52, -v2
	s_waitcnt vmcnt(5) lgkmcnt(0)
	v_mul_f32_e32 v2, v97, v47
	v_mov_b32_e32 v22, v49
	v_mul_f32_e32 v103, v96, v47
	v_fmac_f32_e32 v101, v95, v52
	v_fma_f32 v102, v96, v46, -v2
	ds_read2_b64 v[2:5], v82 offset0:81 offset1:82
	ds_read2_b64 v[6:9], v82 offset0:83 offset1:84
	;; [unrolled: 1-line block ×3, first 2 shown]
	ds_read_b64 v[18:19], v82 offset:696
	v_pk_mul_f32 v[22:23], v[98:99], v[22:23] op_sel:[1,0] op_sel_hi:[0,0]
	v_fmac_f32_e32 v103, v97, v46
	v_pk_add_f32 v[20:21], v[30:31], v[100:101]
	v_pk_fma_f32 v[24:25], v[98:99], v[48:49], v[22:23] neg_lo:[0,0,1] neg_hi:[0,0,1]
	v_pk_fma_f32 v[22:23], v[98:99], v[48:49], v[22:23] op_sel_hi:[1,0,1]
	v_pk_add_f32 v[20:21], v[20:21], v[102:103]
	v_mov_b32_e32 v25, v23
	s_waitcnt vmcnt(4) lgkmcnt(3)
	v_pk_mul_f32 v[22:23], v[2:3], v[42:43] op_sel:[1,1] op_sel_hi:[0,1]
	v_pk_add_f32 v[20:21], v[20:21], v[24:25]
	v_pk_fma_f32 v[24:25], v[2:3], v[42:43], v[22:23] neg_lo:[0,0,1] neg_hi:[0,0,1]
	v_pk_fma_f32 v[2:3], v[2:3], v[42:43], v[22:23] op_sel_hi:[1,0,1]
	s_nop 0
	v_mov_b32_e32 v25, v3
	v_pk_add_f32 v[2:3], v[20:21], v[24:25]
	v_mov_b32_e32 v20, v45
	v_pk_mul_f32 v[20:21], v[4:5], v[20:21] op_sel:[1,0] op_sel_hi:[0,0]
	v_pk_fma_f32 v[22:23], v[4:5], v[44:45], v[20:21] neg_lo:[0,0,1] neg_hi:[0,0,1]
	v_pk_fma_f32 v[4:5], v[4:5], v[44:45], v[20:21] op_sel_hi:[1,0,1]
	s_nop 0
	v_mov_b32_e32 v23, v5
	s_waitcnt vmcnt(3) lgkmcnt(2)
	v_pk_mul_f32 v[4:5], v[6:7], v[26:27] op_sel:[1,1] op_sel_hi:[0,1]
	v_pk_fma_f32 v[20:21], v[6:7], v[26:27], v[4:5] neg_lo:[0,0,1] neg_hi:[0,0,1]
	v_pk_fma_f32 v[4:5], v[6:7], v[26:27], v[4:5] op_sel_hi:[1,0,1]
	v_pk_add_f32 v[2:3], v[2:3], v[22:23]
	v_mov_b32_e32 v4, v29
	v_mov_b32_e32 v21, v5
	v_pk_mul_f32 v[4:5], v[8:9], v[4:5] op_sel:[1,0] op_sel_hi:[0,0]
	v_pk_fma_f32 v[6:7], v[8:9], v[28:29], v[4:5] neg_lo:[0,0,1] neg_hi:[0,0,1]
	v_pk_fma_f32 v[4:5], v[8:9], v[28:29], v[4:5] op_sel_hi:[1,0,1]
	v_pk_add_f32 v[2:3], v[2:3], v[20:21]
	v_mov_b32_e32 v7, v5
	s_waitcnt vmcnt(2) lgkmcnt(1)
	v_pk_mul_f32 v[4:5], v[10:11], v[14:15] op_sel:[1,1] op_sel_hi:[0,1]
	v_pk_add_f32 v[2:3], v[2:3], v[6:7]
	v_pk_fma_f32 v[6:7], v[10:11], v[14:15], v[4:5] neg_lo:[0,0,1] neg_hi:[0,0,1]
	v_pk_fma_f32 v[4:5], v[10:11], v[14:15], v[4:5] op_sel_hi:[1,0,1]
	s_nop 0
	v_mov_b32_e32 v4, v17
	v_mov_b32_e32 v7, v5
	v_pk_mul_f32 v[4:5], v[12:13], v[4:5] op_sel:[1,0] op_sel_hi:[0,0]
	v_pk_add_f32 v[2:3], v[2:3], v[6:7]
	v_pk_fma_f32 v[6:7], v[12:13], v[16:17], v[4:5] neg_lo:[0,0,1] neg_hi:[0,0,1]
	v_pk_fma_f32 v[4:5], v[12:13], v[16:17], v[4:5] op_sel_hi:[1,0,1]
	s_nop 0
	v_mov_b32_e32 v7, v5
	s_waitcnt vmcnt(1) lgkmcnt(0)
	v_pk_mul_f32 v[4:5], v[18:19], v[54:55] op_sel:[1,1] op_sel_hi:[0,1]
	v_pk_add_f32 v[2:3], v[2:3], v[6:7]
	v_pk_fma_f32 v[6:7], v[18:19], v[54:55], v[4:5] neg_lo:[0,0,1] neg_hi:[0,0,1]
	v_pk_fma_f32 v[4:5], v[18:19], v[54:55], v[4:5] op_sel_hi:[1,0,1]
	s_nop 0
	v_mov_b32_e32 v7, v5
	v_pk_add_f32 v[2:3], v[2:3], v[6:7]
	s_waitcnt vmcnt(0)
	v_pk_add_f32 v[2:3], v[80:81], v[2:3] neg_lo:[0,1] neg_hi:[0,1]
	scratch_store_dwordx2 off, v[2:3], off offset:128
	s_and_saveexec_b64 s[0:1], vcc
	s_cbranch_execz .LBB107_247
; %bb.246:
	scratch_load_dwordx2 v[2:3], off, off offset:120
	v_mov_b32_e32 v83, v82
	scratch_store_dwordx2 off, v[82:83], off offset:120
	s_waitcnt vmcnt(1)
	ds_write_b64 v1, v[2:3]
.LBB107_247:
	s_or_b64 exec, exec, s[0:1]
	s_waitcnt lgkmcnt(0)
	; wave barrier
	scratch_load_dwordx4 v[18:21], off, off offset:128
	scratch_load_dwordx4 v[34:37], off, off offset:144
	;; [unrolled: 1-line block ×10, first 2 shown]
	ds_read_b128 v[84:87], v82 offset:480
	ds_read_b128 v[88:91], v82 offset:496
	;; [unrolled: 1-line block ×10, first 2 shown]
	scratch_load_dwordx4 v[54:57], off, off offset:288
	scratch_load_dwordx4 v[46:49], off, off offset:304
	;; [unrolled: 1-line block ×4, first 2 shown]
	scratch_load_dwordx2 v[100:101], off, off offset:120
	v_cmp_lt_u32_e32 vcc, 14, v0
	s_waitcnt vmcnt(14) lgkmcnt(9)
	v_mul_f32_e32 v83, v84, v19
	v_mul_f32_e32 v102, v86, v21
	s_waitcnt vmcnt(12) lgkmcnt(7)
	v_mul_f32_e32 v107, v92, v3
	v_mul_f32_e32 v3, v93, v3
	v_fmac_f32_e32 v83, v85, v18
	v_mul_f32_e32 v104, v88, v35
	v_fmac_f32_e32 v102, v87, v20
	v_fmac_f32_e32 v107, v93, v2
	v_fma_f32 v2, v92, v2, -v3
	v_add_f32_e32 v3, 0, v83
	v_mul_f32_e32 v106, v90, v37
	v_fmac_f32_e32 v104, v89, v34
	v_add_f32_e32 v3, v3, v102
	v_fmac_f32_e32 v106, v91, v36
	v_add_f32_e32 v3, v3, v104
	v_mul_f32_e32 v108, v94, v5
	v_add_f32_e32 v3, v3, v106
	s_waitcnt vmcnt(11) lgkmcnt(6)
	v_mul_f32_e32 v109, v96, v7
	v_fmac_f32_e32 v108, v95, v4
	v_add_f32_e32 v3, v3, v107
	v_mul_f32_e32 v110, v98, v9
	v_fmac_f32_e32 v109, v97, v6
	v_add_f32_e32 v3, v3, v108
	s_waitcnt vmcnt(10) lgkmcnt(5)
	v_mul_f32_e32 v111, v78, v11
	v_fmac_f32_e32 v110, v99, v8
	v_add_f32_e32 v3, v3, v109
	v_mul_f32_e32 v112, v80, v13
	v_fmac_f32_e32 v111, v79, v10
	;; [unrolled: 7-line block ×4, first 2 shown]
	v_add_f32_e32 v3, v3, v114
	s_waitcnt vmcnt(7) lgkmcnt(2)
	v_mul_f32_e32 v117, v66, v39
	v_mul_f32_e32 v19, v85, v19
	v_fmac_f32_e32 v116, v73, v28
	v_add_f32_e32 v3, v3, v115
	v_mul_f32_e32 v118, v68, v41
	v_mul_f32_e32 v21, v87, v21
	v_fmac_f32_e32 v117, v67, v38
	v_fma_f32 v18, v84, v18, -v19
	v_add_f32_e32 v3, v3, v116
	s_waitcnt vmcnt(6) lgkmcnt(1)
	v_mul_f32_e32 v119, v62, v43
	v_mul_f32_e32 v35, v89, v35
	v_fmac_f32_e32 v118, v69, v40
	v_fma_f32 v19, v86, v20, -v21
	v_add_f32_e32 v18, 0, v18
	v_add_f32_e32 v3, v3, v117
	v_mul_f32_e32 v120, v64, v45
	v_mul_f32_e32 v37, v91, v37
	v_fmac_f32_e32 v119, v63, v42
	v_fma_f32 v20, v88, v34, -v35
	v_add_f32_e32 v18, v18, v19
	v_add_f32_e32 v3, v3, v118
	v_fmac_f32_e32 v120, v65, v44
	v_fma_f32 v21, v90, v36, -v37
	v_add_f32_e32 v18, v18, v20
	v_add_f32_e32 v3, v3, v119
	;; [unrolled: 1-line block ×4, first 2 shown]
	v_mul_f32_e32 v3, v95, v5
	v_add_f32_e32 v2, v18, v2
	v_fma_f32 v3, v94, v4, -v3
	v_add_f32_e32 v2, v2, v3
	v_mul_f32_e32 v3, v97, v7
	v_fma_f32 v3, v96, v6, -v3
	v_add_f32_e32 v2, v2, v3
	v_mul_f32_e32 v3, v99, v9
	;; [unrolled: 3-line block ×12, first 2 shown]
	v_fma_f32 v3, v64, v44, -v3
	v_add_f32_e32 v34, v2, v3
	s_waitcnt vmcnt(5) lgkmcnt(0)
	v_mul_f32_e32 v2, v59, v51
	v_fma_f32 v102, v58, v50, -v2
	v_mul_f32_e32 v2, v61, v53
	v_fma_f32 v104, v60, v52, -v2
	ds_read_b128 v[2:5], v82 offset:640
	ds_read_b128 v[6:9], v82 offset:656
	;; [unrolled: 1-line block ×4, first 2 shown]
	v_mul_f32_e32 v103, v58, v51
	v_mul_f32_e32 v105, v60, v53
	v_fmac_f32_e32 v103, v59, v50
	s_waitcnt vmcnt(4) lgkmcnt(3)
	v_pk_mul_f32 v[24:25], v[2:3], v[54:55] op_sel:[1,1] op_sel_hi:[0,1]
	v_fmac_f32_e32 v105, v61, v52
	v_pk_add_f32 v[22:23], v[34:35], v[102:103]
	v_pk_fma_f32 v[26:27], v[2:3], v[54:55], v[24:25] neg_lo:[0,0,1] neg_hi:[0,0,1]
	v_pk_fma_f32 v[2:3], v[2:3], v[54:55], v[24:25] op_sel_hi:[1,0,1]
	v_pk_add_f32 v[22:23], v[22:23], v[104:105]
	v_mov_b32_e32 v27, v3
	v_pk_add_f32 v[2:3], v[22:23], v[26:27]
	v_mov_b32_e32 v22, v57
	v_pk_mul_f32 v[22:23], v[4:5], v[22:23] op_sel:[1,0] op_sel_hi:[0,0]
	v_pk_fma_f32 v[24:25], v[4:5], v[56:57], v[22:23] neg_lo:[0,0,1] neg_hi:[0,0,1]
	v_pk_fma_f32 v[4:5], v[4:5], v[56:57], v[22:23] op_sel_hi:[1,0,1]
	s_nop 0
	v_mov_b32_e32 v25, v5
	s_waitcnt vmcnt(3) lgkmcnt(2)
	v_pk_mul_f32 v[4:5], v[6:7], v[46:47] op_sel:[1,1] op_sel_hi:[0,1]
	v_pk_fma_f32 v[22:23], v[6:7], v[46:47], v[4:5] neg_lo:[0,0,1] neg_hi:[0,0,1]
	v_pk_fma_f32 v[4:5], v[6:7], v[46:47], v[4:5] op_sel_hi:[1,0,1]
	v_pk_add_f32 v[2:3], v[2:3], v[24:25]
	v_mov_b32_e32 v4, v49
	v_mov_b32_e32 v23, v5
	v_pk_mul_f32 v[4:5], v[8:9], v[4:5] op_sel:[1,0] op_sel_hi:[0,0]
	v_pk_fma_f32 v[6:7], v[8:9], v[48:49], v[4:5] neg_lo:[0,0,1] neg_hi:[0,0,1]
	v_pk_fma_f32 v[4:5], v[8:9], v[48:49], v[4:5] op_sel_hi:[1,0,1]
	v_pk_add_f32 v[2:3], v[2:3], v[22:23]
	v_mov_b32_e32 v7, v5
	s_waitcnt vmcnt(2) lgkmcnt(1)
	v_pk_mul_f32 v[4:5], v[10:11], v[30:31] op_sel:[1,1] op_sel_hi:[0,1]
	v_pk_add_f32 v[2:3], v[2:3], v[6:7]
	v_pk_fma_f32 v[6:7], v[10:11], v[30:31], v[4:5] neg_lo:[0,0,1] neg_hi:[0,0,1]
	v_pk_fma_f32 v[4:5], v[10:11], v[30:31], v[4:5] op_sel_hi:[1,0,1]
	s_nop 0
	v_mov_b32_e32 v4, v33
	v_mov_b32_e32 v7, v5
	v_pk_mul_f32 v[4:5], v[12:13], v[4:5] op_sel:[1,0] op_sel_hi:[0,0]
	v_pk_add_f32 v[2:3], v[2:3], v[6:7]
	v_pk_fma_f32 v[6:7], v[12:13], v[32:33], v[4:5] neg_lo:[0,0,1] neg_hi:[0,0,1]
	v_pk_fma_f32 v[4:5], v[12:13], v[32:33], v[4:5] op_sel_hi:[1,0,1]
	s_nop 0
	v_mov_b32_e32 v7, v5
	s_waitcnt vmcnt(1) lgkmcnt(0)
	v_pk_mul_f32 v[4:5], v[18:19], v[14:15] op_sel:[1,1] op_sel_hi:[0,1]
	v_pk_add_f32 v[2:3], v[2:3], v[6:7]
	v_pk_fma_f32 v[6:7], v[18:19], v[14:15], v[4:5] neg_lo:[0,0,1] neg_hi:[0,0,1]
	v_pk_fma_f32 v[4:5], v[18:19], v[14:15], v[4:5] op_sel_hi:[1,0,1]
	s_nop 0
	v_mov_b32_e32 v4, v17
	v_mov_b32_e32 v7, v5
	v_pk_mul_f32 v[4:5], v[20:21], v[4:5] op_sel:[1,0] op_sel_hi:[0,0]
	v_pk_add_f32 v[2:3], v[2:3], v[6:7]
	v_pk_fma_f32 v[6:7], v[20:21], v[16:17], v[4:5] neg_lo:[0,0,1] neg_hi:[0,0,1]
	v_pk_fma_f32 v[4:5], v[20:21], v[16:17], v[4:5] op_sel_hi:[1,0,1]
	s_nop 0
	v_mov_b32_e32 v7, v5
	v_pk_add_f32 v[2:3], v[2:3], v[6:7]
	s_waitcnt vmcnt(0)
	v_pk_add_f32 v[2:3], v[100:101], v[2:3] neg_lo:[0,1] neg_hi:[0,1]
	scratch_store_dwordx2 off, v[2:3], off offset:120
	s_and_saveexec_b64 s[0:1], vcc
	s_cbranch_execz .LBB107_249
; %bb.248:
	scratch_load_dwordx2 v[2:3], off, off offset:112
	v_mov_b32_e32 v4, 0
	v_mov_b32_e32 v5, v4
	scratch_store_dwordx2 off, v[4:5], off offset:112
	s_waitcnt vmcnt(1)
	ds_write_b64 v1, v[2:3]
.LBB107_249:
	s_or_b64 exec, exec, s[0:1]
	s_waitcnt lgkmcnt(0)
	; wave barrier
	scratch_load_dwordx4 v[18:21], off, off offset:120
	scratch_load_dwordx4 v[2:5], off, off offset:136
	;; [unrolled: 1-line block ×14, first 2 shown]
	scratch_load_dwordx2 v[58:59], off, off offset:344
	scratch_load_dwordx2 v[100:101], off, off offset:112
	v_mov_b32_e32 v102, 0
	ds_read2_b64 v[60:63], v102 offset0:59 offset1:60
	ds_read2_b64 v[64:67], v102 offset0:61 offset1:62
	;; [unrolled: 1-line block ×12, first 2 shown]
	v_cmp_lt_u32_e32 vcc, 13, v0
	s_waitcnt vmcnt(15) lgkmcnt(11)
	v_mul_f32_e32 v103, v60, v19
	v_mul_f32_e32 v112, v62, v21
	s_waitcnt vmcnt(14) lgkmcnt(10)
	v_mul_f32_e32 v114, v64, v3
	v_mul_f32_e32 v3, v65, v3
	v_fmac_f32_e32 v103, v61, v18
	v_fmac_f32_e32 v112, v63, v20
	;; [unrolled: 1-line block ×3, first 2 shown]
	v_fma_f32 v2, v64, v2, -v3
	v_add_f32_e32 v3, 0, v103
	v_mul_f32_e32 v116, v66, v5
	v_add_f32_e32 v3, v3, v112
	s_waitcnt vmcnt(13) lgkmcnt(9)
	v_mul_f32_e32 v117, v68, v7
	v_fmac_f32_e32 v116, v67, v4
	v_add_f32_e32 v3, v3, v114
	v_mul_f32_e32 v118, v70, v9
	v_fmac_f32_e32 v117, v69, v6
	v_add_f32_e32 v3, v3, v116
	s_waitcnt vmcnt(12) lgkmcnt(8)
	v_mul_f32_e32 v119, v72, v11
	v_fmac_f32_e32 v118, v71, v8
	v_add_f32_e32 v3, v3, v117
	v_mul_f32_e32 v120, v74, v13
	v_fmac_f32_e32 v119, v73, v10
	;; [unrolled: 7-line block ×6, first 2 shown]
	v_add_f32_e32 v3, v3, v214
	s_waitcnt vmcnt(7) lgkmcnt(3)
	v_mul_f32_e32 v217, v92, v43
	v_fmac_f32_e32 v216, v91, v40
	v_add_f32_e32 v3, v3, v215
	v_mul_f32_e32 v218, v94, v45
	v_mul_f32_e32 v19, v61, v19
	v_fmac_f32_e32 v217, v93, v42
	v_add_f32_e32 v3, v3, v216
	s_waitcnt vmcnt(6) lgkmcnt(2)
	v_mul_f32_e32 v219, v96, v51
	v_mul_f32_e32 v21, v63, v21
	v_fmac_f32_e32 v218, v95, v44
	v_fma_f32 v18, v60, v18, -v19
	v_add_f32_e32 v3, v3, v217
	v_fmac_f32_e32 v219, v97, v50
	v_fma_f32 v19, v62, v20, -v21
	v_add_f32_e32 v18, 0, v18
	v_add_f32_e32 v3, v3, v218
	;; [unrolled: 1-line block ×4, first 2 shown]
	v_mul_f32_e32 v3, v67, v5
	v_add_f32_e32 v2, v18, v2
	v_fma_f32 v3, v66, v4, -v3
	v_add_f32_e32 v2, v2, v3
	v_mul_f32_e32 v3, v69, v7
	v_fma_f32 v3, v68, v6, -v3
	v_add_f32_e32 v2, v2, v3
	v_mul_f32_e32 v3, v71, v9
	;; [unrolled: 3-line block ×15, first 2 shown]
	v_fma_f32 v3, v96, v50, -v3
	v_mul_f32_e32 v113, v98, v53
	v_add_f32_e32 v18, v2, v3
	v_mul_f32_e32 v2, v99, v53
	s_waitcnt vmcnt(5)
	v_mov_b32_e32 v14, v57
	s_waitcnt lgkmcnt(1)
	v_mul_f32_e32 v115, v104, v55
	v_fmac_f32_e32 v113, v99, v52
	v_fma_f32 v112, v98, v52, -v2
	v_mul_f32_e32 v2, v105, v55
	v_pk_mul_f32 v[14:15], v[106:107], v[14:15] op_sel:[1,0] op_sel_hi:[0,0]
	v_fmac_f32_e32 v115, v105, v54
	v_fma_f32 v114, v104, v54, -v2
	v_pk_add_f32 v[12:13], v[18:19], v[112:113]
	v_pk_fma_f32 v[16:17], v[106:107], v[56:57], v[14:15] neg_lo:[0,0,1] neg_hi:[0,0,1]
	v_pk_fma_f32 v[14:15], v[106:107], v[56:57], v[14:15] op_sel_hi:[1,0,1]
	v_pk_add_f32 v[12:13], v[12:13], v[114:115]
	v_mov_b32_e32 v17, v15
	s_waitcnt vmcnt(4) lgkmcnt(0)
	v_pk_mul_f32 v[14:15], v[108:109], v[46:47] op_sel:[1,1] op_sel_hi:[0,1]
	v_pk_add_f32 v[12:13], v[12:13], v[16:17]
	v_pk_fma_f32 v[16:17], v[108:109], v[46:47], v[14:15] neg_lo:[0,0,1] neg_hi:[0,0,1]
	v_pk_fma_f32 v[14:15], v[108:109], v[46:47], v[14:15] op_sel_hi:[1,0,1]
	ds_read2_b64 v[2:5], v102 offset0:83 offset1:84
	ds_read2_b64 v[6:9], v102 offset0:85 offset1:86
	ds_read_b64 v[10:11], v102 offset:696
	v_mov_b32_e32 v14, v49
	v_mov_b32_e32 v17, v15
	v_pk_mul_f32 v[14:15], v[110:111], v[14:15] op_sel:[1,0] op_sel_hi:[0,0]
	v_pk_add_f32 v[12:13], v[12:13], v[16:17]
	v_pk_fma_f32 v[16:17], v[110:111], v[48:49], v[14:15] neg_lo:[0,0,1] neg_hi:[0,0,1]
	v_pk_fma_f32 v[14:15], v[110:111], v[48:49], v[14:15] op_sel_hi:[1,0,1]
	s_nop 0
	v_mov_b32_e32 v17, v15
	s_waitcnt vmcnt(3) lgkmcnt(2)
	v_pk_mul_f32 v[14:15], v[2:3], v[34:35] op_sel:[1,1] op_sel_hi:[0,1]
	v_pk_add_f32 v[12:13], v[12:13], v[16:17]
	v_pk_fma_f32 v[16:17], v[2:3], v[34:35], v[14:15] neg_lo:[0,0,1] neg_hi:[0,0,1]
	v_pk_fma_f32 v[2:3], v[2:3], v[34:35], v[14:15] op_sel_hi:[1,0,1]
	s_nop 0
	v_mov_b32_e32 v17, v3
	v_pk_add_f32 v[2:3], v[12:13], v[16:17]
	v_mov_b32_e32 v12, v37
	v_pk_mul_f32 v[12:13], v[4:5], v[12:13] op_sel:[1,0] op_sel_hi:[0,0]
	v_pk_fma_f32 v[14:15], v[4:5], v[36:37], v[12:13] neg_lo:[0,0,1] neg_hi:[0,0,1]
	v_pk_fma_f32 v[4:5], v[4:5], v[36:37], v[12:13] op_sel_hi:[1,0,1]
	s_nop 0
	v_mov_b32_e32 v15, v5
	s_waitcnt vmcnt(2) lgkmcnt(1)
	v_pk_mul_f32 v[4:5], v[6:7], v[22:23] op_sel:[1,1] op_sel_hi:[0,1]
	v_pk_fma_f32 v[12:13], v[6:7], v[22:23], v[4:5] neg_lo:[0,0,1] neg_hi:[0,0,1]
	v_pk_fma_f32 v[4:5], v[6:7], v[22:23], v[4:5] op_sel_hi:[1,0,1]
	v_pk_add_f32 v[2:3], v[2:3], v[14:15]
	v_mov_b32_e32 v4, v25
	v_mov_b32_e32 v13, v5
	v_pk_mul_f32 v[4:5], v[8:9], v[4:5] op_sel:[1,0] op_sel_hi:[0,0]
	v_pk_fma_f32 v[6:7], v[8:9], v[24:25], v[4:5] neg_lo:[0,0,1] neg_hi:[0,0,1]
	v_pk_fma_f32 v[4:5], v[8:9], v[24:25], v[4:5] op_sel_hi:[1,0,1]
	v_pk_add_f32 v[2:3], v[2:3], v[12:13]
	v_mov_b32_e32 v7, v5
	s_waitcnt vmcnt(1) lgkmcnt(0)
	v_pk_mul_f32 v[4:5], v[10:11], v[58:59] op_sel:[1,1] op_sel_hi:[0,1]
	v_pk_add_f32 v[2:3], v[2:3], v[6:7]
	v_pk_fma_f32 v[6:7], v[10:11], v[58:59], v[4:5] neg_lo:[0,0,1] neg_hi:[0,0,1]
	v_pk_fma_f32 v[4:5], v[10:11], v[58:59], v[4:5] op_sel_hi:[1,0,1]
	s_nop 0
	v_mov_b32_e32 v7, v5
	v_pk_add_f32 v[2:3], v[2:3], v[6:7]
	s_waitcnt vmcnt(0)
	v_pk_add_f32 v[2:3], v[100:101], v[2:3] neg_lo:[0,1] neg_hi:[0,1]
	scratch_store_dwordx2 off, v[2:3], off offset:112
	s_and_saveexec_b64 s[0:1], vcc
	s_cbranch_execz .LBB107_251
; %bb.250:
	scratch_load_dwordx2 v[2:3], off, off offset:104
	v_mov_b32_e32 v103, v102
	scratch_store_dwordx2 off, v[102:103], off offset:104
	s_waitcnt vmcnt(1)
	ds_write_b64 v1, v[2:3]
.LBB107_251:
	s_or_b64 exec, exec, s[0:1]
	s_waitcnt lgkmcnt(0)
	; wave barrier
	scratch_load_dwordx4 v[22:25], off, off offset:112
	scratch_load_dwordx4 v[2:5], off, off offset:128
	scratch_load_dwordx4 v[6:9], off, off offset:144
	scratch_load_dwordx4 v[10:13], off, off offset:160
	scratch_load_dwordx4 v[14:17], off, off offset:176
	scratch_load_dwordx4 v[18:21], off, off offset:192
	scratch_load_dwordx4 v[30:33], off, off offset:208
	scratch_load_dwordx4 v[34:37], off, off offset:224
	scratch_load_dwordx4 v[42:45], off, off offset:240
	scratch_load_dwordx4 v[46:49], off, off offset:256
	scratch_load_dwordx4 v[54:57], off, off offset:272
	ds_read_b128 v[104:107], v102 offset:464
	ds_read_b128 v[98:101], v102 offset:480
	;; [unrolled: 1-line block ×10, first 2 shown]
	scratch_load_dwordx4 v[58:61], off, off offset:288
	scratch_load_dwordx4 v[50:53], off, off offset:304
	;; [unrolled: 1-line block ×4, first 2 shown]
	ds_read_b128 v[78:81], v102 offset:624
	ds_read_b128 v[108:111], v102 offset:640
	scratch_load_dwordx2 v[112:113], off, off offset:104
	v_cmp_lt_u32_e32 vcc, 12, v0
	s_waitcnt vmcnt(15) lgkmcnt(11)
	v_mul_f32_e32 v103, v104, v23
	v_mul_f32_e32 v114, v106, v25
	s_waitcnt vmcnt(14) lgkmcnt(10)
	v_mul_f32_e32 v116, v98, v3
	v_mul_f32_e32 v3, v99, v3
	v_fmac_f32_e32 v103, v105, v22
	v_fmac_f32_e32 v114, v107, v24
	;; [unrolled: 1-line block ×3, first 2 shown]
	v_fma_f32 v2, v98, v2, -v3
	v_add_f32_e32 v3, 0, v103
	v_mul_f32_e32 v118, v100, v5
	v_add_f32_e32 v3, v3, v114
	s_waitcnt vmcnt(13) lgkmcnt(9)
	v_mul_f32_e32 v119, v94, v7
	v_fmac_f32_e32 v118, v101, v4
	v_add_f32_e32 v3, v3, v116
	v_mul_f32_e32 v120, v96, v9
	v_fmac_f32_e32 v119, v95, v6
	v_add_f32_e32 v3, v3, v118
	s_waitcnt vmcnt(12) lgkmcnt(8)
	v_mul_f32_e32 v121, v90, v11
	v_fmac_f32_e32 v120, v97, v8
	v_add_f32_e32 v3, v3, v119
	v_mul_f32_e32 v122, v92, v13
	v_fmac_f32_e32 v121, v91, v10
	;; [unrolled: 7-line block ×7, first 2 shown]
	v_add_f32_e32 v3, v3, v218
	s_waitcnt vmcnt(6) lgkmcnt(2)
	v_mul_f32_e32 v221, v62, v47
	v_mul_f32_e32 v23, v105, v23
	v_fmac_f32_e32 v220, v69, v44
	v_add_f32_e32 v3, v3, v219
	v_mul_f32_e32 v222, v64, v49
	v_mul_f32_e32 v25, v107, v25
	v_fmac_f32_e32 v221, v63, v46
	v_fma_f32 v22, v104, v22, -v23
	v_add_f32_e32 v3, v3, v220
	v_fmac_f32_e32 v222, v65, v48
	v_fma_f32 v23, v106, v24, -v25
	v_add_f32_e32 v22, 0, v22
	v_add_f32_e32 v3, v3, v221
	;; [unrolled: 1-line block ×4, first 2 shown]
	v_mul_f32_e32 v3, v101, v5
	v_add_f32_e32 v2, v22, v2
	v_fma_f32 v3, v100, v4, -v3
	v_add_f32_e32 v2, v2, v3
	v_mul_f32_e32 v3, v95, v7
	v_fma_f32 v3, v94, v6, -v3
	v_add_f32_e32 v2, v2, v3
	v_mul_f32_e32 v3, v97, v9
	;; [unrolled: 3-line block ×16, first 2 shown]
	v_fma_f32 v3, v64, v48, -v3
	s_waitcnt vmcnt(5) lgkmcnt(1)
	v_mul_f32_e32 v115, v78, v55
	v_add_f32_e32 v22, v2, v3
	v_mul_f32_e32 v2, v79, v55
	s_waitcnt vmcnt(4) lgkmcnt(0)
	v_pk_mul_f32 v[16:17], v[108:109], v[58:59] op_sel:[1,1] op_sel_hi:[0,1]
	v_mul_f32_e32 v117, v80, v57
	v_fmac_f32_e32 v115, v79, v54
	v_fma_f32 v114, v78, v54, -v2
	v_mul_f32_e32 v2, v81, v57
	v_pk_fma_f32 v[18:19], v[108:109], v[58:59], v[16:17] neg_lo:[0,0,1] neg_hi:[0,0,1]
	v_pk_fma_f32 v[16:17], v[108:109], v[58:59], v[16:17] op_sel_hi:[1,0,1]
	v_fmac_f32_e32 v117, v81, v56
	v_fma_f32 v116, v80, v56, -v2
	ds_read_b128 v[2:5], v102 offset:656
	ds_read_b128 v[6:9], v102 offset:672
	;; [unrolled: 1-line block ×3, first 2 shown]
	v_pk_add_f32 v[14:15], v[22:23], v[114:115]
	v_mov_b32_e32 v16, v61
	v_pk_add_f32 v[14:15], v[14:15], v[116:117]
	v_mov_b32_e32 v19, v17
	v_pk_mul_f32 v[16:17], v[110:111], v[16:17] op_sel:[1,0] op_sel_hi:[0,0]
	v_pk_add_f32 v[14:15], v[14:15], v[18:19]
	v_pk_fma_f32 v[18:19], v[110:111], v[60:61], v[16:17] neg_lo:[0,0,1] neg_hi:[0,0,1]
	v_pk_fma_f32 v[16:17], v[110:111], v[60:61], v[16:17] op_sel_hi:[1,0,1]
	s_nop 0
	v_mov_b32_e32 v19, v17
	s_waitcnt vmcnt(3) lgkmcnt(2)
	v_pk_mul_f32 v[16:17], v[2:3], v[50:51] op_sel:[1,1] op_sel_hi:[0,1]
	v_pk_add_f32 v[14:15], v[14:15], v[18:19]
	v_pk_fma_f32 v[18:19], v[2:3], v[50:51], v[16:17] neg_lo:[0,0,1] neg_hi:[0,0,1]
	v_pk_fma_f32 v[2:3], v[2:3], v[50:51], v[16:17] op_sel_hi:[1,0,1]
	s_nop 0
	v_mov_b32_e32 v19, v3
	v_pk_add_f32 v[2:3], v[14:15], v[18:19]
	v_mov_b32_e32 v14, v53
	v_pk_mul_f32 v[14:15], v[4:5], v[14:15] op_sel:[1,0] op_sel_hi:[0,0]
	v_pk_fma_f32 v[16:17], v[4:5], v[52:53], v[14:15] neg_lo:[0,0,1] neg_hi:[0,0,1]
	v_pk_fma_f32 v[4:5], v[4:5], v[52:53], v[14:15] op_sel_hi:[1,0,1]
	s_nop 0
	v_mov_b32_e32 v17, v5
	s_waitcnt vmcnt(2) lgkmcnt(1)
	v_pk_mul_f32 v[4:5], v[6:7], v[38:39] op_sel:[1,1] op_sel_hi:[0,1]
	v_pk_fma_f32 v[14:15], v[6:7], v[38:39], v[4:5] neg_lo:[0,0,1] neg_hi:[0,0,1]
	v_pk_fma_f32 v[4:5], v[6:7], v[38:39], v[4:5] op_sel_hi:[1,0,1]
	v_pk_add_f32 v[2:3], v[2:3], v[16:17]
	v_mov_b32_e32 v4, v41
	v_mov_b32_e32 v15, v5
	v_pk_mul_f32 v[4:5], v[8:9], v[4:5] op_sel:[1,0] op_sel_hi:[0,0]
	v_pk_fma_f32 v[6:7], v[8:9], v[40:41], v[4:5] neg_lo:[0,0,1] neg_hi:[0,0,1]
	v_pk_fma_f32 v[4:5], v[8:9], v[40:41], v[4:5] op_sel_hi:[1,0,1]
	v_pk_add_f32 v[2:3], v[2:3], v[14:15]
	v_mov_b32_e32 v7, v5
	s_waitcnt vmcnt(1) lgkmcnt(0)
	v_pk_mul_f32 v[4:5], v[10:11], v[26:27] op_sel:[1,1] op_sel_hi:[0,1]
	v_pk_add_f32 v[2:3], v[2:3], v[6:7]
	v_pk_fma_f32 v[6:7], v[10:11], v[26:27], v[4:5] neg_lo:[0,0,1] neg_hi:[0,0,1]
	v_pk_fma_f32 v[4:5], v[10:11], v[26:27], v[4:5] op_sel_hi:[1,0,1]
	s_nop 0
	v_mov_b32_e32 v4, v29
	v_mov_b32_e32 v7, v5
	v_pk_mul_f32 v[4:5], v[12:13], v[4:5] op_sel:[1,0] op_sel_hi:[0,0]
	v_pk_add_f32 v[2:3], v[2:3], v[6:7]
	v_pk_fma_f32 v[6:7], v[12:13], v[28:29], v[4:5] neg_lo:[0,0,1] neg_hi:[0,0,1]
	v_pk_fma_f32 v[4:5], v[12:13], v[28:29], v[4:5] op_sel_hi:[1,0,1]
	s_nop 0
	v_mov_b32_e32 v7, v5
	v_pk_add_f32 v[2:3], v[2:3], v[6:7]
	s_waitcnt vmcnt(0)
	v_pk_add_f32 v[2:3], v[112:113], v[2:3] neg_lo:[0,1] neg_hi:[0,1]
	scratch_store_dwordx2 off, v[2:3], off offset:104
	s_and_saveexec_b64 s[0:1], vcc
	s_cbranch_execz .LBB107_253
; %bb.252:
	scratch_load_dwordx2 v[2:3], off, off offset:96
	v_mov_b32_e32 v4, 0
	v_mov_b32_e32 v5, v4
	scratch_store_dwordx2 off, v[4:5], off offset:96
	s_waitcnt vmcnt(1)
	ds_write_b64 v1, v[2:3]
.LBB107_253:
	s_or_b64 exec, exec, s[0:1]
	s_waitcnt lgkmcnt(0)
	; wave barrier
	scratch_load_dwordx4 v[2:5], off, off offset:104
	scratch_load_dwordx4 v[6:9], off, off offset:120
	;; [unrolled: 1-line block ×15, first 2 shown]
	scratch_load_dwordx2 v[62:63], off, off offset:344
	scratch_load_dwordx2 v[112:113], off, off offset:96
	v_mov_b32_e32 v114, 0
	ds_read2_b64 v[64:67], v114 offset0:57 offset1:58
	ds_read2_b64 v[68:71], v114 offset0:59 offset1:60
	;; [unrolled: 1-line block ×12, first 2 shown]
	v_cmp_lt_u32_e32 vcc, 11, v0
	s_waitcnt vmcnt(16) lgkmcnt(11)
	v_mul_f32_e32 v115, v64, v3
	v_mul_f32_e32 v116, v66, v5
	;; [unrolled: 1-line block ×3, first 2 shown]
	v_fmac_f32_e32 v115, v65, v2
	s_waitcnt vmcnt(15) lgkmcnt(10)
	v_mul_f32_e32 v118, v68, v7
	v_fmac_f32_e32 v116, v67, v4
	v_fma_f32 v2, v64, v2, -v3
	v_add_f32_e32 v3, 0, v115
	v_mul_f32_e32 v120, v70, v9
	v_fmac_f32_e32 v118, v69, v6
	v_add_f32_e32 v3, v3, v116
	s_waitcnt vmcnt(14) lgkmcnt(9)
	v_mul_f32_e32 v121, v72, v11
	v_fmac_f32_e32 v120, v71, v8
	v_add_f32_e32 v3, v3, v118
	v_mul_f32_e32 v122, v74, v13
	v_fmac_f32_e32 v121, v73, v10
	v_add_f32_e32 v3, v3, v120
	s_waitcnt vmcnt(13) lgkmcnt(8)
	v_mul_f32_e32 v123, v76, v15
	v_fmac_f32_e32 v122, v75, v12
	;; [unrolled: 7-line block ×9, first 2 shown]
	v_add_f32_e32 v3, v3, v223
	v_mul_f32_e32 v5, v67, v5
	v_fmac_f32_e32 v225, v105, v58
	v_add_f32_e32 v3, v3, v224
	v_add_f32_e32 v2, 0, v2
	;; [unrolled: 1-line block ×3, first 2 shown]
	v_fma_f32 v3, v66, v4, -v5
	v_add_f32_e32 v2, v2, v3
	v_mul_f32_e32 v3, v69, v7
	v_fma_f32 v3, v68, v6, -v3
	v_add_f32_e32 v2, v2, v3
	v_mul_f32_e32 v3, v71, v9
	v_fma_f32 v3, v70, v8, -v3
	v_add_f32_e32 v2, v2, v3
	v_mul_f32_e32 v3, v73, v11
	v_fma_f32 v3, v72, v10, -v3
	v_add_f32_e32 v2, v2, v3
	v_mul_f32_e32 v3, v75, v13
	v_fma_f32 v3, v74, v12, -v3
	v_add_f32_e32 v2, v2, v3
	v_mul_f32_e32 v3, v77, v15
	v_fma_f32 v3, v76, v14, -v3
	v_add_f32_e32 v2, v2, v3
	v_mul_f32_e32 v3, v79, v17
	v_fma_f32 v3, v78, v16, -v3
	v_add_f32_e32 v2, v2, v3
	v_mul_f32_e32 v3, v81, v19
	v_fma_f32 v3, v80, v18, -v3
	v_add_f32_e32 v2, v2, v3
	v_mul_f32_e32 v3, v83, v21
	v_fma_f32 v3, v82, v20, -v3
	v_add_f32_e32 v2, v2, v3
	v_mul_f32_e32 v3, v85, v23
	v_fma_f32 v3, v84, v22, -v3
	v_add_f32_e32 v2, v2, v3
	v_mul_f32_e32 v3, v87, v25
	v_fma_f32 v3, v86, v24, -v3
	v_add_f32_e32 v2, v2, v3
	v_mul_f32_e32 v3, v89, v31
	v_fma_f32 v3, v88, v30, -v3
	v_add_f32_e32 v2, v2, v3
	v_mul_f32_e32 v3, v91, v33
	v_fma_f32 v3, v90, v32, -v3
	v_add_f32_e32 v2, v2, v3
	v_mul_f32_e32 v3, v93, v35
	v_fma_f32 v3, v92, v34, -v3
	v_add_f32_e32 v2, v2, v3
	v_mul_f32_e32 v3, v95, v37
	v_fma_f32 v3, v94, v36, -v3
	v_add_f32_e32 v2, v2, v3
	v_mul_f32_e32 v3, v97, v43
	v_fma_f32 v3, v96, v42, -v3
	v_add_f32_e32 v2, v2, v3
	v_mul_f32_e32 v3, v99, v45
	v_fma_f32 v3, v98, v44, -v3
	v_add_f32_e32 v2, v2, v3
	v_mul_f32_e32 v3, v101, v47
	v_fma_f32 v3, v100, v46, -v3
	v_add_f32_e32 v2, v2, v3
	v_mul_f32_e32 v3, v103, v49
	v_fma_f32 v3, v102, v48, -v3
	v_add_f32_e32 v2, v2, v3
	v_mul_f32_e32 v3, v105, v59
	v_fma_f32 v3, v104, v58, -v3
	v_add_f32_e32 v64, v2, v3
	v_mul_f32_e32 v2, v107, v61
	v_mul_f32_e32 v117, v106, v61
	v_fma_f32 v116, v106, v60, -v2
	s_waitcnt vmcnt(5) lgkmcnt(0)
	v_mul_f32_e32 v2, v109, v55
	v_mov_b32_e32 v18, v57
	v_mul_f32_e32 v119, v108, v55
	v_fmac_f32_e32 v117, v107, v60
	v_fma_f32 v118, v108, v54, -v2
	ds_read2_b64 v[2:5], v114 offset0:81 offset1:82
	ds_read2_b64 v[6:9], v114 offset0:83 offset1:84
	ds_read2_b64 v[10:13], v114 offset0:85 offset1:86
	ds_read_b64 v[14:15], v114 offset:696
	v_pk_mul_f32 v[18:19], v[110:111], v[18:19] op_sel:[1,0] op_sel_hi:[0,0]
	v_fmac_f32_e32 v119, v109, v54
	v_pk_add_f32 v[16:17], v[64:65], v[116:117]
	v_pk_fma_f32 v[20:21], v[110:111], v[56:57], v[18:19] neg_lo:[0,0,1] neg_hi:[0,0,1]
	v_pk_fma_f32 v[18:19], v[110:111], v[56:57], v[18:19] op_sel_hi:[1,0,1]
	v_pk_add_f32 v[16:17], v[16:17], v[118:119]
	v_mov_b32_e32 v21, v19
	s_waitcnt vmcnt(4) lgkmcnt(3)
	v_pk_mul_f32 v[18:19], v[2:3], v[50:51] op_sel:[1,1] op_sel_hi:[0,1]
	v_pk_add_f32 v[16:17], v[16:17], v[20:21]
	v_pk_fma_f32 v[20:21], v[2:3], v[50:51], v[18:19] neg_lo:[0,0,1] neg_hi:[0,0,1]
	v_pk_fma_f32 v[2:3], v[2:3], v[50:51], v[18:19] op_sel_hi:[1,0,1]
	s_nop 0
	v_mov_b32_e32 v21, v3
	v_pk_add_f32 v[2:3], v[16:17], v[20:21]
	v_mov_b32_e32 v16, v53
	v_pk_mul_f32 v[16:17], v[4:5], v[16:17] op_sel:[1,0] op_sel_hi:[0,0]
	v_pk_fma_f32 v[18:19], v[4:5], v[52:53], v[16:17] neg_lo:[0,0,1] neg_hi:[0,0,1]
	v_pk_fma_f32 v[4:5], v[4:5], v[52:53], v[16:17] op_sel_hi:[1,0,1]
	s_nop 0
	v_mov_b32_e32 v19, v5
	s_waitcnt vmcnt(3) lgkmcnt(2)
	v_pk_mul_f32 v[4:5], v[6:7], v[38:39] op_sel:[1,1] op_sel_hi:[0,1]
	v_pk_fma_f32 v[16:17], v[6:7], v[38:39], v[4:5] neg_lo:[0,0,1] neg_hi:[0,0,1]
	v_pk_fma_f32 v[4:5], v[6:7], v[38:39], v[4:5] op_sel_hi:[1,0,1]
	v_pk_add_f32 v[2:3], v[2:3], v[18:19]
	v_mov_b32_e32 v4, v41
	v_mov_b32_e32 v17, v5
	v_pk_mul_f32 v[4:5], v[8:9], v[4:5] op_sel:[1,0] op_sel_hi:[0,0]
	v_pk_fma_f32 v[6:7], v[8:9], v[40:41], v[4:5] neg_lo:[0,0,1] neg_hi:[0,0,1]
	v_pk_fma_f32 v[4:5], v[8:9], v[40:41], v[4:5] op_sel_hi:[1,0,1]
	v_pk_add_f32 v[2:3], v[2:3], v[16:17]
	v_mov_b32_e32 v7, v5
	s_waitcnt vmcnt(2) lgkmcnt(1)
	v_pk_mul_f32 v[4:5], v[10:11], v[26:27] op_sel:[1,1] op_sel_hi:[0,1]
	v_pk_add_f32 v[2:3], v[2:3], v[6:7]
	v_pk_fma_f32 v[6:7], v[10:11], v[26:27], v[4:5] neg_lo:[0,0,1] neg_hi:[0,0,1]
	v_pk_fma_f32 v[4:5], v[10:11], v[26:27], v[4:5] op_sel_hi:[1,0,1]
	s_nop 0
	v_mov_b32_e32 v4, v29
	v_mov_b32_e32 v7, v5
	v_pk_mul_f32 v[4:5], v[12:13], v[4:5] op_sel:[1,0] op_sel_hi:[0,0]
	v_pk_add_f32 v[2:3], v[2:3], v[6:7]
	v_pk_fma_f32 v[6:7], v[12:13], v[28:29], v[4:5] neg_lo:[0,0,1] neg_hi:[0,0,1]
	v_pk_fma_f32 v[4:5], v[12:13], v[28:29], v[4:5] op_sel_hi:[1,0,1]
	s_nop 0
	v_mov_b32_e32 v7, v5
	s_waitcnt vmcnt(1) lgkmcnt(0)
	v_pk_mul_f32 v[4:5], v[14:15], v[62:63] op_sel:[1,1] op_sel_hi:[0,1]
	v_pk_add_f32 v[2:3], v[2:3], v[6:7]
	v_pk_fma_f32 v[6:7], v[14:15], v[62:63], v[4:5] neg_lo:[0,0,1] neg_hi:[0,0,1]
	v_pk_fma_f32 v[4:5], v[14:15], v[62:63], v[4:5] op_sel_hi:[1,0,1]
	s_nop 0
	v_mov_b32_e32 v7, v5
	v_pk_add_f32 v[2:3], v[2:3], v[6:7]
	s_waitcnt vmcnt(0)
	v_pk_add_f32 v[2:3], v[112:113], v[2:3] neg_lo:[0,1] neg_hi:[0,1]
	scratch_store_dwordx2 off, v[2:3], off offset:96
	s_and_saveexec_b64 s[0:1], vcc
	s_cbranch_execz .LBB107_255
; %bb.254:
	scratch_load_dwordx2 v[2:3], off, off offset:88
	v_mov_b32_e32 v115, v114
	scratch_store_dwordx2 off, v[114:115], off offset:88
	s_waitcnt vmcnt(1)
	ds_write_b64 v1, v[2:3]
.LBB107_255:
	s_or_b64 exec, exec, s[0:1]
	s_waitcnt lgkmcnt(0)
	; wave barrier
	scratch_load_dwordx4 v[2:5], off, off offset:96
	scratch_load_dwordx4 v[6:9], off, off offset:112
	;; [unrolled: 1-line block ×12, first 2 shown]
	ds_read_b128 v[110:113], v114 offset:448
	ds_read_b128 v[106:109], v114 offset:464
	;; [unrolled: 1-line block ×12, first 2 shown]
	scratch_load_dwordx4 v[62:65], off, off offset:288
	scratch_load_dwordx4 v[54:57], off, off offset:304
	scratch_load_dwordx4 v[42:45], off, off offset:320
	scratch_load_dwordx4 v[34:37], off, off offset:336
	scratch_load_dwordx2 v[116:117], off, off offset:88
	v_cmp_lt_u32_e32 vcc, 10, v0
	s_waitcnt vmcnt(16) lgkmcnt(11)
	v_mul_f32_e32 v115, v110, v3
	v_mul_f32_e32 v118, v112, v5
	v_mul_f32_e32 v3, v111, v3
	v_fmac_f32_e32 v115, v111, v2
	s_waitcnt vmcnt(15) lgkmcnt(10)
	v_mul_f32_e32 v120, v106, v7
	v_fmac_f32_e32 v118, v113, v4
	v_fma_f32 v2, v110, v2, -v3
	v_add_f32_e32 v3, 0, v115
	v_mul_f32_e32 v122, v108, v9
	v_fmac_f32_e32 v120, v107, v6
	v_add_f32_e32 v3, v3, v118
	s_waitcnt vmcnt(14) lgkmcnt(9)
	v_mul_f32_e32 v123, v102, v11
	v_fmac_f32_e32 v122, v109, v8
	v_add_f32_e32 v3, v3, v120
	v_mul_f32_e32 v124, v104, v13
	v_fmac_f32_e32 v123, v103, v10
	v_add_f32_e32 v3, v3, v122
	s_waitcnt vmcnt(13) lgkmcnt(8)
	v_mul_f32_e32 v125, v98, v15
	v_fmac_f32_e32 v124, v105, v12
	;; [unrolled: 7-line block ×9, first 2 shown]
	v_add_f32_e32 v3, v3, v225
	v_mul_f32_e32 v228, v72, v53
	v_fmac_f32_e32 v227, v71, v50
	v_add_f32_e32 v3, v3, v226
	v_fmac_f32_e32 v228, v73, v52
	v_add_f32_e32 v3, v3, v227
	v_add_f32_e32 v111, v3, v228
	v_mul_f32_e32 v3, v113, v5
	v_add_f32_e32 v2, 0, v2
	v_fma_f32 v3, v112, v4, -v3
	v_add_f32_e32 v2, v2, v3
	v_mul_f32_e32 v3, v107, v7
	v_fma_f32 v3, v106, v6, -v3
	v_add_f32_e32 v2, v2, v3
	v_mul_f32_e32 v3, v109, v9
	;; [unrolled: 3-line block ×20, first 2 shown]
	v_fma_f32 v3, v72, v52, -v3
	v_add_f32_e32 v110, v2, v3
	s_waitcnt vmcnt(5) lgkmcnt(0)
	v_mul_f32_e32 v2, v67, v59
	v_fma_f32 v118, v66, v58, -v2
	v_mul_f32_e32 v2, v69, v61
	v_fma_f32 v120, v68, v60, -v2
	ds_read_b128 v[2:5], v114 offset:640
	ds_read_b128 v[6:9], v114 offset:656
	;; [unrolled: 1-line block ×4, first 2 shown]
	v_mul_f32_e32 v119, v66, v59
	v_mul_f32_e32 v121, v68, v61
	v_fmac_f32_e32 v119, v67, v58
	s_waitcnt vmcnt(4) lgkmcnt(3)
	v_pk_mul_f32 v[20:21], v[2:3], v[62:63] op_sel:[1,1] op_sel_hi:[0,1]
	v_fmac_f32_e32 v121, v69, v60
	v_pk_add_f32 v[18:19], v[110:111], v[118:119]
	v_pk_fma_f32 v[22:23], v[2:3], v[62:63], v[20:21] neg_lo:[0,0,1] neg_hi:[0,0,1]
	v_pk_fma_f32 v[2:3], v[2:3], v[62:63], v[20:21] op_sel_hi:[1,0,1]
	v_pk_add_f32 v[18:19], v[18:19], v[120:121]
	v_mov_b32_e32 v23, v3
	v_pk_add_f32 v[2:3], v[18:19], v[22:23]
	v_mov_b32_e32 v18, v65
	v_pk_mul_f32 v[18:19], v[4:5], v[18:19] op_sel:[1,0] op_sel_hi:[0,0]
	v_pk_fma_f32 v[20:21], v[4:5], v[64:65], v[18:19] neg_lo:[0,0,1] neg_hi:[0,0,1]
	v_pk_fma_f32 v[4:5], v[4:5], v[64:65], v[18:19] op_sel_hi:[1,0,1]
	s_nop 0
	v_mov_b32_e32 v21, v5
	s_waitcnt vmcnt(3) lgkmcnt(2)
	v_pk_mul_f32 v[4:5], v[6:7], v[54:55] op_sel:[1,1] op_sel_hi:[0,1]
	v_pk_fma_f32 v[18:19], v[6:7], v[54:55], v[4:5] neg_lo:[0,0,1] neg_hi:[0,0,1]
	v_pk_fma_f32 v[4:5], v[6:7], v[54:55], v[4:5] op_sel_hi:[1,0,1]
	v_pk_add_f32 v[2:3], v[2:3], v[20:21]
	v_mov_b32_e32 v4, v57
	v_mov_b32_e32 v19, v5
	v_pk_mul_f32 v[4:5], v[8:9], v[4:5] op_sel:[1,0] op_sel_hi:[0,0]
	v_pk_fma_f32 v[6:7], v[8:9], v[56:57], v[4:5] neg_lo:[0,0,1] neg_hi:[0,0,1]
	v_pk_fma_f32 v[4:5], v[8:9], v[56:57], v[4:5] op_sel_hi:[1,0,1]
	v_pk_add_f32 v[2:3], v[2:3], v[18:19]
	v_mov_b32_e32 v7, v5
	s_waitcnt vmcnt(2) lgkmcnt(1)
	v_pk_mul_f32 v[4:5], v[10:11], v[42:43] op_sel:[1,1] op_sel_hi:[0,1]
	v_pk_add_f32 v[2:3], v[2:3], v[6:7]
	v_pk_fma_f32 v[6:7], v[10:11], v[42:43], v[4:5] neg_lo:[0,0,1] neg_hi:[0,0,1]
	v_pk_fma_f32 v[4:5], v[10:11], v[42:43], v[4:5] op_sel_hi:[1,0,1]
	s_nop 0
	v_mov_b32_e32 v4, v45
	v_mov_b32_e32 v7, v5
	v_pk_mul_f32 v[4:5], v[12:13], v[4:5] op_sel:[1,0] op_sel_hi:[0,0]
	v_pk_add_f32 v[2:3], v[2:3], v[6:7]
	v_pk_fma_f32 v[6:7], v[12:13], v[44:45], v[4:5] neg_lo:[0,0,1] neg_hi:[0,0,1]
	v_pk_fma_f32 v[4:5], v[12:13], v[44:45], v[4:5] op_sel_hi:[1,0,1]
	s_nop 0
	v_mov_b32_e32 v7, v5
	s_waitcnt vmcnt(1) lgkmcnt(0)
	v_pk_mul_f32 v[4:5], v[14:15], v[34:35] op_sel:[1,1] op_sel_hi:[0,1]
	v_pk_add_f32 v[2:3], v[2:3], v[6:7]
	v_pk_fma_f32 v[6:7], v[14:15], v[34:35], v[4:5] neg_lo:[0,0,1] neg_hi:[0,0,1]
	v_pk_fma_f32 v[4:5], v[14:15], v[34:35], v[4:5] op_sel_hi:[1,0,1]
	s_nop 0
	v_mov_b32_e32 v4, v37
	v_mov_b32_e32 v7, v5
	v_pk_mul_f32 v[4:5], v[16:17], v[4:5] op_sel:[1,0] op_sel_hi:[0,0]
	v_pk_add_f32 v[2:3], v[2:3], v[6:7]
	v_pk_fma_f32 v[6:7], v[16:17], v[36:37], v[4:5] neg_lo:[0,0,1] neg_hi:[0,0,1]
	v_pk_fma_f32 v[4:5], v[16:17], v[36:37], v[4:5] op_sel_hi:[1,0,1]
	s_nop 0
	v_mov_b32_e32 v7, v5
	v_pk_add_f32 v[2:3], v[2:3], v[6:7]
	s_waitcnt vmcnt(0)
	v_pk_add_f32 v[2:3], v[116:117], v[2:3] neg_lo:[0,1] neg_hi:[0,1]
	scratch_store_dwordx2 off, v[2:3], off offset:88
	s_and_saveexec_b64 s[0:1], vcc
	s_cbranch_execz .LBB107_257
; %bb.256:
	scratch_load_dwordx2 v[2:3], off, off offset:80
	v_mov_b32_e32 v4, 0
	v_mov_b32_e32 v5, v4
	scratch_store_dwordx2 off, v[4:5], off offset:80
	s_waitcnt vmcnt(1)
	ds_write_b64 v1, v[2:3]
.LBB107_257:
	s_or_b64 exec, exec, s[0:1]
	s_waitcnt lgkmcnt(0)
	; wave barrier
	scratch_load_dwordx4 v[2:5], off, off offset:88
	scratch_load_dwordx4 v[6:9], off, off offset:104
	;; [unrolled: 1-line block ×13, first 2 shown]
	v_mov_b32_e32 v106, 0
	scratch_load_dwordx2 v[124:125], off, off offset:80
	ds_read2_b64 v[54:57], v106 offset0:55 offset1:56
	ds_read2_b64 v[58:61], v106 offset0:57 offset1:58
	;; [unrolled: 1-line block ×14, first 2 shown]
	v_cmp_lt_u32_e32 vcc, 9, v0
	s_waitcnt vmcnt(13) lgkmcnt(13)
	v_mul_f32_e32 v107, v54, v3
	v_mul_f32_e32 v112, v56, v5
	v_fmac_f32_e32 v107, v55, v2
	s_waitcnt vmcnt(12) lgkmcnt(12)
	v_mul_f32_e32 v113, v58, v7
	v_fmac_f32_e32 v112, v57, v4
	v_add_f32_e32 v107, 0, v107
	v_mul_f32_e32 v114, v60, v9
	v_fmac_f32_e32 v113, v59, v6
	v_add_f32_e32 v107, v107, v112
	s_waitcnt vmcnt(11) lgkmcnt(11)
	v_mul_f32_e32 v115, v62, v11
	v_fmac_f32_e32 v114, v61, v8
	v_add_f32_e32 v107, v107, v113
	v_mul_f32_e32 v116, v64, v13
	v_fmac_f32_e32 v115, v63, v10
	v_add_f32_e32 v107, v107, v114
	;; [unrolled: 7-line block ×8, first 2 shown]
	s_waitcnt vmcnt(4) lgkmcnt(4)
	v_mul_f32_e32 v221, v90, v39
	v_fmac_f32_e32 v220, v89, v36
	v_add_f32_e32 v107, v107, v219
	v_fmac_f32_e32 v221, v91, v38
	v_add_f32_e32 v107, v107, v220
	v_add_f32_e32 v107, v107, v221
	scratch_load_dwordx4 v[112:115], off, off offset:296
	scratch_load_dwordx4 v[116:119], off, off offset:312
	;; [unrolled: 1-line block ×3, first 2 shown]
	scratch_load_dwordx2 v[220:221], off, off offset:344
	v_mul_f32_e32 v3, v55, v3
	v_fma_f32 v2, v54, v2, -v3
	v_mul_f32_e32 v3, v57, v5
	v_add_f32_e32 v2, 0, v2
	v_fma_f32 v3, v56, v4, -v3
	v_add_f32_e32 v2, v2, v3
	v_mul_f32_e32 v3, v59, v7
	v_fma_f32 v3, v58, v6, -v3
	v_add_f32_e32 v2, v2, v3
	v_mul_f32_e32 v3, v61, v9
	;; [unrolled: 3-line block ×18, first 2 shown]
	v_fma_f32 v3, v92, v40, -v3
	v_add_f32_e32 v2, v2, v3
	s_waitcnt vmcnt(7) lgkmcnt(3)
	v_mul_f32_e32 v3, v95, v43
	v_fma_f32 v3, v94, v42, -v3
	v_mul_f32_e32 v222, v92, v41
	v_add_f32_e32 v2, v2, v3
	v_mul_f32_e32 v3, v97, v45
	v_mul_f32_e32 v223, v94, v43
	v_fmac_f32_e32 v222, v93, v40
	v_fma_f32 v3, v96, v44, -v3
	v_mul_f32_e32 v224, v96, v45
	v_fmac_f32_e32 v223, v95, v42
	v_add_f32_e32 v107, v107, v222
	v_add_f32_e32 v2, v2, v3
	s_waitcnt vmcnt(6) lgkmcnt(2)
	v_mul_f32_e32 v3, v99, v47
	v_mul_f32_e32 v225, v98, v47
	v_fmac_f32_e32 v224, v97, v44
	v_add_f32_e32 v107, v107, v223
	v_fma_f32 v3, v98, v46, -v3
	v_mul_f32_e32 v215, v100, v49
	v_fmac_f32_e32 v225, v99, v46
	v_add_f32_e32 v107, v107, v224
	v_add_f32_e32 v218, v2, v3
	v_mul_f32_e32 v2, v101, v49
	s_waitcnt vmcnt(5)
	v_mov_b32_e32 v14, v53
	s_waitcnt lgkmcnt(1)
	v_mul_f32_e32 v217, v102, v51
	v_fmac_f32_e32 v215, v101, v48
	v_add_f32_e32 v219, v107, v225
	v_fma_f32 v214, v100, v48, -v2
	v_mul_f32_e32 v2, v103, v51
	v_pk_mul_f32 v[14:15], v[104:105], v[14:15] op_sel:[1,0] op_sel_hi:[0,0]
	v_fmac_f32_e32 v217, v103, v50
	v_fma_f32 v216, v102, v50, -v2
	v_pk_add_f32 v[12:13], v[218:219], v[214:215]
	v_pk_fma_f32 v[16:17], v[104:105], v[52:53], v[14:15] neg_lo:[0,0,1] neg_hi:[0,0,1]
	v_pk_fma_f32 v[14:15], v[104:105], v[52:53], v[14:15] op_sel_hi:[1,0,1]
	v_pk_add_f32 v[12:13], v[12:13], v[216:217]
	v_mov_b32_e32 v17, v15
	s_waitcnt vmcnt(3) lgkmcnt(0)
	v_pk_mul_f32 v[14:15], v[108:109], v[112:113] op_sel:[1,1] op_sel_hi:[0,1]
	v_pk_add_f32 v[12:13], v[12:13], v[16:17]
	v_pk_fma_f32 v[16:17], v[108:109], v[112:113], v[14:15] neg_lo:[0,0,1] neg_hi:[0,0,1]
	v_pk_fma_f32 v[14:15], v[108:109], v[112:113], v[14:15] op_sel_hi:[1,0,1]
	ds_read2_b64 v[2:5], v106 offset0:83 offset1:84
	ds_read2_b64 v[6:9], v106 offset0:85 offset1:86
	ds_read_b64 v[10:11], v106 offset:696
	v_mov_b32_e32 v14, v115
	v_mov_b32_e32 v17, v15
	v_pk_mul_f32 v[14:15], v[110:111], v[14:15] op_sel:[1,0] op_sel_hi:[0,0]
	v_pk_add_f32 v[12:13], v[12:13], v[16:17]
	v_pk_fma_f32 v[16:17], v[110:111], v[114:115], v[14:15] neg_lo:[0,0,1] neg_hi:[0,0,1]
	v_pk_fma_f32 v[14:15], v[110:111], v[114:115], v[14:15] op_sel_hi:[1,0,1]
	s_nop 0
	v_mov_b32_e32 v17, v15
	s_waitcnt vmcnt(2) lgkmcnt(2)
	v_pk_mul_f32 v[14:15], v[2:3], v[116:117] op_sel:[1,1] op_sel_hi:[0,1]
	v_pk_add_f32 v[12:13], v[12:13], v[16:17]
	v_pk_fma_f32 v[16:17], v[2:3], v[116:117], v[14:15] neg_lo:[0,0,1] neg_hi:[0,0,1]
	v_pk_fma_f32 v[2:3], v[2:3], v[116:117], v[14:15] op_sel_hi:[1,0,1]
	s_nop 0
	v_mov_b32_e32 v17, v3
	v_pk_add_f32 v[2:3], v[12:13], v[16:17]
	v_mov_b32_e32 v12, v119
	v_pk_mul_f32 v[12:13], v[4:5], v[12:13] op_sel:[1,0] op_sel_hi:[0,0]
	v_pk_fma_f32 v[14:15], v[4:5], v[118:119], v[12:13] neg_lo:[0,0,1] neg_hi:[0,0,1]
	v_pk_fma_f32 v[4:5], v[4:5], v[118:119], v[12:13] op_sel_hi:[1,0,1]
	s_nop 0
	v_mov_b32_e32 v15, v5
	s_waitcnt vmcnt(1) lgkmcnt(1)
	v_pk_mul_f32 v[4:5], v[6:7], v[120:121] op_sel:[1,1] op_sel_hi:[0,1]
	v_pk_fma_f32 v[12:13], v[6:7], v[120:121], v[4:5] neg_lo:[0,0,1] neg_hi:[0,0,1]
	v_pk_fma_f32 v[4:5], v[6:7], v[120:121], v[4:5] op_sel_hi:[1,0,1]
	v_pk_add_f32 v[2:3], v[2:3], v[14:15]
	v_mov_b32_e32 v4, v123
	v_mov_b32_e32 v13, v5
	v_pk_mul_f32 v[4:5], v[8:9], v[4:5] op_sel:[1,0] op_sel_hi:[0,0]
	v_pk_fma_f32 v[6:7], v[8:9], v[122:123], v[4:5] neg_lo:[0,0,1] neg_hi:[0,0,1]
	v_pk_fma_f32 v[4:5], v[8:9], v[122:123], v[4:5] op_sel_hi:[1,0,1]
	v_pk_add_f32 v[2:3], v[2:3], v[12:13]
	v_mov_b32_e32 v7, v5
	s_waitcnt vmcnt(0) lgkmcnt(0)
	v_pk_mul_f32 v[4:5], v[10:11], v[220:221] op_sel:[1,1] op_sel_hi:[0,1]
	v_pk_add_f32 v[2:3], v[2:3], v[6:7]
	v_pk_fma_f32 v[6:7], v[10:11], v[220:221], v[4:5] neg_lo:[0,0,1] neg_hi:[0,0,1]
	v_pk_fma_f32 v[4:5], v[10:11], v[220:221], v[4:5] op_sel_hi:[1,0,1]
	s_nop 0
	v_mov_b32_e32 v7, v5
	v_pk_add_f32 v[2:3], v[2:3], v[6:7]
	s_nop 0
	v_pk_add_f32 v[2:3], v[124:125], v[2:3] neg_lo:[0,1] neg_hi:[0,1]
	scratch_store_dwordx2 off, v[2:3], off offset:80
	s_and_saveexec_b64 s[0:1], vcc
	s_cbranch_execz .LBB107_259
; %bb.258:
	scratch_load_dwordx2 v[2:3], off, off offset:72
	v_mov_b32_e32 v107, v106
	scratch_store_dwordx2 off, v[106:107], off offset:72
	s_waitcnt vmcnt(1)
	ds_write_b64 v1, v[2:3]
.LBB107_259:
	s_or_b64 exec, exec, s[0:1]
	s_waitcnt lgkmcnt(0)
	; wave barrier
	scratch_load_dwordx4 v[2:5], off, off offset:80
	scratch_load_dwordx4 v[6:9], off, off offset:96
	;; [unrolled: 1-line block ×13, first 2 shown]
	ds_read_b128 v[102:105], v106 offset:432
	ds_read_b128 v[98:101], v106 offset:448
	;; [unrolled: 1-line block ×14, first 2 shown]
	scratch_load_dwordx2 v[124:125], off, off offset:72
	v_cmp_lt_u32_e32 vcc, 8, v0
	s_waitcnt vmcnt(13) lgkmcnt(13)
	v_mul_f32_e32 v107, v102, v3
	v_mul_f32_e32 v112, v104, v5
	v_fmac_f32_e32 v107, v103, v2
	s_waitcnt vmcnt(12) lgkmcnt(12)
	v_mul_f32_e32 v113, v98, v7
	v_fmac_f32_e32 v112, v105, v4
	v_add_f32_e32 v107, 0, v107
	v_mul_f32_e32 v114, v100, v9
	v_fmac_f32_e32 v113, v99, v6
	v_add_f32_e32 v107, v107, v112
	s_waitcnt vmcnt(11) lgkmcnt(11)
	v_mul_f32_e32 v115, v94, v11
	v_fmac_f32_e32 v114, v101, v8
	v_add_f32_e32 v107, v107, v113
	v_mul_f32_e32 v116, v96, v13
	v_fmac_f32_e32 v115, v95, v10
	v_add_f32_e32 v107, v107, v114
	;; [unrolled: 7-line block ×7, first 2 shown]
	s_waitcnt vmcnt(5) lgkmcnt(5)
	v_mul_f32_e32 v217, v70, v35
	v_fmac_f32_e32 v216, v77, v32
	v_add_f32_e32 v107, v107, v215
	v_fmac_f32_e32 v217, v71, v34
	v_add_f32_e32 v107, v107, v216
	v_add_f32_e32 v107, v107, v217
	scratch_load_dwordx4 v[112:115], off, off offset:288
	scratch_load_dwordx4 v[116:119], off, off offset:304
	;; [unrolled: 1-line block ×4, first 2 shown]
	v_mul_f32_e32 v3, v103, v3
	v_fma_f32 v2, v102, v2, -v3
	v_mul_f32_e32 v3, v105, v5
	v_add_f32_e32 v2, 0, v2
	v_fma_f32 v3, v104, v4, -v3
	v_add_f32_e32 v2, v2, v3
	v_mul_f32_e32 v3, v99, v7
	v_fma_f32 v3, v98, v6, -v3
	v_add_f32_e32 v2, v2, v3
	v_mul_f32_e32 v3, v101, v9
	;; [unrolled: 3-line block ×16, first 2 shown]
	v_fma_f32 v3, v72, v36, -v3
	v_add_f32_e32 v2, v2, v3
	s_waitcnt vmcnt(8) lgkmcnt(4)
	v_mul_f32_e32 v3, v67, v39
	v_fma_f32 v3, v66, v38, -v3
	v_add_f32_e32 v2, v2, v3
	v_mul_f32_e32 v3, v69, v41
	v_fma_f32 v3, v68, v40, -v3
	v_add_f32_e32 v2, v2, v3
	s_waitcnt vmcnt(7) lgkmcnt(3)
	v_mul_f32_e32 v3, v63, v43
	v_mul_f32_e32 v218, v72, v37
	v_fma_f32 v3, v62, v42, -v3
	v_mul_f32_e32 v220, v66, v39
	v_fmac_f32_e32 v218, v73, v36
	v_add_f32_e32 v2, v2, v3
	v_mul_f32_e32 v3, v65, v45
	v_mul_f32_e32 v222, v68, v41
	v_fmac_f32_e32 v220, v67, v38
	v_add_f32_e32 v107, v107, v218
	v_fma_f32 v3, v64, v44, -v3
	v_mul_f32_e32 v223, v62, v43
	v_fmac_f32_e32 v222, v69, v40
	v_add_f32_e32 v107, v107, v220
	v_add_f32_e32 v2, v2, v3
	s_waitcnt vmcnt(6) lgkmcnt(2)
	v_mul_f32_e32 v3, v59, v47
	v_mul_f32_e32 v224, v64, v45
	v_fmac_f32_e32 v223, v63, v42
	v_add_f32_e32 v107, v107, v222
	v_fma_f32 v3, v58, v46, -v3
	v_mul_f32_e32 v225, v58, v47
	v_fmac_f32_e32 v224, v65, v44
	v_add_f32_e32 v107, v107, v223
	v_add_f32_e32 v2, v2, v3
	v_mul_f32_e32 v3, v61, v49
	v_mul_f32_e32 v226, v60, v49
	v_fmac_f32_e32 v225, v59, v46
	v_add_f32_e32 v107, v107, v224
	v_fma_f32 v3, v60, v48, -v3
	s_waitcnt vmcnt(5) lgkmcnt(1)
	v_mul_f32_e32 v219, v54, v51
	v_fmac_f32_e32 v226, v61, v48
	v_add_f32_e32 v107, v107, v225
	v_add_f32_e32 v222, v2, v3
	v_mul_f32_e32 v2, v55, v51
	s_waitcnt vmcnt(3) lgkmcnt(0)
	v_pk_mul_f32 v[16:17], v[108:109], v[112:113] op_sel:[1,1] op_sel_hi:[0,1]
	v_mul_f32_e32 v221, v56, v53
	v_fmac_f32_e32 v219, v55, v50
	v_add_f32_e32 v223, v107, v226
	v_fma_f32 v218, v54, v50, -v2
	v_mul_f32_e32 v2, v57, v53
	v_pk_fma_f32 v[18:19], v[108:109], v[112:113], v[16:17] neg_lo:[0,0,1] neg_hi:[0,0,1]
	v_pk_fma_f32 v[16:17], v[108:109], v[112:113], v[16:17] op_sel_hi:[1,0,1]
	v_fmac_f32_e32 v221, v57, v52
	v_fma_f32 v220, v56, v52, -v2
	ds_read_b128 v[2:5], v106 offset:656
	ds_read_b128 v[6:9], v106 offset:672
	;; [unrolled: 1-line block ×3, first 2 shown]
	v_pk_add_f32 v[14:15], v[222:223], v[218:219]
	v_mov_b32_e32 v16, v115
	v_pk_add_f32 v[14:15], v[14:15], v[220:221]
	v_mov_b32_e32 v19, v17
	v_pk_mul_f32 v[16:17], v[110:111], v[16:17] op_sel:[1,0] op_sel_hi:[0,0]
	v_pk_add_f32 v[14:15], v[14:15], v[18:19]
	v_pk_fma_f32 v[18:19], v[110:111], v[114:115], v[16:17] neg_lo:[0,0,1] neg_hi:[0,0,1]
	v_pk_fma_f32 v[16:17], v[110:111], v[114:115], v[16:17] op_sel_hi:[1,0,1]
	s_nop 0
	v_mov_b32_e32 v19, v17
	s_waitcnt vmcnt(2) lgkmcnt(2)
	v_pk_mul_f32 v[16:17], v[2:3], v[116:117] op_sel:[1,1] op_sel_hi:[0,1]
	v_pk_add_f32 v[14:15], v[14:15], v[18:19]
	v_pk_fma_f32 v[18:19], v[2:3], v[116:117], v[16:17] neg_lo:[0,0,1] neg_hi:[0,0,1]
	v_pk_fma_f32 v[2:3], v[2:3], v[116:117], v[16:17] op_sel_hi:[1,0,1]
	s_nop 0
	v_mov_b32_e32 v19, v3
	v_pk_add_f32 v[2:3], v[14:15], v[18:19]
	v_mov_b32_e32 v14, v119
	v_pk_mul_f32 v[14:15], v[4:5], v[14:15] op_sel:[1,0] op_sel_hi:[0,0]
	v_pk_fma_f32 v[16:17], v[4:5], v[118:119], v[14:15] neg_lo:[0,0,1] neg_hi:[0,0,1]
	v_pk_fma_f32 v[4:5], v[4:5], v[118:119], v[14:15] op_sel_hi:[1,0,1]
	s_nop 0
	v_mov_b32_e32 v17, v5
	s_waitcnt vmcnt(1) lgkmcnt(1)
	v_pk_mul_f32 v[4:5], v[6:7], v[120:121] op_sel:[1,1] op_sel_hi:[0,1]
	v_pk_fma_f32 v[14:15], v[6:7], v[120:121], v[4:5] neg_lo:[0,0,1] neg_hi:[0,0,1]
	v_pk_fma_f32 v[4:5], v[6:7], v[120:121], v[4:5] op_sel_hi:[1,0,1]
	v_pk_add_f32 v[2:3], v[2:3], v[16:17]
	v_mov_b32_e32 v4, v123
	v_mov_b32_e32 v15, v5
	v_pk_mul_f32 v[4:5], v[8:9], v[4:5] op_sel:[1,0] op_sel_hi:[0,0]
	v_pk_fma_f32 v[6:7], v[8:9], v[122:123], v[4:5] neg_lo:[0,0,1] neg_hi:[0,0,1]
	v_pk_fma_f32 v[4:5], v[8:9], v[122:123], v[4:5] op_sel_hi:[1,0,1]
	v_pk_add_f32 v[2:3], v[2:3], v[14:15]
	v_mov_b32_e32 v7, v5
	s_waitcnt vmcnt(0) lgkmcnt(0)
	v_pk_mul_f32 v[4:5], v[10:11], v[214:215] op_sel:[1,1] op_sel_hi:[0,1]
	v_pk_add_f32 v[2:3], v[2:3], v[6:7]
	v_pk_fma_f32 v[6:7], v[10:11], v[214:215], v[4:5] neg_lo:[0,0,1] neg_hi:[0,0,1]
	v_pk_fma_f32 v[4:5], v[10:11], v[214:215], v[4:5] op_sel_hi:[1,0,1]
	s_nop 0
	v_mov_b32_e32 v4, v217
	v_mov_b32_e32 v7, v5
	v_pk_mul_f32 v[4:5], v[12:13], v[4:5] op_sel:[1,0] op_sel_hi:[0,0]
	v_pk_add_f32 v[2:3], v[2:3], v[6:7]
	v_pk_fma_f32 v[6:7], v[12:13], v[216:217], v[4:5] neg_lo:[0,0,1] neg_hi:[0,0,1]
	v_pk_fma_f32 v[4:5], v[12:13], v[216:217], v[4:5] op_sel_hi:[1,0,1]
	s_nop 0
	v_mov_b32_e32 v7, v5
	v_pk_add_f32 v[2:3], v[2:3], v[6:7]
	s_nop 0
	v_pk_add_f32 v[2:3], v[124:125], v[2:3] neg_lo:[0,1] neg_hi:[0,1]
	scratch_store_dwordx2 off, v[2:3], off offset:72
	s_and_saveexec_b64 s[0:1], vcc
	s_cbranch_execz .LBB107_261
; %bb.260:
	scratch_load_dwordx2 v[2:3], off, off offset:64
	v_mov_b32_e32 v4, 0
	v_mov_b32_e32 v5, v4
	scratch_store_dwordx2 off, v[4:5], off offset:64
	s_waitcnt vmcnt(1)
	ds_write_b64 v1, v[2:3]
.LBB107_261:
	s_or_b64 exec, exec, s[0:1]
	s_waitcnt lgkmcnt(0)
	; wave barrier
	scratch_load_dwordx4 v[2:5], off, off offset:72
	scratch_load_dwordx4 v[6:9], off, off offset:88
	;; [unrolled: 1-line block ×13, first 2 shown]
	v_mov_b32_e32 v114, 0
	scratch_load_dwordx4 v[54:57], off, off offset:280
	scratch_load_dwordx2 v[124:125], off, off offset:64
	ds_read2_b64 v[58:61], v114 offset0:53 offset1:54
	ds_read2_b64 v[62:65], v114 offset0:55 offset1:56
	;; [unrolled: 1-line block ×14, first 2 shown]
	v_cmp_lt_u32_e32 vcc, 7, v0
	s_waitcnt vmcnt(14) lgkmcnt(13)
	v_mul_f32_e32 v115, v58, v3
	v_mul_f32_e32 v116, v60, v5
	v_fmac_f32_e32 v115, v59, v2
	s_waitcnt vmcnt(13) lgkmcnt(12)
	v_mul_f32_e32 v117, v62, v7
	v_fmac_f32_e32 v116, v61, v4
	v_add_f32_e32 v115, 0, v115
	v_mul_f32_e32 v118, v64, v9
	v_fmac_f32_e32 v117, v63, v6
	v_add_f32_e32 v115, v115, v116
	s_waitcnt vmcnt(12) lgkmcnt(11)
	v_mul_f32_e32 v119, v66, v11
	v_fmac_f32_e32 v118, v65, v8
	v_add_f32_e32 v115, v115, v117
	v_mul_f32_e32 v120, v68, v13
	v_fmac_f32_e32 v119, v67, v10
	v_add_f32_e32 v115, v115, v118
	;; [unrolled: 7-line block ×6, first 2 shown]
	s_waitcnt vmcnt(7) lgkmcnt(6)
	v_mul_f32_e32 v219, v86, v31
	v_fmac_f32_e32 v218, v85, v28
	v_add_f32_e32 v115, v115, v217
	scratch_load_dwordx4 v[116:119], off, off offset:296
	v_mul_f32_e32 v220, v88, v33
	v_fmac_f32_e32 v219, v87, v30
	v_add_f32_e32 v115, v115, v218
	s_waitcnt vmcnt(7) lgkmcnt(5)
	v_mul_f32_e32 v221, v90, v35
	v_fmac_f32_e32 v220, v89, v32
	v_add_f32_e32 v115, v115, v219
	v_mul_f32_e32 v222, v92, v37
	v_fmac_f32_e32 v221, v91, v34
	v_add_f32_e32 v115, v115, v220
	s_waitcnt vmcnt(6) lgkmcnt(4)
	v_mul_f32_e32 v223, v94, v39
	v_fmac_f32_e32 v222, v93, v36
	v_add_f32_e32 v115, v115, v221
	v_mul_f32_e32 v224, v96, v41
	v_fmac_f32_e32 v223, v95, v38
	v_add_f32_e32 v115, v115, v222
	s_waitcnt vmcnt(5) lgkmcnt(3)
	v_mul_f32_e32 v225, v98, v43
	v_fmac_f32_e32 v224, v97, v40
	v_add_f32_e32 v115, v115, v223
	v_fmac_f32_e32 v225, v99, v42
	v_add_f32_e32 v115, v115, v224
	v_add_f32_e32 v115, v115, v225
	scratch_load_dwordx4 v[120:123], off, off offset:312
	scratch_load_dwordx4 v[214:217], off, off offset:328
	scratch_load_dwordx2 v[224:225], off, off offset:344
	v_mul_f32_e32 v3, v59, v3
	v_fma_f32 v2, v58, v2, -v3
	v_mul_f32_e32 v3, v61, v5
	v_add_f32_e32 v2, 0, v2
	v_fma_f32 v3, v60, v4, -v3
	v_add_f32_e32 v2, v2, v3
	v_mul_f32_e32 v3, v63, v7
	v_fma_f32 v3, v62, v6, -v3
	v_add_f32_e32 v2, v2, v3
	v_mul_f32_e32 v3, v65, v9
	;; [unrolled: 3-line block ×20, first 2 shown]
	v_fma_f32 v3, v100, v44, -v3
	v_add_f32_e32 v2, v2, v3
	s_waitcnt vmcnt(7) lgkmcnt(2)
	v_mul_f32_e32 v3, v103, v47
	v_fma_f32 v3, v102, v46, -v3
	v_add_f32_e32 v2, v2, v3
	v_mul_f32_e32 v3, v105, v49
	v_mul_f32_e32 v226, v100, v45
	v_fma_f32 v3, v104, v48, -v3
	v_mul_f32_e32 v227, v102, v47
	v_fmac_f32_e32 v226, v101, v44
	v_add_f32_e32 v2, v2, v3
	s_waitcnt vmcnt(6) lgkmcnt(1)
	v_mul_f32_e32 v3, v107, v51
	v_mul_f32_e32 v228, v104, v49
	v_fmac_f32_e32 v227, v103, v46
	v_add_f32_e32 v115, v115, v226
	v_fma_f32 v3, v106, v50, -v3
	v_mul_f32_e32 v229, v106, v51
	v_fmac_f32_e32 v228, v105, v48
	v_add_f32_e32 v115, v115, v227
	v_add_f32_e32 v218, v2, v3
	v_mul_f32_e32 v2, v109, v53
	v_fmac_f32_e32 v229, v107, v50
	v_add_f32_e32 v115, v115, v228
	v_mul_f32_e32 v221, v108, v53
	v_fma_f32 v220, v108, v52, -v2
	s_waitcnt vmcnt(5) lgkmcnt(0)
	v_mul_f32_e32 v2, v111, v55
	v_mov_b32_e32 v18, v57
	v_add_f32_e32 v219, v115, v229
	v_fmac_f32_e32 v221, v109, v52
	v_mul_f32_e32 v223, v110, v55
	v_fma_f32 v222, v110, v54, -v2
	ds_read2_b64 v[2:5], v114 offset0:81 offset1:82
	ds_read2_b64 v[6:9], v114 offset0:83 offset1:84
	ds_read2_b64 v[10:13], v114 offset0:85 offset1:86
	ds_read_b64 v[14:15], v114 offset:696
	v_pk_mul_f32 v[18:19], v[112:113], v[18:19] op_sel:[1,0] op_sel_hi:[0,0]
	v_fmac_f32_e32 v223, v111, v54
	v_pk_add_f32 v[16:17], v[218:219], v[220:221]
	v_pk_fma_f32 v[20:21], v[112:113], v[56:57], v[18:19] neg_lo:[0,0,1] neg_hi:[0,0,1]
	v_pk_fma_f32 v[18:19], v[112:113], v[56:57], v[18:19] op_sel_hi:[1,0,1]
	v_pk_add_f32 v[16:17], v[16:17], v[222:223]
	v_mov_b32_e32 v21, v19
	s_waitcnt vmcnt(3) lgkmcnt(3)
	v_pk_mul_f32 v[18:19], v[2:3], v[116:117] op_sel:[1,1] op_sel_hi:[0,1]
	v_pk_add_f32 v[16:17], v[16:17], v[20:21]
	v_pk_fma_f32 v[20:21], v[2:3], v[116:117], v[18:19] neg_lo:[0,0,1] neg_hi:[0,0,1]
	v_pk_fma_f32 v[2:3], v[2:3], v[116:117], v[18:19] op_sel_hi:[1,0,1]
	s_nop 0
	v_mov_b32_e32 v21, v3
	v_pk_add_f32 v[2:3], v[16:17], v[20:21]
	v_mov_b32_e32 v16, v119
	v_pk_mul_f32 v[16:17], v[4:5], v[16:17] op_sel:[1,0] op_sel_hi:[0,0]
	v_pk_fma_f32 v[18:19], v[4:5], v[118:119], v[16:17] neg_lo:[0,0,1] neg_hi:[0,0,1]
	v_pk_fma_f32 v[4:5], v[4:5], v[118:119], v[16:17] op_sel_hi:[1,0,1]
	s_nop 0
	v_mov_b32_e32 v19, v5
	s_waitcnt vmcnt(2) lgkmcnt(2)
	v_pk_mul_f32 v[4:5], v[6:7], v[120:121] op_sel:[1,1] op_sel_hi:[0,1]
	v_pk_fma_f32 v[16:17], v[6:7], v[120:121], v[4:5] neg_lo:[0,0,1] neg_hi:[0,0,1]
	v_pk_fma_f32 v[4:5], v[6:7], v[120:121], v[4:5] op_sel_hi:[1,0,1]
	v_pk_add_f32 v[2:3], v[2:3], v[18:19]
	v_mov_b32_e32 v4, v123
	v_mov_b32_e32 v17, v5
	v_pk_mul_f32 v[4:5], v[8:9], v[4:5] op_sel:[1,0] op_sel_hi:[0,0]
	v_pk_fma_f32 v[6:7], v[8:9], v[122:123], v[4:5] neg_lo:[0,0,1] neg_hi:[0,0,1]
	v_pk_fma_f32 v[4:5], v[8:9], v[122:123], v[4:5] op_sel_hi:[1,0,1]
	v_pk_add_f32 v[2:3], v[2:3], v[16:17]
	v_mov_b32_e32 v7, v5
	s_waitcnt vmcnt(1) lgkmcnt(1)
	v_pk_mul_f32 v[4:5], v[10:11], v[214:215] op_sel:[1,1] op_sel_hi:[0,1]
	v_pk_add_f32 v[2:3], v[2:3], v[6:7]
	v_pk_fma_f32 v[6:7], v[10:11], v[214:215], v[4:5] neg_lo:[0,0,1] neg_hi:[0,0,1]
	v_pk_fma_f32 v[4:5], v[10:11], v[214:215], v[4:5] op_sel_hi:[1,0,1]
	s_nop 0
	v_mov_b32_e32 v4, v217
	v_mov_b32_e32 v7, v5
	v_pk_mul_f32 v[4:5], v[12:13], v[4:5] op_sel:[1,0] op_sel_hi:[0,0]
	v_pk_add_f32 v[2:3], v[2:3], v[6:7]
	v_pk_fma_f32 v[6:7], v[12:13], v[216:217], v[4:5] neg_lo:[0,0,1] neg_hi:[0,0,1]
	v_pk_fma_f32 v[4:5], v[12:13], v[216:217], v[4:5] op_sel_hi:[1,0,1]
	s_nop 0
	v_mov_b32_e32 v7, v5
	s_waitcnt vmcnt(0) lgkmcnt(0)
	v_pk_mul_f32 v[4:5], v[14:15], v[224:225] op_sel:[1,1] op_sel_hi:[0,1]
	v_pk_add_f32 v[2:3], v[2:3], v[6:7]
	v_pk_fma_f32 v[6:7], v[14:15], v[224:225], v[4:5] neg_lo:[0,0,1] neg_hi:[0,0,1]
	v_pk_fma_f32 v[4:5], v[14:15], v[224:225], v[4:5] op_sel_hi:[1,0,1]
	s_nop 0
	v_mov_b32_e32 v7, v5
	v_pk_add_f32 v[2:3], v[2:3], v[6:7]
	s_nop 0
	v_pk_add_f32 v[2:3], v[124:125], v[2:3] neg_lo:[0,1] neg_hi:[0,1]
	scratch_store_dwordx2 off, v[2:3], off offset:64
	s_and_saveexec_b64 s[0:1], vcc
	s_cbranch_execz .LBB107_263
; %bb.262:
	scratch_load_dwordx2 v[2:3], off, off offset:56
	v_mov_b32_e32 v115, v114
	scratch_store_dwordx2 off, v[114:115], off offset:56
	s_waitcnt vmcnt(1)
	ds_write_b64 v1, v[2:3]
.LBB107_263:
	s_or_b64 exec, exec, s[0:1]
	s_waitcnt lgkmcnt(0)
	; wave barrier
	scratch_load_dwordx4 v[2:5], off, off offset:64
	scratch_load_dwordx4 v[6:9], off, off offset:80
	;; [unrolled: 1-line block ×13, first 2 shown]
	ds_read_b128 v[110:113], v114 offset:416
	ds_read_b128 v[106:109], v114 offset:432
	;; [unrolled: 1-line block ×14, first 2 shown]
	scratch_load_dwordx4 v[66:69], off, off offset:272
	scratch_load_dwordx2 v[124:125], off, off offset:56
	v_cmp_lt_u32_e32 vcc, 6, v0
	s_waitcnt vmcnt(14) lgkmcnt(13)
	v_mul_f32_e32 v115, v110, v3
	v_mul_f32_e32 v116, v112, v5
	v_fmac_f32_e32 v115, v111, v2
	s_waitcnt vmcnt(13) lgkmcnt(12)
	v_mul_f32_e32 v117, v106, v7
	v_fmac_f32_e32 v116, v113, v4
	v_add_f32_e32 v115, 0, v115
	v_mul_f32_e32 v118, v108, v9
	v_fmac_f32_e32 v117, v107, v6
	v_add_f32_e32 v115, v115, v116
	s_waitcnt vmcnt(12) lgkmcnt(11)
	v_mul_f32_e32 v119, v102, v11
	v_fmac_f32_e32 v118, v109, v8
	v_add_f32_e32 v115, v115, v117
	v_mul_f32_e32 v120, v104, v13
	v_fmac_f32_e32 v119, v103, v10
	v_add_f32_e32 v115, v115, v118
	;; [unrolled: 7-line block ×4, first 2 shown]
	s_waitcnt vmcnt(9) lgkmcnt(8)
	v_mul_f32_e32 v215, v90, v23
	v_fmac_f32_e32 v214, v97, v20
	v_add_f32_e32 v115, v115, v123
	scratch_load_dwordx4 v[116:119], off, off offset:288
	v_mul_f32_e32 v216, v92, v25
	v_fmac_f32_e32 v215, v91, v22
	v_add_f32_e32 v115, v115, v214
	s_waitcnt vmcnt(9) lgkmcnt(7)
	v_mul_f32_e32 v217, v86, v27
	v_fmac_f32_e32 v216, v93, v24
	v_add_f32_e32 v115, v115, v215
	v_mul_f32_e32 v218, v88, v29
	v_fmac_f32_e32 v217, v87, v26
	v_add_f32_e32 v115, v115, v216
	s_waitcnt vmcnt(8) lgkmcnt(6)
	v_mul_f32_e32 v219, v82, v31
	v_fmac_f32_e32 v218, v89, v28
	v_add_f32_e32 v115, v115, v217
	;; [unrolled: 7-line block ×3, first 2 shown]
	v_fmac_f32_e32 v221, v79, v34
	v_add_f32_e32 v115, v115, v220
	v_add_f32_e32 v115, v115, v221
	scratch_load_dwordx4 v[120:123], off, off offset:304
	scratch_load_dwordx4 v[214:217], off, off offset:320
	;; [unrolled: 1-line block ×3, first 2 shown]
	v_mul_f32_e32 v3, v111, v3
	v_fma_f32 v2, v110, v2, -v3
	v_mul_f32_e32 v3, v113, v5
	v_add_f32_e32 v2, 0, v2
	v_fma_f32 v3, v112, v4, -v3
	v_add_f32_e32 v2, v2, v3
	v_mul_f32_e32 v3, v107, v7
	v_fma_f32 v3, v106, v6, -v3
	v_add_f32_e32 v2, v2, v3
	v_mul_f32_e32 v3, v109, v9
	;; [unrolled: 3-line block ×16, first 2 shown]
	v_fma_f32 v3, v80, v36, -v3
	v_add_f32_e32 v2, v2, v3
	s_waitcnt vmcnt(9) lgkmcnt(4)
	v_mul_f32_e32 v3, v75, v39
	v_fma_f32 v3, v74, v38, -v3
	v_add_f32_e32 v2, v2, v3
	v_mul_f32_e32 v3, v77, v41
	v_fma_f32 v3, v76, v40, -v3
	v_add_f32_e32 v2, v2, v3
	s_waitcnt vmcnt(8) lgkmcnt(3)
	v_mul_f32_e32 v3, v71, v43
	v_fma_f32 v3, v70, v42, -v3
	v_add_f32_e32 v2, v2, v3
	v_mul_f32_e32 v3, v73, v45
	v_fma_f32 v3, v72, v44, -v3
	v_add_f32_e32 v2, v2, v3
	s_waitcnt vmcnt(7) lgkmcnt(2)
	v_mul_f32_e32 v3, v63, v47
	v_fma_f32 v3, v62, v46, -v3
	v_mul_f32_e32 v222, v80, v37
	v_add_f32_e32 v2, v2, v3
	v_mul_f32_e32 v3, v65, v49
	v_mul_f32_e32 v223, v74, v39
	v_fmac_f32_e32 v222, v81, v36
	v_fma_f32 v3, v64, v48, -v3
	v_mul_f32_e32 v224, v76, v41
	v_fmac_f32_e32 v223, v75, v38
	v_add_f32_e32 v115, v115, v222
	v_add_f32_e32 v2, v2, v3
	s_waitcnt vmcnt(6) lgkmcnt(1)
	v_mul_f32_e32 v3, v55, v51
	v_mul_f32_e32 v225, v70, v43
	v_fmac_f32_e32 v224, v77, v40
	v_add_f32_e32 v115, v115, v223
	v_fma_f32 v3, v54, v50, -v3
	v_mul_f32_e32 v226, v72, v45
	v_fmac_f32_e32 v225, v71, v42
	v_add_f32_e32 v115, v115, v224
	v_add_f32_e32 v2, v2, v3
	v_mul_f32_e32 v3, v57, v53
	v_mul_f32_e32 v227, v62, v47
	v_fmac_f32_e32 v226, v73, v44
	v_add_f32_e32 v115, v115, v225
	v_fma_f32 v3, v56, v52, -v3
	v_mul_f32_e32 v228, v64, v49
	v_fmac_f32_e32 v227, v63, v46
	v_add_f32_e32 v115, v115, v226
	v_add_f32_e32 v222, v2, v3
	s_waitcnt vmcnt(5) lgkmcnt(0)
	v_mul_f32_e32 v2, v59, v67
	v_mul_f32_e32 v229, v54, v51
	v_fmac_f32_e32 v228, v65, v48
	v_add_f32_e32 v115, v115, v227
	v_fma_f32 v224, v58, v66, -v2
	v_mul_f32_e32 v2, v61, v69
	v_mul_f32_e32 v230, v56, v53
	v_fmac_f32_e32 v229, v55, v50
	v_add_f32_e32 v115, v115, v228
	v_fma_f32 v226, v60, v68, -v2
	ds_read_b128 v[2:5], v114 offset:640
	ds_read_b128 v[6:9], v114 offset:656
	;; [unrolled: 1-line block ×4, first 2 shown]
	v_add_f32_e32 v115, v115, v229
	v_fmac_f32_e32 v230, v57, v52
	v_mul_f32_e32 v225, v58, v67
	v_add_f32_e32 v223, v115, v230
	v_fmac_f32_e32 v225, v59, v66
	v_mul_f32_e32 v227, v60, v69
	s_waitcnt vmcnt(3) lgkmcnt(3)
	v_pk_mul_f32 v[20:21], v[2:3], v[116:117] op_sel:[1,1] op_sel_hi:[0,1]
	v_fmac_f32_e32 v227, v61, v68
	v_pk_add_f32 v[18:19], v[222:223], v[224:225]
	v_pk_fma_f32 v[22:23], v[2:3], v[116:117], v[20:21] neg_lo:[0,0,1] neg_hi:[0,0,1]
	v_pk_fma_f32 v[2:3], v[2:3], v[116:117], v[20:21] op_sel_hi:[1,0,1]
	v_pk_add_f32 v[18:19], v[18:19], v[226:227]
	v_mov_b32_e32 v23, v3
	v_pk_add_f32 v[2:3], v[18:19], v[22:23]
	v_mov_b32_e32 v18, v119
	v_pk_mul_f32 v[18:19], v[4:5], v[18:19] op_sel:[1,0] op_sel_hi:[0,0]
	v_pk_fma_f32 v[20:21], v[4:5], v[118:119], v[18:19] neg_lo:[0,0,1] neg_hi:[0,0,1]
	v_pk_fma_f32 v[4:5], v[4:5], v[118:119], v[18:19] op_sel_hi:[1,0,1]
	s_nop 0
	v_mov_b32_e32 v21, v5
	s_waitcnt vmcnt(2) lgkmcnt(2)
	v_pk_mul_f32 v[4:5], v[6:7], v[120:121] op_sel:[1,1] op_sel_hi:[0,1]
	v_pk_fma_f32 v[18:19], v[6:7], v[120:121], v[4:5] neg_lo:[0,0,1] neg_hi:[0,0,1]
	v_pk_fma_f32 v[4:5], v[6:7], v[120:121], v[4:5] op_sel_hi:[1,0,1]
	v_pk_add_f32 v[2:3], v[2:3], v[20:21]
	v_mov_b32_e32 v4, v123
	v_mov_b32_e32 v19, v5
	v_pk_mul_f32 v[4:5], v[8:9], v[4:5] op_sel:[1,0] op_sel_hi:[0,0]
	v_pk_fma_f32 v[6:7], v[8:9], v[122:123], v[4:5] neg_lo:[0,0,1] neg_hi:[0,0,1]
	v_pk_fma_f32 v[4:5], v[8:9], v[122:123], v[4:5] op_sel_hi:[1,0,1]
	v_pk_add_f32 v[2:3], v[2:3], v[18:19]
	v_mov_b32_e32 v7, v5
	s_waitcnt vmcnt(1) lgkmcnt(1)
	v_pk_mul_f32 v[4:5], v[10:11], v[214:215] op_sel:[1,1] op_sel_hi:[0,1]
	v_pk_add_f32 v[2:3], v[2:3], v[6:7]
	v_pk_fma_f32 v[6:7], v[10:11], v[214:215], v[4:5] neg_lo:[0,0,1] neg_hi:[0,0,1]
	v_pk_fma_f32 v[4:5], v[10:11], v[214:215], v[4:5] op_sel_hi:[1,0,1]
	s_nop 0
	v_mov_b32_e32 v4, v217
	v_mov_b32_e32 v7, v5
	v_pk_mul_f32 v[4:5], v[12:13], v[4:5] op_sel:[1,0] op_sel_hi:[0,0]
	v_pk_add_f32 v[2:3], v[2:3], v[6:7]
	v_pk_fma_f32 v[6:7], v[12:13], v[216:217], v[4:5] neg_lo:[0,0,1] neg_hi:[0,0,1]
	v_pk_fma_f32 v[4:5], v[12:13], v[216:217], v[4:5] op_sel_hi:[1,0,1]
	s_nop 0
	v_mov_b32_e32 v7, v5
	s_waitcnt vmcnt(0) lgkmcnt(0)
	v_pk_mul_f32 v[4:5], v[14:15], v[218:219] op_sel:[1,1] op_sel_hi:[0,1]
	v_pk_add_f32 v[2:3], v[2:3], v[6:7]
	v_pk_fma_f32 v[6:7], v[14:15], v[218:219], v[4:5] neg_lo:[0,0,1] neg_hi:[0,0,1]
	v_pk_fma_f32 v[4:5], v[14:15], v[218:219], v[4:5] op_sel_hi:[1,0,1]
	s_nop 0
	v_mov_b32_e32 v4, v221
	v_mov_b32_e32 v7, v5
	v_pk_mul_f32 v[4:5], v[16:17], v[4:5] op_sel:[1,0] op_sel_hi:[0,0]
	v_pk_add_f32 v[2:3], v[2:3], v[6:7]
	v_pk_fma_f32 v[6:7], v[16:17], v[220:221], v[4:5] neg_lo:[0,0,1] neg_hi:[0,0,1]
	v_pk_fma_f32 v[4:5], v[16:17], v[220:221], v[4:5] op_sel_hi:[1,0,1]
	s_nop 0
	v_mov_b32_e32 v7, v5
	v_pk_add_f32 v[2:3], v[2:3], v[6:7]
	s_nop 0
	v_pk_add_f32 v[2:3], v[124:125], v[2:3] neg_lo:[0,1] neg_hi:[0,1]
	scratch_store_dwordx2 off, v[2:3], off offset:56
	s_and_saveexec_b64 s[0:1], vcc
	s_cbranch_execz .LBB107_265
; %bb.264:
	scratch_load_dwordx2 v[2:3], off, off offset:48
	v_mov_b32_e32 v4, 0
	v_mov_b32_e32 v5, v4
	scratch_store_dwordx2 off, v[4:5], off offset:48
	s_waitcnt vmcnt(1)
	ds_write_b64 v1, v[2:3]
.LBB107_265:
	s_or_b64 exec, exec, s[0:1]
	s_waitcnt lgkmcnt(0)
	; wave barrier
	scratch_load_dwordx4 v[2:5], off, off offset:56
	scratch_load_dwordx4 v[6:9], off, off offset:72
	;; [unrolled: 1-line block ×15, first 2 shown]
	scratch_load_dwordx2 v[124:125], off, off offset:48
	v_mov_b32_e32 v118, 0
	ds_read2_b64 v[62:65], v118 offset0:51 offset1:52
	ds_read2_b64 v[66:69], v118 offset0:53 offset1:54
	;; [unrolled: 1-line block ×14, first 2 shown]
	v_cmp_lt_u32_e32 vcc, 5, v0
	s_waitcnt vmcnt(15) lgkmcnt(13)
	v_mul_f32_e32 v119, v62, v3
	v_mul_f32_e32 v120, v64, v5
	v_fmac_f32_e32 v119, v63, v2
	s_waitcnt vmcnt(14) lgkmcnt(12)
	v_mul_f32_e32 v121, v66, v7
	v_fmac_f32_e32 v120, v65, v4
	v_add_f32_e32 v119, 0, v119
	v_mul_f32_e32 v122, v68, v9
	v_fmac_f32_e32 v121, v67, v6
	v_add_f32_e32 v119, v119, v120
	s_waitcnt vmcnt(13) lgkmcnt(11)
	v_mul_f32_e32 v123, v70, v11
	v_fmac_f32_e32 v122, v69, v8
	v_add_f32_e32 v119, v119, v121
	v_mul_f32_e32 v214, v72, v13
	v_fmac_f32_e32 v123, v71, v10
	v_add_f32_e32 v119, v119, v122
	;; [unrolled: 7-line block ×11, first 2 shown]
	s_waitcnt vmcnt(3) lgkmcnt(1)
	v_mul_f32_e32 v233, v110, v51
	v_fmac_f32_e32 v232, v109, v48
	v_add_f32_e32 v119, v119, v231
	v_add_f32_e32 v119, v119, v232
	v_fmac_f32_e32 v233, v111, v50
	v_mul_f32_e32 v120, v112, v53
	v_add_f32_e32 v119, v119, v233
	v_fmac_f32_e32 v120, v113, v52
	s_waitcnt vmcnt(2) lgkmcnt(0)
	v_mul_f32_e32 v214, v114, v55
	v_add_f32_e32 v119, v119, v120
	v_fmac_f32_e32 v214, v115, v54
	ds_read2_b64 v[120:123], v118 offset0:79 offset1:80
	v_add_f32_e32 v231, v119, v214
	ds_read2_b64 v[214:217], v118 offset0:81 offset1:82
	scratch_load_dwordx4 v[218:221], off, off offset:296
	scratch_load_dwordx4 v[222:225], off, off offset:312
	;; [unrolled: 1-line block ×3, first 2 shown]
	scratch_load_dwordx2 v[236:237], off, off offset:344
	v_mul_f32_e32 v3, v63, v3
	v_fma_f32 v2, v62, v2, -v3
	v_mul_f32_e32 v3, v65, v5
	v_add_f32_e32 v2, 0, v2
	v_fma_f32 v3, v64, v4, -v3
	v_add_f32_e32 v2, v2, v3
	v_mul_f32_e32 v3, v67, v7
	v_fma_f32 v3, v66, v6, -v3
	v_add_f32_e32 v2, v2, v3
	v_mul_f32_e32 v3, v69, v9
	;; [unrolled: 3-line block ×25, first 2 shown]
	v_fma_f32 v3, v114, v54, -v3
	v_mul_f32_e32 v233, v116, v57
	v_add_f32_e32 v230, v2, v3
	v_mul_f32_e32 v2, v117, v57
	s_waitcnt vmcnt(5)
	v_mov_b32_e32 v14, v61
	v_fmac_f32_e32 v233, v117, v56
	s_waitcnt lgkmcnt(1)
	v_mul_f32_e32 v235, v120, v59
	v_fma_f32 v232, v116, v56, -v2
	v_mul_f32_e32 v2, v121, v59
	v_pk_mul_f32 v[14:15], v[122:123], v[14:15] op_sel:[1,0] op_sel_hi:[0,0]
	v_fmac_f32_e32 v235, v121, v58
	v_fma_f32 v234, v120, v58, -v2
	v_pk_add_f32 v[12:13], v[230:231], v[232:233]
	v_pk_fma_f32 v[16:17], v[122:123], v[60:61], v[14:15] neg_lo:[0,0,1] neg_hi:[0,0,1]
	v_pk_fma_f32 v[14:15], v[122:123], v[60:61], v[14:15] op_sel_hi:[1,0,1]
	v_pk_add_f32 v[12:13], v[12:13], v[234:235]
	v_mov_b32_e32 v17, v15
	s_waitcnt vmcnt(3) lgkmcnt(0)
	v_pk_mul_f32 v[14:15], v[214:215], v[218:219] op_sel:[1,1] op_sel_hi:[0,1]
	v_pk_add_f32 v[12:13], v[12:13], v[16:17]
	v_pk_fma_f32 v[16:17], v[214:215], v[218:219], v[14:15] neg_lo:[0,0,1] neg_hi:[0,0,1]
	v_pk_fma_f32 v[14:15], v[214:215], v[218:219], v[14:15] op_sel_hi:[1,0,1]
	ds_read2_b64 v[2:5], v118 offset0:83 offset1:84
	ds_read2_b64 v[6:9], v118 offset0:85 offset1:86
	ds_read_b64 v[10:11], v118 offset:696
	v_mov_b32_e32 v14, v221
	v_mov_b32_e32 v17, v15
	v_pk_mul_f32 v[14:15], v[216:217], v[14:15] op_sel:[1,0] op_sel_hi:[0,0]
	v_pk_add_f32 v[12:13], v[12:13], v[16:17]
	v_pk_fma_f32 v[16:17], v[216:217], v[220:221], v[14:15] neg_lo:[0,0,1] neg_hi:[0,0,1]
	v_pk_fma_f32 v[14:15], v[216:217], v[220:221], v[14:15] op_sel_hi:[1,0,1]
	s_nop 0
	v_mov_b32_e32 v17, v15
	s_waitcnt vmcnt(2) lgkmcnt(2)
	v_pk_mul_f32 v[14:15], v[2:3], v[222:223] op_sel:[1,1] op_sel_hi:[0,1]
	v_pk_add_f32 v[12:13], v[12:13], v[16:17]
	v_pk_fma_f32 v[16:17], v[2:3], v[222:223], v[14:15] neg_lo:[0,0,1] neg_hi:[0,0,1]
	v_pk_fma_f32 v[2:3], v[2:3], v[222:223], v[14:15] op_sel_hi:[1,0,1]
	s_nop 0
	v_mov_b32_e32 v17, v3
	v_pk_add_f32 v[2:3], v[12:13], v[16:17]
	v_mov_b32_e32 v12, v225
	v_pk_mul_f32 v[12:13], v[4:5], v[12:13] op_sel:[1,0] op_sel_hi:[0,0]
	v_pk_fma_f32 v[14:15], v[4:5], v[224:225], v[12:13] neg_lo:[0,0,1] neg_hi:[0,0,1]
	v_pk_fma_f32 v[4:5], v[4:5], v[224:225], v[12:13] op_sel_hi:[1,0,1]
	s_nop 0
	v_mov_b32_e32 v15, v5
	s_waitcnt vmcnt(1) lgkmcnt(1)
	v_pk_mul_f32 v[4:5], v[6:7], v[226:227] op_sel:[1,1] op_sel_hi:[0,1]
	v_pk_fma_f32 v[12:13], v[6:7], v[226:227], v[4:5] neg_lo:[0,0,1] neg_hi:[0,0,1]
	v_pk_fma_f32 v[4:5], v[6:7], v[226:227], v[4:5] op_sel_hi:[1,0,1]
	v_pk_add_f32 v[2:3], v[2:3], v[14:15]
	v_mov_b32_e32 v4, v229
	v_mov_b32_e32 v13, v5
	v_pk_mul_f32 v[4:5], v[8:9], v[4:5] op_sel:[1,0] op_sel_hi:[0,0]
	v_pk_fma_f32 v[6:7], v[8:9], v[228:229], v[4:5] neg_lo:[0,0,1] neg_hi:[0,0,1]
	v_pk_fma_f32 v[4:5], v[8:9], v[228:229], v[4:5] op_sel_hi:[1,0,1]
	v_pk_add_f32 v[2:3], v[2:3], v[12:13]
	v_mov_b32_e32 v7, v5
	s_waitcnt vmcnt(0) lgkmcnt(0)
	v_pk_mul_f32 v[4:5], v[10:11], v[236:237] op_sel:[1,1] op_sel_hi:[0,1]
	v_pk_add_f32 v[2:3], v[2:3], v[6:7]
	v_pk_fma_f32 v[6:7], v[10:11], v[236:237], v[4:5] neg_lo:[0,0,1] neg_hi:[0,0,1]
	v_pk_fma_f32 v[4:5], v[10:11], v[236:237], v[4:5] op_sel_hi:[1,0,1]
	s_nop 0
	v_mov_b32_e32 v7, v5
	v_pk_add_f32 v[2:3], v[2:3], v[6:7]
	s_nop 0
	v_pk_add_f32 v[2:3], v[124:125], v[2:3] neg_lo:[0,1] neg_hi:[0,1]
	scratch_store_dwordx2 off, v[2:3], off offset:48
	s_and_saveexec_b64 s[0:1], vcc
	s_cbranch_execz .LBB107_267
; %bb.266:
	scratch_load_dwordx2 v[2:3], off, off offset:40
	v_mov_b32_e32 v119, v118
	scratch_store_dwordx2 off, v[118:119], off offset:40
	s_waitcnt vmcnt(1)
	ds_write_b64 v1, v[2:3]
.LBB107_267:
	s_or_b64 exec, exec, s[0:1]
	s_waitcnt lgkmcnt(0)
	; wave barrier
	scratch_load_dwordx4 v[2:5], off, off offset:48
	scratch_load_dwordx4 v[6:9], off, off offset:64
	;; [unrolled: 1-line block ×13, first 2 shown]
	ds_read_b128 v[114:117], v118 offset:400
	ds_read_b128 v[110:113], v118 offset:416
	;; [unrolled: 1-line block ×14, first 2 shown]
	scratch_load_dwordx4 v[62:65], off, off offset:256
	scratch_load_dwordx4 v[70:73], off, off offset:272
	scratch_load_dwordx2 v[124:125], off, off offset:40
	v_cmp_lt_u32_e32 vcc, 4, v0
	s_waitcnt vmcnt(15) lgkmcnt(13)
	v_mul_f32_e32 v119, v114, v3
	v_mul_f32_e32 v120, v116, v5
	v_fmac_f32_e32 v119, v115, v2
	s_waitcnt vmcnt(14) lgkmcnt(12)
	v_mul_f32_e32 v121, v110, v7
	v_fmac_f32_e32 v120, v117, v4
	v_add_f32_e32 v119, 0, v119
	v_mul_f32_e32 v122, v112, v9
	v_fmac_f32_e32 v121, v111, v6
	v_add_f32_e32 v119, v119, v120
	s_waitcnt vmcnt(13) lgkmcnt(11)
	v_mul_f32_e32 v123, v106, v11
	v_fmac_f32_e32 v122, v113, v8
	v_add_f32_e32 v119, v119, v121
	v_mul_f32_e32 v214, v108, v13
	v_fmac_f32_e32 v123, v107, v10
	v_add_f32_e32 v119, v119, v122
	;; [unrolled: 7-line block ×11, first 2 shown]
	s_waitcnt vmcnt(3) lgkmcnt(1)
	v_mul_f32_e32 v233, v54, v51
	v_fmac_f32_e32 v232, v69, v48
	v_add_f32_e32 v119, v119, v231
	v_fmac_f32_e32 v233, v55, v50
	v_add_f32_e32 v119, v119, v232
	v_mul_f32_e32 v120, v56, v53
	v_add_f32_e32 v119, v119, v233
	v_fmac_f32_e32 v120, v57, v52
	v_add_f32_e32 v119, v119, v120
	s_waitcnt vmcnt(2) lgkmcnt(0)
	v_mul_f32_e32 v120, v58, v63
	v_fmac_f32_e32 v120, v59, v62
	v_mul_f32_e32 v214, v60, v65
	v_add_f32_e32 v119, v119, v120
	v_fmac_f32_e32 v214, v61, v64
	ds_read_b128 v[120:123], v118 offset:624
	v_add_f32_e32 v235, v119, v214
	ds_read_b128 v[214:217], v118 offset:640
	scratch_load_dwordx4 v[218:221], off, off offset:288
	scratch_load_dwordx4 v[222:225], off, off offset:304
	;; [unrolled: 1-line block ×4, first 2 shown]
	v_mul_f32_e32 v3, v115, v3
	v_fma_f32 v2, v114, v2, -v3
	v_mul_f32_e32 v3, v117, v5
	v_add_f32_e32 v2, 0, v2
	v_fma_f32 v3, v116, v4, -v3
	v_add_f32_e32 v2, v2, v3
	v_mul_f32_e32 v3, v111, v7
	v_fma_f32 v3, v110, v6, -v3
	v_add_f32_e32 v2, v2, v3
	v_mul_f32_e32 v3, v113, v9
	;; [unrolled: 3-line block ×26, first 2 shown]
	v_fma_f32 v3, v60, v64, -v3
	s_waitcnt vmcnt(5) lgkmcnt(1)
	v_mul_f32_e32 v237, v120, v71
	v_add_f32_e32 v234, v2, v3
	v_mul_f32_e32 v2, v121, v71
	s_waitcnt vmcnt(3) lgkmcnt(0)
	v_pk_mul_f32 v[16:17], v[214:215], v[218:219] op_sel:[1,1] op_sel_hi:[0,1]
	v_fmac_f32_e32 v237, v121, v70
	v_mul_f32_e32 v239, v122, v73
	v_fma_f32 v236, v120, v70, -v2
	v_mul_f32_e32 v2, v123, v73
	v_pk_fma_f32 v[18:19], v[214:215], v[218:219], v[16:17] neg_lo:[0,0,1] neg_hi:[0,0,1]
	v_pk_fma_f32 v[16:17], v[214:215], v[218:219], v[16:17] op_sel_hi:[1,0,1]
	v_fmac_f32_e32 v239, v123, v72
	v_fma_f32 v238, v122, v72, -v2
	ds_read_b128 v[2:5], v118 offset:656
	ds_read_b128 v[6:9], v118 offset:672
	;; [unrolled: 1-line block ×3, first 2 shown]
	v_pk_add_f32 v[14:15], v[234:235], v[236:237]
	v_mov_b32_e32 v16, v221
	v_pk_add_f32 v[14:15], v[14:15], v[238:239]
	v_mov_b32_e32 v19, v17
	v_pk_mul_f32 v[16:17], v[216:217], v[16:17] op_sel:[1,0] op_sel_hi:[0,0]
	v_pk_add_f32 v[14:15], v[14:15], v[18:19]
	v_pk_fma_f32 v[18:19], v[216:217], v[220:221], v[16:17] neg_lo:[0,0,1] neg_hi:[0,0,1]
	v_pk_fma_f32 v[16:17], v[216:217], v[220:221], v[16:17] op_sel_hi:[1,0,1]
	s_nop 0
	v_mov_b32_e32 v19, v17
	s_waitcnt vmcnt(2) lgkmcnt(2)
	v_pk_mul_f32 v[16:17], v[2:3], v[222:223] op_sel:[1,1] op_sel_hi:[0,1]
	v_pk_add_f32 v[14:15], v[14:15], v[18:19]
	v_pk_fma_f32 v[18:19], v[2:3], v[222:223], v[16:17] neg_lo:[0,0,1] neg_hi:[0,0,1]
	v_pk_fma_f32 v[2:3], v[2:3], v[222:223], v[16:17] op_sel_hi:[1,0,1]
	s_nop 0
	v_mov_b32_e32 v19, v3
	v_pk_add_f32 v[2:3], v[14:15], v[18:19]
	v_mov_b32_e32 v14, v225
	v_pk_mul_f32 v[14:15], v[4:5], v[14:15] op_sel:[1,0] op_sel_hi:[0,0]
	v_pk_fma_f32 v[16:17], v[4:5], v[224:225], v[14:15] neg_lo:[0,0,1] neg_hi:[0,0,1]
	v_pk_fma_f32 v[4:5], v[4:5], v[224:225], v[14:15] op_sel_hi:[1,0,1]
	s_nop 0
	v_mov_b32_e32 v17, v5
	s_waitcnt vmcnt(1) lgkmcnt(1)
	v_pk_mul_f32 v[4:5], v[6:7], v[226:227] op_sel:[1,1] op_sel_hi:[0,1]
	v_pk_fma_f32 v[14:15], v[6:7], v[226:227], v[4:5] neg_lo:[0,0,1] neg_hi:[0,0,1]
	v_pk_fma_f32 v[4:5], v[6:7], v[226:227], v[4:5] op_sel_hi:[1,0,1]
	v_pk_add_f32 v[2:3], v[2:3], v[16:17]
	v_mov_b32_e32 v4, v229
	v_mov_b32_e32 v15, v5
	v_pk_mul_f32 v[4:5], v[8:9], v[4:5] op_sel:[1,0] op_sel_hi:[0,0]
	v_pk_fma_f32 v[6:7], v[8:9], v[228:229], v[4:5] neg_lo:[0,0,1] neg_hi:[0,0,1]
	v_pk_fma_f32 v[4:5], v[8:9], v[228:229], v[4:5] op_sel_hi:[1,0,1]
	v_pk_add_f32 v[2:3], v[2:3], v[14:15]
	v_mov_b32_e32 v7, v5
	s_waitcnt vmcnt(0) lgkmcnt(0)
	v_pk_mul_f32 v[4:5], v[10:11], v[230:231] op_sel:[1,1] op_sel_hi:[0,1]
	v_pk_add_f32 v[2:3], v[2:3], v[6:7]
	v_pk_fma_f32 v[6:7], v[10:11], v[230:231], v[4:5] neg_lo:[0,0,1] neg_hi:[0,0,1]
	v_pk_fma_f32 v[4:5], v[10:11], v[230:231], v[4:5] op_sel_hi:[1,0,1]
	s_nop 0
	v_mov_b32_e32 v4, v233
	v_mov_b32_e32 v7, v5
	v_pk_mul_f32 v[4:5], v[12:13], v[4:5] op_sel:[1,0] op_sel_hi:[0,0]
	v_pk_add_f32 v[2:3], v[2:3], v[6:7]
	v_pk_fma_f32 v[6:7], v[12:13], v[232:233], v[4:5] neg_lo:[0,0,1] neg_hi:[0,0,1]
	v_pk_fma_f32 v[4:5], v[12:13], v[232:233], v[4:5] op_sel_hi:[1,0,1]
	s_nop 0
	v_mov_b32_e32 v7, v5
	v_pk_add_f32 v[2:3], v[2:3], v[6:7]
	s_nop 0
	v_pk_add_f32 v[2:3], v[124:125], v[2:3] neg_lo:[0,1] neg_hi:[0,1]
	scratch_store_dwordx2 off, v[2:3], off offset:40
	s_and_saveexec_b64 s[0:1], vcc
	s_cbranch_execz .LBB107_269
; %bb.268:
	scratch_load_dwordx2 v[2:3], off, off offset:32
	v_mov_b32_e32 v4, 0
	v_mov_b32_e32 v5, v4
	scratch_store_dwordx2 off, v[4:5], off offset:32
	s_waitcnt vmcnt(1)
	ds_write_b64 v1, v[2:3]
.LBB107_269:
	s_or_b64 exec, exec, s[0:1]
	s_waitcnt lgkmcnt(0)
	; wave barrier
	scratch_load_dwordx4 v[2:5], off, off offset:40
	scratch_load_dwordx4 v[6:9], off, off offset:56
	;; [unrolled: 1-line block ×16, first 2 shown]
	scratch_load_dwordx2 v[124:125], off, off offset:32
	v_mov_b32_e32 v122, 0
	ds_read2_b64 v[66:69], v122 offset0:49 offset1:50
	ds_read2_b64 v[70:73], v122 offset0:51 offset1:52
	;; [unrolled: 1-line block ×14, first 2 shown]
	v_cmp_lt_u32_e32 vcc, 3, v0
	s_waitcnt vmcnt(16) lgkmcnt(13)
	v_mul_f32_e32 v123, v66, v3
	v_mul_f32_e32 v214, v68, v5
	v_fmac_f32_e32 v123, v67, v2
	s_waitcnt vmcnt(15) lgkmcnt(12)
	v_mul_f32_e32 v215, v70, v7
	v_fmac_f32_e32 v214, v69, v4
	v_add_f32_e32 v123, 0, v123
	v_mul_f32_e32 v216, v72, v9
	v_fmac_f32_e32 v215, v71, v6
	v_add_f32_e32 v123, v123, v214
	s_waitcnt vmcnt(14) lgkmcnt(11)
	v_mul_f32_e32 v217, v74, v11
	v_fmac_f32_e32 v216, v73, v8
	v_add_f32_e32 v123, v123, v215
	v_mul_f32_e32 v218, v76, v13
	v_fmac_f32_e32 v217, v75, v10
	v_add_f32_e32 v123, v123, v216
	;; [unrolled: 7-line block ×11, first 2 shown]
	v_fmac_f32_e32 v236, v113, v48
	v_add_f32_e32 v123, v123, v235
	s_waitcnt vmcnt(4) lgkmcnt(1)
	v_mul_f32_e32 v214, v114, v51
	v_add_f32_e32 v123, v123, v236
	v_fmac_f32_e32 v214, v115, v50
	v_add_f32_e32 v123, v123, v214
	v_mul_f32_e32 v214, v116, v53
	v_fmac_f32_e32 v214, v117, v52
	v_add_f32_e32 v123, v123, v214
	s_waitcnt vmcnt(3) lgkmcnt(0)
	v_mul_f32_e32 v214, v118, v55
	v_fmac_f32_e32 v214, v119, v54
	v_add_f32_e32 v123, v123, v214
	ds_read2_b64 v[214:217], v122 offset0:77 offset1:78
	v_mul_f32_e32 v218, v120, v57
	v_fmac_f32_e32 v218, v121, v56
	v_add_f32_e32 v123, v123, v218
	ds_read2_b64 v[218:221], v122 offset0:79 offset1:80
	s_waitcnt vmcnt(2) lgkmcnt(1)
	v_mul_f32_e32 v222, v214, v63
	v_fmac_f32_e32 v222, v215, v62
	v_add_f32_e32 v235, v123, v222
	scratch_load_dwordx4 v[222:225], off, off offset:296
	scratch_load_dwordx4 v[226:229], off, off offset:312
	;; [unrolled: 1-line block ×3, first 2 shown]
	scratch_load_dwordx2 v[240:241], off, off offset:344
	v_mul_f32_e32 v3, v67, v3
	v_fma_f32 v2, v66, v2, -v3
	v_mul_f32_e32 v3, v69, v5
	v_add_f32_e32 v2, 0, v2
	v_fma_f32 v3, v68, v4, -v3
	v_add_f32_e32 v2, v2, v3
	v_mul_f32_e32 v3, v71, v7
	v_fma_f32 v3, v70, v6, -v3
	v_add_f32_e32 v2, v2, v3
	v_mul_f32_e32 v3, v73, v9
	;; [unrolled: 3-line block ×28, first 2 shown]
	v_mul_f32_e32 v237, v216, v65
	v_fma_f32 v236, v216, v64, -v2
	s_waitcnt vmcnt(5) lgkmcnt(0)
	v_mul_f32_e32 v2, v219, v59
	v_mov_b32_e32 v18, v61
	v_fmac_f32_e32 v237, v217, v64
	v_mul_f32_e32 v239, v218, v59
	v_fma_f32 v238, v218, v58, -v2
	ds_read2_b64 v[2:5], v122 offset0:81 offset1:82
	ds_read2_b64 v[6:9], v122 offset0:83 offset1:84
	;; [unrolled: 1-line block ×3, first 2 shown]
	ds_read_b64 v[14:15], v122 offset:696
	v_pk_mul_f32 v[18:19], v[220:221], v[18:19] op_sel:[1,0] op_sel_hi:[0,0]
	v_fmac_f32_e32 v239, v219, v58
	v_pk_add_f32 v[16:17], v[234:235], v[236:237]
	v_pk_fma_f32 v[20:21], v[220:221], v[60:61], v[18:19] neg_lo:[0,0,1] neg_hi:[0,0,1]
	v_pk_fma_f32 v[18:19], v[220:221], v[60:61], v[18:19] op_sel_hi:[1,0,1]
	v_pk_add_f32 v[16:17], v[16:17], v[238:239]
	v_mov_b32_e32 v21, v19
	s_waitcnt vmcnt(3) lgkmcnt(3)
	v_pk_mul_f32 v[18:19], v[2:3], v[222:223] op_sel:[1,1] op_sel_hi:[0,1]
	v_pk_add_f32 v[16:17], v[16:17], v[20:21]
	v_pk_fma_f32 v[20:21], v[2:3], v[222:223], v[18:19] neg_lo:[0,0,1] neg_hi:[0,0,1]
	v_pk_fma_f32 v[2:3], v[2:3], v[222:223], v[18:19] op_sel_hi:[1,0,1]
	s_nop 0
	v_mov_b32_e32 v21, v3
	v_pk_add_f32 v[2:3], v[16:17], v[20:21]
	v_mov_b32_e32 v16, v225
	v_pk_mul_f32 v[16:17], v[4:5], v[16:17] op_sel:[1,0] op_sel_hi:[0,0]
	v_pk_fma_f32 v[18:19], v[4:5], v[224:225], v[16:17] neg_lo:[0,0,1] neg_hi:[0,0,1]
	v_pk_fma_f32 v[4:5], v[4:5], v[224:225], v[16:17] op_sel_hi:[1,0,1]
	s_nop 0
	v_mov_b32_e32 v19, v5
	s_waitcnt vmcnt(2) lgkmcnt(2)
	v_pk_mul_f32 v[4:5], v[6:7], v[226:227] op_sel:[1,1] op_sel_hi:[0,1]
	v_pk_fma_f32 v[16:17], v[6:7], v[226:227], v[4:5] neg_lo:[0,0,1] neg_hi:[0,0,1]
	v_pk_fma_f32 v[4:5], v[6:7], v[226:227], v[4:5] op_sel_hi:[1,0,1]
	v_pk_add_f32 v[2:3], v[2:3], v[18:19]
	v_mov_b32_e32 v4, v229
	v_mov_b32_e32 v17, v5
	v_pk_mul_f32 v[4:5], v[8:9], v[4:5] op_sel:[1,0] op_sel_hi:[0,0]
	v_pk_fma_f32 v[6:7], v[8:9], v[228:229], v[4:5] neg_lo:[0,0,1] neg_hi:[0,0,1]
	v_pk_fma_f32 v[4:5], v[8:9], v[228:229], v[4:5] op_sel_hi:[1,0,1]
	v_pk_add_f32 v[2:3], v[2:3], v[16:17]
	v_mov_b32_e32 v7, v5
	s_waitcnt vmcnt(1) lgkmcnt(1)
	v_pk_mul_f32 v[4:5], v[10:11], v[230:231] op_sel:[1,1] op_sel_hi:[0,1]
	v_pk_add_f32 v[2:3], v[2:3], v[6:7]
	v_pk_fma_f32 v[6:7], v[10:11], v[230:231], v[4:5] neg_lo:[0,0,1] neg_hi:[0,0,1]
	v_pk_fma_f32 v[4:5], v[10:11], v[230:231], v[4:5] op_sel_hi:[1,0,1]
	s_nop 0
	v_mov_b32_e32 v4, v233
	v_mov_b32_e32 v7, v5
	v_pk_mul_f32 v[4:5], v[12:13], v[4:5] op_sel:[1,0] op_sel_hi:[0,0]
	v_pk_add_f32 v[2:3], v[2:3], v[6:7]
	v_pk_fma_f32 v[6:7], v[12:13], v[232:233], v[4:5] neg_lo:[0,0,1] neg_hi:[0,0,1]
	v_pk_fma_f32 v[4:5], v[12:13], v[232:233], v[4:5] op_sel_hi:[1,0,1]
	s_nop 0
	v_mov_b32_e32 v7, v5
	s_waitcnt vmcnt(0) lgkmcnt(0)
	v_pk_mul_f32 v[4:5], v[14:15], v[240:241] op_sel:[1,1] op_sel_hi:[0,1]
	v_pk_add_f32 v[2:3], v[2:3], v[6:7]
	v_pk_fma_f32 v[6:7], v[14:15], v[240:241], v[4:5] neg_lo:[0,0,1] neg_hi:[0,0,1]
	v_pk_fma_f32 v[4:5], v[14:15], v[240:241], v[4:5] op_sel_hi:[1,0,1]
	s_nop 0
	v_mov_b32_e32 v7, v5
	v_pk_add_f32 v[2:3], v[2:3], v[6:7]
	s_nop 0
	v_pk_add_f32 v[2:3], v[124:125], v[2:3] neg_lo:[0,1] neg_hi:[0,1]
	scratch_store_dwordx2 off, v[2:3], off offset:32
	s_and_saveexec_b64 s[0:1], vcc
	s_cbranch_execz .LBB107_271
; %bb.270:
	scratch_load_dwordx2 v[2:3], off, off offset:24
	v_mov_b32_e32 v123, v122
	scratch_store_dwordx2 off, v[122:123], off offset:24
	s_waitcnt vmcnt(1)
	ds_write_b64 v1, v[2:3]
.LBB107_271:
	s_or_b64 exec, exec, s[0:1]
	s_waitcnt lgkmcnt(0)
	; wave barrier
	scratch_load_dwordx4 v[2:5], off, off offset:32
	scratch_load_dwordx4 v[6:9], off, off offset:48
	;; [unrolled: 1-line block ×13, first 2 shown]
	ds_read_b128 v[118:121], v122 offset:384
	ds_read_b128 v[114:117], v122 offset:400
	;; [unrolled: 1-line block ×14, first 2 shown]
	scratch_load_dwordx4 v[62:65], off, off offset:240
	scratch_load_dwordx4 v[70:73], off, off offset:256
	;; [unrolled: 1-line block ×3, first 2 shown]
	scratch_load_dwordx2 v[124:125], off, off offset:24
	v_cmp_lt_u32_e32 vcc, 2, v0
	s_waitcnt vmcnt(16) lgkmcnt(13)
	v_mul_f32_e32 v123, v118, v3
	v_mul_f32_e32 v214, v120, v5
	v_fmac_f32_e32 v123, v119, v2
	s_waitcnt vmcnt(15) lgkmcnt(12)
	v_mul_f32_e32 v215, v114, v7
	v_fmac_f32_e32 v214, v121, v4
	v_add_f32_e32 v123, 0, v123
	v_mul_f32_e32 v216, v116, v9
	v_fmac_f32_e32 v215, v115, v6
	v_add_f32_e32 v123, v123, v214
	s_waitcnt vmcnt(14) lgkmcnt(11)
	v_mul_f32_e32 v217, v110, v11
	v_fmac_f32_e32 v216, v117, v8
	v_add_f32_e32 v123, v123, v215
	v_mul_f32_e32 v218, v112, v13
	v_fmac_f32_e32 v217, v111, v10
	v_add_f32_e32 v123, v123, v216
	;; [unrolled: 7-line block ×11, first 2 shown]
	s_waitcnt vmcnt(4) lgkmcnt(1)
	v_mul_f32_e32 v237, v54, v51
	v_fmac_f32_e32 v236, v69, v48
	v_add_f32_e32 v123, v123, v235
	v_add_f32_e32 v123, v123, v236
	v_fmac_f32_e32 v237, v55, v50
	v_mul_f32_e32 v214, v56, v53
	v_add_f32_e32 v123, v123, v237
	v_fmac_f32_e32 v214, v57, v52
	v_add_f32_e32 v123, v123, v214
	s_waitcnt vmcnt(3) lgkmcnt(0)
	v_mul_f32_e32 v214, v58, v63
	v_fmac_f32_e32 v214, v59, v62
	v_add_f32_e32 v123, v123, v214
	ds_read_b128 v[214:217], v122 offset:608
	v_mul_f32_e32 v218, v60, v65
	v_fmac_f32_e32 v218, v61, v64
	v_add_f32_e32 v123, v123, v218
	ds_read_b128 v[218:221], v122 offset:624
	s_waitcnt vmcnt(2) lgkmcnt(1)
	v_mul_f32_e32 v222, v214, v71
	v_fmac_f32_e32 v222, v215, v70
	v_add_f32_e32 v123, v123, v222
	v_mul_f32_e32 v222, v216, v73
	v_fmac_f32_e32 v222, v217, v72
	v_add_f32_e32 v239, v123, v222
	scratch_load_dwordx4 v[222:225], off, off offset:288
	scratch_load_dwordx4 v[226:229], off, off offset:304
	;; [unrolled: 1-line block ×4, first 2 shown]
	v_mul_f32_e32 v3, v119, v3
	v_fma_f32 v2, v118, v2, -v3
	v_mul_f32_e32 v3, v121, v5
	v_add_f32_e32 v2, 0, v2
	v_fma_f32 v3, v120, v4, -v3
	v_add_f32_e32 v2, v2, v3
	v_mul_f32_e32 v3, v115, v7
	v_fma_f32 v3, v114, v6, -v3
	v_add_f32_e32 v2, v2, v3
	v_mul_f32_e32 v3, v117, v9
	;; [unrolled: 3-line block ×28, first 2 shown]
	v_fma_f32 v3, v216, v72, -v3
	v_add_f32_e32 v238, v2, v3
	s_waitcnt vmcnt(5) lgkmcnt(0)
	v_mul_f32_e32 v2, v219, v79
	v_fma_f32 v240, v218, v78, -v2
	v_mul_f32_e32 v2, v221, v81
	v_fma_f32 v242, v220, v80, -v2
	ds_read_b128 v[2:5], v122 offset:640
	ds_read_b128 v[6:9], v122 offset:656
	;; [unrolled: 1-line block ×4, first 2 shown]
	v_mul_f32_e32 v241, v218, v79
	v_fmac_f32_e32 v241, v219, v78
	v_mul_f32_e32 v243, v220, v81
	s_waitcnt vmcnt(3) lgkmcnt(3)
	v_pk_mul_f32 v[20:21], v[2:3], v[222:223] op_sel:[1,1] op_sel_hi:[0,1]
	v_fmac_f32_e32 v243, v221, v80
	v_pk_add_f32 v[18:19], v[238:239], v[240:241]
	v_pk_fma_f32 v[22:23], v[2:3], v[222:223], v[20:21] neg_lo:[0,0,1] neg_hi:[0,0,1]
	v_pk_fma_f32 v[2:3], v[2:3], v[222:223], v[20:21] op_sel_hi:[1,0,1]
	v_pk_add_f32 v[18:19], v[18:19], v[242:243]
	v_mov_b32_e32 v23, v3
	v_pk_add_f32 v[2:3], v[18:19], v[22:23]
	v_mov_b32_e32 v18, v225
	v_pk_mul_f32 v[18:19], v[4:5], v[18:19] op_sel:[1,0] op_sel_hi:[0,0]
	v_pk_fma_f32 v[20:21], v[4:5], v[224:225], v[18:19] neg_lo:[0,0,1] neg_hi:[0,0,1]
	v_pk_fma_f32 v[4:5], v[4:5], v[224:225], v[18:19] op_sel_hi:[1,0,1]
	s_nop 0
	v_mov_b32_e32 v21, v5
	s_waitcnt vmcnt(2) lgkmcnt(2)
	v_pk_mul_f32 v[4:5], v[6:7], v[226:227] op_sel:[1,1] op_sel_hi:[0,1]
	v_pk_fma_f32 v[18:19], v[6:7], v[226:227], v[4:5] neg_lo:[0,0,1] neg_hi:[0,0,1]
	v_pk_fma_f32 v[4:5], v[6:7], v[226:227], v[4:5] op_sel_hi:[1,0,1]
	v_pk_add_f32 v[2:3], v[2:3], v[20:21]
	v_mov_b32_e32 v4, v229
	v_mov_b32_e32 v19, v5
	v_pk_mul_f32 v[4:5], v[8:9], v[4:5] op_sel:[1,0] op_sel_hi:[0,0]
	v_pk_fma_f32 v[6:7], v[8:9], v[228:229], v[4:5] neg_lo:[0,0,1] neg_hi:[0,0,1]
	v_pk_fma_f32 v[4:5], v[8:9], v[228:229], v[4:5] op_sel_hi:[1,0,1]
	v_pk_add_f32 v[2:3], v[2:3], v[18:19]
	v_mov_b32_e32 v7, v5
	s_waitcnt vmcnt(1) lgkmcnt(1)
	v_pk_mul_f32 v[4:5], v[10:11], v[230:231] op_sel:[1,1] op_sel_hi:[0,1]
	v_pk_add_f32 v[2:3], v[2:3], v[6:7]
	v_pk_fma_f32 v[6:7], v[10:11], v[230:231], v[4:5] neg_lo:[0,0,1] neg_hi:[0,0,1]
	v_pk_fma_f32 v[4:5], v[10:11], v[230:231], v[4:5] op_sel_hi:[1,0,1]
	s_nop 0
	v_mov_b32_e32 v4, v233
	v_mov_b32_e32 v7, v5
	v_pk_mul_f32 v[4:5], v[12:13], v[4:5] op_sel:[1,0] op_sel_hi:[0,0]
	v_pk_add_f32 v[2:3], v[2:3], v[6:7]
	v_pk_fma_f32 v[6:7], v[12:13], v[232:233], v[4:5] neg_lo:[0,0,1] neg_hi:[0,0,1]
	v_pk_fma_f32 v[4:5], v[12:13], v[232:233], v[4:5] op_sel_hi:[1,0,1]
	s_nop 0
	v_mov_b32_e32 v7, v5
	s_waitcnt vmcnt(0) lgkmcnt(0)
	v_pk_mul_f32 v[4:5], v[14:15], v[234:235] op_sel:[1,1] op_sel_hi:[0,1]
	v_pk_add_f32 v[2:3], v[2:3], v[6:7]
	v_pk_fma_f32 v[6:7], v[14:15], v[234:235], v[4:5] neg_lo:[0,0,1] neg_hi:[0,0,1]
	v_pk_fma_f32 v[4:5], v[14:15], v[234:235], v[4:5] op_sel_hi:[1,0,1]
	s_nop 0
	v_mov_b32_e32 v4, v237
	v_mov_b32_e32 v7, v5
	v_pk_mul_f32 v[4:5], v[16:17], v[4:5] op_sel:[1,0] op_sel_hi:[0,0]
	v_pk_add_f32 v[2:3], v[2:3], v[6:7]
	v_pk_fma_f32 v[6:7], v[16:17], v[236:237], v[4:5] neg_lo:[0,0,1] neg_hi:[0,0,1]
	v_pk_fma_f32 v[4:5], v[16:17], v[236:237], v[4:5] op_sel_hi:[1,0,1]
	s_nop 0
	v_mov_b32_e32 v7, v5
	v_pk_add_f32 v[2:3], v[2:3], v[6:7]
	s_nop 0
	v_pk_add_f32 v[2:3], v[124:125], v[2:3] neg_lo:[0,1] neg_hi:[0,1]
	scratch_store_dwordx2 off, v[2:3], off offset:24
	s_and_saveexec_b64 s[0:1], vcc
	s_cbranch_execz .LBB107_273
; %bb.272:
	scratch_load_dwordx2 v[2:3], off, off offset:16
	v_mov_b32_e32 v4, 0
	v_mov_b32_e32 v5, v4
	scratch_store_dwordx2 off, v[4:5], off offset:16
	s_waitcnt vmcnt(1)
	ds_write_b64 v1, v[2:3]
.LBB107_273:
	s_or_b64 exec, exec, s[0:1]
	s_waitcnt lgkmcnt(0)
	; wave barrier
	scratch_load_dwordx4 v[2:5], off, off offset:24
	scratch_load_dwordx4 v[6:9], off, off offset:40
	;; [unrolled: 1-line block ×12, first 2 shown]
	v_mov_b32_e32 v214, 0
	scratch_load_dwordx4 v[50:53], off, off offset:216
	scratch_load_dwordx4 v[54:57], off, off offset:232
	scratch_load_dwordx4 v[58:61], off, off offset:248
	scratch_load_dwordx4 v[62:65], off, off offset:264
	scratch_load_dwordx4 v[66:69], off, off offset:280
	scratch_load_dwordx2 v[70:71], off, off offset:16
	ds_read2_b64 v[72:75], v214 offset0:47 offset1:48
	ds_read2_b64 v[76:79], v214 offset0:49 offset1:50
	;; [unrolled: 1-line block ×13, first 2 shown]
	v_cmp_lt_u32_e32 vcc, 1, v0
	s_waitcnt vmcnt(17) lgkmcnt(12)
	v_mul_f32_e32 v124, v72, v3
	v_mul_f32_e32 v125, v74, v5
	v_fmac_f32_e32 v124, v73, v2
	s_waitcnt vmcnt(16) lgkmcnt(11)
	v_mul_f32_e32 v215, v76, v7
	v_fmac_f32_e32 v125, v75, v4
	v_add_f32_e32 v124, 0, v124
	v_mul_f32_e32 v216, v78, v9
	v_fmac_f32_e32 v215, v77, v6
	v_add_f32_e32 v124, v124, v125
	s_waitcnt vmcnt(15) lgkmcnt(10)
	v_mul_f32_e32 v217, v80, v11
	v_fmac_f32_e32 v216, v79, v8
	v_add_f32_e32 v124, v124, v215
	v_mul_f32_e32 v218, v82, v13
	v_fmac_f32_e32 v217, v81, v10
	v_add_f32_e32 v124, v124, v216
	;; [unrolled: 7-line block ×11, first 2 shown]
	v_fmac_f32_e32 v236, v119, v48
	v_add_f32_e32 v124, v124, v235
	v_add_f32_e32 v124, v124, v236
	ds_read2_b64 v[216:219], v214 offset0:73 offset1:74
	ds_read2_b64 v[220:223], v214 offset0:75 offset1:76
	;; [unrolled: 1-line block ×5, first 2 shown]
	scratch_load_dwordx4 v[236:239], off, off offset:296
	scratch_load_dwordx4 v[240:243], off, off offset:312
	;; [unrolled: 1-line block ×3, first 2 shown]
	scratch_load_dwordx2 v[252:253], off, off offset:344
	v_mul_f32_e32 v3, v73, v3
	v_fma_f32 v2, v72, v2, -v3
	v_mul_f32_e32 v3, v75, v5
	v_add_f32_e32 v2, 0, v2
	v_fma_f32 v3, v74, v4, -v3
	v_add_f32_e32 v2, v2, v3
	v_mul_f32_e32 v3, v77, v7
	v_fma_f32 v3, v76, v6, -v3
	v_add_f32_e32 v2, v2, v3
	v_mul_f32_e32 v3, v79, v9
	;; [unrolled: 3-line block ×22, first 2 shown]
	v_fma_f32 v3, v118, v48, -v3
	s_waitcnt vmcnt(9) lgkmcnt(5)
	v_mul_f32_e32 v125, v120, v51
	v_add_f32_e32 v2, v2, v3
	v_mul_f32_e32 v3, v121, v51
	v_fmac_f32_e32 v125, v121, v50
	v_fma_f32 v3, v120, v50, -v3
	v_add_f32_e32 v124, v124, v125
	v_mul_f32_e32 v125, v122, v53
	v_add_f32_e32 v2, v2, v3
	v_mul_f32_e32 v3, v123, v53
	v_fmac_f32_e32 v125, v123, v52
	v_fma_f32 v3, v122, v52, -v3
	v_add_f32_e32 v124, v124, v125
	s_waitcnt vmcnt(8) lgkmcnt(4)
	v_mul_f32_e32 v125, v216, v55
	v_add_f32_e32 v2, v2, v3
	v_mul_f32_e32 v3, v217, v55
	v_fmac_f32_e32 v125, v217, v54
	v_fma_f32 v3, v216, v54, -v3
	v_add_f32_e32 v124, v124, v125
	v_mul_f32_e32 v125, v218, v57
	v_add_f32_e32 v2, v2, v3
	v_mul_f32_e32 v3, v219, v57
	v_fmac_f32_e32 v125, v219, v56
	v_fma_f32 v3, v218, v56, -v3
	v_add_f32_e32 v124, v124, v125
	;; [unrolled: 13-line block ×3, first 2 shown]
	s_waitcnt vmcnt(6) lgkmcnt(2)
	v_mul_f32_e32 v125, v224, v63
	v_add_f32_e32 v2, v2, v3
	v_mul_f32_e32 v3, v225, v63
	v_fmac_f32_e32 v125, v225, v62
	v_fma_f32 v3, v224, v62, -v3
	v_add_f32_e32 v125, v124, v125
	v_mul_f32_e32 v249, v226, v65
	v_add_f32_e32 v124, v2, v3
	v_mul_f32_e32 v2, v227, v65
	s_waitcnt vmcnt(5)
	v_mov_b32_e32 v14, v69
	v_fmac_f32_e32 v249, v227, v64
	s_waitcnt lgkmcnt(1)
	v_mul_f32_e32 v251, v228, v67
	v_fma_f32 v248, v226, v64, -v2
	v_mul_f32_e32 v2, v229, v67
	v_pk_mul_f32 v[14:15], v[230:231], v[14:15] op_sel:[1,0] op_sel_hi:[0,0]
	v_fmac_f32_e32 v251, v229, v66
	v_fma_f32 v250, v228, v66, -v2
	v_pk_add_f32 v[12:13], v[124:125], v[248:249]
	v_pk_fma_f32 v[16:17], v[230:231], v[68:69], v[14:15] neg_lo:[0,0,1] neg_hi:[0,0,1]
	v_pk_fma_f32 v[14:15], v[230:231], v[68:69], v[14:15] op_sel_hi:[1,0,1]
	v_pk_add_f32 v[12:13], v[12:13], v[250:251]
	v_mov_b32_e32 v17, v15
	s_waitcnt vmcnt(3) lgkmcnt(0)
	v_pk_mul_f32 v[14:15], v[232:233], v[236:237] op_sel:[1,1] op_sel_hi:[0,1]
	v_pk_add_f32 v[12:13], v[12:13], v[16:17]
	v_pk_fma_f32 v[16:17], v[232:233], v[236:237], v[14:15] neg_lo:[0,0,1] neg_hi:[0,0,1]
	v_pk_fma_f32 v[14:15], v[232:233], v[236:237], v[14:15] op_sel_hi:[1,0,1]
	ds_read2_b64 v[2:5], v214 offset0:83 offset1:84
	ds_read2_b64 v[6:9], v214 offset0:85 offset1:86
	ds_read_b64 v[10:11], v214 offset:696
	v_mov_b32_e32 v14, v239
	v_mov_b32_e32 v17, v15
	v_pk_mul_f32 v[14:15], v[234:235], v[14:15] op_sel:[1,0] op_sel_hi:[0,0]
	v_pk_add_f32 v[12:13], v[12:13], v[16:17]
	v_pk_fma_f32 v[16:17], v[234:235], v[238:239], v[14:15] neg_lo:[0,0,1] neg_hi:[0,0,1]
	v_pk_fma_f32 v[14:15], v[234:235], v[238:239], v[14:15] op_sel_hi:[1,0,1]
	s_nop 0
	v_mov_b32_e32 v17, v15
	s_waitcnt vmcnt(2) lgkmcnt(2)
	v_pk_mul_f32 v[14:15], v[2:3], v[240:241] op_sel:[1,1] op_sel_hi:[0,1]
	v_pk_add_f32 v[12:13], v[12:13], v[16:17]
	v_pk_fma_f32 v[16:17], v[2:3], v[240:241], v[14:15] neg_lo:[0,0,1] neg_hi:[0,0,1]
	v_pk_fma_f32 v[2:3], v[2:3], v[240:241], v[14:15] op_sel_hi:[1,0,1]
	s_nop 0
	v_mov_b32_e32 v17, v3
	v_pk_add_f32 v[2:3], v[12:13], v[16:17]
	v_mov_b32_e32 v12, v243
	v_pk_mul_f32 v[12:13], v[4:5], v[12:13] op_sel:[1,0] op_sel_hi:[0,0]
	v_pk_fma_f32 v[14:15], v[4:5], v[242:243], v[12:13] neg_lo:[0,0,1] neg_hi:[0,0,1]
	v_pk_fma_f32 v[4:5], v[4:5], v[242:243], v[12:13] op_sel_hi:[1,0,1]
	s_nop 0
	v_mov_b32_e32 v15, v5
	s_waitcnt vmcnt(1) lgkmcnt(1)
	v_pk_mul_f32 v[4:5], v[6:7], v[244:245] op_sel:[1,1] op_sel_hi:[0,1]
	v_pk_fma_f32 v[12:13], v[6:7], v[244:245], v[4:5] neg_lo:[0,0,1] neg_hi:[0,0,1]
	v_pk_fma_f32 v[4:5], v[6:7], v[244:245], v[4:5] op_sel_hi:[1,0,1]
	v_pk_add_f32 v[2:3], v[2:3], v[14:15]
	v_mov_b32_e32 v4, v247
	v_mov_b32_e32 v13, v5
	v_pk_mul_f32 v[4:5], v[8:9], v[4:5] op_sel:[1,0] op_sel_hi:[0,0]
	v_pk_fma_f32 v[6:7], v[8:9], v[246:247], v[4:5] neg_lo:[0,0,1] neg_hi:[0,0,1]
	v_pk_fma_f32 v[4:5], v[8:9], v[246:247], v[4:5] op_sel_hi:[1,0,1]
	v_pk_add_f32 v[2:3], v[2:3], v[12:13]
	v_mov_b32_e32 v7, v5
	s_waitcnt vmcnt(0) lgkmcnt(0)
	v_pk_mul_f32 v[4:5], v[10:11], v[252:253] op_sel:[1,1] op_sel_hi:[0,1]
	v_pk_add_f32 v[2:3], v[2:3], v[6:7]
	v_pk_fma_f32 v[6:7], v[10:11], v[252:253], v[4:5] neg_lo:[0,0,1] neg_hi:[0,0,1]
	v_pk_fma_f32 v[4:5], v[10:11], v[252:253], v[4:5] op_sel_hi:[1,0,1]
	s_nop 0
	v_mov_b32_e32 v7, v5
	v_pk_add_f32 v[2:3], v[2:3], v[6:7]
	s_nop 0
	v_pk_add_f32 v[2:3], v[70:71], v[2:3] neg_lo:[0,1] neg_hi:[0,1]
	scratch_store_dwordx2 off, v[2:3], off offset:16
	s_and_saveexec_b64 s[0:1], vcc
	s_cbranch_execz .LBB107_275
; %bb.274:
	scratch_load_dwordx2 v[2:3], off, off offset:8
	v_mov_b32_e32 v215, v214
	scratch_store_dwordx2 off, v[214:215], off offset:8
	s_waitcnt vmcnt(1)
	ds_write_b64 v1, v[2:3]
.LBB107_275:
	s_or_b64 exec, exec, s[0:1]
	s_waitcnt lgkmcnt(0)
	; wave barrier
	scratch_load_dwordx4 v[2:5], off, off offset:16
	scratch_load_dwordx4 v[6:9], off, off offset:32
	;; [unrolled: 1-line block ×12, first 2 shown]
	ds_read_b128 v[122:125], v214 offset:368
	ds_read_b128 v[118:121], v214 offset:384
	;; [unrolled: 1-line block ×12, first 2 shown]
	scratch_load_dwordx4 v[54:57], off, off offset:208
	ds_read_b128 v[62:65], v214 offset:560
	ds_read_b128 v[66:69], v214 offset:576
	scratch_load_dwordx4 v[70:73], off, off offset:224
	scratch_load_dwordx4 v[78:81], off, off offset:240
	;; [unrolled: 1-line block ×4, first 2 shown]
	scratch_load_dwordx2 v[216:217], off, off offset:8
	v_cmp_ne_u32_e32 vcc, 0, v0
	s_waitcnt vmcnt(17) lgkmcnt(13)
	v_mul_f32_e32 v215, v122, v3
	v_mul_f32_e32 v218, v124, v5
	v_fmac_f32_e32 v215, v123, v2
	s_waitcnt vmcnt(16) lgkmcnt(12)
	v_mul_f32_e32 v219, v118, v7
	v_fmac_f32_e32 v218, v125, v4
	v_add_f32_e32 v215, 0, v215
	v_mul_f32_e32 v220, v120, v9
	v_fmac_f32_e32 v219, v119, v6
	v_add_f32_e32 v215, v215, v218
	s_waitcnt vmcnt(15) lgkmcnt(11)
	v_mul_f32_e32 v221, v114, v11
	v_fmac_f32_e32 v220, v121, v8
	v_add_f32_e32 v215, v215, v219
	v_mul_f32_e32 v222, v116, v13
	v_fmac_f32_e32 v221, v115, v10
	v_add_f32_e32 v215, v215, v220
	;; [unrolled: 7-line block ×11, first 2 shown]
	v_fmac_f32_e32 v240, v53, v48
	v_add_f32_e32 v215, v215, v239
	s_waitcnt vmcnt(5) lgkmcnt(1)
	v_mul_f32_e32 v218, v62, v55
	v_add_f32_e32 v215, v215, v240
	v_fmac_f32_e32 v218, v63, v54
	v_add_f32_e32 v215, v215, v218
	v_mul_f32_e32 v218, v64, v57
	v_fmac_f32_e32 v218, v65, v56
	v_add_f32_e32 v215, v215, v218
	s_waitcnt vmcnt(4) lgkmcnt(0)
	v_mul_f32_e32 v218, v66, v71
	v_fmac_f32_e32 v218, v67, v70
	v_add_f32_e32 v215, v215, v218
	ds_read_b128 v[218:221], v214 offset:592
	v_mul_f32_e32 v222, v68, v73
	v_fmac_f32_e32 v222, v69, v72
	v_add_f32_e32 v215, v215, v222
	ds_read_b128 v[222:225], v214 offset:608
	s_waitcnt vmcnt(3) lgkmcnt(1)
	v_mul_f32_e32 v226, v218, v79
	v_fmac_f32_e32 v226, v219, v78
	v_add_f32_e32 v215, v215, v226
	v_mul_f32_e32 v226, v220, v81
	v_fmac_f32_e32 v226, v221, v80
	v_add_f32_e32 v215, v215, v226
	s_waitcnt vmcnt(2) lgkmcnt(0)
	v_mul_f32_e32 v226, v222, v87
	v_fmac_f32_e32 v226, v223, v86
	v_mul_f32_e32 v230, v224, v89
	v_add_f32_e32 v215, v215, v226
	v_fmac_f32_e32 v230, v225, v88
	ds_read_b128 v[226:229], v214 offset:624
	v_add_f32_e32 v251, v215, v230
	ds_read_b128 v[230:233], v214 offset:640
	scratch_load_dwordx4 v[234:237], off, off offset:288
	scratch_load_dwordx4 v[238:241], off, off offset:304
	;; [unrolled: 1-line block ×4, first 2 shown]
	v_mul_f32_e32 v3, v123, v3
	v_fma_f32 v2, v122, v2, -v3
	v_mul_f32_e32 v3, v125, v5
	v_add_f32_e32 v2, 0, v2
	v_fma_f32 v3, v124, v4, -v3
	v_add_f32_e32 v2, v2, v3
	v_mul_f32_e32 v3, v119, v7
	v_fma_f32 v3, v118, v6, -v3
	v_add_f32_e32 v2, v2, v3
	v_mul_f32_e32 v3, v121, v9
	;; [unrolled: 3-line block ×30, first 2 shown]
	v_fma_f32 v3, v224, v88, -v3
	s_waitcnt vmcnt(5) lgkmcnt(1)
	v_mul_f32_e32 v253, v226, v95
	v_add_f32_e32 v250, v2, v3
	v_mul_f32_e32 v2, v227, v95
	s_waitcnt vmcnt(3) lgkmcnt(0)
	v_pk_mul_f32 v[16:17], v[230:231], v[234:235] op_sel:[1,1] op_sel_hi:[0,1]
	v_fmac_f32_e32 v253, v227, v94
	v_mul_f32_e32 v255, v228, v97
	v_fma_f32 v252, v226, v94, -v2
	v_mul_f32_e32 v2, v229, v97
	v_pk_fma_f32 v[18:19], v[230:231], v[234:235], v[16:17] neg_lo:[0,0,1] neg_hi:[0,0,1]
	v_pk_fma_f32 v[16:17], v[230:231], v[234:235], v[16:17] op_sel_hi:[1,0,1]
	v_fmac_f32_e32 v255, v229, v96
	v_fma_f32 v254, v228, v96, -v2
	ds_read_b128 v[2:5], v214 offset:656
	ds_read_b128 v[6:9], v214 offset:672
	;; [unrolled: 1-line block ×3, first 2 shown]
	v_pk_add_f32 v[14:15], v[250:251], v[252:253]
	v_mov_b32_e32 v16, v237
	v_pk_add_f32 v[14:15], v[14:15], v[254:255]
	v_mov_b32_e32 v19, v17
	v_pk_mul_f32 v[16:17], v[232:233], v[16:17] op_sel:[1,0] op_sel_hi:[0,0]
	v_pk_add_f32 v[14:15], v[14:15], v[18:19]
	v_pk_fma_f32 v[18:19], v[232:233], v[236:237], v[16:17] neg_lo:[0,0,1] neg_hi:[0,0,1]
	v_pk_fma_f32 v[16:17], v[232:233], v[236:237], v[16:17] op_sel_hi:[1,0,1]
	s_nop 0
	v_mov_b32_e32 v19, v17
	s_waitcnt vmcnt(2) lgkmcnt(2)
	v_pk_mul_f32 v[16:17], v[2:3], v[238:239] op_sel:[1,1] op_sel_hi:[0,1]
	v_pk_add_f32 v[14:15], v[14:15], v[18:19]
	v_pk_fma_f32 v[18:19], v[2:3], v[238:239], v[16:17] neg_lo:[0,0,1] neg_hi:[0,0,1]
	v_pk_fma_f32 v[2:3], v[2:3], v[238:239], v[16:17] op_sel_hi:[1,0,1]
	s_nop 0
	v_mov_b32_e32 v19, v3
	v_pk_add_f32 v[2:3], v[14:15], v[18:19]
	v_mov_b32_e32 v14, v241
	v_pk_mul_f32 v[14:15], v[4:5], v[14:15] op_sel:[1,0] op_sel_hi:[0,0]
	v_pk_fma_f32 v[16:17], v[4:5], v[240:241], v[14:15] neg_lo:[0,0,1] neg_hi:[0,0,1]
	v_pk_fma_f32 v[4:5], v[4:5], v[240:241], v[14:15] op_sel_hi:[1,0,1]
	s_nop 0
	v_mov_b32_e32 v17, v5
	s_waitcnt vmcnt(1) lgkmcnt(1)
	v_pk_mul_f32 v[4:5], v[6:7], v[242:243] op_sel:[1,1] op_sel_hi:[0,1]
	v_pk_fma_f32 v[14:15], v[6:7], v[242:243], v[4:5] neg_lo:[0,0,1] neg_hi:[0,0,1]
	v_pk_fma_f32 v[4:5], v[6:7], v[242:243], v[4:5] op_sel_hi:[1,0,1]
	v_pk_add_f32 v[2:3], v[2:3], v[16:17]
	v_mov_b32_e32 v4, v245
	v_mov_b32_e32 v15, v5
	v_pk_mul_f32 v[4:5], v[8:9], v[4:5] op_sel:[1,0] op_sel_hi:[0,0]
	v_pk_fma_f32 v[6:7], v[8:9], v[244:245], v[4:5] neg_lo:[0,0,1] neg_hi:[0,0,1]
	v_pk_fma_f32 v[4:5], v[8:9], v[244:245], v[4:5] op_sel_hi:[1,0,1]
	v_pk_add_f32 v[2:3], v[2:3], v[14:15]
	v_mov_b32_e32 v7, v5
	s_waitcnt vmcnt(0) lgkmcnt(0)
	v_pk_mul_f32 v[4:5], v[10:11], v[246:247] op_sel:[1,1] op_sel_hi:[0,1]
	v_pk_add_f32 v[2:3], v[2:3], v[6:7]
	v_pk_fma_f32 v[6:7], v[10:11], v[246:247], v[4:5] neg_lo:[0,0,1] neg_hi:[0,0,1]
	v_pk_fma_f32 v[4:5], v[10:11], v[246:247], v[4:5] op_sel_hi:[1,0,1]
	s_nop 0
	v_mov_b32_e32 v4, v249
	v_mov_b32_e32 v7, v5
	v_pk_mul_f32 v[4:5], v[12:13], v[4:5] op_sel:[1,0] op_sel_hi:[0,0]
	v_pk_add_f32 v[2:3], v[2:3], v[6:7]
	v_pk_fma_f32 v[6:7], v[12:13], v[248:249], v[4:5] neg_lo:[0,0,1] neg_hi:[0,0,1]
	v_pk_fma_f32 v[4:5], v[12:13], v[248:249], v[4:5] op_sel_hi:[1,0,1]
	s_nop 0
	v_mov_b32_e32 v7, v5
	v_pk_add_f32 v[2:3], v[2:3], v[6:7]
	s_nop 0
	v_pk_add_f32 v[2:3], v[216:217], v[2:3] neg_lo:[0,1] neg_hi:[0,1]
	scratch_store_dwordx2 off, v[2:3], off offset:8
	s_and_saveexec_b64 s[0:1], vcc
	s_cbranch_execz .LBB107_277
; %bb.276:
	scratch_load_dwordx2 v[2:3], off, off
	v_mov_b32_e32 v4, 0
	v_mov_b32_e32 v5, v4
	scratch_store_dwordx2 off, v[4:5], off
	s_waitcnt vmcnt(1)
	ds_write_b64 v1, v[2:3]
.LBB107_277:
	s_or_b64 exec, exec, s[0:1]
	s_waitcnt lgkmcnt(0)
	; wave barrier
	scratch_load_dwordx4 v[0:3], off, off offset:8
	scratch_load_dwordx4 v[4:7], off, off offset:24
	;; [unrolled: 1-line block ×12, first 2 shown]
	v_mov_b32_e32 v74, 0
	scratch_load_dwordx4 v[48:51], off, off offset:200
	scratch_load_dwordx4 v[52:55], off, off offset:216
	;; [unrolled: 1-line block ×6, first 2 shown]
	scratch_load_dwordx2 v[72:73], off, off
	ds_read2_b64 v[76:79], v74 offset0:45 offset1:46
	ds_read2_b64 v[80:83], v74 offset0:47 offset1:48
	;; [unrolled: 1-line block ×13, first 2 shown]
	s_and_b64 vcc, exec, s[10:11]
	s_waitcnt vmcnt(18) lgkmcnt(12)
	v_mul_f32_e32 v75, v76, v1
	v_mul_f32_e32 v124, v78, v3
	v_fmac_f32_e32 v75, v77, v0
	s_waitcnt vmcnt(17) lgkmcnt(11)
	v_mul_f32_e32 v125, v80, v5
	v_fmac_f32_e32 v124, v79, v2
	v_add_f32_e32 v75, 0, v75
	v_mul_f32_e32 v218, v82, v7
	v_fmac_f32_e32 v125, v81, v4
	v_add_f32_e32 v75, v75, v124
	s_waitcnt vmcnt(16) lgkmcnt(10)
	v_mul_f32_e32 v219, v84, v9
	v_fmac_f32_e32 v218, v83, v6
	v_add_f32_e32 v75, v75, v125
	v_mul_f32_e32 v220, v86, v11
	v_fmac_f32_e32 v219, v85, v8
	v_add_f32_e32 v75, v75, v218
	;; [unrolled: 7-line block ×11, first 2 shown]
	v_add_f32_e32 v75, v75, v237
	v_fmac_f32_e32 v238, v123, v46
	v_add_f32_e32 v75, v75, v238
	scratch_load_dwordx4 v[238:241], off, off offset:296
	ds_read2_b64 v[218:221], v74 offset0:71 offset1:72
	ds_read2_b64 v[222:225], v74 offset0:73 offset1:74
	;; [unrolled: 1-line block ×5, first 2 shown]
	scratch_load_dwordx4 v[242:245], off, off offset:312
	scratch_load_dwordx4 v[246:249], off, off offset:328
	scratch_load_dwordx2 v[254:255], off, off offset:344
	v_mul_f32_e32 v1, v77, v1
	v_fma_f32 v0, v76, v0, -v1
	v_mul_f32_e32 v1, v79, v3
	v_add_f32_e32 v0, 0, v0
	v_fma_f32 v1, v78, v2, -v1
	v_add_f32_e32 v0, v0, v1
	v_mul_f32_e32 v1, v81, v5
	v_fma_f32 v1, v80, v4, -v1
	v_add_f32_e32 v0, v0, v1
	v_mul_f32_e32 v1, v83, v7
	;; [unrolled: 3-line block ×22, first 2 shown]
	v_fma_f32 v1, v122, v46, -v1
	s_waitcnt vmcnt(10) lgkmcnt(5)
	v_mul_f32_e32 v124, v214, v49
	v_add_f32_e32 v0, v0, v1
	v_mul_f32_e32 v1, v215, v49
	v_fmac_f32_e32 v124, v215, v48
	v_fma_f32 v1, v214, v48, -v1
	v_add_f32_e32 v75, v75, v124
	v_mul_f32_e32 v124, v216, v51
	v_add_f32_e32 v0, v0, v1
	v_mul_f32_e32 v1, v217, v51
	v_fmac_f32_e32 v124, v217, v50
	v_fma_f32 v1, v216, v50, -v1
	v_add_f32_e32 v75, v75, v124
	s_waitcnt vmcnt(9) lgkmcnt(4)
	v_mul_f32_e32 v124, v218, v53
	v_add_f32_e32 v0, v0, v1
	v_mul_f32_e32 v1, v219, v53
	v_fmac_f32_e32 v124, v219, v52
	v_fma_f32 v1, v218, v52, -v1
	v_add_f32_e32 v75, v75, v124
	v_mul_f32_e32 v124, v220, v55
	v_add_f32_e32 v0, v0, v1
	v_mul_f32_e32 v1, v221, v55
	v_fmac_f32_e32 v124, v221, v54
	v_fma_f32 v1, v220, v54, -v1
	v_add_f32_e32 v75, v75, v124
	s_waitcnt vmcnt(8) lgkmcnt(3)
	v_mul_f32_e32 v124, v222, v57
	v_add_f32_e32 v0, v0, v1
	v_mul_f32_e32 v1, v223, v57
	v_fmac_f32_e32 v124, v223, v56
	v_fma_f32 v1, v222, v56, -v1
	v_add_f32_e32 v75, v75, v124
	v_mul_f32_e32 v124, v224, v59
	v_add_f32_e32 v0, v0, v1
	v_mul_f32_e32 v1, v225, v59
	v_fmac_f32_e32 v124, v225, v58
	v_fma_f32 v1, v224, v58, -v1
	v_add_f32_e32 v75, v75, v124
	s_waitcnt vmcnt(7) lgkmcnt(2)
	v_mul_f32_e32 v124, v226, v61
	v_add_f32_e32 v0, v0, v1
	v_mul_f32_e32 v1, v227, v61
	v_fmac_f32_e32 v124, v227, v60
	v_fma_f32 v1, v226, v60, -v1
	v_add_f32_e32 v75, v75, v124
	v_mul_f32_e32 v124, v228, v63
	v_add_f32_e32 v0, v0, v1
	v_mul_f32_e32 v1, v229, v63
	v_fmac_f32_e32 v124, v229, v62
	v_fma_f32 v1, v228, v62, -v1
	v_add_f32_e32 v75, v75, v124
	s_waitcnt vmcnt(6) lgkmcnt(1)
	v_mul_f32_e32 v124, v230, v69
	v_add_f32_e32 v0, v0, v1
	v_mul_f32_e32 v1, v231, v69
	v_fmac_f32_e32 v124, v231, v68
	v_fma_f32 v1, v230, v68, -v1
	v_add_f32_e32 v125, v75, v124
	v_add_f32_e32 v124, v0, v1
	v_mul_f32_e32 v0, v233, v71
	v_mul_f32_e32 v251, v232, v71
	v_fma_f32 v250, v232, v70, -v0
	s_waitcnt vmcnt(5) lgkmcnt(0)
	v_mul_f32_e32 v0, v235, v65
	v_mov_b32_e32 v16, v67
	v_fmac_f32_e32 v251, v233, v70
	v_mul_f32_e32 v253, v234, v65
	v_fma_f32 v252, v234, v64, -v0
	ds_read2_b64 v[0:3], v74 offset0:81 offset1:82
	ds_read2_b64 v[4:7], v74 offset0:83 offset1:84
	;; [unrolled: 1-line block ×3, first 2 shown]
	ds_read_b64 v[12:13], v74 offset:696
	v_pk_mul_f32 v[16:17], v[236:237], v[16:17] op_sel:[1,0] op_sel_hi:[0,0]
	v_fmac_f32_e32 v253, v235, v64
	v_pk_add_f32 v[14:15], v[124:125], v[250:251]
	v_pk_fma_f32 v[18:19], v[236:237], v[66:67], v[16:17] neg_lo:[0,0,1] neg_hi:[0,0,1]
	v_pk_fma_f32 v[16:17], v[236:237], v[66:67], v[16:17] op_sel_hi:[1,0,1]
	v_pk_add_f32 v[14:15], v[14:15], v[252:253]
	v_mov_b32_e32 v19, v17
	s_waitcnt vmcnt(3) lgkmcnt(3)
	v_pk_mul_f32 v[16:17], v[0:1], v[238:239] op_sel:[1,1] op_sel_hi:[0,1]
	v_pk_add_f32 v[14:15], v[14:15], v[18:19]
	v_pk_fma_f32 v[18:19], v[0:1], v[238:239], v[16:17] neg_lo:[0,0,1] neg_hi:[0,0,1]
	v_pk_fma_f32 v[0:1], v[0:1], v[238:239], v[16:17] op_sel_hi:[1,0,1]
	s_nop 0
	v_mov_b32_e32 v19, v1
	v_pk_add_f32 v[0:1], v[14:15], v[18:19]
	v_mov_b32_e32 v14, v241
	v_pk_mul_f32 v[14:15], v[2:3], v[14:15] op_sel:[1,0] op_sel_hi:[0,0]
	v_pk_fma_f32 v[16:17], v[2:3], v[240:241], v[14:15] neg_lo:[0,0,1] neg_hi:[0,0,1]
	v_pk_fma_f32 v[2:3], v[2:3], v[240:241], v[14:15] op_sel_hi:[1,0,1]
	s_nop 0
	v_mov_b32_e32 v17, v3
	s_waitcnt vmcnt(2) lgkmcnt(2)
	v_pk_mul_f32 v[2:3], v[4:5], v[242:243] op_sel:[1,1] op_sel_hi:[0,1]
	v_pk_fma_f32 v[14:15], v[4:5], v[242:243], v[2:3] neg_lo:[0,0,1] neg_hi:[0,0,1]
	v_pk_fma_f32 v[2:3], v[4:5], v[242:243], v[2:3] op_sel_hi:[1,0,1]
	v_pk_add_f32 v[0:1], v[0:1], v[16:17]
	v_mov_b32_e32 v2, v245
	v_mov_b32_e32 v15, v3
	v_pk_mul_f32 v[2:3], v[6:7], v[2:3] op_sel:[1,0] op_sel_hi:[0,0]
	v_pk_fma_f32 v[4:5], v[6:7], v[244:245], v[2:3] neg_lo:[0,0,1] neg_hi:[0,0,1]
	v_pk_fma_f32 v[2:3], v[6:7], v[244:245], v[2:3] op_sel_hi:[1,0,1]
	v_pk_add_f32 v[0:1], v[0:1], v[14:15]
	v_mov_b32_e32 v5, v3
	s_waitcnt vmcnt(1) lgkmcnt(1)
	v_pk_mul_f32 v[2:3], v[8:9], v[246:247] op_sel:[1,1] op_sel_hi:[0,1]
	v_pk_add_f32 v[0:1], v[0:1], v[4:5]
	v_pk_fma_f32 v[4:5], v[8:9], v[246:247], v[2:3] neg_lo:[0,0,1] neg_hi:[0,0,1]
	v_pk_fma_f32 v[2:3], v[8:9], v[246:247], v[2:3] op_sel_hi:[1,0,1]
	s_nop 0
	v_mov_b32_e32 v2, v249
	v_mov_b32_e32 v5, v3
	v_pk_mul_f32 v[2:3], v[10:11], v[2:3] op_sel:[1,0] op_sel_hi:[0,0]
	v_pk_add_f32 v[0:1], v[0:1], v[4:5]
	v_pk_fma_f32 v[4:5], v[10:11], v[248:249], v[2:3] neg_lo:[0,0,1] neg_hi:[0,0,1]
	v_pk_fma_f32 v[2:3], v[10:11], v[248:249], v[2:3] op_sel_hi:[1,0,1]
	s_nop 0
	v_mov_b32_e32 v5, v3
	s_waitcnt vmcnt(0) lgkmcnt(0)
	v_pk_mul_f32 v[2:3], v[12:13], v[254:255] op_sel:[1,1] op_sel_hi:[0,1]
	v_pk_add_f32 v[0:1], v[0:1], v[4:5]
	v_pk_fma_f32 v[4:5], v[12:13], v[254:255], v[2:3] neg_lo:[0,0,1] neg_hi:[0,0,1]
	v_pk_fma_f32 v[2:3], v[12:13], v[254:255], v[2:3] op_sel_hi:[1,0,1]
	s_nop 0
	v_mov_b32_e32 v5, v3
	v_pk_add_f32 v[0:1], v[0:1], v[4:5]
	s_nop 0
	v_pk_add_f32 v[0:1], v[72:73], v[0:1] neg_lo:[0,1] neg_hi:[0,1]
	scratch_store_dwordx2 off, v[0:1], off
	s_cbranch_vccz .LBB107_364
; %bb.278:
	global_load_dword v0, v74, s[8:9] offset:168
	s_waitcnt vmcnt(0)
	v_readfirstlane_b32 s0, v0
	s_add_i32 s0, s0, -1
	s_cmp_lg_u32 s0, 42
	s_cbranch_scc0 .LBB107_280
; %bb.279:
	s_lshl_b32 s0, s0, 3
	s_nop 0
	scratch_load_dwordx2 v[0:1], off, s0
	scratch_load_dwordx2 v[2:3], off, off offset:336
	s_waitcnt vmcnt(1)
	scratch_store_dwordx2 off, v[0:1], off offset:336
	s_waitcnt vmcnt(1)
	scratch_store_dwordx2 off, v[2:3], s0
.LBB107_280:
	v_mov_b32_e32 v0, 0
	global_load_dword v1, v0, s[8:9] offset:164
	s_waitcnt vmcnt(0)
	v_readfirstlane_b32 s0, v1
	s_add_i32 s0, s0, -1
	s_cmp_eq_u32 s0, 41
	s_cbranch_scc1 .LBB107_282
; %bb.281:
	s_lshl_b32 s0, s0, 3
	s_nop 0
	scratch_load_dwordx2 v[2:3], off, s0
	scratch_load_dwordx2 v[4:5], off, off offset:328
	s_waitcnt vmcnt(1)
	scratch_store_dwordx2 off, v[2:3], off offset:328
	s_waitcnt vmcnt(1)
	scratch_store_dwordx2 off, v[4:5], s0
.LBB107_282:
	global_load_dword v0, v0, s[8:9] offset:160
	s_waitcnt vmcnt(0)
	v_readfirstlane_b32 s0, v0
	s_add_i32 s0, s0, -1
	s_cmp_eq_u32 s0, 40
	s_cbranch_scc1 .LBB107_284
; %bb.283:
	s_lshl_b32 s0, s0, 3
	s_nop 0
	scratch_load_dwordx2 v[0:1], off, s0
	scratch_load_dwordx2 v[2:3], off, off offset:320
	s_waitcnt vmcnt(1)
	scratch_store_dwordx2 off, v[0:1], off offset:320
	s_waitcnt vmcnt(1)
	scratch_store_dwordx2 off, v[2:3], s0
.LBB107_284:
	v_mov_b32_e32 v0, 0
	global_load_dword v1, v0, s[8:9] offset:156
	s_waitcnt vmcnt(0)
	v_readfirstlane_b32 s0, v1
	s_add_i32 s0, s0, -1
	s_cmp_eq_u32 s0, 39
	s_cbranch_scc1 .LBB107_286
; %bb.285:
	s_lshl_b32 s0, s0, 3
	s_nop 0
	scratch_load_dwordx2 v[2:3], off, s0
	scratch_load_dwordx2 v[4:5], off, off offset:312
	s_waitcnt vmcnt(1)
	scratch_store_dwordx2 off, v[2:3], off offset:312
	s_waitcnt vmcnt(1)
	scratch_store_dwordx2 off, v[4:5], s0
.LBB107_286:
	global_load_dword v0, v0, s[8:9] offset:152
	s_waitcnt vmcnt(0)
	v_readfirstlane_b32 s0, v0
	s_add_i32 s0, s0, -1
	s_cmp_eq_u32 s0, 38
	s_cbranch_scc1 .LBB107_288
; %bb.287:
	s_lshl_b32 s0, s0, 3
	s_nop 0
	scratch_load_dwordx2 v[0:1], off, s0
	scratch_load_dwordx2 v[2:3], off, off offset:304
	s_waitcnt vmcnt(1)
	scratch_store_dwordx2 off, v[0:1], off offset:304
	s_waitcnt vmcnt(1)
	scratch_store_dwordx2 off, v[2:3], s0
.LBB107_288:
	;; [unrolled: 33-line block ×20, first 2 shown]
	v_mov_b32_e32 v0, 0
	global_load_dword v1, v0, s[8:9] offset:4
	s_waitcnt vmcnt(0)
	v_readfirstlane_b32 s0, v1
	s_add_i32 s0, s0, -1
	s_cmp_eq_u32 s0, 1
	s_cbranch_scc1 .LBB107_362
; %bb.361:
	s_lshl_b32 s0, s0, 3
	s_nop 0
	scratch_load_dwordx2 v[2:3], off, s0
	scratch_load_dwordx2 v[4:5], off, off offset:8
	s_waitcnt vmcnt(1)
	scratch_store_dwordx2 off, v[2:3], off offset:8
	s_waitcnt vmcnt(1)
	scratch_store_dwordx2 off, v[4:5], s0
.LBB107_362:
	global_load_dword v2, v0, s[8:9]
	s_nop 0
	scratch_load_dwordx2 v[0:1], off, off
	s_waitcnt vmcnt(1)
	v_readfirstlane_b32 s0, v2
	s_add_i32 s0, s0, -1
	s_cmp_eq_u32 s0, 0
	s_cbranch_scc1 .LBB107_364
; %bb.363:
	s_lshl_b32 s0, s0, 3
	s_nop 0
	scratch_load_dwordx2 v[2:3], off, s0
	s_waitcnt vmcnt(0)
	scratch_store_dwordx2 off, v[2:3], off
	scratch_store_dwordx2 off, v[0:1], s0
	scratch_load_dwordx2 v[0:1], off, off
.LBB107_364:
	s_waitcnt vmcnt(0)
	flat_store_dwordx2 v[126:127], v[0:1]
	scratch_load_dwordx2 v[0:1], off, off offset:8
	s_waitcnt vmcnt(0)
	flat_store_dwordx2 v[128:129], v[0:1]
	scratch_load_dwordx2 v[0:1], off, off offset:16
	;; [unrolled: 3-line block ×43, first 2 shown]
	s_waitcnt vmcnt(0)
	flat_store_dwordx2 v[212:213], v[0:1]
	s_endpgm
	.section	.rodata,"a",@progbits
	.p2align	6, 0x0
	.amdhsa_kernel _ZN9rocsolver6v33100L18getri_kernel_smallILi44E19rocblas_complex_numIfEPKPS3_EEvT1_iilPiilS8_bb
		.amdhsa_group_segment_fixed_size 708
		.amdhsa_private_segment_fixed_size 368
		.amdhsa_kernarg_size 60
		.amdhsa_user_sgpr_count 2
		.amdhsa_user_sgpr_dispatch_ptr 0
		.amdhsa_user_sgpr_queue_ptr 0
		.amdhsa_user_sgpr_kernarg_segment_ptr 1
		.amdhsa_user_sgpr_dispatch_id 0
		.amdhsa_user_sgpr_kernarg_preload_length 0
		.amdhsa_user_sgpr_kernarg_preload_offset 0
		.amdhsa_user_sgpr_private_segment_size 0
		.amdhsa_uses_dynamic_stack 0
		.amdhsa_enable_private_segment 1
		.amdhsa_system_sgpr_workgroup_id_x 1
		.amdhsa_system_sgpr_workgroup_id_y 0
		.amdhsa_system_sgpr_workgroup_id_z 0
		.amdhsa_system_sgpr_workgroup_info 0
		.amdhsa_system_vgpr_workitem_id 0
		.amdhsa_next_free_vgpr 256
		.amdhsa_next_free_sgpr 17
		.amdhsa_accum_offset 256
		.amdhsa_reserve_vcc 1
		.amdhsa_float_round_mode_32 0
		.amdhsa_float_round_mode_16_64 0
		.amdhsa_float_denorm_mode_32 3
		.amdhsa_float_denorm_mode_16_64 3
		.amdhsa_dx10_clamp 1
		.amdhsa_ieee_mode 1
		.amdhsa_fp16_overflow 0
		.amdhsa_tg_split 0
		.amdhsa_exception_fp_ieee_invalid_op 0
		.amdhsa_exception_fp_denorm_src 0
		.amdhsa_exception_fp_ieee_div_zero 0
		.amdhsa_exception_fp_ieee_overflow 0
		.amdhsa_exception_fp_ieee_underflow 0
		.amdhsa_exception_fp_ieee_inexact 0
		.amdhsa_exception_int_div_zero 0
	.end_amdhsa_kernel
	.section	.text._ZN9rocsolver6v33100L18getri_kernel_smallILi44E19rocblas_complex_numIfEPKPS3_EEvT1_iilPiilS8_bb,"axG",@progbits,_ZN9rocsolver6v33100L18getri_kernel_smallILi44E19rocblas_complex_numIfEPKPS3_EEvT1_iilPiilS8_bb,comdat
.Lfunc_end107:
	.size	_ZN9rocsolver6v33100L18getri_kernel_smallILi44E19rocblas_complex_numIfEPKPS3_EEvT1_iilPiilS8_bb, .Lfunc_end107-_ZN9rocsolver6v33100L18getri_kernel_smallILi44E19rocblas_complex_numIfEPKPS3_EEvT1_iilPiilS8_bb
                                        ; -- End function
	.set _ZN9rocsolver6v33100L18getri_kernel_smallILi44E19rocblas_complex_numIfEPKPS3_EEvT1_iilPiilS8_bb.num_vgpr, 256
	.set _ZN9rocsolver6v33100L18getri_kernel_smallILi44E19rocblas_complex_numIfEPKPS3_EEvT1_iilPiilS8_bb.num_agpr, 0
	.set _ZN9rocsolver6v33100L18getri_kernel_smallILi44E19rocblas_complex_numIfEPKPS3_EEvT1_iilPiilS8_bb.numbered_sgpr, 17
	.set _ZN9rocsolver6v33100L18getri_kernel_smallILi44E19rocblas_complex_numIfEPKPS3_EEvT1_iilPiilS8_bb.num_named_barrier, 0
	.set _ZN9rocsolver6v33100L18getri_kernel_smallILi44E19rocblas_complex_numIfEPKPS3_EEvT1_iilPiilS8_bb.private_seg_size, 368
	.set _ZN9rocsolver6v33100L18getri_kernel_smallILi44E19rocblas_complex_numIfEPKPS3_EEvT1_iilPiilS8_bb.uses_vcc, 1
	.set _ZN9rocsolver6v33100L18getri_kernel_smallILi44E19rocblas_complex_numIfEPKPS3_EEvT1_iilPiilS8_bb.uses_flat_scratch, 0
	.set _ZN9rocsolver6v33100L18getri_kernel_smallILi44E19rocblas_complex_numIfEPKPS3_EEvT1_iilPiilS8_bb.has_dyn_sized_stack, 0
	.set _ZN9rocsolver6v33100L18getri_kernel_smallILi44E19rocblas_complex_numIfEPKPS3_EEvT1_iilPiilS8_bb.has_recursion, 0
	.set _ZN9rocsolver6v33100L18getri_kernel_smallILi44E19rocblas_complex_numIfEPKPS3_EEvT1_iilPiilS8_bb.has_indirect_call, 0
	.section	.AMDGPU.csdata,"",@progbits
; Kernel info:
; codeLenInByte = 59504
; TotalNumSgprs: 23
; NumVgprs: 256
; NumAgprs: 0
; TotalNumVgprs: 256
; ScratchSize: 368
; MemoryBound: 0
; FloatMode: 240
; IeeeMode: 1
; LDSByteSize: 708 bytes/workgroup (compile time only)
; SGPRBlocks: 2
; VGPRBlocks: 31
; NumSGPRsForWavesPerEU: 23
; NumVGPRsForWavesPerEU: 256
; AccumOffset: 256
; Occupancy: 2
; WaveLimiterHint : 1
; COMPUTE_PGM_RSRC2:SCRATCH_EN: 1
; COMPUTE_PGM_RSRC2:USER_SGPR: 2
; COMPUTE_PGM_RSRC2:TRAP_HANDLER: 0
; COMPUTE_PGM_RSRC2:TGID_X_EN: 1
; COMPUTE_PGM_RSRC2:TGID_Y_EN: 0
; COMPUTE_PGM_RSRC2:TGID_Z_EN: 0
; COMPUTE_PGM_RSRC2:TIDIG_COMP_CNT: 0
; COMPUTE_PGM_RSRC3_GFX90A:ACCUM_OFFSET: 63
; COMPUTE_PGM_RSRC3_GFX90A:TG_SPLIT: 0
	.section	.text._ZN9rocsolver6v33100L18getri_kernel_smallILi45E19rocblas_complex_numIfEPKPS3_EEvT1_iilPiilS8_bb,"axG",@progbits,_ZN9rocsolver6v33100L18getri_kernel_smallILi45E19rocblas_complex_numIfEPKPS3_EEvT1_iilPiilS8_bb,comdat
	.globl	_ZN9rocsolver6v33100L18getri_kernel_smallILi45E19rocblas_complex_numIfEPKPS3_EEvT1_iilPiilS8_bb ; -- Begin function _ZN9rocsolver6v33100L18getri_kernel_smallILi45E19rocblas_complex_numIfEPKPS3_EEvT1_iilPiilS8_bb
	.p2align	8
	.type	_ZN9rocsolver6v33100L18getri_kernel_smallILi45E19rocblas_complex_numIfEPKPS3_EEvT1_iilPiilS8_bb,@function
_ZN9rocsolver6v33100L18getri_kernel_smallILi45E19rocblas_complex_numIfEPKPS3_EEvT1_iilPiilS8_bb: ; @_ZN9rocsolver6v33100L18getri_kernel_smallILi45E19rocblas_complex_numIfEPKPS3_EEvT1_iilPiilS8_bb
; %bb.0:
	v_cmp_gt_u32_e32 vcc, 45, v0
	s_and_saveexec_b64 s[4:5], vcc
	s_cbranch_execz .LBB108_194
; %bb.1:
	s_load_dword s14, s[0:1], 0x38
	s_load_dwordx2 s[8:9], s[0:1], 0x0
	s_load_dwordx4 s[4:7], s[0:1], 0x28
	s_waitcnt lgkmcnt(0)
	s_bitcmp1_b32 s14, 8
	s_cselect_b64 s[10:11], -1, 0
	s_ashr_i32 s3, s2, 31
	s_lshl_b64 s[12:13], s[2:3], 3
	s_add_u32 s8, s8, s12
	s_addc_u32 s9, s9, s13
	s_load_dwordx2 s[12:13], s[8:9], 0x0
	s_bfe_u32 s8, s14, 0x10008
	s_cmp_eq_u32 s8, 0
                                        ; implicit-def: $sgpr8_sgpr9
	s_cbranch_scc1 .LBB108_3
; %bb.2:
	s_load_dword s8, s[0:1], 0x20
	s_load_dwordx2 s[14:15], s[0:1], 0x18
	s_mul_i32 s9, s4, s3
	s_mul_hi_u32 s16, s4, s2
	s_add_i32 s16, s16, s9
	s_mul_i32 s5, s5, s2
	s_add_i32 s5, s16, s5
	s_mul_i32 s4, s4, s2
	s_waitcnt lgkmcnt(0)
	s_ashr_i32 s9, s8, 31
	s_lshl_b64 s[4:5], s[4:5], 2
	s_add_u32 s14, s14, s4
	s_addc_u32 s15, s15, s5
	s_lshl_b64 s[4:5], s[8:9], 2
	s_add_u32 s8, s14, s4
	s_addc_u32 s9, s15, s5
.LBB108_3:
	s_load_dwordx2 s[4:5], s[0:1], 0x8
	s_load_dword s14, s[0:1], 0x38
	v_lshlrev_b32_e32 v2, 3, v0
	v_mov_b32_e32 v3, 0
	s_waitcnt lgkmcnt(0)
	s_ashr_i32 s1, s4, 31
	s_mov_b32 s0, s4
	s_lshl_b64 s[0:1], s[0:1], 3
	s_add_u32 s0, s12, s0
	s_addc_u32 s1, s13, s1
	v_lshl_add_u64 v[160:161], s[0:1], 0, v[2:3]
	flat_load_dwordx2 v[4:5], v[160:161]
	s_mov_b32 s12, s5
	s_ashr_i32 s13, s5, 31
	v_lshl_add_u64 v[6:7], s[12:13], 3, v[160:161]
	v_accvgpr_write_b32 a0, v6
	s_add_i32 s4, s5, s5
	v_accvgpr_write_b32 a1, v7
	s_bitcmp0_b32 s14, 0
	s_waitcnt vmcnt(0) lgkmcnt(0)
	scratch_store_dwordx2 off, v[4:5], off
	flat_load_dwordx2 v[4:5], v[6:7]
	v_add_u32_e32 v6, s4, v0
	v_ashrrev_i32_e32 v7, 31, v6
	v_lshl_add_u64 v[8:9], v[6:7], 3, s[0:1]
	v_add_u32_e32 v6, s5, v6
	v_ashrrev_i32_e32 v7, 31, v6
	v_lshl_add_u64 v[166:167], v[6:7], 3, s[0:1]
	;; [unrolled: 3-line block ×26, first 2 shown]
	v_add_u32_e32 v6, s5, v6
	s_waitcnt vmcnt(0) lgkmcnt(0)
	scratch_store_dwordx2 off, v[4:5], off offset:8
	flat_load_dwordx2 v[4:5], v[8:9]
	v_ashrrev_i32_e32 v7, 31, v6
	v_lshl_add_u64 v[216:217], v[6:7], 3, s[0:1]
	v_add_u32_e32 v6, s5, v6
	v_ashrrev_i32_e32 v7, 31, v6
	v_lshl_add_u64 v[218:219], v[6:7], 3, s[0:1]
	v_add_u32_e32 v6, s5, v6
	;; [unrolled: 3-line block ×16, first 2 shown]
	v_ashrrev_i32_e32 v7, 31, v6
	v_lshl_add_u64 v[248:249], v[6:7], 3, s[0:1]
	v_accvgpr_write_b32 a2, v8
	v_accvgpr_write_b32 a3, v9
	s_mov_b64 s[4:5], -1
	s_waitcnt vmcnt(0) lgkmcnt(0)
	scratch_store_dwordx2 off, v[4:5], off offset:16
	flat_load_dwordx2 v[4:5], v[166:167]
	s_waitcnt vmcnt(0) lgkmcnt(0)
	scratch_store_dwordx2 off, v[4:5], off offset:24
	flat_load_dwordx2 v[4:5], v[168:169]
	;; [unrolled: 3-line block ×42, first 2 shown]
	s_waitcnt vmcnt(0) lgkmcnt(0)
	scratch_store_dwordx2 off, v[4:5], off offset:352
	s_cbranch_scc1 .LBB108_192
; %bb.4:
	v_cmp_eq_u32_e64 s[0:1], 0, v0
	s_and_saveexec_b64 s[4:5], s[0:1]
; %bb.5:
	v_mov_b32_e32 v1, 0
	ds_write_b32 v1, v1 offset:360
; %bb.6:
	s_or_b64 exec, exec, s[4:5]
	s_waitcnt lgkmcnt(0)
	; wave barrier
	scratch_load_dwordx2 v[4:5], v2, off
	s_waitcnt vmcnt(0)
	v_cmp_eq_f32_e32 vcc, 0, v4
	v_cmp_eq_f32_e64 s[4:5], 0, v5
	s_and_b64 s[4:5], vcc, s[4:5]
	s_and_saveexec_b64 s[12:13], s[4:5]
	s_cbranch_execz .LBB108_10
; %bb.7:
	v_mov_b32_e32 v1, 0
	ds_read_b32 v4, v1 offset:360
	v_add_u32_e32 v3, 1, v0
	s_waitcnt lgkmcnt(0)
	v_readfirstlane_b32 s4, v4
	s_cmp_eq_u32 s4, 0
	s_cselect_b64 s[14:15], -1, 0
	v_cmp_gt_i32_e32 vcc, s4, v3
	s_or_b64 s[14:15], s[14:15], vcc
	s_and_b64 exec, exec, s[14:15]
	s_cbranch_execz .LBB108_10
; %bb.8:
	s_mov_b64 s[14:15], 0
	v_mov_b32_e32 v4, s4
.LBB108_9:                              ; =>This Inner Loop Header: Depth=1
	ds_cmpst_rtn_b32 v4, v1, v4, v3 offset:360
	s_waitcnt lgkmcnt(0)
	v_cmp_ne_u32_e32 vcc, 0, v4
	v_cmp_le_i32_e64 s[4:5], v4, v3
	s_and_b64 s[4:5], vcc, s[4:5]
	s_and_b64 s[4:5], exec, s[4:5]
	s_or_b64 s[14:15], s[4:5], s[14:15]
	s_andn2_b64 exec, exec, s[14:15]
	s_cbranch_execnz .LBB108_9
.LBB108_10:
	s_or_b64 exec, exec, s[12:13]
	v_mov_b32_e32 v3, 0
	; wave barrier
	ds_read_b32 v1, v3 offset:360
	s_and_saveexec_b64 s[4:5], s[0:1]
	s_cbranch_execz .LBB108_12
; %bb.11:
	s_lshl_b64 s[12:13], s[2:3], 2
	s_add_u32 s12, s6, s12
	s_addc_u32 s13, s7, s13
	s_waitcnt lgkmcnt(0)
	global_store_dword v3, v1, s[12:13]
.LBB108_12:
	s_or_b64 exec, exec, s[4:5]
	s_waitcnt lgkmcnt(0)
	v_cmp_ne_u32_e32 vcc, 0, v1
	s_mov_b64 s[4:5], 0
	s_cbranch_vccnz .LBB108_192
; %bb.13:
	v_mov_b32_e32 v3, v2
	scratch_load_dwordx2 v[4:5], v3, off
                                        ; implicit-def: $vgpr7
                                        ; implicit-def: $vgpr8
	s_waitcnt vmcnt(0)
	v_cmp_ngt_f32_e64 s[4:5], |v4|, |v5|
	s_and_saveexec_b64 s[12:13], s[4:5]
	s_xor_b64 s[4:5], exec, s[12:13]
	s_cbranch_execz .LBB108_15
; %bb.14:
	v_div_scale_f32 v1, s[12:13], v5, v5, v4
	v_rcp_f32_e32 v6, v1
	v_div_scale_f32 v7, vcc, v4, v5, v4
	v_fma_f32 v8, -v1, v6, 1.0
	v_fmac_f32_e32 v6, v8, v6
	v_mul_f32_e32 v8, v7, v6
	v_fma_f32 v9, -v1, v8, v7
	v_fmac_f32_e32 v8, v9, v6
	v_fma_f32 v1, -v1, v8, v7
	v_div_fmas_f32 v1, v1, v6, v8
	v_div_fixup_f32 v1, v1, v5, v4
	v_fmac_f32_e32 v5, v4, v1
	v_div_scale_f32 v4, s[12:13], v5, v5, -1.0
	v_rcp_f32_e32 v6, v4
	s_nop 0
	v_fma_f32 v7, -v4, v6, 1.0
	v_fmac_f32_e32 v6, v7, v6
	v_div_scale_f32 v7, vcc, -1.0, v5, -1.0
	v_mul_f32_e32 v8, v7, v6
	v_fma_f32 v9, -v4, v8, v7
	v_fmac_f32_e32 v8, v9, v6
	v_fma_f32 v4, -v4, v8, v7
	v_div_fmas_f32 v4, v4, v6, v8
	v_div_fixup_f32 v7, v4, v5, -1.0
	v_mul_f32_e32 v8, v1, v7
	v_xor_b32_e32 v6, 0x80000000, v8
                                        ; implicit-def: $vgpr4_vgpr5
.LBB108_15:
	s_andn2_saveexec_b64 s[4:5], s[4:5]
	s_cbranch_execz .LBB108_17
; %bb.16:
	v_div_scale_f32 v1, s[12:13], v4, v4, v5
	v_rcp_f32_e32 v6, v1
	v_div_scale_f32 v7, vcc, v5, v4, v5
	v_fma_f32 v8, -v1, v6, 1.0
	v_fmac_f32_e32 v6, v8, v6
	v_mul_f32_e32 v8, v7, v6
	v_fma_f32 v9, -v1, v8, v7
	v_fmac_f32_e32 v8, v9, v6
	v_fma_f32 v1, -v1, v8, v7
	v_div_fmas_f32 v1, v1, v6, v8
	v_div_fixup_f32 v1, v1, v4, v5
	v_fmac_f32_e32 v4, v5, v1
	v_div_scale_f32 v5, s[12:13], v4, v4, 1.0
	v_rcp_f32_e32 v6, v5
	s_nop 0
	v_fma_f32 v7, -v5, v6, 1.0
	v_fmac_f32_e32 v6, v7, v6
	v_div_scale_f32 v7, vcc, 1.0, v4, 1.0
	v_mul_f32_e32 v8, v7, v6
	v_fma_f32 v9, -v5, v8, v7
	v_fmac_f32_e32 v8, v9, v6
	v_fma_f32 v5, -v5, v8, v7
	v_div_fmas_f32 v5, v5, v6, v8
	v_div_fixup_f32 v6, v5, v4, 1.0
	v_xor_b32_e32 v8, 0x80000000, v6
	v_mul_f32_e64 v7, v1, -v6
.LBB108_17:
	s_or_b64 exec, exec, s[4:5]
	scratch_store_dwordx2 v3, v[6:7], off
	scratch_load_dwordx2 v[4:5], off, off offset:8
	v_xor_b32_e32 v9, 0x80000000, v7
	v_add_u32_e32 v1, 0x170, v2
	s_waitcnt vmcnt(0)
	ds_write2_b64 v2, v[8:9], v[4:5] offset1:46
	s_waitcnt lgkmcnt(0)
	; wave barrier
	s_and_saveexec_b64 s[4:5], s[0:1]
	s_cbranch_execz .LBB108_19
; %bb.18:
	scratch_load_dwordx2 v[4:5], v3, off
	ds_read_b64 v[6:7], v1
	v_mov_b32_e32 v8, 0
	ds_read_b64 v[8:9], v8 offset:8
	s_waitcnt vmcnt(0) lgkmcnt(1)
	v_pk_mul_f32 v[10:11], v[6:7], v[4:5] op_sel:[1,1] op_sel_hi:[0,1]
	v_pk_fma_f32 v[12:13], v[6:7], v[4:5], v[10:11] neg_lo:[0,0,1] neg_hi:[0,0,1]
	v_pk_fma_f32 v[4:5], v[6:7], v[4:5], v[10:11] op_sel_hi:[1,0,1]
	s_nop 0
	v_mov_b32_e32 v13, v5
	v_pk_add_f32 v[4:5], v[12:13], 0 op_sel_hi:[1,0]
	s_waitcnt lgkmcnt(0)
	v_pk_mul_f32 v[6:7], v[4:5], v[8:9] op_sel:[1,1] op_sel_hi:[0,1]
	v_pk_fma_f32 v[10:11], v[4:5], v[8:9], v[6:7] neg_lo:[0,0,1] neg_hi:[0,0,1]
	v_pk_fma_f32 v[4:5], v[4:5], v[8:9], v[6:7] op_sel_hi:[1,0,1]
	s_nop 0
	v_mov_b32_e32 v11, v5
	scratch_store_dwordx2 off, v[10:11], off offset:8
.LBB108_19:
	s_or_b64 exec, exec, s[4:5]
	; wave barrier
	scratch_load_dwordx2 v[4:5], off, off offset:16
	v_cmp_gt_u32_e32 vcc, 2, v0
	s_waitcnt vmcnt(0)
	ds_write_b64 v1, v[4:5]
	s_waitcnt lgkmcnt(0)
	; wave barrier
	s_and_saveexec_b64 s[4:5], vcc
	s_cbranch_execz .LBB108_23
; %bb.20:
	scratch_load_dwordx2 v[4:5], v3, off
	ds_read_b64 v[6:7], v1
	s_waitcnt vmcnt(0) lgkmcnt(0)
	v_pk_mul_f32 v[8:9], v[6:7], v[4:5] op_sel:[1,1] op_sel_hi:[0,1]
	v_pk_fma_f32 v[10:11], v[6:7], v[4:5], v[8:9] neg_lo:[0,0,1] neg_hi:[0,0,1]
	v_pk_fma_f32 v[4:5], v[6:7], v[4:5], v[8:9] op_sel_hi:[1,0,1]
	s_nop 0
	v_mov_b32_e32 v11, v5
	v_pk_add_f32 v[4:5], v[10:11], 0 op_sel_hi:[1,0]
	s_and_saveexec_b64 s[12:13], s[0:1]
	s_cbranch_execz .LBB108_22
; %bb.21:
	scratch_load_dwordx2 v[6:7], off, off offset:8
	v_mov_b32_e32 v3, 0
	ds_read_b64 v[8:9], v3 offset:376
	s_waitcnt vmcnt(0) lgkmcnt(0)
	v_pk_mul_f32 v[10:11], v[8:9], v[6:7] op_sel:[1,1] op_sel_hi:[0,1]
	v_pk_fma_f32 v[12:13], v[8:9], v[6:7], v[10:11] neg_lo:[0,0,1] neg_hi:[0,0,1]
	v_pk_fma_f32 v[6:7], v[8:9], v[6:7], v[10:11] op_sel_hi:[1,0,1]
	s_nop 0
	v_mov_b32_e32 v13, v7
	v_pk_add_f32 v[4:5], v[4:5], v[12:13]
.LBB108_22:
	s_or_b64 exec, exec, s[12:13]
	v_mov_b32_e32 v3, 0
	ds_read_b64 v[6:7], v3 offset:16
	s_waitcnt lgkmcnt(0)
	v_pk_mul_f32 v[8:9], v[4:5], v[6:7] op_sel:[1,1] op_sel_hi:[0,1]
	v_pk_fma_f32 v[10:11], v[4:5], v[6:7], v[8:9] neg_lo:[0,0,1] neg_hi:[0,0,1]
	v_pk_fma_f32 v[4:5], v[4:5], v[6:7], v[8:9] op_sel_hi:[1,0,1]
	s_nop 0
	v_mov_b32_e32 v11, v5
	scratch_store_dwordx2 off, v[10:11], off offset:16
.LBB108_23:
	s_or_b64 exec, exec, s[4:5]
	; wave barrier
	scratch_load_dwordx2 v[4:5], off, off offset:24
	v_cmp_gt_u32_e32 vcc, 3, v0
	v_add_u32_e32 v6, -1, v0
	s_waitcnt vmcnt(0)
	ds_write_b64 v1, v[4:5]
	s_waitcnt lgkmcnt(0)
	; wave barrier
	s_and_saveexec_b64 s[0:1], vcc
	s_cbranch_execz .LBB108_27
; %bb.24:
	v_mov_b32_e32 v4, 0
	v_add_u32_e32 v3, -1, v0
	v_add_u32_e32 v7, 0x170, v2
	v_mov_b32_e32 v8, v2
	s_mov_b64 s[4:5], 0
	v_mov_b32_e32 v5, v4
.LBB108_25:                             ; =>This Inner Loop Header: Depth=1
	scratch_load_dwordx2 v[10:11], v8, off
	ds_read_b64 v[12:13], v7
	v_add_u32_e32 v3, 1, v3
	v_cmp_lt_u32_e32 vcc, 1, v3
	v_add_u32_e32 v7, 8, v7
	v_add_u32_e32 v8, 8, v8
	s_or_b64 s[4:5], vcc, s[4:5]
	s_waitcnt vmcnt(0) lgkmcnt(0)
	v_pk_mul_f32 v[14:15], v[12:13], v[10:11] op_sel:[1,1] op_sel_hi:[0,1]
	v_pk_fma_f32 v[16:17], v[12:13], v[10:11], v[14:15] neg_lo:[0,0,1] neg_hi:[0,0,1]
	v_pk_fma_f32 v[10:11], v[12:13], v[10:11], v[14:15] op_sel_hi:[1,0,1]
	s_nop 0
	v_mov_b32_e32 v17, v11
	v_pk_add_f32 v[4:5], v[4:5], v[16:17]
	s_andn2_b64 exec, exec, s[4:5]
	s_cbranch_execnz .LBB108_25
; %bb.26:
	s_or_b64 exec, exec, s[4:5]
	v_mov_b32_e32 v3, 0
	ds_read_b64 v[8:9], v3 offset:24
	s_waitcnt lgkmcnt(0)
	v_pk_mul_f32 v[10:11], v[4:5], v[8:9] op_sel:[1,1] op_sel_hi:[0,1]
	v_pk_fma_f32 v[12:13], v[4:5], v[8:9], v[10:11] neg_lo:[0,0,1] neg_hi:[0,0,1]
	v_pk_fma_f32 v[4:5], v[4:5], v[8:9], v[10:11] op_sel_hi:[1,0,1]
	s_nop 0
	v_mov_b32_e32 v13, v5
	scratch_store_dwordx2 off, v[12:13], off offset:24
.LBB108_27:
	s_or_b64 exec, exec, s[0:1]
	; wave barrier
	scratch_load_dwordx2 v[4:5], off, off offset:32
	v_cmp_gt_u32_e32 vcc, 4, v0
	s_waitcnt vmcnt(0)
	ds_write_b64 v1, v[4:5]
	s_waitcnt lgkmcnt(0)
	; wave barrier
	s_and_saveexec_b64 s[0:1], vcc
	s_cbranch_execz .LBB108_31
; %bb.28:
	v_mov_b32_e32 v4, 0
	v_add_u32_e32 v3, -1, v0
	v_add_u32_e32 v7, 0x170, v2
	v_mov_b32_e32 v8, v2
	s_mov_b64 s[4:5], 0
	v_mov_b32_e32 v5, v4
.LBB108_29:                             ; =>This Inner Loop Header: Depth=1
	scratch_load_dwordx2 v[10:11], v8, off
	ds_read_b64 v[12:13], v7
	v_add_u32_e32 v3, 1, v3
	v_cmp_lt_u32_e32 vcc, 2, v3
	v_add_u32_e32 v7, 8, v7
	v_add_u32_e32 v8, 8, v8
	s_or_b64 s[4:5], vcc, s[4:5]
	s_waitcnt vmcnt(0) lgkmcnt(0)
	v_pk_mul_f32 v[14:15], v[12:13], v[10:11] op_sel:[1,1] op_sel_hi:[0,1]
	v_pk_fma_f32 v[16:17], v[12:13], v[10:11], v[14:15] neg_lo:[0,0,1] neg_hi:[0,0,1]
	v_pk_fma_f32 v[10:11], v[12:13], v[10:11], v[14:15] op_sel_hi:[1,0,1]
	s_nop 0
	v_mov_b32_e32 v17, v11
	v_pk_add_f32 v[4:5], v[4:5], v[16:17]
	s_andn2_b64 exec, exec, s[4:5]
	s_cbranch_execnz .LBB108_29
; %bb.30:
	s_or_b64 exec, exec, s[4:5]
	v_mov_b32_e32 v3, 0
	ds_read_b64 v[8:9], v3 offset:32
	s_waitcnt lgkmcnt(0)
	v_pk_mul_f32 v[10:11], v[4:5], v[8:9] op_sel:[1,1] op_sel_hi:[0,1]
	v_pk_fma_f32 v[12:13], v[4:5], v[8:9], v[10:11] neg_lo:[0,0,1] neg_hi:[0,0,1]
	v_pk_fma_f32 v[4:5], v[4:5], v[8:9], v[10:11] op_sel_hi:[1,0,1]
	s_nop 0
	v_mov_b32_e32 v13, v5
	scratch_store_dwordx2 off, v[12:13], off offset:32
.LBB108_31:
	s_or_b64 exec, exec, s[0:1]
	; wave barrier
	scratch_load_dwordx2 v[4:5], off, off offset:40
	v_cmp_gt_u32_e32 vcc, 5, v0
	;; [unrolled: 46-line block ×19, first 2 shown]
	s_waitcnt vmcnt(0)
	ds_write_b64 v1, v[4:5]
	s_waitcnt lgkmcnt(0)
	; wave barrier
	s_and_saveexec_b64 s[0:1], vcc
	s_cbranch_execz .LBB108_103
; %bb.100:
	v_mov_b32_e32 v4, 0
	v_add_u32_e32 v3, -1, v0
	v_add_u32_e32 v7, 0x170, v2
	v_mov_b32_e32 v8, v2
	s_mov_b64 s[4:5], 0
	v_mov_b32_e32 v5, v4
.LBB108_101:                            ; =>This Inner Loop Header: Depth=1
	scratch_load_dwordx2 v[10:11], v8, off
	ds_read_b64 v[12:13], v7
	v_add_u32_e32 v3, 1, v3
	v_cmp_lt_u32_e32 vcc, 20, v3
	v_add_u32_e32 v7, 8, v7
	v_add_u32_e32 v8, 8, v8
	s_or_b64 s[4:5], vcc, s[4:5]
	s_waitcnt vmcnt(0) lgkmcnt(0)
	v_pk_mul_f32 v[14:15], v[12:13], v[10:11] op_sel:[1,1] op_sel_hi:[0,1]
	v_pk_fma_f32 v[16:17], v[12:13], v[10:11], v[14:15] neg_lo:[0,0,1] neg_hi:[0,0,1]
	v_pk_fma_f32 v[10:11], v[12:13], v[10:11], v[14:15] op_sel_hi:[1,0,1]
	s_nop 0
	v_mov_b32_e32 v17, v11
	v_pk_add_f32 v[4:5], v[4:5], v[16:17]
	s_andn2_b64 exec, exec, s[4:5]
	s_cbranch_execnz .LBB108_101
; %bb.102:
	s_or_b64 exec, exec, s[4:5]
	v_mov_b32_e32 v3, 0
	ds_read_b64 v[8:9], v3 offset:176
	s_waitcnt lgkmcnt(0)
	v_pk_mul_f32 v[10:11], v[4:5], v[8:9] op_sel:[1,1] op_sel_hi:[0,1]
	v_pk_fma_f32 v[12:13], v[4:5], v[8:9], v[10:11] neg_lo:[0,0,1] neg_hi:[0,0,1]
	v_pk_fma_f32 v[4:5], v[4:5], v[8:9], v[10:11] op_sel_hi:[1,0,1]
	s_nop 0
	v_mov_b32_e32 v13, v5
	scratch_store_dwordx2 off, v[12:13], off offset:176
.LBB108_103:
	s_or_b64 exec, exec, s[0:1]
	; wave barrier
	scratch_load_dwordx2 v[4:5], off, off offset:184
	v_cmp_gt_u32_e32 vcc, 23, v0
	s_waitcnt vmcnt(0)
	ds_write_b64 v1, v[4:5]
	s_waitcnt lgkmcnt(0)
	; wave barrier
	s_and_saveexec_b64 s[0:1], vcc
	s_cbranch_execz .LBB108_107
; %bb.104:
	v_mov_b32_e32 v4, 0
	v_add_u32_e32 v3, -1, v0
	v_add_u32_e32 v7, 0x170, v2
	v_mov_b32_e32 v8, v2
	s_mov_b64 s[4:5], 0
	v_mov_b32_e32 v5, v4
.LBB108_105:                            ; =>This Inner Loop Header: Depth=1
	scratch_load_dwordx2 v[10:11], v8, off
	ds_read_b64 v[12:13], v7
	v_add_u32_e32 v3, 1, v3
	v_cmp_lt_u32_e32 vcc, 21, v3
	v_add_u32_e32 v7, 8, v7
	v_add_u32_e32 v8, 8, v8
	s_or_b64 s[4:5], vcc, s[4:5]
	s_waitcnt vmcnt(0) lgkmcnt(0)
	v_pk_mul_f32 v[14:15], v[12:13], v[10:11] op_sel:[1,1] op_sel_hi:[0,1]
	v_pk_fma_f32 v[16:17], v[12:13], v[10:11], v[14:15] neg_lo:[0,0,1] neg_hi:[0,0,1]
	v_pk_fma_f32 v[10:11], v[12:13], v[10:11], v[14:15] op_sel_hi:[1,0,1]
	s_nop 0
	v_mov_b32_e32 v17, v11
	v_pk_add_f32 v[4:5], v[4:5], v[16:17]
	s_andn2_b64 exec, exec, s[4:5]
	s_cbranch_execnz .LBB108_105
; %bb.106:
	s_or_b64 exec, exec, s[4:5]
	v_mov_b32_e32 v3, 0
	ds_read_b64 v[8:9], v3 offset:184
	s_waitcnt lgkmcnt(0)
	v_pk_mul_f32 v[10:11], v[4:5], v[8:9] op_sel:[1,1] op_sel_hi:[0,1]
	v_pk_fma_f32 v[12:13], v[4:5], v[8:9], v[10:11] neg_lo:[0,0,1] neg_hi:[0,0,1]
	v_pk_fma_f32 v[4:5], v[4:5], v[8:9], v[10:11] op_sel_hi:[1,0,1]
	s_nop 0
	v_mov_b32_e32 v13, v5
	scratch_store_dwordx2 off, v[12:13], off offset:184
.LBB108_107:
	s_or_b64 exec, exec, s[0:1]
	; wave barrier
	scratch_load_dwordx2 v[4:5], off, off offset:192
	v_cmp_gt_u32_e32 vcc, 24, v0
	s_waitcnt vmcnt(0)
	ds_write_b64 v1, v[4:5]
	s_waitcnt lgkmcnt(0)
	; wave barrier
	s_and_saveexec_b64 s[0:1], vcc
	s_cbranch_execz .LBB108_111
; %bb.108:
	v_mov_b32_e32 v4, 0
	v_add_u32_e32 v3, -1, v0
	v_add_u32_e32 v7, 0x170, v2
	v_mov_b32_e32 v8, v2
	s_mov_b64 s[4:5], 0
	v_mov_b32_e32 v5, v4
.LBB108_109:                            ; =>This Inner Loop Header: Depth=1
	scratch_load_dwordx2 v[10:11], v8, off
	ds_read_b64 v[12:13], v7
	v_add_u32_e32 v3, 1, v3
	v_cmp_lt_u32_e32 vcc, 22, v3
	v_add_u32_e32 v7, 8, v7
	v_add_u32_e32 v8, 8, v8
	s_or_b64 s[4:5], vcc, s[4:5]
	s_waitcnt vmcnt(0) lgkmcnt(0)
	v_pk_mul_f32 v[14:15], v[12:13], v[10:11] op_sel:[1,1] op_sel_hi:[0,1]
	v_pk_fma_f32 v[16:17], v[12:13], v[10:11], v[14:15] neg_lo:[0,0,1] neg_hi:[0,0,1]
	v_pk_fma_f32 v[10:11], v[12:13], v[10:11], v[14:15] op_sel_hi:[1,0,1]
	s_nop 0
	v_mov_b32_e32 v17, v11
	v_pk_add_f32 v[4:5], v[4:5], v[16:17]
	s_andn2_b64 exec, exec, s[4:5]
	s_cbranch_execnz .LBB108_109
; %bb.110:
	s_or_b64 exec, exec, s[4:5]
	v_mov_b32_e32 v3, 0
	ds_read_b64 v[8:9], v3 offset:192
	s_waitcnt lgkmcnt(0)
	v_pk_mul_f32 v[10:11], v[4:5], v[8:9] op_sel:[1,1] op_sel_hi:[0,1]
	v_pk_fma_f32 v[12:13], v[4:5], v[8:9], v[10:11] neg_lo:[0,0,1] neg_hi:[0,0,1]
	v_pk_fma_f32 v[4:5], v[4:5], v[8:9], v[10:11] op_sel_hi:[1,0,1]
	s_nop 0
	v_mov_b32_e32 v13, v5
	scratch_store_dwordx2 off, v[12:13], off offset:192
.LBB108_111:
	s_or_b64 exec, exec, s[0:1]
	; wave barrier
	scratch_load_dwordx2 v[4:5], off, off offset:200
	v_cmp_gt_u32_e32 vcc, 25, v0
	s_waitcnt vmcnt(0)
	ds_write_b64 v1, v[4:5]
	s_waitcnt lgkmcnt(0)
	; wave barrier
	s_and_saveexec_b64 s[0:1], vcc
	s_cbranch_execz .LBB108_115
; %bb.112:
	v_mov_b32_e32 v4, 0
	v_add_u32_e32 v3, -1, v0
	v_add_u32_e32 v7, 0x170, v2
	v_mov_b32_e32 v8, v2
	s_mov_b64 s[4:5], 0
	v_mov_b32_e32 v5, v4
.LBB108_113:                            ; =>This Inner Loop Header: Depth=1
	scratch_load_dwordx2 v[10:11], v8, off
	ds_read_b64 v[12:13], v7
	v_add_u32_e32 v3, 1, v3
	v_cmp_lt_u32_e32 vcc, 23, v3
	v_add_u32_e32 v7, 8, v7
	v_add_u32_e32 v8, 8, v8
	s_or_b64 s[4:5], vcc, s[4:5]
	s_waitcnt vmcnt(0) lgkmcnt(0)
	v_pk_mul_f32 v[14:15], v[12:13], v[10:11] op_sel:[1,1] op_sel_hi:[0,1]
	v_pk_fma_f32 v[16:17], v[12:13], v[10:11], v[14:15] neg_lo:[0,0,1] neg_hi:[0,0,1]
	v_pk_fma_f32 v[10:11], v[12:13], v[10:11], v[14:15] op_sel_hi:[1,0,1]
	s_nop 0
	v_mov_b32_e32 v17, v11
	v_pk_add_f32 v[4:5], v[4:5], v[16:17]
	s_andn2_b64 exec, exec, s[4:5]
	s_cbranch_execnz .LBB108_113
; %bb.114:
	s_or_b64 exec, exec, s[4:5]
	v_mov_b32_e32 v3, 0
	ds_read_b64 v[8:9], v3 offset:200
	s_waitcnt lgkmcnt(0)
	v_pk_mul_f32 v[10:11], v[4:5], v[8:9] op_sel:[1,1] op_sel_hi:[0,1]
	v_pk_fma_f32 v[12:13], v[4:5], v[8:9], v[10:11] neg_lo:[0,0,1] neg_hi:[0,0,1]
	v_pk_fma_f32 v[4:5], v[4:5], v[8:9], v[10:11] op_sel_hi:[1,0,1]
	s_nop 0
	v_mov_b32_e32 v13, v5
	scratch_store_dwordx2 off, v[12:13], off offset:200
.LBB108_115:
	s_or_b64 exec, exec, s[0:1]
	; wave barrier
	scratch_load_dwordx2 v[4:5], off, off offset:208
	v_cmp_gt_u32_e32 vcc, 26, v0
	s_waitcnt vmcnt(0)
	ds_write_b64 v1, v[4:5]
	s_waitcnt lgkmcnt(0)
	; wave barrier
	s_and_saveexec_b64 s[0:1], vcc
	s_cbranch_execz .LBB108_119
; %bb.116:
	v_mov_b32_e32 v4, 0
	v_add_u32_e32 v3, -1, v0
	v_add_u32_e32 v7, 0x170, v2
	v_mov_b32_e32 v8, v2
	s_mov_b64 s[4:5], 0
	v_mov_b32_e32 v5, v4
.LBB108_117:                            ; =>This Inner Loop Header: Depth=1
	scratch_load_dwordx2 v[10:11], v8, off
	ds_read_b64 v[12:13], v7
	v_add_u32_e32 v3, 1, v3
	v_cmp_lt_u32_e32 vcc, 24, v3
	v_add_u32_e32 v7, 8, v7
	v_add_u32_e32 v8, 8, v8
	s_or_b64 s[4:5], vcc, s[4:5]
	s_waitcnt vmcnt(0) lgkmcnt(0)
	v_pk_mul_f32 v[14:15], v[12:13], v[10:11] op_sel:[1,1] op_sel_hi:[0,1]
	v_pk_fma_f32 v[16:17], v[12:13], v[10:11], v[14:15] neg_lo:[0,0,1] neg_hi:[0,0,1]
	v_pk_fma_f32 v[10:11], v[12:13], v[10:11], v[14:15] op_sel_hi:[1,0,1]
	s_nop 0
	v_mov_b32_e32 v17, v11
	v_pk_add_f32 v[4:5], v[4:5], v[16:17]
	s_andn2_b64 exec, exec, s[4:5]
	s_cbranch_execnz .LBB108_117
; %bb.118:
	s_or_b64 exec, exec, s[4:5]
	v_mov_b32_e32 v3, 0
	ds_read_b64 v[8:9], v3 offset:208
	s_waitcnt lgkmcnt(0)
	v_pk_mul_f32 v[10:11], v[4:5], v[8:9] op_sel:[1,1] op_sel_hi:[0,1]
	v_pk_fma_f32 v[12:13], v[4:5], v[8:9], v[10:11] neg_lo:[0,0,1] neg_hi:[0,0,1]
	v_pk_fma_f32 v[4:5], v[4:5], v[8:9], v[10:11] op_sel_hi:[1,0,1]
	s_nop 0
	v_mov_b32_e32 v13, v5
	scratch_store_dwordx2 off, v[12:13], off offset:208
.LBB108_119:
	s_or_b64 exec, exec, s[0:1]
	; wave barrier
	scratch_load_dwordx2 v[4:5], off, off offset:216
	v_cmp_gt_u32_e32 vcc, 27, v0
	s_waitcnt vmcnt(0)
	ds_write_b64 v1, v[4:5]
	s_waitcnt lgkmcnt(0)
	; wave barrier
	s_and_saveexec_b64 s[0:1], vcc
	s_cbranch_execz .LBB108_123
; %bb.120:
	v_mov_b32_e32 v4, 0
	v_add_u32_e32 v3, -1, v0
	v_add_u32_e32 v7, 0x170, v2
	v_mov_b32_e32 v8, v2
	s_mov_b64 s[4:5], 0
	v_mov_b32_e32 v5, v4
.LBB108_121:                            ; =>This Inner Loop Header: Depth=1
	scratch_load_dwordx2 v[10:11], v8, off
	ds_read_b64 v[12:13], v7
	v_add_u32_e32 v3, 1, v3
	v_cmp_lt_u32_e32 vcc, 25, v3
	v_add_u32_e32 v7, 8, v7
	v_add_u32_e32 v8, 8, v8
	s_or_b64 s[4:5], vcc, s[4:5]
	s_waitcnt vmcnt(0) lgkmcnt(0)
	v_pk_mul_f32 v[14:15], v[12:13], v[10:11] op_sel:[1,1] op_sel_hi:[0,1]
	v_pk_fma_f32 v[16:17], v[12:13], v[10:11], v[14:15] neg_lo:[0,0,1] neg_hi:[0,0,1]
	v_pk_fma_f32 v[10:11], v[12:13], v[10:11], v[14:15] op_sel_hi:[1,0,1]
	s_nop 0
	v_mov_b32_e32 v17, v11
	v_pk_add_f32 v[4:5], v[4:5], v[16:17]
	s_andn2_b64 exec, exec, s[4:5]
	s_cbranch_execnz .LBB108_121
; %bb.122:
	s_or_b64 exec, exec, s[4:5]
	v_mov_b32_e32 v3, 0
	ds_read_b64 v[8:9], v3 offset:216
	s_waitcnt lgkmcnt(0)
	v_pk_mul_f32 v[10:11], v[4:5], v[8:9] op_sel:[1,1] op_sel_hi:[0,1]
	v_pk_fma_f32 v[12:13], v[4:5], v[8:9], v[10:11] neg_lo:[0,0,1] neg_hi:[0,0,1]
	v_pk_fma_f32 v[4:5], v[4:5], v[8:9], v[10:11] op_sel_hi:[1,0,1]
	s_nop 0
	v_mov_b32_e32 v13, v5
	scratch_store_dwordx2 off, v[12:13], off offset:216
.LBB108_123:
	s_or_b64 exec, exec, s[0:1]
	; wave barrier
	scratch_load_dwordx2 v[4:5], off, off offset:224
	v_cmp_gt_u32_e32 vcc, 28, v0
	s_waitcnt vmcnt(0)
	ds_write_b64 v1, v[4:5]
	s_waitcnt lgkmcnt(0)
	; wave barrier
	s_and_saveexec_b64 s[0:1], vcc
	s_cbranch_execz .LBB108_127
; %bb.124:
	v_mov_b32_e32 v4, 0
	v_add_u32_e32 v3, -1, v0
	v_add_u32_e32 v7, 0x170, v2
	v_mov_b32_e32 v8, v2
	s_mov_b64 s[4:5], 0
	v_mov_b32_e32 v5, v4
.LBB108_125:                            ; =>This Inner Loop Header: Depth=1
	scratch_load_dwordx2 v[10:11], v8, off
	ds_read_b64 v[12:13], v7
	v_add_u32_e32 v3, 1, v3
	v_cmp_lt_u32_e32 vcc, 26, v3
	v_add_u32_e32 v7, 8, v7
	v_add_u32_e32 v8, 8, v8
	s_or_b64 s[4:5], vcc, s[4:5]
	s_waitcnt vmcnt(0) lgkmcnt(0)
	v_pk_mul_f32 v[14:15], v[12:13], v[10:11] op_sel:[1,1] op_sel_hi:[0,1]
	v_pk_fma_f32 v[16:17], v[12:13], v[10:11], v[14:15] neg_lo:[0,0,1] neg_hi:[0,0,1]
	v_pk_fma_f32 v[10:11], v[12:13], v[10:11], v[14:15] op_sel_hi:[1,0,1]
	s_nop 0
	v_mov_b32_e32 v17, v11
	v_pk_add_f32 v[4:5], v[4:5], v[16:17]
	s_andn2_b64 exec, exec, s[4:5]
	s_cbranch_execnz .LBB108_125
; %bb.126:
	s_or_b64 exec, exec, s[4:5]
	v_mov_b32_e32 v3, 0
	ds_read_b64 v[8:9], v3 offset:224
	s_waitcnt lgkmcnt(0)
	v_pk_mul_f32 v[10:11], v[4:5], v[8:9] op_sel:[1,1] op_sel_hi:[0,1]
	v_pk_fma_f32 v[12:13], v[4:5], v[8:9], v[10:11] neg_lo:[0,0,1] neg_hi:[0,0,1]
	v_pk_fma_f32 v[4:5], v[4:5], v[8:9], v[10:11] op_sel_hi:[1,0,1]
	s_nop 0
	v_mov_b32_e32 v13, v5
	scratch_store_dwordx2 off, v[12:13], off offset:224
.LBB108_127:
	s_or_b64 exec, exec, s[0:1]
	; wave barrier
	scratch_load_dwordx2 v[4:5], off, off offset:232
	v_cmp_gt_u32_e32 vcc, 29, v0
	s_waitcnt vmcnt(0)
	ds_write_b64 v1, v[4:5]
	s_waitcnt lgkmcnt(0)
	; wave barrier
	s_and_saveexec_b64 s[0:1], vcc
	s_cbranch_execz .LBB108_131
; %bb.128:
	v_mov_b32_e32 v4, 0
	v_add_u32_e32 v3, -1, v0
	v_add_u32_e32 v7, 0x170, v2
	v_mov_b32_e32 v8, v2
	s_mov_b64 s[4:5], 0
	v_mov_b32_e32 v5, v4
.LBB108_129:                            ; =>This Inner Loop Header: Depth=1
	scratch_load_dwordx2 v[10:11], v8, off
	ds_read_b64 v[12:13], v7
	v_add_u32_e32 v3, 1, v3
	v_cmp_lt_u32_e32 vcc, 27, v3
	v_add_u32_e32 v7, 8, v7
	v_add_u32_e32 v8, 8, v8
	s_or_b64 s[4:5], vcc, s[4:5]
	s_waitcnt vmcnt(0) lgkmcnt(0)
	v_pk_mul_f32 v[14:15], v[12:13], v[10:11] op_sel:[1,1] op_sel_hi:[0,1]
	v_pk_fma_f32 v[16:17], v[12:13], v[10:11], v[14:15] neg_lo:[0,0,1] neg_hi:[0,0,1]
	v_pk_fma_f32 v[10:11], v[12:13], v[10:11], v[14:15] op_sel_hi:[1,0,1]
	s_nop 0
	v_mov_b32_e32 v17, v11
	v_pk_add_f32 v[4:5], v[4:5], v[16:17]
	s_andn2_b64 exec, exec, s[4:5]
	s_cbranch_execnz .LBB108_129
; %bb.130:
	s_or_b64 exec, exec, s[4:5]
	v_mov_b32_e32 v3, 0
	ds_read_b64 v[8:9], v3 offset:232
	s_waitcnt lgkmcnt(0)
	v_pk_mul_f32 v[10:11], v[4:5], v[8:9] op_sel:[1,1] op_sel_hi:[0,1]
	v_pk_fma_f32 v[12:13], v[4:5], v[8:9], v[10:11] neg_lo:[0,0,1] neg_hi:[0,0,1]
	v_pk_fma_f32 v[4:5], v[4:5], v[8:9], v[10:11] op_sel_hi:[1,0,1]
	s_nop 0
	v_mov_b32_e32 v13, v5
	scratch_store_dwordx2 off, v[12:13], off offset:232
.LBB108_131:
	s_or_b64 exec, exec, s[0:1]
	; wave barrier
	scratch_load_dwordx2 v[4:5], off, off offset:240
	v_cmp_gt_u32_e32 vcc, 30, v0
	s_waitcnt vmcnt(0)
	ds_write_b64 v1, v[4:5]
	s_waitcnt lgkmcnt(0)
	; wave barrier
	s_and_saveexec_b64 s[0:1], vcc
	s_cbranch_execz .LBB108_135
; %bb.132:
	v_mov_b32_e32 v4, 0
	v_add_u32_e32 v3, -1, v0
	v_add_u32_e32 v7, 0x170, v2
	v_mov_b32_e32 v8, v2
	s_mov_b64 s[4:5], 0
	v_mov_b32_e32 v5, v4
.LBB108_133:                            ; =>This Inner Loop Header: Depth=1
	scratch_load_dwordx2 v[10:11], v8, off
	ds_read_b64 v[12:13], v7
	v_add_u32_e32 v3, 1, v3
	v_cmp_lt_u32_e32 vcc, 28, v3
	v_add_u32_e32 v7, 8, v7
	v_add_u32_e32 v8, 8, v8
	s_or_b64 s[4:5], vcc, s[4:5]
	s_waitcnt vmcnt(0) lgkmcnt(0)
	v_pk_mul_f32 v[14:15], v[12:13], v[10:11] op_sel:[1,1] op_sel_hi:[0,1]
	v_pk_fma_f32 v[16:17], v[12:13], v[10:11], v[14:15] neg_lo:[0,0,1] neg_hi:[0,0,1]
	v_pk_fma_f32 v[10:11], v[12:13], v[10:11], v[14:15] op_sel_hi:[1,0,1]
	s_nop 0
	v_mov_b32_e32 v17, v11
	v_pk_add_f32 v[4:5], v[4:5], v[16:17]
	s_andn2_b64 exec, exec, s[4:5]
	s_cbranch_execnz .LBB108_133
; %bb.134:
	s_or_b64 exec, exec, s[4:5]
	v_mov_b32_e32 v3, 0
	ds_read_b64 v[8:9], v3 offset:240
	s_waitcnt lgkmcnt(0)
	v_pk_mul_f32 v[10:11], v[4:5], v[8:9] op_sel:[1,1] op_sel_hi:[0,1]
	v_pk_fma_f32 v[12:13], v[4:5], v[8:9], v[10:11] neg_lo:[0,0,1] neg_hi:[0,0,1]
	v_pk_fma_f32 v[4:5], v[4:5], v[8:9], v[10:11] op_sel_hi:[1,0,1]
	s_nop 0
	v_mov_b32_e32 v13, v5
	scratch_store_dwordx2 off, v[12:13], off offset:240
.LBB108_135:
	s_or_b64 exec, exec, s[0:1]
	; wave barrier
	scratch_load_dwordx2 v[4:5], off, off offset:248
	v_cmp_gt_u32_e32 vcc, 31, v0
	s_waitcnt vmcnt(0)
	ds_write_b64 v1, v[4:5]
	s_waitcnt lgkmcnt(0)
	; wave barrier
	s_and_saveexec_b64 s[0:1], vcc
	s_cbranch_execz .LBB108_139
; %bb.136:
	v_mov_b32_e32 v4, 0
	v_add_u32_e32 v3, -1, v0
	v_add_u32_e32 v7, 0x170, v2
	v_mov_b32_e32 v8, v2
	s_mov_b64 s[4:5], 0
	v_mov_b32_e32 v5, v4
.LBB108_137:                            ; =>This Inner Loop Header: Depth=1
	scratch_load_dwordx2 v[10:11], v8, off
	ds_read_b64 v[12:13], v7
	v_add_u32_e32 v3, 1, v3
	v_cmp_lt_u32_e32 vcc, 29, v3
	v_add_u32_e32 v7, 8, v7
	v_add_u32_e32 v8, 8, v8
	s_or_b64 s[4:5], vcc, s[4:5]
	s_waitcnt vmcnt(0) lgkmcnt(0)
	v_pk_mul_f32 v[14:15], v[12:13], v[10:11] op_sel:[1,1] op_sel_hi:[0,1]
	v_pk_fma_f32 v[16:17], v[12:13], v[10:11], v[14:15] neg_lo:[0,0,1] neg_hi:[0,0,1]
	v_pk_fma_f32 v[10:11], v[12:13], v[10:11], v[14:15] op_sel_hi:[1,0,1]
	s_nop 0
	v_mov_b32_e32 v17, v11
	v_pk_add_f32 v[4:5], v[4:5], v[16:17]
	s_andn2_b64 exec, exec, s[4:5]
	s_cbranch_execnz .LBB108_137
; %bb.138:
	s_or_b64 exec, exec, s[4:5]
	v_mov_b32_e32 v3, 0
	ds_read_b64 v[8:9], v3 offset:248
	s_waitcnt lgkmcnt(0)
	v_pk_mul_f32 v[10:11], v[4:5], v[8:9] op_sel:[1,1] op_sel_hi:[0,1]
	v_pk_fma_f32 v[12:13], v[4:5], v[8:9], v[10:11] neg_lo:[0,0,1] neg_hi:[0,0,1]
	v_pk_fma_f32 v[4:5], v[4:5], v[8:9], v[10:11] op_sel_hi:[1,0,1]
	s_nop 0
	v_mov_b32_e32 v13, v5
	scratch_store_dwordx2 off, v[12:13], off offset:248
.LBB108_139:
	s_or_b64 exec, exec, s[0:1]
	; wave barrier
	scratch_load_dwordx2 v[4:5], off, off offset:256
	v_cmp_gt_u32_e32 vcc, 32, v0
	s_waitcnt vmcnt(0)
	ds_write_b64 v1, v[4:5]
	s_waitcnt lgkmcnt(0)
	; wave barrier
	s_and_saveexec_b64 s[0:1], vcc
	s_cbranch_execz .LBB108_143
; %bb.140:
	v_mov_b32_e32 v4, 0
	v_add_u32_e32 v3, -1, v0
	v_add_u32_e32 v7, 0x170, v2
	v_mov_b32_e32 v8, v2
	s_mov_b64 s[4:5], 0
	v_mov_b32_e32 v5, v4
.LBB108_141:                            ; =>This Inner Loop Header: Depth=1
	scratch_load_dwordx2 v[10:11], v8, off
	ds_read_b64 v[12:13], v7
	v_add_u32_e32 v3, 1, v3
	v_cmp_lt_u32_e32 vcc, 30, v3
	v_add_u32_e32 v7, 8, v7
	v_add_u32_e32 v8, 8, v8
	s_or_b64 s[4:5], vcc, s[4:5]
	s_waitcnt vmcnt(0) lgkmcnt(0)
	v_pk_mul_f32 v[14:15], v[12:13], v[10:11] op_sel:[1,1] op_sel_hi:[0,1]
	v_pk_fma_f32 v[16:17], v[12:13], v[10:11], v[14:15] neg_lo:[0,0,1] neg_hi:[0,0,1]
	v_pk_fma_f32 v[10:11], v[12:13], v[10:11], v[14:15] op_sel_hi:[1,0,1]
	s_nop 0
	v_mov_b32_e32 v17, v11
	v_pk_add_f32 v[4:5], v[4:5], v[16:17]
	s_andn2_b64 exec, exec, s[4:5]
	s_cbranch_execnz .LBB108_141
; %bb.142:
	s_or_b64 exec, exec, s[4:5]
	v_mov_b32_e32 v3, 0
	ds_read_b64 v[8:9], v3 offset:256
	s_waitcnt lgkmcnt(0)
	v_pk_mul_f32 v[10:11], v[4:5], v[8:9] op_sel:[1,1] op_sel_hi:[0,1]
	v_pk_fma_f32 v[12:13], v[4:5], v[8:9], v[10:11] neg_lo:[0,0,1] neg_hi:[0,0,1]
	v_pk_fma_f32 v[4:5], v[4:5], v[8:9], v[10:11] op_sel_hi:[1,0,1]
	s_nop 0
	v_mov_b32_e32 v13, v5
	scratch_store_dwordx2 off, v[12:13], off offset:256
.LBB108_143:
	s_or_b64 exec, exec, s[0:1]
	; wave barrier
	scratch_load_dwordx2 v[4:5], off, off offset:264
	v_cmp_gt_u32_e32 vcc, 33, v0
	s_waitcnt vmcnt(0)
	ds_write_b64 v1, v[4:5]
	s_waitcnt lgkmcnt(0)
	; wave barrier
	s_and_saveexec_b64 s[0:1], vcc
	s_cbranch_execz .LBB108_147
; %bb.144:
	v_mov_b32_e32 v4, 0
	v_add_u32_e32 v3, -1, v0
	v_add_u32_e32 v7, 0x170, v2
	v_mov_b32_e32 v8, v2
	s_mov_b64 s[4:5], 0
	v_mov_b32_e32 v5, v4
.LBB108_145:                            ; =>This Inner Loop Header: Depth=1
	scratch_load_dwordx2 v[10:11], v8, off
	ds_read_b64 v[12:13], v7
	v_add_u32_e32 v3, 1, v3
	v_cmp_lt_u32_e32 vcc, 31, v3
	v_add_u32_e32 v7, 8, v7
	v_add_u32_e32 v8, 8, v8
	s_or_b64 s[4:5], vcc, s[4:5]
	s_waitcnt vmcnt(0) lgkmcnt(0)
	v_pk_mul_f32 v[14:15], v[12:13], v[10:11] op_sel:[1,1] op_sel_hi:[0,1]
	v_pk_fma_f32 v[16:17], v[12:13], v[10:11], v[14:15] neg_lo:[0,0,1] neg_hi:[0,0,1]
	v_pk_fma_f32 v[10:11], v[12:13], v[10:11], v[14:15] op_sel_hi:[1,0,1]
	s_nop 0
	v_mov_b32_e32 v17, v11
	v_pk_add_f32 v[4:5], v[4:5], v[16:17]
	s_andn2_b64 exec, exec, s[4:5]
	s_cbranch_execnz .LBB108_145
; %bb.146:
	s_or_b64 exec, exec, s[4:5]
	v_mov_b32_e32 v3, 0
	ds_read_b64 v[8:9], v3 offset:264
	s_waitcnt lgkmcnt(0)
	v_pk_mul_f32 v[10:11], v[4:5], v[8:9] op_sel:[1,1] op_sel_hi:[0,1]
	v_pk_fma_f32 v[12:13], v[4:5], v[8:9], v[10:11] neg_lo:[0,0,1] neg_hi:[0,0,1]
	v_pk_fma_f32 v[4:5], v[4:5], v[8:9], v[10:11] op_sel_hi:[1,0,1]
	s_nop 0
	v_mov_b32_e32 v13, v5
	scratch_store_dwordx2 off, v[12:13], off offset:264
.LBB108_147:
	s_or_b64 exec, exec, s[0:1]
	; wave barrier
	scratch_load_dwordx2 v[4:5], off, off offset:272
	v_cmp_gt_u32_e32 vcc, 34, v0
	s_waitcnt vmcnt(0)
	ds_write_b64 v1, v[4:5]
	s_waitcnt lgkmcnt(0)
	; wave barrier
	s_and_saveexec_b64 s[0:1], vcc
	s_cbranch_execz .LBB108_151
; %bb.148:
	v_mov_b32_e32 v4, 0
	v_add_u32_e32 v3, -1, v0
	v_add_u32_e32 v7, 0x170, v2
	v_mov_b32_e32 v8, v2
	s_mov_b64 s[4:5], 0
	v_mov_b32_e32 v5, v4
.LBB108_149:                            ; =>This Inner Loop Header: Depth=1
	scratch_load_dwordx2 v[10:11], v8, off
	ds_read_b64 v[12:13], v7
	v_add_u32_e32 v3, 1, v3
	v_cmp_lt_u32_e32 vcc, 32, v3
	v_add_u32_e32 v7, 8, v7
	v_add_u32_e32 v8, 8, v8
	s_or_b64 s[4:5], vcc, s[4:5]
	s_waitcnt vmcnt(0) lgkmcnt(0)
	v_pk_mul_f32 v[14:15], v[12:13], v[10:11] op_sel:[1,1] op_sel_hi:[0,1]
	v_pk_fma_f32 v[16:17], v[12:13], v[10:11], v[14:15] neg_lo:[0,0,1] neg_hi:[0,0,1]
	v_pk_fma_f32 v[10:11], v[12:13], v[10:11], v[14:15] op_sel_hi:[1,0,1]
	s_nop 0
	v_mov_b32_e32 v17, v11
	v_pk_add_f32 v[4:5], v[4:5], v[16:17]
	s_andn2_b64 exec, exec, s[4:5]
	s_cbranch_execnz .LBB108_149
; %bb.150:
	s_or_b64 exec, exec, s[4:5]
	v_mov_b32_e32 v3, 0
	ds_read_b64 v[8:9], v3 offset:272
	s_waitcnt lgkmcnt(0)
	v_pk_mul_f32 v[10:11], v[4:5], v[8:9] op_sel:[1,1] op_sel_hi:[0,1]
	v_pk_fma_f32 v[12:13], v[4:5], v[8:9], v[10:11] neg_lo:[0,0,1] neg_hi:[0,0,1]
	v_pk_fma_f32 v[4:5], v[4:5], v[8:9], v[10:11] op_sel_hi:[1,0,1]
	s_nop 0
	v_mov_b32_e32 v13, v5
	scratch_store_dwordx2 off, v[12:13], off offset:272
.LBB108_151:
	s_or_b64 exec, exec, s[0:1]
	; wave barrier
	scratch_load_dwordx2 v[4:5], off, off offset:280
	v_cmp_gt_u32_e32 vcc, 35, v0
	s_waitcnt vmcnt(0)
	ds_write_b64 v1, v[4:5]
	s_waitcnt lgkmcnt(0)
	; wave barrier
	s_and_saveexec_b64 s[0:1], vcc
	s_cbranch_execz .LBB108_155
; %bb.152:
	v_mov_b32_e32 v4, 0
	v_add_u32_e32 v3, -1, v0
	v_add_u32_e32 v7, 0x170, v2
	v_mov_b32_e32 v8, v2
	s_mov_b64 s[4:5], 0
	v_mov_b32_e32 v5, v4
.LBB108_153:                            ; =>This Inner Loop Header: Depth=1
	scratch_load_dwordx2 v[10:11], v8, off
	ds_read_b64 v[12:13], v7
	v_add_u32_e32 v3, 1, v3
	v_cmp_lt_u32_e32 vcc, 33, v3
	v_add_u32_e32 v7, 8, v7
	v_add_u32_e32 v8, 8, v8
	s_or_b64 s[4:5], vcc, s[4:5]
	s_waitcnt vmcnt(0) lgkmcnt(0)
	v_pk_mul_f32 v[14:15], v[12:13], v[10:11] op_sel:[1,1] op_sel_hi:[0,1]
	v_pk_fma_f32 v[16:17], v[12:13], v[10:11], v[14:15] neg_lo:[0,0,1] neg_hi:[0,0,1]
	v_pk_fma_f32 v[10:11], v[12:13], v[10:11], v[14:15] op_sel_hi:[1,0,1]
	s_nop 0
	v_mov_b32_e32 v17, v11
	v_pk_add_f32 v[4:5], v[4:5], v[16:17]
	s_andn2_b64 exec, exec, s[4:5]
	s_cbranch_execnz .LBB108_153
; %bb.154:
	s_or_b64 exec, exec, s[4:5]
	v_mov_b32_e32 v3, 0
	ds_read_b64 v[8:9], v3 offset:280
	s_waitcnt lgkmcnt(0)
	v_pk_mul_f32 v[10:11], v[4:5], v[8:9] op_sel:[1,1] op_sel_hi:[0,1]
	v_pk_fma_f32 v[12:13], v[4:5], v[8:9], v[10:11] neg_lo:[0,0,1] neg_hi:[0,0,1]
	v_pk_fma_f32 v[4:5], v[4:5], v[8:9], v[10:11] op_sel_hi:[1,0,1]
	s_nop 0
	v_mov_b32_e32 v13, v5
	scratch_store_dwordx2 off, v[12:13], off offset:280
.LBB108_155:
	s_or_b64 exec, exec, s[0:1]
	; wave barrier
	scratch_load_dwordx2 v[4:5], off, off offset:288
	v_cmp_gt_u32_e32 vcc, 36, v0
	s_waitcnt vmcnt(0)
	ds_write_b64 v1, v[4:5]
	s_waitcnt lgkmcnt(0)
	; wave barrier
	s_and_saveexec_b64 s[0:1], vcc
	s_cbranch_execz .LBB108_159
; %bb.156:
	v_mov_b32_e32 v4, 0
	v_add_u32_e32 v3, -1, v0
	v_add_u32_e32 v7, 0x170, v2
	v_mov_b32_e32 v8, v2
	s_mov_b64 s[4:5], 0
	v_mov_b32_e32 v5, v4
.LBB108_157:                            ; =>This Inner Loop Header: Depth=1
	scratch_load_dwordx2 v[10:11], v8, off
	ds_read_b64 v[12:13], v7
	v_add_u32_e32 v3, 1, v3
	v_cmp_lt_u32_e32 vcc, 34, v3
	v_add_u32_e32 v7, 8, v7
	v_add_u32_e32 v8, 8, v8
	s_or_b64 s[4:5], vcc, s[4:5]
	s_waitcnt vmcnt(0) lgkmcnt(0)
	v_pk_mul_f32 v[14:15], v[12:13], v[10:11] op_sel:[1,1] op_sel_hi:[0,1]
	v_pk_fma_f32 v[16:17], v[12:13], v[10:11], v[14:15] neg_lo:[0,0,1] neg_hi:[0,0,1]
	v_pk_fma_f32 v[10:11], v[12:13], v[10:11], v[14:15] op_sel_hi:[1,0,1]
	s_nop 0
	v_mov_b32_e32 v17, v11
	v_pk_add_f32 v[4:5], v[4:5], v[16:17]
	s_andn2_b64 exec, exec, s[4:5]
	s_cbranch_execnz .LBB108_157
; %bb.158:
	s_or_b64 exec, exec, s[4:5]
	v_mov_b32_e32 v3, 0
	ds_read_b64 v[8:9], v3 offset:288
	s_waitcnt lgkmcnt(0)
	v_pk_mul_f32 v[10:11], v[4:5], v[8:9] op_sel:[1,1] op_sel_hi:[0,1]
	v_pk_fma_f32 v[12:13], v[4:5], v[8:9], v[10:11] neg_lo:[0,0,1] neg_hi:[0,0,1]
	v_pk_fma_f32 v[4:5], v[4:5], v[8:9], v[10:11] op_sel_hi:[1,0,1]
	s_nop 0
	v_mov_b32_e32 v13, v5
	scratch_store_dwordx2 off, v[12:13], off offset:288
.LBB108_159:
	s_or_b64 exec, exec, s[0:1]
	; wave barrier
	scratch_load_dwordx2 v[4:5], off, off offset:296
	v_cmp_gt_u32_e32 vcc, 37, v0
	s_waitcnt vmcnt(0)
	ds_write_b64 v1, v[4:5]
	s_waitcnt lgkmcnt(0)
	; wave barrier
	s_and_saveexec_b64 s[0:1], vcc
	s_cbranch_execz .LBB108_163
; %bb.160:
	v_mov_b32_e32 v4, 0
	v_add_u32_e32 v3, -1, v0
	v_add_u32_e32 v7, 0x170, v2
	v_mov_b32_e32 v8, v2
	s_mov_b64 s[4:5], 0
	v_mov_b32_e32 v5, v4
.LBB108_161:                            ; =>This Inner Loop Header: Depth=1
	scratch_load_dwordx2 v[10:11], v8, off
	ds_read_b64 v[12:13], v7
	v_add_u32_e32 v3, 1, v3
	v_cmp_lt_u32_e32 vcc, 35, v3
	v_add_u32_e32 v7, 8, v7
	v_add_u32_e32 v8, 8, v8
	s_or_b64 s[4:5], vcc, s[4:5]
	s_waitcnt vmcnt(0) lgkmcnt(0)
	v_pk_mul_f32 v[14:15], v[12:13], v[10:11] op_sel:[1,1] op_sel_hi:[0,1]
	v_pk_fma_f32 v[16:17], v[12:13], v[10:11], v[14:15] neg_lo:[0,0,1] neg_hi:[0,0,1]
	v_pk_fma_f32 v[10:11], v[12:13], v[10:11], v[14:15] op_sel_hi:[1,0,1]
	s_nop 0
	v_mov_b32_e32 v17, v11
	v_pk_add_f32 v[4:5], v[4:5], v[16:17]
	s_andn2_b64 exec, exec, s[4:5]
	s_cbranch_execnz .LBB108_161
; %bb.162:
	s_or_b64 exec, exec, s[4:5]
	v_mov_b32_e32 v3, 0
	ds_read_b64 v[8:9], v3 offset:296
	s_waitcnt lgkmcnt(0)
	v_pk_mul_f32 v[10:11], v[4:5], v[8:9] op_sel:[1,1] op_sel_hi:[0,1]
	v_pk_fma_f32 v[12:13], v[4:5], v[8:9], v[10:11] neg_lo:[0,0,1] neg_hi:[0,0,1]
	v_pk_fma_f32 v[4:5], v[4:5], v[8:9], v[10:11] op_sel_hi:[1,0,1]
	s_nop 0
	v_mov_b32_e32 v13, v5
	scratch_store_dwordx2 off, v[12:13], off offset:296
.LBB108_163:
	s_or_b64 exec, exec, s[0:1]
	; wave barrier
	scratch_load_dwordx2 v[4:5], off, off offset:304
	v_cmp_gt_u32_e32 vcc, 38, v0
	s_waitcnt vmcnt(0)
	ds_write_b64 v1, v[4:5]
	s_waitcnt lgkmcnt(0)
	; wave barrier
	s_and_saveexec_b64 s[0:1], vcc
	s_cbranch_execz .LBB108_167
; %bb.164:
	v_mov_b32_e32 v4, 0
	v_add_u32_e32 v3, -1, v0
	v_add_u32_e32 v7, 0x170, v2
	v_mov_b32_e32 v8, v2
	s_mov_b64 s[4:5], 0
	v_mov_b32_e32 v5, v4
.LBB108_165:                            ; =>This Inner Loop Header: Depth=1
	scratch_load_dwordx2 v[10:11], v8, off
	ds_read_b64 v[12:13], v7
	v_add_u32_e32 v3, 1, v3
	v_cmp_lt_u32_e32 vcc, 36, v3
	v_add_u32_e32 v7, 8, v7
	v_add_u32_e32 v8, 8, v8
	s_or_b64 s[4:5], vcc, s[4:5]
	s_waitcnt vmcnt(0) lgkmcnt(0)
	v_pk_mul_f32 v[14:15], v[12:13], v[10:11] op_sel:[1,1] op_sel_hi:[0,1]
	v_pk_fma_f32 v[16:17], v[12:13], v[10:11], v[14:15] neg_lo:[0,0,1] neg_hi:[0,0,1]
	v_pk_fma_f32 v[10:11], v[12:13], v[10:11], v[14:15] op_sel_hi:[1,0,1]
	s_nop 0
	v_mov_b32_e32 v17, v11
	v_pk_add_f32 v[4:5], v[4:5], v[16:17]
	s_andn2_b64 exec, exec, s[4:5]
	s_cbranch_execnz .LBB108_165
; %bb.166:
	s_or_b64 exec, exec, s[4:5]
	v_mov_b32_e32 v3, 0
	ds_read_b64 v[8:9], v3 offset:304
	s_waitcnt lgkmcnt(0)
	v_pk_mul_f32 v[10:11], v[4:5], v[8:9] op_sel:[1,1] op_sel_hi:[0,1]
	v_pk_fma_f32 v[12:13], v[4:5], v[8:9], v[10:11] neg_lo:[0,0,1] neg_hi:[0,0,1]
	v_pk_fma_f32 v[4:5], v[4:5], v[8:9], v[10:11] op_sel_hi:[1,0,1]
	s_nop 0
	v_mov_b32_e32 v13, v5
	scratch_store_dwordx2 off, v[12:13], off offset:304
.LBB108_167:
	s_or_b64 exec, exec, s[0:1]
	; wave barrier
	scratch_load_dwordx2 v[4:5], off, off offset:312
	v_cmp_gt_u32_e32 vcc, 39, v0
	s_waitcnt vmcnt(0)
	ds_write_b64 v1, v[4:5]
	s_waitcnt lgkmcnt(0)
	; wave barrier
	s_and_saveexec_b64 s[0:1], vcc
	s_cbranch_execz .LBB108_171
; %bb.168:
	v_mov_b32_e32 v4, 0
	v_add_u32_e32 v3, -1, v0
	v_add_u32_e32 v7, 0x170, v2
	v_mov_b32_e32 v8, v2
	s_mov_b64 s[4:5], 0
	v_mov_b32_e32 v5, v4
.LBB108_169:                            ; =>This Inner Loop Header: Depth=1
	scratch_load_dwordx2 v[10:11], v8, off
	ds_read_b64 v[12:13], v7
	v_add_u32_e32 v3, 1, v3
	v_cmp_lt_u32_e32 vcc, 37, v3
	v_add_u32_e32 v7, 8, v7
	v_add_u32_e32 v8, 8, v8
	s_or_b64 s[4:5], vcc, s[4:5]
	s_waitcnt vmcnt(0) lgkmcnt(0)
	v_pk_mul_f32 v[14:15], v[12:13], v[10:11] op_sel:[1,1] op_sel_hi:[0,1]
	v_pk_fma_f32 v[16:17], v[12:13], v[10:11], v[14:15] neg_lo:[0,0,1] neg_hi:[0,0,1]
	v_pk_fma_f32 v[10:11], v[12:13], v[10:11], v[14:15] op_sel_hi:[1,0,1]
	s_nop 0
	v_mov_b32_e32 v17, v11
	v_pk_add_f32 v[4:5], v[4:5], v[16:17]
	s_andn2_b64 exec, exec, s[4:5]
	s_cbranch_execnz .LBB108_169
; %bb.170:
	s_or_b64 exec, exec, s[4:5]
	v_mov_b32_e32 v3, 0
	ds_read_b64 v[8:9], v3 offset:312
	s_waitcnt lgkmcnt(0)
	v_pk_mul_f32 v[10:11], v[4:5], v[8:9] op_sel:[1,1] op_sel_hi:[0,1]
	v_pk_fma_f32 v[12:13], v[4:5], v[8:9], v[10:11] neg_lo:[0,0,1] neg_hi:[0,0,1]
	v_pk_fma_f32 v[4:5], v[4:5], v[8:9], v[10:11] op_sel_hi:[1,0,1]
	s_nop 0
	v_mov_b32_e32 v13, v5
	scratch_store_dwordx2 off, v[12:13], off offset:312
.LBB108_171:
	s_or_b64 exec, exec, s[0:1]
	; wave barrier
	scratch_load_dwordx2 v[4:5], off, off offset:320
	v_cmp_gt_u32_e32 vcc, 40, v0
	s_waitcnt vmcnt(0)
	ds_write_b64 v1, v[4:5]
	s_waitcnt lgkmcnt(0)
	; wave barrier
	s_and_saveexec_b64 s[0:1], vcc
	s_cbranch_execz .LBB108_175
; %bb.172:
	v_mov_b32_e32 v4, 0
	v_add_u32_e32 v3, -1, v0
	v_add_u32_e32 v7, 0x170, v2
	v_mov_b32_e32 v8, v2
	s_mov_b64 s[4:5], 0
	v_mov_b32_e32 v5, v4
.LBB108_173:                            ; =>This Inner Loop Header: Depth=1
	scratch_load_dwordx2 v[10:11], v8, off
	ds_read_b64 v[12:13], v7
	v_add_u32_e32 v3, 1, v3
	v_cmp_lt_u32_e32 vcc, 38, v3
	v_add_u32_e32 v7, 8, v7
	v_add_u32_e32 v8, 8, v8
	s_or_b64 s[4:5], vcc, s[4:5]
	s_waitcnt vmcnt(0) lgkmcnt(0)
	v_pk_mul_f32 v[14:15], v[12:13], v[10:11] op_sel:[1,1] op_sel_hi:[0,1]
	v_pk_fma_f32 v[16:17], v[12:13], v[10:11], v[14:15] neg_lo:[0,0,1] neg_hi:[0,0,1]
	v_pk_fma_f32 v[10:11], v[12:13], v[10:11], v[14:15] op_sel_hi:[1,0,1]
	s_nop 0
	v_mov_b32_e32 v17, v11
	v_pk_add_f32 v[4:5], v[4:5], v[16:17]
	s_andn2_b64 exec, exec, s[4:5]
	s_cbranch_execnz .LBB108_173
; %bb.174:
	s_or_b64 exec, exec, s[4:5]
	v_mov_b32_e32 v3, 0
	ds_read_b64 v[8:9], v3 offset:320
	s_waitcnt lgkmcnt(0)
	v_pk_mul_f32 v[10:11], v[4:5], v[8:9] op_sel:[1,1] op_sel_hi:[0,1]
	v_pk_fma_f32 v[12:13], v[4:5], v[8:9], v[10:11] neg_lo:[0,0,1] neg_hi:[0,0,1]
	v_pk_fma_f32 v[4:5], v[4:5], v[8:9], v[10:11] op_sel_hi:[1,0,1]
	s_nop 0
	v_mov_b32_e32 v13, v5
	scratch_store_dwordx2 off, v[12:13], off offset:320
.LBB108_175:
	s_or_b64 exec, exec, s[0:1]
	; wave barrier
	scratch_load_dwordx2 v[4:5], off, off offset:328
	v_cmp_gt_u32_e32 vcc, 41, v0
	s_waitcnt vmcnt(0)
	ds_write_b64 v1, v[4:5]
	s_waitcnt lgkmcnt(0)
	; wave barrier
	s_and_saveexec_b64 s[0:1], vcc
	s_cbranch_execz .LBB108_179
; %bb.176:
	v_mov_b32_e32 v4, 0
	v_add_u32_e32 v3, -1, v0
	v_add_u32_e32 v7, 0x170, v2
	v_mov_b32_e32 v8, v2
	s_mov_b64 s[4:5], 0
	v_mov_b32_e32 v5, v4
.LBB108_177:                            ; =>This Inner Loop Header: Depth=1
	scratch_load_dwordx2 v[10:11], v8, off
	ds_read_b64 v[12:13], v7
	v_add_u32_e32 v3, 1, v3
	v_cmp_lt_u32_e32 vcc, 39, v3
	v_add_u32_e32 v7, 8, v7
	v_add_u32_e32 v8, 8, v8
	s_or_b64 s[4:5], vcc, s[4:5]
	s_waitcnt vmcnt(0) lgkmcnt(0)
	v_pk_mul_f32 v[14:15], v[12:13], v[10:11] op_sel:[1,1] op_sel_hi:[0,1]
	v_pk_fma_f32 v[16:17], v[12:13], v[10:11], v[14:15] neg_lo:[0,0,1] neg_hi:[0,0,1]
	v_pk_fma_f32 v[10:11], v[12:13], v[10:11], v[14:15] op_sel_hi:[1,0,1]
	s_nop 0
	v_mov_b32_e32 v17, v11
	v_pk_add_f32 v[4:5], v[4:5], v[16:17]
	s_andn2_b64 exec, exec, s[4:5]
	s_cbranch_execnz .LBB108_177
; %bb.178:
	s_or_b64 exec, exec, s[4:5]
	v_mov_b32_e32 v3, 0
	ds_read_b64 v[8:9], v3 offset:328
	s_waitcnt lgkmcnt(0)
	v_pk_mul_f32 v[10:11], v[4:5], v[8:9] op_sel:[1,1] op_sel_hi:[0,1]
	v_pk_fma_f32 v[12:13], v[4:5], v[8:9], v[10:11] neg_lo:[0,0,1] neg_hi:[0,0,1]
	v_pk_fma_f32 v[4:5], v[4:5], v[8:9], v[10:11] op_sel_hi:[1,0,1]
	s_nop 0
	v_mov_b32_e32 v13, v5
	scratch_store_dwordx2 off, v[12:13], off offset:328
.LBB108_179:
	s_or_b64 exec, exec, s[0:1]
	; wave barrier
	scratch_load_dwordx2 v[4:5], off, off offset:336
	v_cmp_gt_u32_e32 vcc, 42, v0
	s_waitcnt vmcnt(0)
	ds_write_b64 v1, v[4:5]
	s_waitcnt lgkmcnt(0)
	; wave barrier
	s_and_saveexec_b64 s[0:1], vcc
	s_cbranch_execz .LBB108_183
; %bb.180:
	v_mov_b32_e32 v4, 0
	v_add_u32_e32 v3, -1, v0
	v_add_u32_e32 v7, 0x170, v2
	v_mov_b32_e32 v8, v2
	s_mov_b64 s[4:5], 0
	v_mov_b32_e32 v5, v4
.LBB108_181:                            ; =>This Inner Loop Header: Depth=1
	scratch_load_dwordx2 v[10:11], v8, off
	ds_read_b64 v[12:13], v7
	v_add_u32_e32 v3, 1, v3
	v_cmp_lt_u32_e32 vcc, 40, v3
	v_add_u32_e32 v7, 8, v7
	v_add_u32_e32 v8, 8, v8
	s_or_b64 s[4:5], vcc, s[4:5]
	s_waitcnt vmcnt(0) lgkmcnt(0)
	v_pk_mul_f32 v[14:15], v[12:13], v[10:11] op_sel:[1,1] op_sel_hi:[0,1]
	v_pk_fma_f32 v[16:17], v[12:13], v[10:11], v[14:15] neg_lo:[0,0,1] neg_hi:[0,0,1]
	v_pk_fma_f32 v[10:11], v[12:13], v[10:11], v[14:15] op_sel_hi:[1,0,1]
	s_nop 0
	v_mov_b32_e32 v17, v11
	v_pk_add_f32 v[4:5], v[4:5], v[16:17]
	s_andn2_b64 exec, exec, s[4:5]
	s_cbranch_execnz .LBB108_181
; %bb.182:
	s_or_b64 exec, exec, s[4:5]
	v_mov_b32_e32 v3, 0
	ds_read_b64 v[8:9], v3 offset:336
	s_waitcnt lgkmcnt(0)
	v_pk_mul_f32 v[10:11], v[4:5], v[8:9] op_sel:[1,1] op_sel_hi:[0,1]
	v_pk_fma_f32 v[12:13], v[4:5], v[8:9], v[10:11] neg_lo:[0,0,1] neg_hi:[0,0,1]
	v_pk_fma_f32 v[4:5], v[4:5], v[8:9], v[10:11] op_sel_hi:[1,0,1]
	s_nop 0
	v_mov_b32_e32 v13, v5
	scratch_store_dwordx2 off, v[12:13], off offset:336
.LBB108_183:
	s_or_b64 exec, exec, s[0:1]
	; wave barrier
	scratch_load_dwordx2 v[4:5], off, off offset:344
	v_cmp_gt_u32_e32 vcc, 43, v0
	s_waitcnt vmcnt(0)
	ds_write_b64 v1, v[4:5]
	s_waitcnt lgkmcnt(0)
	; wave barrier
	s_and_saveexec_b64 s[0:1], vcc
	s_cbranch_execz .LBB108_187
; %bb.184:
	v_mov_b32_e32 v4, 0
	v_add_u32_e32 v3, -1, v0
	v_add_u32_e32 v7, 0x170, v2
	v_mov_b32_e32 v8, v2
	s_mov_b64 s[4:5], 0
	v_mov_b32_e32 v5, v4
.LBB108_185:                            ; =>This Inner Loop Header: Depth=1
	scratch_load_dwordx2 v[10:11], v8, off
	ds_read_b64 v[12:13], v7
	v_add_u32_e32 v3, 1, v3
	v_cmp_lt_u32_e32 vcc, 41, v3
	v_add_u32_e32 v7, 8, v7
	v_add_u32_e32 v8, 8, v8
	s_or_b64 s[4:5], vcc, s[4:5]
	s_waitcnt vmcnt(0) lgkmcnt(0)
	v_pk_mul_f32 v[14:15], v[12:13], v[10:11] op_sel:[1,1] op_sel_hi:[0,1]
	v_pk_fma_f32 v[16:17], v[12:13], v[10:11], v[14:15] neg_lo:[0,0,1] neg_hi:[0,0,1]
	v_pk_fma_f32 v[10:11], v[12:13], v[10:11], v[14:15] op_sel_hi:[1,0,1]
	s_nop 0
	v_mov_b32_e32 v17, v11
	v_pk_add_f32 v[4:5], v[4:5], v[16:17]
	s_andn2_b64 exec, exec, s[4:5]
	s_cbranch_execnz .LBB108_185
; %bb.186:
	s_or_b64 exec, exec, s[4:5]
	v_mov_b32_e32 v3, 0
	ds_read_b64 v[8:9], v3 offset:344
	s_waitcnt lgkmcnt(0)
	v_pk_mul_f32 v[10:11], v[4:5], v[8:9] op_sel:[1,1] op_sel_hi:[0,1]
	v_pk_fma_f32 v[12:13], v[4:5], v[8:9], v[10:11] neg_lo:[0,0,1] neg_hi:[0,0,1]
	v_pk_fma_f32 v[4:5], v[4:5], v[8:9], v[10:11] op_sel_hi:[1,0,1]
	s_nop 0
	v_mov_b32_e32 v13, v5
	scratch_store_dwordx2 off, v[12:13], off offset:344
.LBB108_187:
	s_or_b64 exec, exec, s[0:1]
	; wave barrier
	scratch_load_dwordx2 v[4:5], off, off offset:352
	v_cmp_ne_u32_e32 vcc, 44, v0
	s_waitcnt vmcnt(0)
	ds_write_b64 v1, v[4:5]
	s_waitcnt lgkmcnt(0)
	; wave barrier
	s_and_saveexec_b64 s[0:1], vcc
	s_cbranch_execz .LBB108_191
; %bb.188:
	v_add_u32_e32 v1, 0x170, v2
	v_mov_b32_e32 v4, v2
	v_mov_b32_e32 v2, 0
	s_mov_b64 s[4:5], 0
	v_mov_b32_e32 v3, v2
.LBB108_189:                            ; =>This Inner Loop Header: Depth=1
	scratch_load_dwordx2 v[8:9], v4, off
	ds_read_b64 v[10:11], v1
	v_add_u32_e32 v6, 1, v6
	v_cmp_lt_u32_e32 vcc, 42, v6
	v_add_u32_e32 v1, 8, v1
	v_add_u32_e32 v4, 8, v4
	s_or_b64 s[4:5], vcc, s[4:5]
	s_waitcnt vmcnt(0) lgkmcnt(0)
	v_pk_mul_f32 v[12:13], v[10:11], v[8:9] op_sel:[1,1] op_sel_hi:[0,1]
	v_pk_fma_f32 v[14:15], v[10:11], v[8:9], v[12:13] neg_lo:[0,0,1] neg_hi:[0,0,1]
	v_pk_fma_f32 v[8:9], v[10:11], v[8:9], v[12:13] op_sel_hi:[1,0,1]
	s_nop 0
	v_mov_b32_e32 v15, v9
	v_pk_add_f32 v[2:3], v[2:3], v[14:15]
	s_andn2_b64 exec, exec, s[4:5]
	s_cbranch_execnz .LBB108_189
; %bb.190:
	s_or_b64 exec, exec, s[4:5]
	v_mov_b32_e32 v1, 0
	ds_read_b64 v[4:5], v1 offset:352
	s_waitcnt lgkmcnt(0)
	v_pk_mul_f32 v[6:7], v[2:3], v[4:5] op_sel:[1,1] op_sel_hi:[0,1]
	v_pk_fma_f32 v[8:9], v[2:3], v[4:5], v[6:7] neg_lo:[0,0,1] neg_hi:[0,0,1]
	v_pk_fma_f32 v[2:3], v[2:3], v[4:5], v[6:7] op_sel_hi:[1,0,1]
	s_nop 0
	v_mov_b32_e32 v9, v3
	scratch_store_dwordx2 off, v[8:9], off offset:352
.LBB108_191:
	s_or_b64 exec, exec, s[0:1]
	s_mov_b64 s[4:5], -1
	; wave barrier
.LBB108_192:
	s_and_b64 vcc, exec, s[4:5]
	s_cbranch_vccz .LBB108_194
; %bb.193:
	s_lshl_b64 s[0:1], s[2:3], 2
	s_add_u32 s0, s6, s0
	s_addc_u32 s1, s7, s1
	v_mov_b32_e32 v1, 0
	global_load_dword v1, v1, s[0:1]
	s_waitcnt vmcnt(0)
	v_cmp_ne_u32_e32 vcc, 0, v1
	s_cbranch_vccz .LBB108_195
.LBB108_194:
	s_endpgm
.LBB108_195:
	v_mov_b32_e32 v1, 0x170
	v_lshl_add_u32 v1, v0, 3, v1
	v_cmp_eq_u32_e32 vcc, 44, v0
	s_and_saveexec_b64 s[0:1], vcc
	s_cbranch_execz .LBB108_197
; %bb.196:
	scratch_load_dwordx2 v[2:3], off, off offset:344
	v_mov_b32_e32 v4, 0
	v_mov_b32_e32 v5, v4
	scratch_store_dwordx2 off, v[4:5], off offset:344
	s_waitcnt vmcnt(1)
	ds_write_b64 v1, v[2:3]
.LBB108_197:
	s_or_b64 exec, exec, s[0:1]
	s_waitcnt lgkmcnt(0)
	; wave barrier
	scratch_load_dwordx2 v[4:5], off, off offset:352
	scratch_load_dwordx2 v[6:7], off, off offset:344
	v_mov_b32_e32 v2, 0
	ds_read_b64 v[8:9], v2 offset:720
	v_cmp_lt_u32_e32 vcc, 42, v0
	s_waitcnt vmcnt(1) lgkmcnt(0)
	v_pk_mul_f32 v[10:11], v[8:9], v[4:5] op_sel:[1,1] op_sel_hi:[0,1]
	v_pk_fma_f32 v[12:13], v[8:9], v[4:5], v[10:11] neg_lo:[0,0,1] neg_hi:[0,0,1]
	v_pk_fma_f32 v[4:5], v[8:9], v[4:5], v[10:11] op_sel_hi:[1,0,1]
	s_nop 0
	v_mov_b32_e32 v13, v5
	v_pk_add_f32 v[4:5], v[12:13], 0 op_sel_hi:[1,0]
	s_waitcnt vmcnt(0)
	v_pk_add_f32 v[4:5], v[6:7], v[4:5] neg_lo:[0,1] neg_hi:[0,1]
	scratch_store_dwordx2 off, v[4:5], off offset:344
	s_and_saveexec_b64 s[0:1], vcc
	s_cbranch_execz .LBB108_199
; %bb.198:
	scratch_load_dwordx2 v[4:5], off, off offset:336
	v_mov_b32_e32 v3, v2
	scratch_store_dwordx2 off, v[2:3], off offset:336
	s_waitcnt vmcnt(1)
	ds_write_b64 v1, v[4:5]
.LBB108_199:
	s_or_b64 exec, exec, s[0:1]
	s_waitcnt lgkmcnt(0)
	; wave barrier
	scratch_load_dwordx4 v[4:7], off, off offset:344
	scratch_load_dwordx2 v[12:13], off, off offset:336
	ds_read2_b64 v[8:11], v2 offset0:89 offset1:90
	v_cmp_lt_u32_e32 vcc, 41, v0
	s_waitcnt vmcnt(1) lgkmcnt(0)
	v_pk_mul_f32 v[2:3], v[8:9], v[4:5] op_sel:[1,1] op_sel_hi:[0,1]
	v_mov_b32_e32 v14, v7
	v_pk_fma_f32 v[16:17], v[8:9], v[4:5], v[2:3] neg_lo:[0,0,1] neg_hi:[0,0,1]
	v_pk_fma_f32 v[2:3], v[8:9], v[4:5], v[2:3] op_sel_hi:[1,0,1]
	v_pk_mul_f32 v[4:5], v[10:11], v[14:15] op_sel:[1,0] op_sel_hi:[0,0]
	v_mov_b32_e32 v17, v3
	v_pk_fma_f32 v[2:3], v[10:11], v[6:7], v[4:5] neg_lo:[0,0,1] neg_hi:[0,0,1]
	v_pk_fma_f32 v[4:5], v[10:11], v[6:7], v[4:5] op_sel_hi:[1,0,1]
	v_pk_add_f32 v[6:7], v[16:17], 0 op_sel_hi:[1,0]
	v_mov_b32_e32 v3, v5
	v_pk_add_f32 v[2:3], v[6:7], v[2:3]
	s_waitcnt vmcnt(0)
	v_pk_add_f32 v[2:3], v[12:13], v[2:3] neg_lo:[0,1] neg_hi:[0,1]
	scratch_store_dwordx2 off, v[2:3], off offset:336
	s_and_saveexec_b64 s[0:1], vcc
	s_cbranch_execz .LBB108_201
; %bb.200:
	scratch_load_dwordx2 v[2:3], off, off offset:328
	v_mov_b32_e32 v4, 0
	v_mov_b32_e32 v5, v4
	scratch_store_dwordx2 off, v[4:5], off offset:328
	s_waitcnt vmcnt(1)
	ds_write_b64 v1, v[2:3]
.LBB108_201:
	s_or_b64 exec, exec, s[0:1]
	s_waitcnt lgkmcnt(0)
	; wave barrier
	scratch_load_dwordx4 v[4:7], off, off offset:336
	scratch_load_dwordx2 v[12:13], off, off offset:352
	scratch_load_dwordx2 v[14:15], off, off offset:328
	v_mov_b32_e32 v2, 0
	ds_read_b128 v[8:11], v2 offset:704
	ds_read_b64 v[16:17], v2 offset:720
	v_cmp_lt_u32_e32 vcc, 40, v0
	s_waitcnt vmcnt(2) lgkmcnt(1)
	v_pk_mul_f32 v[18:19], v[8:9], v[4:5] op_sel:[1,1] op_sel_hi:[0,1]
	v_mov_b32_e32 v20, v7
	v_pk_fma_f32 v[24:25], v[8:9], v[4:5], v[18:19] neg_lo:[0,0,1] neg_hi:[0,0,1]
	v_pk_fma_f32 v[4:5], v[8:9], v[4:5], v[18:19] op_sel_hi:[1,0,1]
	v_pk_mul_f32 v[8:9], v[10:11], v[20:21] op_sel:[1,0] op_sel_hi:[0,0]
	s_waitcnt vmcnt(1) lgkmcnt(0)
	v_pk_mul_f32 v[22:23], v[16:17], v[12:13] op_sel:[1,1] op_sel_hi:[0,1]
	v_mov_b32_e32 v25, v5
	v_pk_fma_f32 v[4:5], v[10:11], v[6:7], v[8:9] neg_lo:[0,0,1] neg_hi:[0,0,1]
	v_pk_fma_f32 v[6:7], v[10:11], v[6:7], v[8:9] op_sel_hi:[1,0,1]
	v_pk_fma_f32 v[18:19], v[16:17], v[12:13], v[22:23] neg_lo:[0,0,1] neg_hi:[0,0,1]
	v_pk_fma_f32 v[12:13], v[16:17], v[12:13], v[22:23] op_sel_hi:[1,0,1]
	v_pk_add_f32 v[8:9], v[24:25], 0 op_sel_hi:[1,0]
	v_mov_b32_e32 v5, v7
	v_mov_b32_e32 v19, v13
	v_pk_add_f32 v[4:5], v[8:9], v[4:5]
	s_nop 0
	v_pk_add_f32 v[4:5], v[4:5], v[18:19]
	s_waitcnt vmcnt(0)
	v_pk_add_f32 v[4:5], v[14:15], v[4:5] neg_lo:[0,1] neg_hi:[0,1]
	scratch_store_dwordx2 off, v[4:5], off offset:328
	s_and_saveexec_b64 s[0:1], vcc
	s_cbranch_execz .LBB108_203
; %bb.202:
	scratch_load_dwordx2 v[4:5], off, off offset:320
	v_mov_b32_e32 v3, v2
	scratch_store_dwordx2 off, v[2:3], off offset:320
	s_waitcnt vmcnt(1)
	ds_write_b64 v1, v[4:5]
.LBB108_203:
	s_or_b64 exec, exec, s[0:1]
	s_waitcnt lgkmcnt(0)
	; wave barrier
	scratch_load_dwordx4 v[4:7], off, off offset:328
	scratch_load_dwordx4 v[8:11], off, off offset:344
	scratch_load_dwordx2 v[20:21], off, off offset:320
	ds_read2_b64 v[12:15], v2 offset0:87 offset1:88
	ds_read2_b64 v[16:19], v2 offset0:89 offset1:90
	v_cmp_lt_u32_e32 vcc, 39, v0
	s_waitcnt vmcnt(2) lgkmcnt(1)
	v_pk_mul_f32 v[2:3], v[12:13], v[4:5] op_sel:[1,1] op_sel_hi:[0,1]
	v_mov_b32_e32 v22, v7
	s_waitcnt vmcnt(1) lgkmcnt(0)
	v_pk_mul_f32 v[24:25], v[16:17], v[8:9] op_sel:[1,1] op_sel_hi:[0,1]
	v_mov_b32_e32 v26, v11
	v_pk_fma_f32 v[28:29], v[12:13], v[4:5], v[2:3] neg_lo:[0,0,1] neg_hi:[0,0,1]
	v_pk_fma_f32 v[2:3], v[12:13], v[4:5], v[2:3] op_sel_hi:[1,0,1]
	v_pk_mul_f32 v[4:5], v[14:15], v[22:23] op_sel:[1,0] op_sel_hi:[0,0]
	v_pk_fma_f32 v[12:13], v[16:17], v[8:9], v[24:25] neg_lo:[0,0,1] neg_hi:[0,0,1]
	v_pk_fma_f32 v[8:9], v[16:17], v[8:9], v[24:25] op_sel_hi:[1,0,1]
	v_pk_mul_f32 v[16:17], v[18:19], v[26:27] op_sel:[1,0] op_sel_hi:[0,0]
	v_mov_b32_e32 v29, v3
	v_pk_fma_f32 v[2:3], v[14:15], v[6:7], v[4:5] neg_lo:[0,0,1] neg_hi:[0,0,1]
	v_pk_fma_f32 v[4:5], v[14:15], v[6:7], v[4:5] op_sel_hi:[1,0,1]
	v_mov_b32_e32 v13, v9
	v_pk_fma_f32 v[6:7], v[18:19], v[10:11], v[16:17] neg_lo:[0,0,1] neg_hi:[0,0,1]
	v_pk_fma_f32 v[8:9], v[18:19], v[10:11], v[16:17] op_sel_hi:[1,0,1]
	v_pk_add_f32 v[10:11], v[28:29], 0 op_sel_hi:[1,0]
	v_mov_b32_e32 v3, v5
	v_pk_add_f32 v[2:3], v[10:11], v[2:3]
	v_mov_b32_e32 v7, v9
	v_pk_add_f32 v[2:3], v[2:3], v[12:13]
	s_nop 0
	v_pk_add_f32 v[2:3], v[2:3], v[6:7]
	s_waitcnt vmcnt(0)
	v_pk_add_f32 v[2:3], v[20:21], v[2:3] neg_lo:[0,1] neg_hi:[0,1]
	scratch_store_dwordx2 off, v[2:3], off offset:320
	s_and_saveexec_b64 s[0:1], vcc
	s_cbranch_execz .LBB108_205
; %bb.204:
	scratch_load_dwordx2 v[2:3], off, off offset:312
	v_mov_b32_e32 v4, 0
	v_mov_b32_e32 v5, v4
	scratch_store_dwordx2 off, v[4:5], off offset:312
	s_waitcnt vmcnt(1)
	ds_write_b64 v1, v[2:3]
.LBB108_205:
	s_or_b64 exec, exec, s[0:1]
	s_waitcnt lgkmcnt(0)
	; wave barrier
	scratch_load_dwordx4 v[4:7], off, off offset:320
	scratch_load_dwordx4 v[8:11], off, off offset:336
	scratch_load_dwordx2 v[20:21], off, off offset:352
	scratch_load_dwordx2 v[22:23], off, off offset:312
	v_mov_b32_e32 v2, 0
	ds_read_b128 v[12:15], v2 offset:688
	ds_read_b128 v[16:19], v2 offset:704
	ds_read_b64 v[24:25], v2 offset:720
	v_cmp_lt_u32_e32 vcc, 38, v0
	s_waitcnt vmcnt(3) lgkmcnt(2)
	v_pk_mul_f32 v[26:27], v[12:13], v[4:5] op_sel:[1,1] op_sel_hi:[0,1]
	v_mov_b32_e32 v28, v7
	v_pk_fma_f32 v[36:37], v[12:13], v[4:5], v[26:27] neg_lo:[0,0,1] neg_hi:[0,0,1]
	v_pk_fma_f32 v[4:5], v[12:13], v[4:5], v[26:27] op_sel_hi:[1,0,1]
	v_pk_mul_f32 v[12:13], v[14:15], v[28:29] op_sel:[1,0] op_sel_hi:[0,0]
	s_waitcnt vmcnt(2) lgkmcnt(1)
	v_pk_mul_f32 v[30:31], v[16:17], v[8:9] op_sel:[1,1] op_sel_hi:[0,1]
	v_mov_b32_e32 v32, v11
	v_mov_b32_e32 v37, v5
	v_pk_fma_f32 v[4:5], v[14:15], v[6:7], v[12:13] neg_lo:[0,0,1] neg_hi:[0,0,1]
	v_pk_fma_f32 v[6:7], v[14:15], v[6:7], v[12:13] op_sel_hi:[1,0,1]
	v_pk_fma_f32 v[26:27], v[16:17], v[8:9], v[30:31] neg_lo:[0,0,1] neg_hi:[0,0,1]
	v_pk_fma_f32 v[8:9], v[16:17], v[8:9], v[30:31] op_sel_hi:[1,0,1]
	v_pk_mul_f32 v[16:17], v[18:19], v[32:33] op_sel:[1,0] op_sel_hi:[0,0]
	v_pk_add_f32 v[12:13], v[36:37], 0 op_sel_hi:[1,0]
	v_mov_b32_e32 v5, v7
	s_waitcnt vmcnt(1) lgkmcnt(0)
	v_pk_mul_f32 v[34:35], v[24:25], v[20:21] op_sel:[1,1] op_sel_hi:[0,1]
	v_mov_b32_e32 v27, v9
	v_pk_fma_f32 v[8:9], v[18:19], v[10:11], v[16:17] neg_lo:[0,0,1] neg_hi:[0,0,1]
	v_pk_fma_f32 v[10:11], v[18:19], v[10:11], v[16:17] op_sel_hi:[1,0,1]
	v_pk_add_f32 v[4:5], v[12:13], v[4:5]
	v_pk_fma_f32 v[28:29], v[24:25], v[20:21], v[34:35] neg_lo:[0,0,1] neg_hi:[0,0,1]
	v_pk_fma_f32 v[20:21], v[24:25], v[20:21], v[34:35] op_sel_hi:[1,0,1]
	v_mov_b32_e32 v9, v11
	v_pk_add_f32 v[4:5], v[4:5], v[26:27]
	v_mov_b32_e32 v29, v21
	v_pk_add_f32 v[4:5], v[4:5], v[8:9]
	s_nop 0
	v_pk_add_f32 v[4:5], v[4:5], v[28:29]
	s_waitcnt vmcnt(0)
	v_pk_add_f32 v[4:5], v[22:23], v[4:5] neg_lo:[0,1] neg_hi:[0,1]
	scratch_store_dwordx2 off, v[4:5], off offset:312
	s_and_saveexec_b64 s[0:1], vcc
	s_cbranch_execz .LBB108_207
; %bb.206:
	scratch_load_dwordx2 v[4:5], off, off offset:304
	v_mov_b32_e32 v3, v2
	scratch_store_dwordx2 off, v[2:3], off offset:304
	s_waitcnt vmcnt(1)
	ds_write_b64 v1, v[4:5]
.LBB108_207:
	s_or_b64 exec, exec, s[0:1]
	s_waitcnt lgkmcnt(0)
	; wave barrier
	scratch_load_dwordx4 v[4:7], off, off offset:312
	scratch_load_dwordx4 v[8:11], off, off offset:328
	;; [unrolled: 1-line block ×3, first 2 shown]
	ds_read2_b64 v[16:19], v2 offset0:85 offset1:86
	ds_read2_b64 v[20:23], v2 offset0:87 offset1:88
	;; [unrolled: 1-line block ×3, first 2 shown]
	v_cmp_lt_u32_e32 vcc, 37, v0
	s_waitcnt vmcnt(2) lgkmcnt(2)
	v_pk_mul_f32 v[2:3], v[16:17], v[4:5] op_sel:[1,1] op_sel_hi:[0,1]
	v_pk_fma_f32 v[28:29], v[16:17], v[4:5], v[2:3] neg_lo:[0,0,1] neg_hi:[0,0,1]
	v_pk_fma_f32 v[2:3], v[16:17], v[4:5], v[2:3] op_sel_hi:[1,0,1]
	v_mov_b32_e32 v4, v7
	v_pk_mul_f32 v[4:5], v[18:19], v[4:5] op_sel:[1,0] op_sel_hi:[0,0]
	v_pk_fma_f32 v[16:17], v[18:19], v[6:7], v[4:5] neg_lo:[0,0,1] neg_hi:[0,0,1]
	v_pk_fma_f32 v[4:5], v[18:19], v[6:7], v[4:5] op_sel_hi:[1,0,1]
	v_mov_b32_e32 v29, v3
	v_mov_b32_e32 v17, v5
	s_waitcnt vmcnt(1) lgkmcnt(1)
	v_pk_mul_f32 v[4:5], v[20:21], v[8:9] op_sel:[1,1] op_sel_hi:[0,1]
	v_pk_fma_f32 v[6:7], v[20:21], v[8:9], v[4:5] neg_lo:[0,0,1] neg_hi:[0,0,1]
	v_pk_fma_f32 v[4:5], v[20:21], v[8:9], v[4:5] op_sel_hi:[1,0,1]
	v_pk_add_f32 v[2:3], v[28:29], 0 op_sel_hi:[1,0]
	v_mov_b32_e32 v4, v11
	v_pk_add_f32 v[2:3], v[2:3], v[16:17]
	v_mov_b32_e32 v7, v5
	v_pk_mul_f32 v[4:5], v[22:23], v[4:5] op_sel:[1,0] op_sel_hi:[0,0]
	v_pk_add_f32 v[2:3], v[2:3], v[6:7]
	v_pk_fma_f32 v[6:7], v[22:23], v[10:11], v[4:5] neg_lo:[0,0,1] neg_hi:[0,0,1]
	v_pk_fma_f32 v[4:5], v[22:23], v[10:11], v[4:5] op_sel_hi:[1,0,1]
	s_nop 0
	v_mov_b32_e32 v7, v5
	s_waitcnt vmcnt(0) lgkmcnt(0)
	v_pk_mul_f32 v[4:5], v[24:25], v[12:13] op_sel:[1,1] op_sel_hi:[0,1]
	v_pk_add_f32 v[2:3], v[2:3], v[6:7]
	v_pk_fma_f32 v[6:7], v[24:25], v[12:13], v[4:5] neg_lo:[0,0,1] neg_hi:[0,0,1]
	v_pk_fma_f32 v[4:5], v[24:25], v[12:13], v[4:5] op_sel_hi:[1,0,1]
	s_nop 0
	v_mov_b32_e32 v4, v15
	v_mov_b32_e32 v7, v5
	v_pk_mul_f32 v[4:5], v[26:27], v[4:5] op_sel:[1,0] op_sel_hi:[0,0]
	v_pk_add_f32 v[2:3], v[2:3], v[6:7]
	v_pk_fma_f32 v[6:7], v[26:27], v[14:15], v[4:5] neg_lo:[0,0,1] neg_hi:[0,0,1]
	v_pk_fma_f32 v[4:5], v[26:27], v[14:15], v[4:5] op_sel_hi:[1,0,1]
	s_nop 0
	v_mov_b32_e32 v7, v5
	scratch_load_dwordx2 v[4:5], off, off offset:304
	v_pk_add_f32 v[2:3], v[2:3], v[6:7]
	s_waitcnt vmcnt(0)
	v_pk_add_f32 v[2:3], v[4:5], v[2:3] neg_lo:[0,1] neg_hi:[0,1]
	scratch_store_dwordx2 off, v[2:3], off offset:304
	s_and_saveexec_b64 s[0:1], vcc
	s_cbranch_execz .LBB108_209
; %bb.208:
	scratch_load_dwordx2 v[2:3], off, off offset:296
	v_mov_b32_e32 v4, 0
	v_mov_b32_e32 v5, v4
	scratch_store_dwordx2 off, v[4:5], off offset:296
	s_waitcnt vmcnt(1)
	ds_write_b64 v1, v[2:3]
.LBB108_209:
	s_or_b64 exec, exec, s[0:1]
	s_waitcnt lgkmcnt(0)
	; wave barrier
	scratch_load_dwordx4 v[4:7], off, off offset:304
	scratch_load_dwordx4 v[8:11], off, off offset:320
	;; [unrolled: 1-line block ×3, first 2 shown]
	scratch_load_dwordx2 v[28:29], off, off offset:352
	v_mov_b32_e32 v2, 0
	ds_read_b128 v[16:19], v2 offset:672
	ds_read_b128 v[20:23], v2 offset:688
	;; [unrolled: 1-line block ×3, first 2 shown]
	ds_read_b64 v[30:31], v2 offset:720
	v_cmp_lt_u32_e32 vcc, 36, v0
	s_waitcnt vmcnt(3) lgkmcnt(3)
	v_pk_mul_f32 v[32:33], v[16:17], v[4:5] op_sel:[1,1] op_sel_hi:[0,1]
	v_pk_fma_f32 v[34:35], v[16:17], v[4:5], v[32:33] neg_lo:[0,0,1] neg_hi:[0,0,1]
	v_pk_fma_f32 v[4:5], v[16:17], v[4:5], v[32:33] op_sel_hi:[1,0,1]
	v_mov_b32_e32 v16, v7
	v_pk_mul_f32 v[16:17], v[18:19], v[16:17] op_sel:[1,0] op_sel_hi:[0,0]
	v_pk_fma_f32 v[32:33], v[18:19], v[6:7], v[16:17] neg_lo:[0,0,1] neg_hi:[0,0,1]
	v_pk_fma_f32 v[6:7], v[18:19], v[6:7], v[16:17] op_sel_hi:[1,0,1]
	v_mov_b32_e32 v35, v5
	v_mov_b32_e32 v33, v7
	s_waitcnt vmcnt(2) lgkmcnt(2)
	v_pk_mul_f32 v[6:7], v[20:21], v[8:9] op_sel:[1,1] op_sel_hi:[0,1]
	v_pk_fma_f32 v[16:17], v[20:21], v[8:9], v[6:7] neg_lo:[0,0,1] neg_hi:[0,0,1]
	v_pk_fma_f32 v[6:7], v[20:21], v[8:9], v[6:7] op_sel_hi:[1,0,1]
	v_pk_add_f32 v[4:5], v[34:35], 0 op_sel_hi:[1,0]
	v_mov_b32_e32 v6, v11
	v_mov_b32_e32 v17, v7
	v_pk_mul_f32 v[6:7], v[22:23], v[6:7] op_sel:[1,0] op_sel_hi:[0,0]
	v_pk_add_f32 v[4:5], v[4:5], v[32:33]
	v_pk_fma_f32 v[8:9], v[22:23], v[10:11], v[6:7] neg_lo:[0,0,1] neg_hi:[0,0,1]
	v_pk_fma_f32 v[6:7], v[22:23], v[10:11], v[6:7] op_sel_hi:[1,0,1]
	v_pk_add_f32 v[4:5], v[4:5], v[16:17]
	v_mov_b32_e32 v9, v7
	s_waitcnt vmcnt(1) lgkmcnt(1)
	v_pk_mul_f32 v[6:7], v[24:25], v[12:13] op_sel:[1,1] op_sel_hi:[0,1]
	v_pk_add_f32 v[4:5], v[4:5], v[8:9]
	v_pk_fma_f32 v[8:9], v[24:25], v[12:13], v[6:7] neg_lo:[0,0,1] neg_hi:[0,0,1]
	v_pk_fma_f32 v[6:7], v[24:25], v[12:13], v[6:7] op_sel_hi:[1,0,1]
	s_nop 0
	v_mov_b32_e32 v6, v15
	v_mov_b32_e32 v9, v7
	v_pk_mul_f32 v[6:7], v[26:27], v[6:7] op_sel:[1,0] op_sel_hi:[0,0]
	v_pk_add_f32 v[4:5], v[4:5], v[8:9]
	v_pk_fma_f32 v[8:9], v[26:27], v[14:15], v[6:7] neg_lo:[0,0,1] neg_hi:[0,0,1]
	v_pk_fma_f32 v[6:7], v[26:27], v[14:15], v[6:7] op_sel_hi:[1,0,1]
	s_nop 0
	v_mov_b32_e32 v9, v7
	s_waitcnt vmcnt(0) lgkmcnt(0)
	v_pk_mul_f32 v[6:7], v[30:31], v[28:29] op_sel:[1,1] op_sel_hi:[0,1]
	v_pk_add_f32 v[4:5], v[4:5], v[8:9]
	v_pk_fma_f32 v[8:9], v[30:31], v[28:29], v[6:7] neg_lo:[0,0,1] neg_hi:[0,0,1]
	v_pk_fma_f32 v[6:7], v[30:31], v[28:29], v[6:7] op_sel_hi:[1,0,1]
	s_nop 0
	v_mov_b32_e32 v9, v7
	scratch_load_dwordx2 v[6:7], off, off offset:296
	v_pk_add_f32 v[4:5], v[4:5], v[8:9]
	s_waitcnt vmcnt(0)
	v_pk_add_f32 v[4:5], v[6:7], v[4:5] neg_lo:[0,1] neg_hi:[0,1]
	scratch_store_dwordx2 off, v[4:5], off offset:296
	s_and_saveexec_b64 s[0:1], vcc
	s_cbranch_execz .LBB108_211
; %bb.210:
	scratch_load_dwordx2 v[4:5], off, off offset:288
	v_mov_b32_e32 v3, v2
	scratch_store_dwordx2 off, v[2:3], off offset:288
	s_waitcnt vmcnt(1)
	ds_write_b64 v1, v[4:5]
.LBB108_211:
	s_or_b64 exec, exec, s[0:1]
	s_waitcnt lgkmcnt(0)
	; wave barrier
	scratch_load_dwordx4 v[4:7], off, off offset:296
	scratch_load_dwordx4 v[8:11], off, off offset:312
	;; [unrolled: 1-line block ×4, first 2 shown]
	scratch_load_dwordx2 v[36:37], off, off offset:288
	ds_read2_b64 v[20:23], v2 offset0:83 offset1:84
	ds_read2_b64 v[24:27], v2 offset0:85 offset1:86
	ds_read2_b64 v[28:31], v2 offset0:87 offset1:88
	ds_read2_b64 v[32:35], v2 offset0:89 offset1:90
	v_cmp_lt_u32_e32 vcc, 35, v0
	s_waitcnt vmcnt(4) lgkmcnt(3)
	v_pk_mul_f32 v[2:3], v[20:21], v[4:5] op_sel:[1,1] op_sel_hi:[0,1]
	v_mov_b32_e32 v38, v7
	s_waitcnt vmcnt(3) lgkmcnt(2)
	v_pk_mul_f32 v[40:41], v[24:25], v[8:9] op_sel:[1,1] op_sel_hi:[0,1]
	v_mov_b32_e32 v42, v11
	;; [unrolled: 3-line block ×4, first 2 shown]
	v_pk_fma_f32 v[52:53], v[20:21], v[4:5], v[2:3] neg_lo:[0,0,1] neg_hi:[0,0,1]
	v_pk_fma_f32 v[2:3], v[20:21], v[4:5], v[2:3] op_sel_hi:[1,0,1]
	v_pk_mul_f32 v[4:5], v[22:23], v[38:39] op_sel:[1,0] op_sel_hi:[0,0]
	v_pk_fma_f32 v[20:21], v[24:25], v[8:9], v[40:41] neg_lo:[0,0,1] neg_hi:[0,0,1]
	v_pk_fma_f32 v[8:9], v[24:25], v[8:9], v[40:41] op_sel_hi:[1,0,1]
	v_pk_mul_f32 v[24:25], v[26:27], v[42:43] op_sel:[1,0] op_sel_hi:[0,0]
	;; [unrolled: 3-line block ×4, first 2 shown]
	v_mov_b32_e32 v53, v3
	v_pk_fma_f32 v[2:3], v[22:23], v[6:7], v[4:5] neg_lo:[0,0,1] neg_hi:[0,0,1]
	v_pk_fma_f32 v[4:5], v[22:23], v[6:7], v[4:5] op_sel_hi:[1,0,1]
	v_mov_b32_e32 v21, v9
	v_pk_fma_f32 v[6:7], v[26:27], v[10:11], v[24:25] neg_lo:[0,0,1] neg_hi:[0,0,1]
	v_pk_fma_f32 v[8:9], v[26:27], v[10:11], v[24:25] op_sel_hi:[1,0,1]
	;; [unrolled: 3-line block ×4, first 2 shown]
	v_pk_add_f32 v[18:19], v[52:53], 0 op_sel_hi:[1,0]
	v_mov_b32_e32 v3, v5
	v_pk_add_f32 v[2:3], v[18:19], v[2:3]
	v_mov_b32_e32 v7, v9
	v_pk_add_f32 v[2:3], v[2:3], v[20:21]
	;; [unrolled: 2-line block ×4, first 2 shown]
	s_nop 0
	v_pk_add_f32 v[2:3], v[2:3], v[10:11]
	s_nop 0
	v_pk_add_f32 v[2:3], v[2:3], v[40:41]
	;; [unrolled: 2-line block ×3, first 2 shown]
	s_waitcnt vmcnt(0)
	v_pk_add_f32 v[2:3], v[36:37], v[2:3] neg_lo:[0,1] neg_hi:[0,1]
	scratch_store_dwordx2 off, v[2:3], off offset:288
	s_and_saveexec_b64 s[0:1], vcc
	s_cbranch_execz .LBB108_213
; %bb.212:
	scratch_load_dwordx2 v[2:3], off, off offset:280
	v_mov_b32_e32 v4, 0
	v_mov_b32_e32 v5, v4
	scratch_store_dwordx2 off, v[4:5], off offset:280
	s_waitcnt vmcnt(1)
	ds_write_b64 v1, v[2:3]
.LBB108_213:
	s_or_b64 exec, exec, s[0:1]
	s_waitcnt lgkmcnt(0)
	; wave barrier
	scratch_load_dwordx4 v[4:7], off, off offset:288
	scratch_load_dwordx4 v[8:11], off, off offset:304
	;; [unrolled: 1-line block ×4, first 2 shown]
	scratch_load_dwordx2 v[36:37], off, off offset:352
	scratch_load_dwordx2 v[38:39], off, off offset:280
	v_mov_b32_e32 v2, 0
	ds_read_b128 v[20:23], v2 offset:656
	ds_read_b128 v[24:27], v2 offset:672
	;; [unrolled: 1-line block ×4, first 2 shown]
	ds_read_b64 v[40:41], v2 offset:720
	v_cmp_lt_u32_e32 vcc, 34, v0
	s_waitcnt vmcnt(5) lgkmcnt(4)
	v_mul_f32_e32 v43, v20, v5
	v_mul_f32_e32 v3, v21, v5
	v_mov_b32_e32 v44, v7
	s_waitcnt vmcnt(4) lgkmcnt(3)
	v_pk_mul_f32 v[46:47], v[24:25], v[8:9] op_sel:[1,1] op_sel_hi:[0,1]
	v_mov_b32_e32 v48, v11
	s_waitcnt vmcnt(1) lgkmcnt(0)
	v_pk_mul_f32 v[58:59], v[40:41], v[36:37] op_sel:[1,1] op_sel_hi:[0,1]
	v_fmac_f32_e32 v43, v21, v4
	v_fma_f32 v42, v20, v4, -v3
	v_pk_mul_f32 v[4:5], v[22:23], v[44:45] op_sel:[1,0] op_sel_hi:[0,0]
	v_pk_fma_f32 v[20:21], v[24:25], v[8:9], v[46:47] neg_lo:[0,0,1] neg_hi:[0,0,1]
	v_pk_fma_f32 v[8:9], v[24:25], v[8:9], v[46:47] op_sel_hi:[1,0,1]
	v_pk_mul_f32 v[24:25], v[26:27], v[48:49] op_sel:[1,0] op_sel_hi:[0,0]
	v_pk_fma_f32 v[48:49], v[40:41], v[36:37], v[58:59] neg_lo:[0,0,1] neg_hi:[0,0,1]
	v_pk_fma_f32 v[36:37], v[40:41], v[36:37], v[58:59] op_sel_hi:[1,0,1]
	v_pk_add_f32 v[40:41], v[42:43], 0 op_sel_hi:[1,0]
	v_pk_fma_f32 v[42:43], v[22:23], v[6:7], v[4:5] neg_lo:[0,0,1] neg_hi:[0,0,1]
	v_pk_fma_f32 v[4:5], v[22:23], v[6:7], v[4:5] op_sel_hi:[1,0,1]
	v_pk_mul_f32 v[50:51], v[28:29], v[12:13] op_sel:[1,1] op_sel_hi:[0,1]
	v_mov_b32_e32 v43, v5
	v_mov_b32_e32 v52, v15
	;; [unrolled: 1-line block ×3, first 2 shown]
	v_pk_fma_f32 v[6:7], v[26:27], v[10:11], v[24:25] neg_lo:[0,0,1] neg_hi:[0,0,1]
	v_pk_fma_f32 v[8:9], v[26:27], v[10:11], v[24:25] op_sel_hi:[1,0,1]
	v_pk_add_f32 v[4:5], v[40:41], v[42:43]
	v_pk_fma_f32 v[44:45], v[28:29], v[12:13], v[50:51] neg_lo:[0,0,1] neg_hi:[0,0,1]
	v_pk_fma_f32 v[12:13], v[28:29], v[12:13], v[50:51] op_sel_hi:[1,0,1]
	v_pk_mul_f32 v[28:29], v[30:31], v[52:53] op_sel:[1,0] op_sel_hi:[0,0]
	v_mov_b32_e32 v7, v9
	v_pk_add_f32 v[4:5], v[4:5], v[20:21]
	v_pk_mul_f32 v[54:55], v[32:33], v[16:17] op_sel:[1,1] op_sel_hi:[0,1]
	v_mov_b32_e32 v56, v19
	v_mov_b32_e32 v45, v13
	v_pk_fma_f32 v[10:11], v[30:31], v[14:15], v[28:29] neg_lo:[0,0,1] neg_hi:[0,0,1]
	v_pk_fma_f32 v[12:13], v[30:31], v[14:15], v[28:29] op_sel_hi:[1,0,1]
	v_pk_add_f32 v[4:5], v[4:5], v[6:7]
	v_pk_fma_f32 v[46:47], v[32:33], v[16:17], v[54:55] neg_lo:[0,0,1] neg_hi:[0,0,1]
	v_pk_fma_f32 v[16:17], v[32:33], v[16:17], v[54:55] op_sel_hi:[1,0,1]
	v_pk_mul_f32 v[32:33], v[34:35], v[56:57] op_sel:[1,0] op_sel_hi:[0,0]
	v_mov_b32_e32 v11, v13
	v_pk_add_f32 v[4:5], v[4:5], v[44:45]
	v_mov_b32_e32 v47, v17
	v_pk_fma_f32 v[14:15], v[34:35], v[18:19], v[32:33] neg_lo:[0,0,1] neg_hi:[0,0,1]
	v_pk_fma_f32 v[16:17], v[34:35], v[18:19], v[32:33] op_sel_hi:[1,0,1]
	v_pk_add_f32 v[4:5], v[4:5], v[10:11]
	v_mov_b32_e32 v15, v17
	v_pk_add_f32 v[4:5], v[4:5], v[46:47]
	v_mov_b32_e32 v49, v37
	v_pk_add_f32 v[4:5], v[4:5], v[14:15]
	s_nop 0
	v_pk_add_f32 v[4:5], v[4:5], v[48:49]
	s_waitcnt vmcnt(0)
	v_pk_add_f32 v[4:5], v[38:39], v[4:5] neg_lo:[0,1] neg_hi:[0,1]
	scratch_store_dwordx2 off, v[4:5], off offset:280
	s_and_saveexec_b64 s[0:1], vcc
	s_cbranch_execz .LBB108_215
; %bb.214:
	scratch_load_dwordx2 v[4:5], off, off offset:272
	v_mov_b32_e32 v3, v2
	scratch_store_dwordx2 off, v[2:3], off offset:272
	s_waitcnt vmcnt(1)
	ds_write_b64 v1, v[4:5]
.LBB108_215:
	s_or_b64 exec, exec, s[0:1]
	s_waitcnt lgkmcnt(0)
	; wave barrier
	scratch_load_dwordx4 v[4:7], off, off offset:280
	scratch_load_dwordx4 v[8:11], off, off offset:296
	;; [unrolled: 1-line block ×5, first 2 shown]
	scratch_load_dwordx2 v[44:45], off, off offset:272
	ds_read2_b64 v[24:27], v2 offset0:81 offset1:82
	ds_read2_b64 v[28:31], v2 offset0:83 offset1:84
	;; [unrolled: 1-line block ×5, first 2 shown]
	v_cmp_lt_u32_e32 vcc, 33, v0
	s_waitcnt vmcnt(5) lgkmcnt(4)
	v_mul_f32_e32 v3, v24, v5
	v_mul_f32_e32 v2, v25, v5
	;; [unrolled: 1-line block ×4, first 2 shown]
	s_waitcnt vmcnt(4) lgkmcnt(3)
	v_pk_mul_f32 v[48:49], v[28:29], v[8:9] op_sel:[1,1] op_sel_hi:[0,1]
	v_mov_b32_e32 v50, v11
	v_fmac_f32_e32 v3, v25, v4
	v_fma_f32 v2, v24, v4, -v2
	v_fmac_f32_e32 v47, v27, v6
	v_fma_f32 v46, v26, v6, -v5
	v_pk_fma_f32 v[4:5], v[28:29], v[8:9], v[48:49] neg_lo:[0,0,1] neg_hi:[0,0,1]
	v_pk_fma_f32 v[6:7], v[28:29], v[8:9], v[48:49] op_sel_hi:[1,0,1]
	v_pk_mul_f32 v[8:9], v[30:31], v[50:51] op_sel:[1,0] op_sel_hi:[0,0]
	v_pk_add_f32 v[2:3], v[2:3], 0 op_sel_hi:[1,0]
	s_waitcnt vmcnt(3) lgkmcnt(2)
	v_pk_mul_f32 v[52:53], v[32:33], v[12:13] op_sel:[1,1] op_sel_hi:[0,1]
	v_mov_b32_e32 v54, v15
	v_mov_b32_e32 v5, v7
	v_pk_fma_f32 v[6:7], v[30:31], v[10:11], v[8:9] neg_lo:[0,0,1] neg_hi:[0,0,1]
	v_pk_fma_f32 v[8:9], v[30:31], v[10:11], v[8:9] op_sel_hi:[1,0,1]
	v_pk_add_f32 v[2:3], v[2:3], v[46:47]
	v_pk_fma_f32 v[24:25], v[32:33], v[12:13], v[52:53] neg_lo:[0,0,1] neg_hi:[0,0,1]
	v_pk_fma_f32 v[12:13], v[32:33], v[12:13], v[52:53] op_sel_hi:[1,0,1]
	v_pk_mul_f32 v[26:27], v[34:35], v[54:55] op_sel:[1,0] op_sel_hi:[0,0]
	v_mov_b32_e32 v7, v9
	v_pk_add_f32 v[2:3], v[2:3], v[4:5]
	s_waitcnt vmcnt(2) lgkmcnt(1)
	v_pk_mul_f32 v[56:57], v[36:37], v[16:17] op_sel:[1,1] op_sel_hi:[0,1]
	v_mov_b32_e32 v58, v19
	v_mov_b32_e32 v25, v13
	v_pk_fma_f32 v[10:11], v[34:35], v[14:15], v[26:27] neg_lo:[0,0,1] neg_hi:[0,0,1]
	v_pk_fma_f32 v[12:13], v[34:35], v[14:15], v[26:27] op_sel_hi:[1,0,1]
	v_pk_add_f32 v[2:3], v[2:3], v[6:7]
	v_pk_fma_f32 v[28:29], v[36:37], v[16:17], v[56:57] neg_lo:[0,0,1] neg_hi:[0,0,1]
	v_pk_fma_f32 v[16:17], v[36:37], v[16:17], v[56:57] op_sel_hi:[1,0,1]
	v_pk_mul_f32 v[32:33], v[38:39], v[58:59] op_sel:[1,0] op_sel_hi:[0,0]
	v_mov_b32_e32 v11, v13
	v_pk_add_f32 v[2:3], v[2:3], v[24:25]
	;; [unrolled: 12-line block ×3, first 2 shown]
	v_mov_b32_e32 v37, v21
	v_pk_fma_f32 v[18:19], v[42:43], v[22:23], v[40:41] neg_lo:[0,0,1] neg_hi:[0,0,1]
	v_pk_fma_f32 v[20:21], v[42:43], v[22:23], v[40:41] op_sel_hi:[1,0,1]
	v_pk_add_f32 v[2:3], v[2:3], v[14:15]
	v_mov_b32_e32 v19, v21
	v_pk_add_f32 v[2:3], v[2:3], v[36:37]
	s_nop 0
	v_pk_add_f32 v[2:3], v[2:3], v[18:19]
	s_waitcnt vmcnt(0)
	v_pk_add_f32 v[2:3], v[44:45], v[2:3] neg_lo:[0,1] neg_hi:[0,1]
	scratch_store_dwordx2 off, v[2:3], off offset:272
	s_and_saveexec_b64 s[0:1], vcc
	s_cbranch_execz .LBB108_217
; %bb.216:
	scratch_load_dwordx2 v[2:3], off, off offset:264
	v_mov_b32_e32 v4, 0
	v_mov_b32_e32 v5, v4
	scratch_store_dwordx2 off, v[4:5], off offset:264
	s_waitcnt vmcnt(1)
	ds_write_b64 v1, v[2:3]
.LBB108_217:
	s_or_b64 exec, exec, s[0:1]
	s_waitcnt lgkmcnt(0)
	; wave barrier
	scratch_load_dwordx4 v[4:7], off, off offset:272
	scratch_load_dwordx4 v[8:11], off, off offset:288
	;; [unrolled: 1-line block ×5, first 2 shown]
	scratch_load_dwordx2 v[44:45], off, off offset:352
	scratch_load_dwordx2 v[46:47], off, off offset:264
	v_mov_b32_e32 v2, 0
	ds_read_b128 v[24:27], v2 offset:640
	ds_read_b128 v[28:31], v2 offset:656
	;; [unrolled: 1-line block ×5, first 2 shown]
	ds_read_b64 v[48:49], v2 offset:720
	v_cmp_lt_u32_e32 vcc, 32, v0
	s_waitcnt vmcnt(6) lgkmcnt(5)
	v_mul_f32_e32 v3, v24, v5
	v_mul_f32_e32 v5, v25, v5
	;; [unrolled: 1-line block ×3, first 2 shown]
	s_waitcnt vmcnt(5) lgkmcnt(4)
	v_mul_f32_e32 v53, v28, v9
	v_mul_f32_e32 v7, v27, v7
	;; [unrolled: 1-line block ×3, first 2 shown]
	v_mov_b32_e32 v54, v11
	s_waitcnt vmcnt(3) lgkmcnt(2)
	v_pk_mul_f32 v[60:61], v[36:37], v[16:17] op_sel:[1,1] op_sel_hi:[0,1]
	s_waitcnt vmcnt(2) lgkmcnt(1)
	v_pk_mul_f32 v[64:65], v[40:41], v[20:21] op_sel:[1,1] op_sel_hi:[0,1]
	;; [unrolled: 2-line block ×3, first 2 shown]
	v_fmac_f32_e32 v3, v25, v4
	v_fma_f32 v55, v24, v4, -v5
	v_fmac_f32_e32 v51, v27, v6
	v_fmac_f32_e32 v53, v29, v8
	v_fma_f32 v50, v26, v6, -v7
	v_fma_f32 v52, v28, v8, -v9
	v_pk_mul_f32 v[4:5], v[30:31], v[54:55] op_sel:[1,0] op_sel_hi:[0,0]
	v_pk_fma_f32 v[24:25], v[36:37], v[16:17], v[60:61] neg_lo:[0,0,1] neg_hi:[0,0,1]
	v_pk_fma_f32 v[16:17], v[36:37], v[16:17], v[60:61] op_sel_hi:[1,0,1]
	v_pk_fma_f32 v[28:29], v[40:41], v[20:21], v[64:65] neg_lo:[0,0,1] neg_hi:[0,0,1]
	v_pk_fma_f32 v[20:21], v[40:41], v[20:21], v[64:65] op_sel_hi:[1,0,1]
	;; [unrolled: 2-line block ×3, first 2 shown]
	v_add_f32_e32 v45, 0, v3
	v_add_f32_e32 v44, 0, v55
	v_pk_mul_f32 v[56:57], v[32:33], v[12:13] op_sel:[1,1] op_sel_hi:[0,1]
	v_mov_b32_e32 v58, v15
	v_pk_fma_f32 v[48:49], v[30:31], v[10:11], v[4:5] neg_lo:[0,0,1] neg_hi:[0,0,1]
	v_pk_fma_f32 v[4:5], v[30:31], v[10:11], v[4:5] op_sel_hi:[1,0,1]
	v_mov_b32_e32 v29, v21
	v_pk_add_f32 v[20:21], v[44:45], v[50:51]
	v_pk_fma_f32 v[6:7], v[32:33], v[12:13], v[56:57] neg_lo:[0,0,1] neg_hi:[0,0,1]
	v_pk_fma_f32 v[8:9], v[32:33], v[12:13], v[56:57] op_sel_hi:[1,0,1]
	v_pk_mul_f32 v[12:13], v[34:35], v[58:59] op_sel:[1,0] op_sel_hi:[0,0]
	v_mov_b32_e32 v49, v5
	v_pk_add_f32 v[4:5], v[20:21], v[52:53]
	v_mov_b32_e32 v62, v19
	v_mov_b32_e32 v7, v9
	v_pk_fma_f32 v[8:9], v[34:35], v[14:15], v[12:13] neg_lo:[0,0,1] neg_hi:[0,0,1]
	v_pk_fma_f32 v[10:11], v[34:35], v[14:15], v[12:13] op_sel_hi:[1,0,1]
	v_pk_add_f32 v[4:5], v[4:5], v[48:49]
	v_pk_mul_f32 v[26:27], v[38:39], v[62:63] op_sel:[1,0] op_sel_hi:[0,0]
	v_mov_b32_e32 v9, v11
	v_pk_add_f32 v[4:5], v[4:5], v[6:7]
	v_mov_b32_e32 v66, v23
	v_mov_b32_e32 v25, v17
	v_pk_fma_f32 v[12:13], v[38:39], v[18:19], v[26:27] neg_lo:[0,0,1] neg_hi:[0,0,1]
	v_pk_fma_f32 v[14:15], v[38:39], v[18:19], v[26:27] op_sel_hi:[1,0,1]
	v_pk_add_f32 v[4:5], v[4:5], v[8:9]
	v_pk_mul_f32 v[32:33], v[42:43], v[66:67] op_sel:[1,0] op_sel_hi:[0,0]
	v_mov_b32_e32 v13, v15
	v_pk_add_f32 v[4:5], v[4:5], v[24:25]
	v_pk_fma_f32 v[16:17], v[42:43], v[22:23], v[32:33] neg_lo:[0,0,1] neg_hi:[0,0,1]
	v_pk_fma_f32 v[18:19], v[42:43], v[22:23], v[32:33] op_sel_hi:[1,0,1]
	v_pk_add_f32 v[4:5], v[4:5], v[12:13]
	v_mov_b32_e32 v17, v19
	v_pk_add_f32 v[4:5], v[4:5], v[28:29]
	v_mov_b32_e32 v37, v41
	v_pk_add_f32 v[4:5], v[4:5], v[16:17]
	s_nop 0
	v_pk_add_f32 v[4:5], v[4:5], v[36:37]
	s_waitcnt vmcnt(0)
	v_pk_add_f32 v[4:5], v[46:47], v[4:5] neg_lo:[0,1] neg_hi:[0,1]
	scratch_store_dwordx2 off, v[4:5], off offset:264
	s_and_saveexec_b64 s[0:1], vcc
	s_cbranch_execz .LBB108_219
; %bb.218:
	scratch_load_dwordx2 v[4:5], off, off offset:256
	v_mov_b32_e32 v3, v2
	scratch_store_dwordx2 off, v[2:3], off offset:256
	s_waitcnt vmcnt(1)
	ds_write_b64 v1, v[4:5]
.LBB108_219:
	s_or_b64 exec, exec, s[0:1]
	s_waitcnt lgkmcnt(0)
	; wave barrier
	scratch_load_dwordx4 v[4:7], off, off offset:264
	scratch_load_dwordx4 v[8:11], off, off offset:280
	;; [unrolled: 1-line block ×6, first 2 shown]
	scratch_load_dwordx2 v[52:53], off, off offset:256
	ds_read2_b64 v[28:31], v2 offset0:79 offset1:80
	ds_read2_b64 v[32:35], v2 offset0:81 offset1:82
	;; [unrolled: 1-line block ×6, first 2 shown]
	v_cmp_lt_u32_e32 vcc, 31, v0
	s_waitcnt vmcnt(6) lgkmcnt(5)
	v_mul_f32_e32 v59, v28, v5
	v_mul_f32_e32 v63, v30, v7
	s_waitcnt vmcnt(5) lgkmcnt(4)
	v_mul_f32_e32 v3, v32, v9
	v_mul_f32_e32 v2, v29, v5
	;; [unrolled: 1-line block ×4, first 2 shown]
	s_waitcnt vmcnt(1) lgkmcnt(0)
	v_pk_mul_f32 v[68:69], v[48:49], v[24:25] op_sel:[1,1] op_sel_hi:[0,1]
	v_pk_mul_f32 v[56:57], v[36:37], v[12:13] op_sel:[1,1] op_sel_hi:[0,1]
	v_fmac_f32_e32 v59, v29, v4
	v_fmac_f32_e32 v3, v33, v8
	v_fma_f32 v67, v28, v4, -v2
	v_fma_f32 v2, v32, v8, -v7
	v_pk_fma_f32 v[32:33], v[48:49], v[24:25], v[68:69] neg_lo:[0,0,1] neg_hi:[0,0,1]
	v_pk_fma_f32 v[24:25], v[48:49], v[24:25], v[68:69] op_sel_hi:[1,0,1]
	v_fmac_f32_e32 v63, v31, v6
	v_fma_f32 v71, v30, v6, -v5
	v_pk_fma_f32 v[4:5], v[36:37], v[12:13], v[56:57] neg_lo:[0,0,1] neg_hi:[0,0,1]
	v_pk_fma_f32 v[6:7], v[36:37], v[12:13], v[56:57] op_sel_hi:[1,0,1]
	v_add_f32_e32 v24, 0, v59
	v_add_f32_e32 v36, 0, v67
	v_mul_f32_e32 v55, v34, v11
	v_mul_f32_e32 v9, v35, v11
	v_mov_b32_e32 v58, v15
	v_mov_b32_e32 v33, v25
	v_add_f32_e32 v25, v24, v63
	v_add_f32_e32 v24, v36, v71
	v_fmac_f32_e32 v55, v35, v10
	v_fma_f32 v54, v34, v10, -v9
	v_pk_mul_f32 v[8:9], v[38:39], v[58:59] op_sel:[1,0] op_sel_hi:[0,0]
	v_pk_add_f32 v[2:3], v[24:25], v[2:3]
	v_pk_mul_f32 v[60:61], v[40:41], v[16:17] op_sel:[1,1] op_sel_hi:[0,1]
	v_mov_b32_e32 v62, v19
	v_mov_b32_e32 v5, v7
	v_pk_fma_f32 v[6:7], v[38:39], v[14:15], v[8:9] neg_lo:[0,0,1] neg_hi:[0,0,1]
	v_pk_fma_f32 v[8:9], v[38:39], v[14:15], v[8:9] op_sel_hi:[1,0,1]
	v_pk_add_f32 v[2:3], v[2:3], v[54:55]
	v_pk_fma_f32 v[10:11], v[40:41], v[16:17], v[60:61] neg_lo:[0,0,1] neg_hi:[0,0,1]
	v_pk_fma_f32 v[12:13], v[40:41], v[16:17], v[60:61] op_sel_hi:[1,0,1]
	v_pk_mul_f32 v[16:17], v[42:43], v[62:63] op_sel:[1,0] op_sel_hi:[0,0]
	v_mov_b32_e32 v7, v9
	v_pk_add_f32 v[2:3], v[2:3], v[4:5]
	v_pk_mul_f32 v[64:65], v[44:45], v[20:21] op_sel:[1,1] op_sel_hi:[0,1]
	v_mov_b32_e32 v66, v23
	v_mov_b32_e32 v11, v13
	v_pk_fma_f32 v[12:13], v[42:43], v[18:19], v[16:17] neg_lo:[0,0,1] neg_hi:[0,0,1]
	v_pk_fma_f32 v[14:15], v[42:43], v[18:19], v[16:17] op_sel_hi:[1,0,1]
	v_pk_add_f32 v[2:3], v[2:3], v[6:7]
	v_pk_fma_f32 v[28:29], v[44:45], v[20:21], v[64:65] neg_lo:[0,0,1] neg_hi:[0,0,1]
	v_pk_fma_f32 v[20:21], v[44:45], v[20:21], v[64:65] op_sel_hi:[1,0,1]
	v_pk_mul_f32 v[30:31], v[46:47], v[66:67] op_sel:[1,0] op_sel_hi:[0,0]
	v_mov_b32_e32 v13, v15
	v_pk_add_f32 v[2:3], v[2:3], v[10:11]
	v_mov_b32_e32 v70, v27
	v_mov_b32_e32 v29, v21
	v_pk_fma_f32 v[16:17], v[46:47], v[22:23], v[30:31] neg_lo:[0,0,1] neg_hi:[0,0,1]
	v_pk_fma_f32 v[18:19], v[46:47], v[22:23], v[30:31] op_sel_hi:[1,0,1]
	v_pk_add_f32 v[2:3], v[2:3], v[12:13]
	v_pk_mul_f32 v[34:35], v[50:51], v[70:71] op_sel:[1,0] op_sel_hi:[0,0]
	v_mov_b32_e32 v17, v19
	v_pk_add_f32 v[2:3], v[2:3], v[28:29]
	v_pk_fma_f32 v[20:21], v[50:51], v[26:27], v[34:35] neg_lo:[0,0,1] neg_hi:[0,0,1]
	v_pk_fma_f32 v[22:23], v[50:51], v[26:27], v[34:35] op_sel_hi:[1,0,1]
	v_pk_add_f32 v[2:3], v[2:3], v[16:17]
	v_mov_b32_e32 v21, v23
	v_pk_add_f32 v[2:3], v[2:3], v[32:33]
	s_nop 0
	v_pk_add_f32 v[2:3], v[2:3], v[20:21]
	s_waitcnt vmcnt(0)
	v_pk_add_f32 v[2:3], v[52:53], v[2:3] neg_lo:[0,1] neg_hi:[0,1]
	scratch_store_dwordx2 off, v[2:3], off offset:256
	s_and_saveexec_b64 s[0:1], vcc
	s_cbranch_execz .LBB108_221
; %bb.220:
	scratch_load_dwordx2 v[2:3], off, off offset:248
	v_mov_b32_e32 v4, 0
	v_mov_b32_e32 v5, v4
	scratch_store_dwordx2 off, v[4:5], off offset:248
	s_waitcnt vmcnt(1)
	ds_write_b64 v1, v[2:3]
.LBB108_221:
	s_or_b64 exec, exec, s[0:1]
	s_waitcnt lgkmcnt(0)
	; wave barrier
	scratch_load_dwordx4 v[4:7], off, off offset:256
	scratch_load_dwordx4 v[8:11], off, off offset:272
	;; [unrolled: 1-line block ×6, first 2 shown]
	scratch_load_dwordx2 v[52:53], off, off offset:352
	scratch_load_dwordx2 v[54:55], off, off offset:248
	v_mov_b32_e32 v2, 0
	ds_read_b128 v[28:31], v2 offset:624
	ds_read_b128 v[32:35], v2 offset:640
	;; [unrolled: 1-line block ×6, first 2 shown]
	ds_read_b64 v[56:57], v2 offset:720
	v_cmp_lt_u32_e32 vcc, 30, v0
	s_waitcnt vmcnt(7) lgkmcnt(6)
	v_mul_f32_e32 v63, v30, v7
	v_mul_f32_e32 v3, v28, v5
	s_waitcnt vmcnt(5) lgkmcnt(4)
	v_mul_f32_e32 v61, v36, v13
	v_mul_f32_e32 v5, v29, v5
	v_mov_b32_e32 v62, v15
	s_waitcnt vmcnt(2) lgkmcnt(1)
	v_pk_mul_f32 v[72:73], v[48:49], v[24:25] op_sel:[1,1] op_sel_hi:[0,1]
	v_fmac_f32_e32 v63, v31, v6
	v_mul_f32_e32 v7, v31, v7
	v_mul_f32_e32 v13, v37, v13
	v_fmac_f32_e32 v3, v29, v4
	v_fmac_f32_e32 v61, v37, v12
	v_fma_f32 v37, v28, v4, -v5
	v_pk_mul_f32 v[4:5], v[38:39], v[62:63] op_sel:[1,0] op_sel_hi:[0,0]
	v_pk_fma_f32 v[28:29], v[48:49], v[24:25], v[72:73] neg_lo:[0,0,1] neg_hi:[0,0,1]
	v_pk_fma_f32 v[24:25], v[48:49], v[24:25], v[72:73] op_sel_hi:[1,0,1]
	v_mul_f32_e32 v67, v32, v9
	v_mul_f32_e32 v9, v33, v9
	v_fma_f32 v71, v30, v6, -v7
	v_fma_f32 v60, v36, v12, -v13
	v_add_f32_e32 v3, 0, v3
	v_add_f32_e32 v24, 0, v37
	v_pk_fma_f32 v[36:37], v[38:39], v[14:15], v[4:5] neg_lo:[0,0,1] neg_hi:[0,0,1]
	v_pk_fma_f32 v[4:5], v[38:39], v[14:15], v[4:5] op_sel_hi:[1,0,1]
	v_mul_f32_e32 v59, v34, v11
	v_mul_f32_e32 v11, v35, v11
	v_fmac_f32_e32 v67, v33, v8
	v_fma_f32 v75, v32, v8, -v9
	v_add_f32_e32 v3, v3, v63
	v_add_f32_e32 v4, v24, v71
	v_fmac_f32_e32 v59, v35, v10
	v_fma_f32 v58, v34, v10, -v11
	v_mov_b32_e32 v37, v5
	v_add_f32_e32 v5, v3, v67
	v_add_f32_e32 v4, v4, v75
	v_pk_mul_f32 v[64:65], v[40:41], v[16:17] op_sel:[1,1] op_sel_hi:[0,1]
	v_mov_b32_e32 v66, v19
	v_pk_add_f32 v[4:5], v[4:5], v[58:59]
	v_pk_fma_f32 v[6:7], v[40:41], v[16:17], v[64:65] neg_lo:[0,0,1] neg_hi:[0,0,1]
	v_pk_fma_f32 v[8:9], v[40:41], v[16:17], v[64:65] op_sel_hi:[1,0,1]
	v_pk_mul_f32 v[10:11], v[42:43], v[66:67] op_sel:[1,0] op_sel_hi:[0,0]
	v_pk_add_f32 v[4:5], v[4:5], v[60:61]
	v_pk_mul_f32 v[68:69], v[44:45], v[20:21] op_sel:[1,1] op_sel_hi:[0,1]
	v_mov_b32_e32 v70, v23
	v_mov_b32_e32 v7, v9
	v_pk_fma_f32 v[8:9], v[42:43], v[18:19], v[10:11] neg_lo:[0,0,1] neg_hi:[0,0,1]
	v_pk_fma_f32 v[10:11], v[42:43], v[18:19], v[10:11] op_sel_hi:[1,0,1]
	v_pk_add_f32 v[4:5], v[4:5], v[36:37]
	v_pk_fma_f32 v[12:13], v[44:45], v[20:21], v[68:69] neg_lo:[0,0,1] neg_hi:[0,0,1]
	v_pk_fma_f32 v[16:17], v[44:45], v[20:21], v[68:69] op_sel_hi:[1,0,1]
	v_pk_mul_f32 v[20:21], v[46:47], v[70:71] op_sel:[1,0] op_sel_hi:[0,0]
	v_mov_b32_e32 v9, v11
	v_pk_add_f32 v[4:5], v[4:5], v[6:7]
	v_mov_b32_e32 v74, v27
	v_mov_b32_e32 v13, v17
	v_pk_fma_f32 v[14:15], v[46:47], v[22:23], v[20:21] neg_lo:[0,0,1] neg_hi:[0,0,1]
	v_pk_fma_f32 v[16:17], v[46:47], v[22:23], v[20:21] op_sel_hi:[1,0,1]
	v_pk_add_f32 v[4:5], v[4:5], v[8:9]
	v_pk_mul_f32 v[30:31], v[50:51], v[74:75] op_sel:[1,0] op_sel_hi:[0,0]
	v_mov_b32_e32 v15, v17
	v_pk_add_f32 v[4:5], v[4:5], v[12:13]
	s_waitcnt vmcnt(1) lgkmcnt(0)
	v_pk_mul_f32 v[76:77], v[56:57], v[52:53] op_sel:[1,1] op_sel_hi:[0,1]
	v_mov_b32_e32 v29, v25
	v_pk_fma_f32 v[18:19], v[50:51], v[26:27], v[30:31] neg_lo:[0,0,1] neg_hi:[0,0,1]
	v_pk_fma_f32 v[20:21], v[50:51], v[26:27], v[30:31] op_sel_hi:[1,0,1]
	v_pk_add_f32 v[4:5], v[4:5], v[14:15]
	v_pk_fma_f32 v[32:33], v[56:57], v[52:53], v[76:77] neg_lo:[0,0,1] neg_hi:[0,0,1]
	v_pk_fma_f32 v[34:35], v[56:57], v[52:53], v[76:77] op_sel_hi:[1,0,1]
	v_mov_b32_e32 v19, v21
	v_pk_add_f32 v[4:5], v[4:5], v[28:29]
	v_mov_b32_e32 v33, v35
	v_pk_add_f32 v[4:5], v[4:5], v[18:19]
	s_nop 0
	v_pk_add_f32 v[4:5], v[4:5], v[32:33]
	s_waitcnt vmcnt(0)
	v_pk_add_f32 v[4:5], v[54:55], v[4:5] neg_lo:[0,1] neg_hi:[0,1]
	scratch_store_dwordx2 off, v[4:5], off offset:248
	s_and_saveexec_b64 s[0:1], vcc
	s_cbranch_execz .LBB108_223
; %bb.222:
	scratch_load_dwordx2 v[4:5], off, off offset:240
	v_mov_b32_e32 v3, v2
	scratch_store_dwordx2 off, v[2:3], off offset:240
	s_waitcnt vmcnt(1)
	ds_write_b64 v1, v[4:5]
.LBB108_223:
	s_or_b64 exec, exec, s[0:1]
	s_waitcnt lgkmcnt(0)
	; wave barrier
	scratch_load_dwordx4 v[4:7], off, off offset:248
	scratch_load_dwordx4 v[8:11], off, off offset:264
	;; [unrolled: 1-line block ×7, first 2 shown]
	ds_read2_b64 v[32:35], v2 offset0:77 offset1:78
	ds_read2_b64 v[36:39], v2 offset0:79 offset1:80
	;; [unrolled: 1-line block ×6, first 2 shown]
	scratch_load_dwordx2 v[60:61], off, off offset:240
	ds_read2_b64 v[56:59], v2 offset0:89 offset1:90
	v_cmp_lt_u32_e32 vcc, 29, v0
	s_waitcnt vmcnt(7) lgkmcnt(6)
	v_mul_f32_e32 v67, v32, v5
	v_mul_f32_e32 v71, v34, v7
	s_waitcnt vmcnt(6) lgkmcnt(5)
	v_mul_f32_e32 v75, v36, v9
	v_mul_f32_e32 v79, v38, v11
	;; [unrolled: 3-line block ×3, first 2 shown]
	v_mul_f32_e32 v2, v33, v5
	v_mul_f32_e32 v5, v35, v7
	;; [unrolled: 1-line block ×6, first 2 shown]
	s_waitcnt vmcnt(4) lgkmcnt(3)
	v_pk_mul_f32 v[64:65], v[44:45], v[16:17] op_sel:[1,1] op_sel_hi:[0,1]
	v_mov_b32_e32 v66, v19
	s_waitcnt vmcnt(3) lgkmcnt(2)
	v_pk_mul_f32 v[68:69], v[48:49], v[20:21] op_sel:[1,1] op_sel_hi:[0,1]
	v_mov_b32_e32 v70, v23
	s_waitcnt vmcnt(1) lgkmcnt(0)
	v_pk_mul_f32 v[76:77], v[56:57], v[28:29] op_sel:[1,1] op_sel_hi:[0,1]
	v_fmac_f32_e32 v67, v33, v4
	v_fmac_f32_e32 v71, v35, v6
	;; [unrolled: 1-line block ×6, first 2 shown]
	v_fma_f32 v37, v32, v4, -v2
	v_fma_f32 v39, v34, v6, -v5
	;; [unrolled: 1-line block ×6, first 2 shown]
	v_pk_fma_f32 v[4:5], v[44:45], v[16:17], v[64:65] neg_lo:[0,0,1] neg_hi:[0,0,1]
	v_pk_fma_f32 v[6:7], v[44:45], v[16:17], v[64:65] op_sel_hi:[1,0,1]
	v_pk_mul_f32 v[8:9], v[46:47], v[66:67] op_sel:[1,0] op_sel_hi:[0,0]
	v_pk_fma_f32 v[10:11], v[48:49], v[20:21], v[68:69] neg_lo:[0,0,1] neg_hi:[0,0,1]
	v_pk_fma_f32 v[12:13], v[48:49], v[20:21], v[68:69] op_sel_hi:[1,0,1]
	v_pk_mul_f32 v[14:15], v[50:51], v[70:71] op_sel:[1,0] op_sel_hi:[0,0]
	v_pk_fma_f32 v[32:33], v[56:57], v[28:29], v[76:77] neg_lo:[0,0,1] neg_hi:[0,0,1]
	v_pk_fma_f32 v[28:29], v[56:57], v[28:29], v[76:77] op_sel_hi:[1,0,1]
	v_add_f32_e32 v37, 0, v37
	v_add_f32_e32 v28, 0, v67
	v_mov_b32_e32 v5, v7
	v_pk_fma_f32 v[6:7], v[46:47], v[18:19], v[8:9] neg_lo:[0,0,1] neg_hi:[0,0,1]
	v_pk_fma_f32 v[8:9], v[46:47], v[18:19], v[8:9] op_sel_hi:[1,0,1]
	v_mov_b32_e32 v11, v13
	v_pk_fma_f32 v[12:13], v[50:51], v[22:23], v[14:15] neg_lo:[0,0,1] neg_hi:[0,0,1]
	v_pk_fma_f32 v[14:15], v[50:51], v[22:23], v[14:15] op_sel_hi:[1,0,1]
	v_add_f32_e32 v8, v28, v71
	v_add_f32_e32 v14, v37, v39
	;; [unrolled: 1-line block ×4, first 2 shown]
	v_mov_b32_e32 v7, v9
	v_add_f32_e32 v9, v8, v79
	v_add_f32_e32 v8, v14, v38
	v_pk_add_f32 v[2:3], v[8:9], v[2:3]
	v_pk_mul_f32 v[72:73], v[52:53], v[24:25] op_sel:[1,1] op_sel_hi:[0,1]
	v_pk_add_f32 v[2:3], v[2:3], v[62:63]
	v_mov_b32_e32 v74, v27
	v_pk_add_f32 v[2:3], v[2:3], v[4:5]
	v_pk_fma_f32 v[16:17], v[52:53], v[24:25], v[72:73] neg_lo:[0,0,1] neg_hi:[0,0,1]
	v_pk_add_f32 v[2:3], v[2:3], v[6:7]
	v_pk_fma_f32 v[20:21], v[52:53], v[24:25], v[72:73] op_sel_hi:[1,0,1]
	v_pk_mul_f32 v[24:25], v[54:55], v[74:75] op_sel:[1,0] op_sel_hi:[0,0]
	v_mov_b32_e32 v13, v15
	v_pk_add_f32 v[2:3], v[2:3], v[10:11]
	v_mov_b32_e32 v78, v31
	v_mov_b32_e32 v17, v21
	v_pk_fma_f32 v[18:19], v[54:55], v[26:27], v[24:25] neg_lo:[0,0,1] neg_hi:[0,0,1]
	v_pk_fma_f32 v[20:21], v[54:55], v[26:27], v[24:25] op_sel_hi:[1,0,1]
	v_pk_add_f32 v[2:3], v[2:3], v[12:13]
	v_pk_mul_f32 v[34:35], v[58:59], v[78:79] op_sel:[1,0] op_sel_hi:[0,0]
	v_mov_b32_e32 v19, v21
	v_pk_add_f32 v[2:3], v[2:3], v[16:17]
	v_mov_b32_e32 v33, v29
	v_pk_fma_f32 v[22:23], v[58:59], v[30:31], v[34:35] neg_lo:[0,0,1] neg_hi:[0,0,1]
	v_pk_fma_f32 v[24:25], v[58:59], v[30:31], v[34:35] op_sel_hi:[1,0,1]
	v_pk_add_f32 v[2:3], v[2:3], v[18:19]
	v_mov_b32_e32 v23, v25
	v_pk_add_f32 v[2:3], v[2:3], v[32:33]
	s_nop 0
	v_pk_add_f32 v[2:3], v[2:3], v[22:23]
	s_waitcnt vmcnt(0)
	v_pk_add_f32 v[2:3], v[60:61], v[2:3] neg_lo:[0,1] neg_hi:[0,1]
	scratch_store_dwordx2 off, v[2:3], off offset:240
	s_and_saveexec_b64 s[0:1], vcc
	s_cbranch_execz .LBB108_225
; %bb.224:
	scratch_load_dwordx2 v[2:3], off, off offset:232
	v_mov_b32_e32 v4, 0
	v_mov_b32_e32 v5, v4
	scratch_store_dwordx2 off, v[4:5], off offset:232
	s_waitcnt vmcnt(1)
	ds_write_b64 v1, v[2:3]
.LBB108_225:
	s_or_b64 exec, exec, s[0:1]
	v_mov_b32_e32 v2, 0
	s_waitcnt lgkmcnt(0)
	; wave barrier
	ds_read_b128 v[4:7], v2 offset:608
	ds_read_b128 v[8:11], v2 offset:624
	;; [unrolled: 1-line block ×4, first 2 shown]
	scratch_load_dwordx4 v[20:23], off, off offset:240
	v_cmp_lt_u32_e32 vcc, 28, v0
	s_waitcnt vmcnt(0) lgkmcnt(3)
	v_mul_f32_e32 v3, v4, v21
	v_fmac_f32_e32 v3, v5, v20
	v_mul_f32_e32 v24, v6, v23
	v_add_f32_e32 v3, 0, v3
	v_fmac_f32_e32 v24, v7, v22
	v_add_f32_e32 v3, v3, v24
	scratch_load_dwordx4 v[24:27], off, off offset:256
	s_waitcnt vmcnt(0) lgkmcnt(2)
	v_mul_f32_e32 v28, v8, v25
	v_fmac_f32_e32 v28, v9, v24
	v_add_f32_e32 v3, v3, v28
	v_mul_f32_e32 v28, v10, v27
	v_fmac_f32_e32 v28, v11, v26
	v_add_f32_e32 v3, v3, v28
	scratch_load_dwordx4 v[28:31], off, off offset:272
	s_waitcnt vmcnt(0) lgkmcnt(1)
	v_mul_f32_e32 v32, v12, v29
	v_fmac_f32_e32 v32, v13, v28
	v_add_f32_e32 v49, v3, v32
	scratch_load_dwordx4 v[32:35], off, off offset:288
	scratch_load_dwordx4 v[36:39], off, off offset:304
	;; [unrolled: 1-line block ×4, first 2 shown]
	scratch_load_dwordx2 v[54:55], off, off offset:352
	v_mul_f32_e32 v3, v5, v21
	v_fma_f32 v3, v4, v20, -v3
	v_mul_f32_e32 v4, v7, v23
	v_add_f32_e32 v3, 0, v3
	v_fma_f32 v4, v6, v22, -v4
	v_add_f32_e32 v3, v3, v4
	v_mul_f32_e32 v4, v9, v25
	v_fma_f32 v4, v8, v24, -v4
	v_add_f32_e32 v3, v3, v4
	v_mul_f32_e32 v4, v11, v27
	;; [unrolled: 3-line block ×3, first 2 shown]
	v_fma_f32 v4, v12, v28, -v4
	v_mul_f32_e32 v51, v14, v31
	v_add_f32_e32 v48, v3, v4
	v_mul_f32_e32 v3, v15, v31
	v_fmac_f32_e32 v51, v15, v30
	v_fma_f32 v50, v14, v30, -v3
	v_pk_add_f32 v[20:21], v[48:49], v[50:51]
	s_waitcnt vmcnt(4)
	v_mov_b32_e32 v22, v35
	s_waitcnt lgkmcnt(0)
	v_mul_f32_e32 v53, v16, v33
	v_mul_f32_e32 v3, v17, v33
	v_pk_mul_f32 v[22:23], v[18:19], v[22:23] op_sel:[1,0] op_sel_hi:[0,0]
	v_fmac_f32_e32 v53, v17, v32
	v_fma_f32 v52, v16, v32, -v3
	ds_read_b128 v[4:7], v2 offset:672
	ds_read_b128 v[8:11], v2 offset:688
	;; [unrolled: 1-line block ×3, first 2 shown]
	ds_read_b64 v[16:17], v2 offset:720
	v_pk_fma_f32 v[24:25], v[18:19], v[34:35], v[22:23] neg_lo:[0,0,1] neg_hi:[0,0,1]
	v_pk_fma_f32 v[18:19], v[18:19], v[34:35], v[22:23] op_sel_hi:[1,0,1]
	v_pk_add_f32 v[20:21], v[20:21], v[52:53]
	v_mov_b32_e32 v25, v19
	v_pk_add_f32 v[18:19], v[20:21], v[24:25]
	s_waitcnt vmcnt(3) lgkmcnt(3)
	v_pk_mul_f32 v[20:21], v[4:5], v[36:37] op_sel:[1,1] op_sel_hi:[0,1]
	v_pk_fma_f32 v[22:23], v[4:5], v[36:37], v[20:21] neg_lo:[0,0,1] neg_hi:[0,0,1]
	v_pk_fma_f32 v[4:5], v[4:5], v[36:37], v[20:21] op_sel_hi:[1,0,1]
	s_nop 0
	v_mov_b32_e32 v23, v5
	v_pk_add_f32 v[4:5], v[18:19], v[22:23]
	v_mov_b32_e32 v18, v39
	v_pk_mul_f32 v[18:19], v[6:7], v[18:19] op_sel:[1,0] op_sel_hi:[0,0]
	v_pk_fma_f32 v[20:21], v[6:7], v[38:39], v[18:19] neg_lo:[0,0,1] neg_hi:[0,0,1]
	v_pk_fma_f32 v[6:7], v[6:7], v[38:39], v[18:19] op_sel_hi:[1,0,1]
	s_nop 0
	v_mov_b32_e32 v21, v7
	s_waitcnt vmcnt(2) lgkmcnt(2)
	v_pk_mul_f32 v[6:7], v[8:9], v[40:41] op_sel:[1,1] op_sel_hi:[0,1]
	v_pk_fma_f32 v[18:19], v[8:9], v[40:41], v[6:7] neg_lo:[0,0,1] neg_hi:[0,0,1]
	v_pk_fma_f32 v[6:7], v[8:9], v[40:41], v[6:7] op_sel_hi:[1,0,1]
	v_pk_add_f32 v[4:5], v[4:5], v[20:21]
	v_mov_b32_e32 v6, v43
	v_mov_b32_e32 v19, v7
	v_pk_mul_f32 v[6:7], v[10:11], v[6:7] op_sel:[1,0] op_sel_hi:[0,0]
	v_pk_fma_f32 v[8:9], v[10:11], v[42:43], v[6:7] neg_lo:[0,0,1] neg_hi:[0,0,1]
	v_pk_fma_f32 v[6:7], v[10:11], v[42:43], v[6:7] op_sel_hi:[1,0,1]
	v_pk_add_f32 v[4:5], v[4:5], v[18:19]
	v_mov_b32_e32 v9, v7
	s_waitcnt vmcnt(1) lgkmcnt(1)
	v_pk_mul_f32 v[6:7], v[12:13], v[44:45] op_sel:[1,1] op_sel_hi:[0,1]
	v_pk_add_f32 v[4:5], v[4:5], v[8:9]
	v_pk_fma_f32 v[8:9], v[12:13], v[44:45], v[6:7] neg_lo:[0,0,1] neg_hi:[0,0,1]
	v_pk_fma_f32 v[6:7], v[12:13], v[44:45], v[6:7] op_sel_hi:[1,0,1]
	s_nop 0
	v_mov_b32_e32 v6, v47
	v_mov_b32_e32 v9, v7
	v_pk_mul_f32 v[6:7], v[14:15], v[6:7] op_sel:[1,0] op_sel_hi:[0,0]
	v_pk_add_f32 v[4:5], v[4:5], v[8:9]
	v_pk_fma_f32 v[8:9], v[14:15], v[46:47], v[6:7] neg_lo:[0,0,1] neg_hi:[0,0,1]
	v_pk_fma_f32 v[6:7], v[14:15], v[46:47], v[6:7] op_sel_hi:[1,0,1]
	s_nop 0
	v_mov_b32_e32 v9, v7
	s_waitcnt vmcnt(0) lgkmcnt(0)
	v_pk_mul_f32 v[6:7], v[16:17], v[54:55] op_sel:[1,1] op_sel_hi:[0,1]
	v_pk_add_f32 v[4:5], v[4:5], v[8:9]
	v_pk_fma_f32 v[8:9], v[16:17], v[54:55], v[6:7] neg_lo:[0,0,1] neg_hi:[0,0,1]
	v_pk_fma_f32 v[6:7], v[16:17], v[54:55], v[6:7] op_sel_hi:[1,0,1]
	s_nop 0
	v_mov_b32_e32 v9, v7
	scratch_load_dwordx2 v[6:7], off, off offset:232
	v_pk_add_f32 v[4:5], v[4:5], v[8:9]
	s_waitcnt vmcnt(0)
	v_pk_add_f32 v[4:5], v[6:7], v[4:5] neg_lo:[0,1] neg_hi:[0,1]
	scratch_store_dwordx2 off, v[4:5], off offset:232
	s_and_saveexec_b64 s[0:1], vcc
	s_cbranch_execz .LBB108_227
; %bb.226:
	scratch_load_dwordx2 v[4:5], off, off offset:224
	v_mov_b32_e32 v3, v2
	scratch_store_dwordx2 off, v[2:3], off offset:224
	s_waitcnt vmcnt(1)
	ds_write_b64 v1, v[4:5]
.LBB108_227:
	s_or_b64 exec, exec, s[0:1]
	s_waitcnt lgkmcnt(0)
	; wave barrier
	scratch_load_dwordx4 v[8:11], off, off offset:232
	scratch_load_dwordx4 v[16:19], off, off offset:248
	;; [unrolled: 1-line block ×4, first 2 shown]
	ds_read2_b64 v[4:7], v2 offset0:75 offset1:76
	v_cmp_lt_u32_e32 vcc, 27, v0
	s_waitcnt vmcnt(3) lgkmcnt(0)
	v_mul_f32_e32 v3, v4, v9
	v_fmac_f32_e32 v3, v5, v8
	v_mul_f32_e32 v12, v6, v11
	v_add_f32_e32 v3, 0, v3
	v_fmac_f32_e32 v12, v7, v10
	v_add_f32_e32 v3, v3, v12
	ds_read2_b64 v[12:15], v2 offset0:77 offset1:78
	s_waitcnt vmcnt(2) lgkmcnt(0)
	v_mul_f32_e32 v20, v12, v17
	v_fmac_f32_e32 v20, v13, v16
	v_add_f32_e32 v3, v3, v20
	v_mul_f32_e32 v20, v14, v19
	v_fmac_f32_e32 v20, v15, v18
	v_add_f32_e32 v3, v3, v20
	ds_read2_b64 v[20:23], v2 offset0:79 offset1:80
	s_waitcnt vmcnt(1) lgkmcnt(0)
	v_mul_f32_e32 v28, v20, v25
	v_fmac_f32_e32 v28, v21, v24
	v_add_f32_e32 v3, v3, v28
	v_mul_f32_e32 v28, v22, v27
	v_fmac_f32_e32 v28, v23, v26
	v_add_f32_e32 v53, v3, v28
	ds_read2_b64 v[28:31], v2 offset0:81 offset1:82
	scratch_load_dwordx4 v[36:39], off, off offset:296
	scratch_load_dwordx4 v[40:43], off, off offset:312
	;; [unrolled: 1-line block ×4, first 2 shown]
	v_mul_f32_e32 v3, v5, v9
	v_fma_f32 v3, v4, v8, -v3
	v_mul_f32_e32 v4, v7, v11
	v_add_f32_e32 v3, 0, v3
	v_fma_f32 v4, v6, v10, -v4
	v_add_f32_e32 v3, v3, v4
	v_mul_f32_e32 v4, v13, v17
	v_fma_f32 v4, v12, v16, -v4
	v_add_f32_e32 v3, v3, v4
	v_mul_f32_e32 v4, v15, v19
	;; [unrolled: 3-line block ×4, first 2 shown]
	v_fma_f32 v4, v22, v26, -v4
	v_add_f32_e32 v52, v3, v4
	ds_read2_b64 v[4:7], v2 offset0:83 offset1:84
	ds_read2_b64 v[8:11], v2 offset0:85 offset1:86
	;; [unrolled: 1-line block ×4, first 2 shown]
	s_waitcnt vmcnt(4) lgkmcnt(4)
	v_mul_f32_e32 v55, v28, v33
	v_mul_f32_e32 v3, v29, v33
	v_fmac_f32_e32 v55, v29, v32
	v_mul_f32_e32 v57, v30, v35
	v_fma_f32 v54, v28, v32, -v3
	v_mul_f32_e32 v3, v31, v35
	v_fmac_f32_e32 v57, v31, v34
	v_fma_f32 v56, v30, v34, -v3
	v_pk_add_f32 v[2:3], v[52:53], v[54:55]
	s_waitcnt vmcnt(3) lgkmcnt(3)
	v_pk_mul_f32 v[20:21], v[4:5], v[36:37] op_sel:[1,1] op_sel_hi:[0,1]
	v_pk_fma_f32 v[22:23], v[4:5], v[36:37], v[20:21] neg_lo:[0,0,1] neg_hi:[0,0,1]
	v_pk_fma_f32 v[4:5], v[4:5], v[36:37], v[20:21] op_sel_hi:[1,0,1]
	v_pk_add_f32 v[2:3], v[2:3], v[56:57]
	v_mov_b32_e32 v4, v39
	v_mov_b32_e32 v23, v5
	v_pk_mul_f32 v[4:5], v[6:7], v[4:5] op_sel:[1,0] op_sel_hi:[0,0]
	v_pk_fma_f32 v[20:21], v[6:7], v[38:39], v[4:5] neg_lo:[0,0,1] neg_hi:[0,0,1]
	v_pk_fma_f32 v[4:5], v[6:7], v[38:39], v[4:5] op_sel_hi:[1,0,1]
	v_pk_add_f32 v[2:3], v[2:3], v[22:23]
	v_mov_b32_e32 v21, v5
	s_waitcnt vmcnt(2) lgkmcnt(2)
	v_pk_mul_f32 v[4:5], v[8:9], v[40:41] op_sel:[1,1] op_sel_hi:[0,1]
	v_pk_fma_f32 v[6:7], v[8:9], v[40:41], v[4:5] neg_lo:[0,0,1] neg_hi:[0,0,1]
	v_pk_fma_f32 v[4:5], v[8:9], v[40:41], v[4:5] op_sel_hi:[1,0,1]
	v_pk_add_f32 v[2:3], v[2:3], v[20:21]
	v_mov_b32_e32 v4, v43
	v_mov_b32_e32 v7, v5
	v_pk_mul_f32 v[4:5], v[10:11], v[4:5] op_sel:[1,0] op_sel_hi:[0,0]
	v_pk_add_f32 v[2:3], v[2:3], v[6:7]
	v_pk_fma_f32 v[6:7], v[10:11], v[42:43], v[4:5] neg_lo:[0,0,1] neg_hi:[0,0,1]
	v_pk_fma_f32 v[4:5], v[10:11], v[42:43], v[4:5] op_sel_hi:[1,0,1]
	s_nop 0
	v_mov_b32_e32 v7, v5
	s_waitcnt vmcnt(1) lgkmcnt(1)
	v_pk_mul_f32 v[4:5], v[12:13], v[44:45] op_sel:[1,1] op_sel_hi:[0,1]
	v_pk_add_f32 v[2:3], v[2:3], v[6:7]
	v_pk_fma_f32 v[6:7], v[12:13], v[44:45], v[4:5] neg_lo:[0,0,1] neg_hi:[0,0,1]
	v_pk_fma_f32 v[4:5], v[12:13], v[44:45], v[4:5] op_sel_hi:[1,0,1]
	s_nop 0
	v_mov_b32_e32 v4, v47
	v_mov_b32_e32 v7, v5
	v_pk_mul_f32 v[4:5], v[14:15], v[4:5] op_sel:[1,0] op_sel_hi:[0,0]
	v_pk_add_f32 v[2:3], v[2:3], v[6:7]
	v_pk_fma_f32 v[6:7], v[14:15], v[46:47], v[4:5] neg_lo:[0,0,1] neg_hi:[0,0,1]
	v_pk_fma_f32 v[4:5], v[14:15], v[46:47], v[4:5] op_sel_hi:[1,0,1]
	s_nop 0
	v_mov_b32_e32 v7, v5
	s_waitcnt vmcnt(0) lgkmcnt(0)
	v_pk_mul_f32 v[4:5], v[16:17], v[48:49] op_sel:[1,1] op_sel_hi:[0,1]
	v_pk_add_f32 v[2:3], v[2:3], v[6:7]
	v_pk_fma_f32 v[6:7], v[16:17], v[48:49], v[4:5] neg_lo:[0,0,1] neg_hi:[0,0,1]
	v_pk_fma_f32 v[4:5], v[16:17], v[48:49], v[4:5] op_sel_hi:[1,0,1]
	s_nop 0
	v_mov_b32_e32 v4, v51
	v_mov_b32_e32 v7, v5
	v_pk_mul_f32 v[4:5], v[18:19], v[4:5] op_sel:[1,0] op_sel_hi:[0,0]
	v_pk_add_f32 v[2:3], v[2:3], v[6:7]
	v_pk_fma_f32 v[6:7], v[18:19], v[50:51], v[4:5] neg_lo:[0,0,1] neg_hi:[0,0,1]
	v_pk_fma_f32 v[4:5], v[18:19], v[50:51], v[4:5] op_sel_hi:[1,0,1]
	s_nop 0
	v_mov_b32_e32 v7, v5
	scratch_load_dwordx2 v[4:5], off, off offset:224
	v_pk_add_f32 v[2:3], v[2:3], v[6:7]
	s_waitcnt vmcnt(0)
	v_pk_add_f32 v[2:3], v[4:5], v[2:3] neg_lo:[0,1] neg_hi:[0,1]
	scratch_store_dwordx2 off, v[2:3], off offset:224
	s_and_saveexec_b64 s[0:1], vcc
	s_cbranch_execz .LBB108_229
; %bb.228:
	scratch_load_dwordx2 v[2:3], off, off offset:216
	v_mov_b32_e32 v4, 0
	v_mov_b32_e32 v5, v4
	scratch_store_dwordx2 off, v[4:5], off offset:216
	s_waitcnt vmcnt(1)
	ds_write_b64 v1, v[2:3]
.LBB108_229:
	s_or_b64 exec, exec, s[0:1]
	v_mov_b32_e32 v2, 0
	s_waitcnt lgkmcnt(0)
	; wave barrier
	ds_read_b128 v[4:7], v2 offset:592
	ds_read_b128 v[8:11], v2 offset:608
	;; [unrolled: 1-line block ×4, first 2 shown]
	scratch_load_dwordx4 v[20:23], off, off offset:224
	scratch_load_dwordx4 v[40:43], off, off offset:288
	v_cmp_lt_u32_e32 vcc, 26, v0
	s_waitcnt vmcnt(1) lgkmcnt(3)
	v_mul_f32_e32 v3, v4, v21
	v_fmac_f32_e32 v3, v5, v20
	v_mul_f32_e32 v24, v6, v23
	v_add_f32_e32 v3, 0, v3
	v_fmac_f32_e32 v24, v7, v22
	v_add_f32_e32 v3, v3, v24
	scratch_load_dwordx4 v[24:27], off, off offset:240
	s_waitcnt vmcnt(0) lgkmcnt(2)
	v_mul_f32_e32 v28, v8, v25
	v_fmac_f32_e32 v28, v9, v24
	v_add_f32_e32 v3, v3, v28
	v_mul_f32_e32 v28, v10, v27
	v_fmac_f32_e32 v28, v11, v26
	v_add_f32_e32 v3, v3, v28
	scratch_load_dwordx4 v[28:31], off, off offset:256
	s_waitcnt vmcnt(0) lgkmcnt(1)
	v_mul_f32_e32 v32, v12, v29
	v_fmac_f32_e32 v32, v13, v28
	v_add_f32_e32 v3, v3, v32
	v_mul_f32_e32 v32, v14, v31
	v_fmac_f32_e32 v32, v15, v30
	v_add_f32_e32 v3, v3, v32
	scratch_load_dwordx4 v[32:35], off, off offset:272
	s_waitcnt vmcnt(0) lgkmcnt(0)
	v_mul_f32_e32 v36, v16, v33
	v_fmac_f32_e32 v36, v17, v32
	v_add_f32_e32 v57, v3, v36
	ds_read_b128 v[36:39], v2 offset:656
	scratch_load_dwordx4 v[44:47], off, off offset:304
	scratch_load_dwordx4 v[48:51], off, off offset:320
	;; [unrolled: 1-line block ×3, first 2 shown]
	scratch_load_dwordx2 v[62:63], off, off offset:352
	v_mul_f32_e32 v3, v5, v21
	v_fma_f32 v3, v4, v20, -v3
	v_mul_f32_e32 v4, v7, v23
	v_add_f32_e32 v3, 0, v3
	v_fma_f32 v4, v6, v22, -v4
	v_add_f32_e32 v3, v3, v4
	v_mul_f32_e32 v4, v9, v25
	v_fma_f32 v4, v8, v24, -v4
	v_add_f32_e32 v3, v3, v4
	v_mul_f32_e32 v4, v11, v27
	;; [unrolled: 3-line block ×5, first 2 shown]
	v_fma_f32 v4, v16, v32, -v4
	v_mul_f32_e32 v59, v18, v35
	v_add_f32_e32 v56, v3, v4
	v_mul_f32_e32 v3, v19, v35
	v_mov_b32_e32 v20, v43
	v_fmac_f32_e32 v59, v19, v34
	s_waitcnt lgkmcnt(0)
	v_mul_f32_e32 v61, v36, v41
	v_fma_f32 v58, v18, v34, -v3
	v_mul_f32_e32 v3, v37, v41
	ds_read_b128 v[4:7], v2 offset:672
	ds_read_b128 v[8:11], v2 offset:688
	ds_read_b128 v[12:15], v2 offset:704
	ds_read_b64 v[16:17], v2 offset:720
	v_pk_mul_f32 v[20:21], v[38:39], v[20:21] op_sel:[1,0] op_sel_hi:[0,0]
	v_fmac_f32_e32 v61, v37, v40
	v_fma_f32 v60, v36, v40, -v3
	v_pk_add_f32 v[18:19], v[56:57], v[58:59]
	v_pk_fma_f32 v[22:23], v[38:39], v[42:43], v[20:21] neg_lo:[0,0,1] neg_hi:[0,0,1]
	v_pk_fma_f32 v[20:21], v[38:39], v[42:43], v[20:21] op_sel_hi:[1,0,1]
	v_pk_add_f32 v[18:19], v[18:19], v[60:61]
	v_mov_b32_e32 v23, v21
	v_pk_add_f32 v[18:19], v[18:19], v[22:23]
	s_waitcnt vmcnt(3) lgkmcnt(3)
	v_pk_mul_f32 v[20:21], v[4:5], v[44:45] op_sel:[1,1] op_sel_hi:[0,1]
	v_pk_fma_f32 v[22:23], v[4:5], v[44:45], v[20:21] neg_lo:[0,0,1] neg_hi:[0,0,1]
	v_pk_fma_f32 v[4:5], v[4:5], v[44:45], v[20:21] op_sel_hi:[1,0,1]
	s_nop 0
	v_mov_b32_e32 v23, v5
	v_pk_add_f32 v[4:5], v[18:19], v[22:23]
	v_mov_b32_e32 v18, v47
	v_pk_mul_f32 v[18:19], v[6:7], v[18:19] op_sel:[1,0] op_sel_hi:[0,0]
	v_pk_fma_f32 v[20:21], v[6:7], v[46:47], v[18:19] neg_lo:[0,0,1] neg_hi:[0,0,1]
	v_pk_fma_f32 v[6:7], v[6:7], v[46:47], v[18:19] op_sel_hi:[1,0,1]
	s_nop 0
	v_mov_b32_e32 v21, v7
	s_waitcnt vmcnt(2) lgkmcnt(2)
	v_pk_mul_f32 v[6:7], v[8:9], v[48:49] op_sel:[1,1] op_sel_hi:[0,1]
	v_pk_fma_f32 v[18:19], v[8:9], v[48:49], v[6:7] neg_lo:[0,0,1] neg_hi:[0,0,1]
	v_pk_fma_f32 v[6:7], v[8:9], v[48:49], v[6:7] op_sel_hi:[1,0,1]
	v_pk_add_f32 v[4:5], v[4:5], v[20:21]
	v_mov_b32_e32 v6, v51
	v_mov_b32_e32 v19, v7
	v_pk_mul_f32 v[6:7], v[10:11], v[6:7] op_sel:[1,0] op_sel_hi:[0,0]
	v_pk_fma_f32 v[8:9], v[10:11], v[50:51], v[6:7] neg_lo:[0,0,1] neg_hi:[0,0,1]
	v_pk_fma_f32 v[6:7], v[10:11], v[50:51], v[6:7] op_sel_hi:[1,0,1]
	v_pk_add_f32 v[4:5], v[4:5], v[18:19]
	v_mov_b32_e32 v9, v7
	s_waitcnt vmcnt(1) lgkmcnt(1)
	v_pk_mul_f32 v[6:7], v[12:13], v[52:53] op_sel:[1,1] op_sel_hi:[0,1]
	v_pk_add_f32 v[4:5], v[4:5], v[8:9]
	v_pk_fma_f32 v[8:9], v[12:13], v[52:53], v[6:7] neg_lo:[0,0,1] neg_hi:[0,0,1]
	v_pk_fma_f32 v[6:7], v[12:13], v[52:53], v[6:7] op_sel_hi:[1,0,1]
	s_nop 0
	v_mov_b32_e32 v6, v55
	v_mov_b32_e32 v9, v7
	v_pk_mul_f32 v[6:7], v[14:15], v[6:7] op_sel:[1,0] op_sel_hi:[0,0]
	v_pk_add_f32 v[4:5], v[4:5], v[8:9]
	v_pk_fma_f32 v[8:9], v[14:15], v[54:55], v[6:7] neg_lo:[0,0,1] neg_hi:[0,0,1]
	v_pk_fma_f32 v[6:7], v[14:15], v[54:55], v[6:7] op_sel_hi:[1,0,1]
	s_nop 0
	v_mov_b32_e32 v9, v7
	s_waitcnt vmcnt(0) lgkmcnt(0)
	v_pk_mul_f32 v[6:7], v[16:17], v[62:63] op_sel:[1,1] op_sel_hi:[0,1]
	v_pk_add_f32 v[4:5], v[4:5], v[8:9]
	v_pk_fma_f32 v[8:9], v[16:17], v[62:63], v[6:7] neg_lo:[0,0,1] neg_hi:[0,0,1]
	v_pk_fma_f32 v[6:7], v[16:17], v[62:63], v[6:7] op_sel_hi:[1,0,1]
	s_nop 0
	v_mov_b32_e32 v9, v7
	scratch_load_dwordx2 v[6:7], off, off offset:216
	v_pk_add_f32 v[4:5], v[4:5], v[8:9]
	s_waitcnt vmcnt(0)
	v_pk_add_f32 v[4:5], v[6:7], v[4:5] neg_lo:[0,1] neg_hi:[0,1]
	scratch_store_dwordx2 off, v[4:5], off offset:216
	s_and_saveexec_b64 s[0:1], vcc
	s_cbranch_execz .LBB108_231
; %bb.230:
	scratch_load_dwordx2 v[4:5], off, off offset:208
	v_mov_b32_e32 v3, v2
	scratch_store_dwordx2 off, v[2:3], off offset:208
	s_waitcnt vmcnt(1)
	ds_write_b64 v1, v[4:5]
.LBB108_231:
	s_or_b64 exec, exec, s[0:1]
	s_waitcnt lgkmcnt(0)
	; wave barrier
	scratch_load_dwordx4 v[8:11], off, off offset:216
	scratch_load_dwordx4 v[16:19], off, off offset:232
	;; [unrolled: 1-line block ×4, first 2 shown]
	ds_read2_b64 v[4:7], v2 offset0:73 offset1:74
	scratch_load_dwordx4 v[40:43], off, off offset:280
	v_cmp_lt_u32_e32 vcc, 25, v0
	s_waitcnt vmcnt(4) lgkmcnt(0)
	v_mul_f32_e32 v3, v4, v9
	v_fmac_f32_e32 v3, v5, v8
	v_mul_f32_e32 v12, v6, v11
	v_add_f32_e32 v3, 0, v3
	v_fmac_f32_e32 v12, v7, v10
	v_add_f32_e32 v3, v3, v12
	ds_read2_b64 v[12:15], v2 offset0:75 offset1:76
	s_waitcnt vmcnt(3) lgkmcnt(0)
	v_mul_f32_e32 v20, v12, v17
	v_fmac_f32_e32 v20, v13, v16
	v_add_f32_e32 v3, v3, v20
	v_mul_f32_e32 v20, v14, v19
	v_fmac_f32_e32 v20, v15, v18
	v_add_f32_e32 v3, v3, v20
	ds_read2_b64 v[20:23], v2 offset0:77 offset1:78
	s_waitcnt vmcnt(2) lgkmcnt(0)
	v_mul_f32_e32 v28, v20, v25
	v_fmac_f32_e32 v28, v21, v24
	v_add_f32_e32 v3, v3, v28
	v_mul_f32_e32 v28, v22, v27
	;; [unrolled: 8-line block ×3, first 2 shown]
	v_fmac_f32_e32 v36, v31, v34
	v_add_f32_e32 v61, v3, v36
	ds_read2_b64 v[36:39], v2 offset0:81 offset1:82
	scratch_load_dwordx4 v[44:47], off, off offset:296
	scratch_load_dwordx4 v[48:51], off, off offset:312
	;; [unrolled: 1-line block ×4, first 2 shown]
	v_mul_f32_e32 v3, v5, v9
	v_fma_f32 v3, v4, v8, -v3
	v_mul_f32_e32 v4, v7, v11
	v_add_f32_e32 v3, 0, v3
	v_fma_f32 v4, v6, v10, -v4
	v_add_f32_e32 v3, v3, v4
	v_mul_f32_e32 v4, v13, v17
	v_fma_f32 v4, v12, v16, -v4
	v_add_f32_e32 v3, v3, v4
	v_mul_f32_e32 v4, v15, v19
	;; [unrolled: 3-line block ×6, first 2 shown]
	v_fma_f32 v4, v30, v34, -v4
	v_add_f32_e32 v60, v3, v4
	ds_read2_b64 v[4:7], v2 offset0:83 offset1:84
	ds_read2_b64 v[8:11], v2 offset0:85 offset1:86
	;; [unrolled: 1-line block ×4, first 2 shown]
	s_waitcnt vmcnt(4) lgkmcnt(4)
	v_mul_f32_e32 v63, v36, v41
	v_mul_f32_e32 v3, v37, v41
	v_fmac_f32_e32 v63, v37, v40
	v_mul_f32_e32 v65, v38, v43
	v_fma_f32 v62, v36, v40, -v3
	v_mul_f32_e32 v3, v39, v43
	v_fmac_f32_e32 v65, v39, v42
	v_fma_f32 v64, v38, v42, -v3
	v_pk_add_f32 v[2:3], v[60:61], v[62:63]
	s_waitcnt vmcnt(3) lgkmcnt(3)
	v_pk_mul_f32 v[20:21], v[4:5], v[44:45] op_sel:[1,1] op_sel_hi:[0,1]
	v_pk_fma_f32 v[22:23], v[4:5], v[44:45], v[20:21] neg_lo:[0,0,1] neg_hi:[0,0,1]
	v_pk_fma_f32 v[4:5], v[4:5], v[44:45], v[20:21] op_sel_hi:[1,0,1]
	v_pk_add_f32 v[2:3], v[2:3], v[64:65]
	v_mov_b32_e32 v4, v47
	v_mov_b32_e32 v23, v5
	v_pk_mul_f32 v[4:5], v[6:7], v[4:5] op_sel:[1,0] op_sel_hi:[0,0]
	v_pk_fma_f32 v[20:21], v[6:7], v[46:47], v[4:5] neg_lo:[0,0,1] neg_hi:[0,0,1]
	v_pk_fma_f32 v[4:5], v[6:7], v[46:47], v[4:5] op_sel_hi:[1,0,1]
	v_pk_add_f32 v[2:3], v[2:3], v[22:23]
	v_mov_b32_e32 v21, v5
	s_waitcnt vmcnt(2) lgkmcnt(2)
	v_pk_mul_f32 v[4:5], v[8:9], v[48:49] op_sel:[1,1] op_sel_hi:[0,1]
	v_pk_fma_f32 v[6:7], v[8:9], v[48:49], v[4:5] neg_lo:[0,0,1] neg_hi:[0,0,1]
	v_pk_fma_f32 v[4:5], v[8:9], v[48:49], v[4:5] op_sel_hi:[1,0,1]
	v_pk_add_f32 v[2:3], v[2:3], v[20:21]
	v_mov_b32_e32 v4, v51
	v_mov_b32_e32 v7, v5
	v_pk_mul_f32 v[4:5], v[10:11], v[4:5] op_sel:[1,0] op_sel_hi:[0,0]
	v_pk_add_f32 v[2:3], v[2:3], v[6:7]
	v_pk_fma_f32 v[6:7], v[10:11], v[50:51], v[4:5] neg_lo:[0,0,1] neg_hi:[0,0,1]
	v_pk_fma_f32 v[4:5], v[10:11], v[50:51], v[4:5] op_sel_hi:[1,0,1]
	s_nop 0
	v_mov_b32_e32 v7, v5
	s_waitcnt vmcnt(1) lgkmcnt(1)
	v_pk_mul_f32 v[4:5], v[12:13], v[52:53] op_sel:[1,1] op_sel_hi:[0,1]
	v_pk_add_f32 v[2:3], v[2:3], v[6:7]
	v_pk_fma_f32 v[6:7], v[12:13], v[52:53], v[4:5] neg_lo:[0,0,1] neg_hi:[0,0,1]
	v_pk_fma_f32 v[4:5], v[12:13], v[52:53], v[4:5] op_sel_hi:[1,0,1]
	s_nop 0
	v_mov_b32_e32 v4, v55
	v_mov_b32_e32 v7, v5
	v_pk_mul_f32 v[4:5], v[14:15], v[4:5] op_sel:[1,0] op_sel_hi:[0,0]
	v_pk_add_f32 v[2:3], v[2:3], v[6:7]
	v_pk_fma_f32 v[6:7], v[14:15], v[54:55], v[4:5] neg_lo:[0,0,1] neg_hi:[0,0,1]
	v_pk_fma_f32 v[4:5], v[14:15], v[54:55], v[4:5] op_sel_hi:[1,0,1]
	s_nop 0
	v_mov_b32_e32 v7, v5
	s_waitcnt vmcnt(0) lgkmcnt(0)
	v_pk_mul_f32 v[4:5], v[16:17], v[56:57] op_sel:[1,1] op_sel_hi:[0,1]
	v_pk_add_f32 v[2:3], v[2:3], v[6:7]
	v_pk_fma_f32 v[6:7], v[16:17], v[56:57], v[4:5] neg_lo:[0,0,1] neg_hi:[0,0,1]
	v_pk_fma_f32 v[4:5], v[16:17], v[56:57], v[4:5] op_sel_hi:[1,0,1]
	s_nop 0
	v_mov_b32_e32 v4, v59
	v_mov_b32_e32 v7, v5
	v_pk_mul_f32 v[4:5], v[18:19], v[4:5] op_sel:[1,0] op_sel_hi:[0,0]
	v_pk_add_f32 v[2:3], v[2:3], v[6:7]
	v_pk_fma_f32 v[6:7], v[18:19], v[58:59], v[4:5] neg_lo:[0,0,1] neg_hi:[0,0,1]
	v_pk_fma_f32 v[4:5], v[18:19], v[58:59], v[4:5] op_sel_hi:[1,0,1]
	s_nop 0
	v_mov_b32_e32 v7, v5
	scratch_load_dwordx2 v[4:5], off, off offset:208
	v_pk_add_f32 v[2:3], v[2:3], v[6:7]
	s_waitcnt vmcnt(0)
	v_pk_add_f32 v[2:3], v[4:5], v[2:3] neg_lo:[0,1] neg_hi:[0,1]
	scratch_store_dwordx2 off, v[2:3], off offset:208
	s_and_saveexec_b64 s[0:1], vcc
	s_cbranch_execz .LBB108_233
; %bb.232:
	scratch_load_dwordx2 v[2:3], off, off offset:200
	v_mov_b32_e32 v4, 0
	v_mov_b32_e32 v5, v4
	scratch_store_dwordx2 off, v[4:5], off offset:200
	s_waitcnt vmcnt(1)
	ds_write_b64 v1, v[2:3]
.LBB108_233:
	s_or_b64 exec, exec, s[0:1]
	v_mov_b32_e32 v2, 0
	s_waitcnt lgkmcnt(0)
	; wave barrier
	ds_read_b128 v[4:7], v2 offset:576
	ds_read_b128 v[8:11], v2 offset:592
	;; [unrolled: 1-line block ×4, first 2 shown]
	scratch_load_dwordx4 v[20:23], off, off offset:208
	scratch_load_dwordx4 v[40:43], off, off offset:272
	v_cmp_lt_u32_e32 vcc, 24, v0
	scratch_load_dwordx4 v[48:51], off, off offset:288
	s_waitcnt vmcnt(2) lgkmcnt(3)
	v_mul_f32_e32 v3, v4, v21
	v_fmac_f32_e32 v3, v5, v20
	v_mul_f32_e32 v24, v6, v23
	v_add_f32_e32 v3, 0, v3
	v_fmac_f32_e32 v24, v7, v22
	v_add_f32_e32 v3, v3, v24
	scratch_load_dwordx4 v[24:27], off, off offset:224
	s_waitcnt vmcnt(0) lgkmcnt(2)
	v_mul_f32_e32 v28, v8, v25
	v_fmac_f32_e32 v28, v9, v24
	v_add_f32_e32 v3, v3, v28
	v_mul_f32_e32 v28, v10, v27
	v_fmac_f32_e32 v28, v11, v26
	v_add_f32_e32 v3, v3, v28
	scratch_load_dwordx4 v[28:31], off, off offset:240
	s_waitcnt vmcnt(0) lgkmcnt(1)
	v_mul_f32_e32 v32, v12, v29
	v_fmac_f32_e32 v32, v13, v28
	v_add_f32_e32 v3, v3, v32
	v_mul_f32_e32 v32, v14, v31
	;; [unrolled: 8-line block ×3, first 2 shown]
	v_fmac_f32_e32 v36, v19, v34
	v_add_f32_e32 v3, v3, v36
	ds_read_b128 v[36:39], v2 offset:640
	s_waitcnt lgkmcnt(0)
	v_mul_f32_e32 v44, v36, v41
	v_fmac_f32_e32 v44, v37, v40
	v_add_f32_e32 v65, v3, v44
	ds_read_b128 v[44:47], v2 offset:656
	scratch_load_dwordx4 v[52:55], off, off offset:304
	scratch_load_dwordx4 v[56:59], off, off offset:320
	;; [unrolled: 1-line block ×3, first 2 shown]
	scratch_load_dwordx2 v[70:71], off, off offset:352
	v_mul_f32_e32 v3, v5, v21
	v_fma_f32 v3, v4, v20, -v3
	v_mul_f32_e32 v4, v7, v23
	v_add_f32_e32 v3, 0, v3
	v_fma_f32 v4, v6, v22, -v4
	v_add_f32_e32 v3, v3, v4
	v_mul_f32_e32 v4, v9, v25
	v_fma_f32 v4, v8, v24, -v4
	v_add_f32_e32 v3, v3, v4
	v_mul_f32_e32 v4, v11, v27
	;; [unrolled: 3-line block ×7, first 2 shown]
	v_fma_f32 v4, v36, v40, -v4
	v_mul_f32_e32 v67, v38, v43
	v_add_f32_e32 v64, v3, v4
	v_mul_f32_e32 v3, v39, v43
	v_mov_b32_e32 v20, v51
	v_fmac_f32_e32 v67, v39, v42
	s_waitcnt lgkmcnt(0)
	v_mul_f32_e32 v69, v44, v49
	v_fma_f32 v66, v38, v42, -v3
	v_mul_f32_e32 v3, v45, v49
	ds_read_b128 v[4:7], v2 offset:672
	ds_read_b128 v[8:11], v2 offset:688
	;; [unrolled: 1-line block ×3, first 2 shown]
	ds_read_b64 v[16:17], v2 offset:720
	v_pk_mul_f32 v[20:21], v[46:47], v[20:21] op_sel:[1,0] op_sel_hi:[0,0]
	v_fmac_f32_e32 v69, v45, v48
	v_fma_f32 v68, v44, v48, -v3
	v_pk_add_f32 v[18:19], v[64:65], v[66:67]
	v_pk_fma_f32 v[22:23], v[46:47], v[50:51], v[20:21] neg_lo:[0,0,1] neg_hi:[0,0,1]
	v_pk_fma_f32 v[20:21], v[46:47], v[50:51], v[20:21] op_sel_hi:[1,0,1]
	v_pk_add_f32 v[18:19], v[18:19], v[68:69]
	v_mov_b32_e32 v23, v21
	v_pk_add_f32 v[18:19], v[18:19], v[22:23]
	s_waitcnt vmcnt(3) lgkmcnt(3)
	v_pk_mul_f32 v[20:21], v[4:5], v[52:53] op_sel:[1,1] op_sel_hi:[0,1]
	v_pk_fma_f32 v[22:23], v[4:5], v[52:53], v[20:21] neg_lo:[0,0,1] neg_hi:[0,0,1]
	v_pk_fma_f32 v[4:5], v[4:5], v[52:53], v[20:21] op_sel_hi:[1,0,1]
	s_nop 0
	v_mov_b32_e32 v23, v5
	v_pk_add_f32 v[4:5], v[18:19], v[22:23]
	v_mov_b32_e32 v18, v55
	v_pk_mul_f32 v[18:19], v[6:7], v[18:19] op_sel:[1,0] op_sel_hi:[0,0]
	v_pk_fma_f32 v[20:21], v[6:7], v[54:55], v[18:19] neg_lo:[0,0,1] neg_hi:[0,0,1]
	v_pk_fma_f32 v[6:7], v[6:7], v[54:55], v[18:19] op_sel_hi:[1,0,1]
	s_nop 0
	v_mov_b32_e32 v21, v7
	s_waitcnt vmcnt(2) lgkmcnt(2)
	v_pk_mul_f32 v[6:7], v[8:9], v[56:57] op_sel:[1,1] op_sel_hi:[0,1]
	v_pk_fma_f32 v[18:19], v[8:9], v[56:57], v[6:7] neg_lo:[0,0,1] neg_hi:[0,0,1]
	v_pk_fma_f32 v[6:7], v[8:9], v[56:57], v[6:7] op_sel_hi:[1,0,1]
	v_pk_add_f32 v[4:5], v[4:5], v[20:21]
	v_mov_b32_e32 v6, v59
	v_mov_b32_e32 v19, v7
	v_pk_mul_f32 v[6:7], v[10:11], v[6:7] op_sel:[1,0] op_sel_hi:[0,0]
	v_pk_fma_f32 v[8:9], v[10:11], v[58:59], v[6:7] neg_lo:[0,0,1] neg_hi:[0,0,1]
	v_pk_fma_f32 v[6:7], v[10:11], v[58:59], v[6:7] op_sel_hi:[1,0,1]
	v_pk_add_f32 v[4:5], v[4:5], v[18:19]
	v_mov_b32_e32 v9, v7
	s_waitcnt vmcnt(1) lgkmcnt(1)
	v_pk_mul_f32 v[6:7], v[12:13], v[60:61] op_sel:[1,1] op_sel_hi:[0,1]
	v_pk_add_f32 v[4:5], v[4:5], v[8:9]
	v_pk_fma_f32 v[8:9], v[12:13], v[60:61], v[6:7] neg_lo:[0,0,1] neg_hi:[0,0,1]
	v_pk_fma_f32 v[6:7], v[12:13], v[60:61], v[6:7] op_sel_hi:[1,0,1]
	s_nop 0
	v_mov_b32_e32 v6, v63
	v_mov_b32_e32 v9, v7
	v_pk_mul_f32 v[6:7], v[14:15], v[6:7] op_sel:[1,0] op_sel_hi:[0,0]
	v_pk_add_f32 v[4:5], v[4:5], v[8:9]
	v_pk_fma_f32 v[8:9], v[14:15], v[62:63], v[6:7] neg_lo:[0,0,1] neg_hi:[0,0,1]
	v_pk_fma_f32 v[6:7], v[14:15], v[62:63], v[6:7] op_sel_hi:[1,0,1]
	s_nop 0
	v_mov_b32_e32 v9, v7
	s_waitcnt vmcnt(0) lgkmcnt(0)
	v_pk_mul_f32 v[6:7], v[16:17], v[70:71] op_sel:[1,1] op_sel_hi:[0,1]
	v_pk_add_f32 v[4:5], v[4:5], v[8:9]
	v_pk_fma_f32 v[8:9], v[16:17], v[70:71], v[6:7] neg_lo:[0,0,1] neg_hi:[0,0,1]
	v_pk_fma_f32 v[6:7], v[16:17], v[70:71], v[6:7] op_sel_hi:[1,0,1]
	s_nop 0
	v_mov_b32_e32 v9, v7
	scratch_load_dwordx2 v[6:7], off, off offset:200
	v_pk_add_f32 v[4:5], v[4:5], v[8:9]
	s_waitcnt vmcnt(0)
	v_pk_add_f32 v[4:5], v[6:7], v[4:5] neg_lo:[0,1] neg_hi:[0,1]
	scratch_store_dwordx2 off, v[4:5], off offset:200
	s_and_saveexec_b64 s[0:1], vcc
	s_cbranch_execz .LBB108_235
; %bb.234:
	scratch_load_dwordx2 v[4:5], off, off offset:192
	v_mov_b32_e32 v3, v2
	scratch_store_dwordx2 off, v[2:3], off offset:192
	s_waitcnt vmcnt(1)
	ds_write_b64 v1, v[4:5]
.LBB108_235:
	s_or_b64 exec, exec, s[0:1]
	s_waitcnt lgkmcnt(0)
	; wave barrier
	scratch_load_dwordx4 v[8:11], off, off offset:200
	scratch_load_dwordx4 v[16:19], off, off offset:216
	;; [unrolled: 1-line block ×6, first 2 shown]
	ds_read2_b64 v[4:7], v2 offset0:71 offset1:72
	v_cmp_lt_u32_e32 vcc, 23, v0
	s_waitcnt vmcnt(5) lgkmcnt(0)
	v_mul_f32_e32 v3, v4, v9
	v_fmac_f32_e32 v3, v5, v8
	v_mul_f32_e32 v12, v6, v11
	v_add_f32_e32 v3, 0, v3
	v_fmac_f32_e32 v12, v7, v10
	v_add_f32_e32 v3, v3, v12
	ds_read2_b64 v[12:15], v2 offset0:73 offset1:74
	s_waitcnt vmcnt(4) lgkmcnt(0)
	v_mul_f32_e32 v20, v12, v17
	v_fmac_f32_e32 v20, v13, v16
	v_add_f32_e32 v3, v3, v20
	v_mul_f32_e32 v20, v14, v19
	v_fmac_f32_e32 v20, v15, v18
	v_add_f32_e32 v3, v3, v20
	ds_read2_b64 v[20:23], v2 offset0:75 offset1:76
	s_waitcnt vmcnt(3) lgkmcnt(0)
	v_mul_f32_e32 v28, v20, v25
	v_fmac_f32_e32 v28, v21, v24
	v_add_f32_e32 v3, v3, v28
	v_mul_f32_e32 v28, v22, v27
	;; [unrolled: 8-line block ×4, first 2 shown]
	v_fmac_f32_e32 v44, v39, v42
	v_add_f32_e32 v69, v3, v44
	ds_read2_b64 v[44:47], v2 offset0:81 offset1:82
	scratch_load_dwordx4 v[52:55], off, off offset:296
	scratch_load_dwordx4 v[56:59], off, off offset:312
	;; [unrolled: 1-line block ×4, first 2 shown]
	v_mul_f32_e32 v3, v5, v9
	v_fma_f32 v3, v4, v8, -v3
	v_mul_f32_e32 v4, v7, v11
	v_add_f32_e32 v3, 0, v3
	v_fma_f32 v4, v6, v10, -v4
	v_add_f32_e32 v3, v3, v4
	v_mul_f32_e32 v4, v13, v17
	v_fma_f32 v4, v12, v16, -v4
	v_add_f32_e32 v3, v3, v4
	v_mul_f32_e32 v4, v15, v19
	;; [unrolled: 3-line block ×8, first 2 shown]
	v_fma_f32 v4, v38, v42, -v4
	v_add_f32_e32 v68, v3, v4
	ds_read2_b64 v[4:7], v2 offset0:83 offset1:84
	ds_read2_b64 v[8:11], v2 offset0:85 offset1:86
	;; [unrolled: 1-line block ×4, first 2 shown]
	s_waitcnt vmcnt(4) lgkmcnt(4)
	v_mul_f32_e32 v71, v44, v49
	v_mul_f32_e32 v3, v45, v49
	v_fmac_f32_e32 v71, v45, v48
	v_mul_f32_e32 v73, v46, v51
	v_fma_f32 v70, v44, v48, -v3
	v_mul_f32_e32 v3, v47, v51
	v_fmac_f32_e32 v73, v47, v50
	v_fma_f32 v72, v46, v50, -v3
	v_pk_add_f32 v[2:3], v[68:69], v[70:71]
	s_waitcnt vmcnt(3) lgkmcnt(3)
	v_pk_mul_f32 v[20:21], v[4:5], v[52:53] op_sel:[1,1] op_sel_hi:[0,1]
	v_pk_fma_f32 v[22:23], v[4:5], v[52:53], v[20:21] neg_lo:[0,0,1] neg_hi:[0,0,1]
	v_pk_fma_f32 v[4:5], v[4:5], v[52:53], v[20:21] op_sel_hi:[1,0,1]
	v_pk_add_f32 v[2:3], v[2:3], v[72:73]
	v_mov_b32_e32 v4, v55
	v_mov_b32_e32 v23, v5
	v_pk_mul_f32 v[4:5], v[6:7], v[4:5] op_sel:[1,0] op_sel_hi:[0,0]
	v_pk_fma_f32 v[20:21], v[6:7], v[54:55], v[4:5] neg_lo:[0,0,1] neg_hi:[0,0,1]
	v_pk_fma_f32 v[4:5], v[6:7], v[54:55], v[4:5] op_sel_hi:[1,0,1]
	v_pk_add_f32 v[2:3], v[2:3], v[22:23]
	v_mov_b32_e32 v21, v5
	s_waitcnt vmcnt(2) lgkmcnt(2)
	v_pk_mul_f32 v[4:5], v[8:9], v[56:57] op_sel:[1,1] op_sel_hi:[0,1]
	v_pk_fma_f32 v[6:7], v[8:9], v[56:57], v[4:5] neg_lo:[0,0,1] neg_hi:[0,0,1]
	v_pk_fma_f32 v[4:5], v[8:9], v[56:57], v[4:5] op_sel_hi:[1,0,1]
	v_pk_add_f32 v[2:3], v[2:3], v[20:21]
	v_mov_b32_e32 v4, v59
	v_mov_b32_e32 v7, v5
	v_pk_mul_f32 v[4:5], v[10:11], v[4:5] op_sel:[1,0] op_sel_hi:[0,0]
	v_pk_add_f32 v[2:3], v[2:3], v[6:7]
	v_pk_fma_f32 v[6:7], v[10:11], v[58:59], v[4:5] neg_lo:[0,0,1] neg_hi:[0,0,1]
	v_pk_fma_f32 v[4:5], v[10:11], v[58:59], v[4:5] op_sel_hi:[1,0,1]
	s_nop 0
	v_mov_b32_e32 v7, v5
	s_waitcnt vmcnt(1) lgkmcnt(1)
	v_pk_mul_f32 v[4:5], v[12:13], v[60:61] op_sel:[1,1] op_sel_hi:[0,1]
	v_pk_add_f32 v[2:3], v[2:3], v[6:7]
	v_pk_fma_f32 v[6:7], v[12:13], v[60:61], v[4:5] neg_lo:[0,0,1] neg_hi:[0,0,1]
	v_pk_fma_f32 v[4:5], v[12:13], v[60:61], v[4:5] op_sel_hi:[1,0,1]
	s_nop 0
	v_mov_b32_e32 v4, v63
	v_mov_b32_e32 v7, v5
	v_pk_mul_f32 v[4:5], v[14:15], v[4:5] op_sel:[1,0] op_sel_hi:[0,0]
	v_pk_add_f32 v[2:3], v[2:3], v[6:7]
	v_pk_fma_f32 v[6:7], v[14:15], v[62:63], v[4:5] neg_lo:[0,0,1] neg_hi:[0,0,1]
	v_pk_fma_f32 v[4:5], v[14:15], v[62:63], v[4:5] op_sel_hi:[1,0,1]
	s_nop 0
	v_mov_b32_e32 v7, v5
	s_waitcnt vmcnt(0) lgkmcnt(0)
	v_pk_mul_f32 v[4:5], v[16:17], v[64:65] op_sel:[1,1] op_sel_hi:[0,1]
	v_pk_add_f32 v[2:3], v[2:3], v[6:7]
	v_pk_fma_f32 v[6:7], v[16:17], v[64:65], v[4:5] neg_lo:[0,0,1] neg_hi:[0,0,1]
	v_pk_fma_f32 v[4:5], v[16:17], v[64:65], v[4:5] op_sel_hi:[1,0,1]
	s_nop 0
	v_mov_b32_e32 v4, v67
	v_mov_b32_e32 v7, v5
	v_pk_mul_f32 v[4:5], v[18:19], v[4:5] op_sel:[1,0] op_sel_hi:[0,0]
	v_pk_add_f32 v[2:3], v[2:3], v[6:7]
	v_pk_fma_f32 v[6:7], v[18:19], v[66:67], v[4:5] neg_lo:[0,0,1] neg_hi:[0,0,1]
	v_pk_fma_f32 v[4:5], v[18:19], v[66:67], v[4:5] op_sel_hi:[1,0,1]
	s_nop 0
	v_mov_b32_e32 v7, v5
	scratch_load_dwordx2 v[4:5], off, off offset:192
	v_pk_add_f32 v[2:3], v[2:3], v[6:7]
	s_waitcnt vmcnt(0)
	v_pk_add_f32 v[2:3], v[4:5], v[2:3] neg_lo:[0,1] neg_hi:[0,1]
	scratch_store_dwordx2 off, v[2:3], off offset:192
	s_and_saveexec_b64 s[0:1], vcc
	s_cbranch_execz .LBB108_237
; %bb.236:
	scratch_load_dwordx2 v[2:3], off, off offset:184
	v_mov_b32_e32 v4, 0
	v_mov_b32_e32 v5, v4
	scratch_store_dwordx2 off, v[4:5], off offset:184
	s_waitcnt vmcnt(1)
	ds_write_b64 v1, v[2:3]
.LBB108_237:
	s_or_b64 exec, exec, s[0:1]
	v_mov_b32_e32 v10, 0
	s_waitcnt lgkmcnt(0)
	; wave barrier
	ds_read_b128 v[2:5], v10 offset:560
	ds_read_b128 v[6:9], v10 offset:576
	ds_read_b128 v[12:15], v10 offset:592
	ds_read_b128 v[16:19], v10 offset:608
	scratch_load_dwordx4 v[20:23], off, off offset:192
	scratch_load_dwordx4 v[40:43], off, off offset:256
	v_cmp_lt_u32_e32 vcc, 22, v0
	scratch_load_dwordx4 v[48:51], off, off offset:272
	scratch_load_dwordx4 v[56:59], off, off offset:288
	s_waitcnt vmcnt(3) lgkmcnt(3)
	v_mul_f32_e32 v11, v2, v21
	v_fmac_f32_e32 v11, v3, v20
	v_mul_f32_e32 v24, v4, v23
	v_add_f32_e32 v11, 0, v11
	v_fmac_f32_e32 v24, v5, v22
	v_add_f32_e32 v11, v11, v24
	scratch_load_dwordx4 v[24:27], off, off offset:208
	v_mul_f32_e32 v3, v3, v21
	v_fma_f32 v2, v2, v20, -v3
	v_mul_f32_e32 v3, v5, v23
	v_add_f32_e32 v2, 0, v2
	v_fma_f32 v3, v4, v22, -v3
	v_add_f32_e32 v2, v2, v3
	s_waitcnt vmcnt(1)
	v_mov_b32_e32 v20, v59
	s_waitcnt vmcnt(0) lgkmcnt(2)
	v_mul_f32_e32 v28, v6, v25
	v_fmac_f32_e32 v28, v7, v24
	v_add_f32_e32 v11, v11, v28
	v_mul_f32_e32 v28, v8, v27
	v_fmac_f32_e32 v28, v9, v26
	v_add_f32_e32 v11, v11, v28
	scratch_load_dwordx4 v[28:31], off, off offset:224
	v_mul_f32_e32 v3, v7, v25
	v_fma_f32 v3, v6, v24, -v3
	v_add_f32_e32 v2, v2, v3
	v_mul_f32_e32 v3, v9, v27
	v_fma_f32 v3, v8, v26, -v3
	v_add_f32_e32 v2, v2, v3
	s_waitcnt vmcnt(0) lgkmcnt(1)
	v_mul_f32_e32 v32, v12, v29
	v_fmac_f32_e32 v32, v13, v28
	v_add_f32_e32 v11, v11, v32
	v_mul_f32_e32 v32, v14, v31
	v_fmac_f32_e32 v32, v15, v30
	v_add_f32_e32 v11, v11, v32
	scratch_load_dwordx4 v[32:35], off, off offset:240
	v_mul_f32_e32 v3, v13, v29
	v_fma_f32 v3, v12, v28, -v3
	v_add_f32_e32 v2, v2, v3
	v_mul_f32_e32 v3, v15, v31
	v_fma_f32 v3, v14, v30, -v3
	v_add_f32_e32 v2, v2, v3
	s_waitcnt vmcnt(0) lgkmcnt(0)
	v_mul_f32_e32 v36, v16, v33
	v_fmac_f32_e32 v36, v17, v32
	v_add_f32_e32 v11, v11, v36
	v_mul_f32_e32 v36, v18, v35
	v_fmac_f32_e32 v36, v19, v34
	v_add_f32_e32 v11, v11, v36
	ds_read_b128 v[36:39], v10 offset:624
	v_mul_f32_e32 v3, v17, v33
	v_fma_f32 v3, v16, v32, -v3
	v_add_f32_e32 v2, v2, v3
	v_mul_f32_e32 v3, v19, v35
	s_waitcnt lgkmcnt(0)
	v_mul_f32_e32 v44, v36, v41
	v_fmac_f32_e32 v44, v37, v40
	v_add_f32_e32 v11, v11, v44
	v_mul_f32_e32 v44, v38, v43
	v_fmac_f32_e32 v44, v39, v42
	v_add_f32_e32 v11, v11, v44
	ds_read_b128 v[44:47], v10 offset:640
	v_fma_f32 v3, v18, v34, -v3
	v_add_f32_e32 v2, v2, v3
	v_mul_f32_e32 v3, v37, v41
	v_fma_f32 v3, v36, v40, -v3
	s_waitcnt lgkmcnt(0)
	v_mul_f32_e32 v52, v44, v49
	v_fmac_f32_e32 v52, v45, v48
	v_add_f32_e32 v73, v11, v52
	ds_read_b128 v[52:55], v10 offset:656
	scratch_load_dwordx4 v[60:63], off, off offset:304
	scratch_load_dwordx4 v[64:67], off, off offset:320
	;; [unrolled: 1-line block ×3, first 2 shown]
	scratch_load_dwordx2 v[78:79], off, off offset:352
	v_add_f32_e32 v2, v2, v3
	v_mul_f32_e32 v3, v39, v43
	v_fma_f32 v3, v38, v42, -v3
	v_add_f32_e32 v2, v2, v3
	v_mul_f32_e32 v3, v45, v49
	v_fma_f32 v3, v44, v48, -v3
	v_add_f32_e32 v72, v2, v3
	v_mul_f32_e32 v2, v47, v51
	v_mul_f32_e32 v75, v46, v51
	v_fma_f32 v74, v46, v50, -v2
	s_waitcnt lgkmcnt(0)
	v_mul_f32_e32 v2, v53, v57
	v_fmac_f32_e32 v75, v47, v50
	v_mul_f32_e32 v77, v52, v57
	v_fma_f32 v76, v52, v56, -v2
	ds_read_b128 v[2:5], v10 offset:672
	ds_read_b128 v[6:9], v10 offset:688
	;; [unrolled: 1-line block ×3, first 2 shown]
	ds_read_b64 v[16:17], v10 offset:720
	v_pk_mul_f32 v[20:21], v[54:55], v[20:21] op_sel:[1,0] op_sel_hi:[0,0]
	v_fmac_f32_e32 v77, v53, v56
	v_pk_add_f32 v[18:19], v[72:73], v[74:75]
	v_pk_fma_f32 v[22:23], v[54:55], v[58:59], v[20:21] neg_lo:[0,0,1] neg_hi:[0,0,1]
	v_pk_fma_f32 v[20:21], v[54:55], v[58:59], v[20:21] op_sel_hi:[1,0,1]
	v_pk_add_f32 v[18:19], v[18:19], v[76:77]
	v_mov_b32_e32 v23, v21
	v_pk_add_f32 v[18:19], v[18:19], v[22:23]
	s_waitcnt vmcnt(3) lgkmcnt(3)
	v_pk_mul_f32 v[20:21], v[2:3], v[60:61] op_sel:[1,1] op_sel_hi:[0,1]
	v_pk_fma_f32 v[22:23], v[2:3], v[60:61], v[20:21] neg_lo:[0,0,1] neg_hi:[0,0,1]
	v_pk_fma_f32 v[2:3], v[2:3], v[60:61], v[20:21] op_sel_hi:[1,0,1]
	s_nop 0
	v_mov_b32_e32 v23, v3
	v_pk_add_f32 v[2:3], v[18:19], v[22:23]
	v_mov_b32_e32 v18, v63
	v_pk_mul_f32 v[18:19], v[4:5], v[18:19] op_sel:[1,0] op_sel_hi:[0,0]
	v_pk_fma_f32 v[20:21], v[4:5], v[62:63], v[18:19] neg_lo:[0,0,1] neg_hi:[0,0,1]
	v_pk_fma_f32 v[4:5], v[4:5], v[62:63], v[18:19] op_sel_hi:[1,0,1]
	s_nop 0
	v_mov_b32_e32 v21, v5
	s_waitcnt vmcnt(2) lgkmcnt(2)
	v_pk_mul_f32 v[4:5], v[6:7], v[64:65] op_sel:[1,1] op_sel_hi:[0,1]
	v_pk_fma_f32 v[18:19], v[6:7], v[64:65], v[4:5] neg_lo:[0,0,1] neg_hi:[0,0,1]
	v_pk_fma_f32 v[4:5], v[6:7], v[64:65], v[4:5] op_sel_hi:[1,0,1]
	v_pk_add_f32 v[2:3], v[2:3], v[20:21]
	v_mov_b32_e32 v4, v67
	v_mov_b32_e32 v19, v5
	v_pk_mul_f32 v[4:5], v[8:9], v[4:5] op_sel:[1,0] op_sel_hi:[0,0]
	v_pk_fma_f32 v[6:7], v[8:9], v[66:67], v[4:5] neg_lo:[0,0,1] neg_hi:[0,0,1]
	v_pk_fma_f32 v[4:5], v[8:9], v[66:67], v[4:5] op_sel_hi:[1,0,1]
	v_pk_add_f32 v[2:3], v[2:3], v[18:19]
	v_mov_b32_e32 v7, v5
	s_waitcnt vmcnt(1) lgkmcnt(1)
	v_pk_mul_f32 v[4:5], v[12:13], v[68:69] op_sel:[1,1] op_sel_hi:[0,1]
	v_pk_add_f32 v[2:3], v[2:3], v[6:7]
	v_pk_fma_f32 v[6:7], v[12:13], v[68:69], v[4:5] neg_lo:[0,0,1] neg_hi:[0,0,1]
	v_pk_fma_f32 v[4:5], v[12:13], v[68:69], v[4:5] op_sel_hi:[1,0,1]
	s_nop 0
	v_mov_b32_e32 v4, v71
	v_mov_b32_e32 v7, v5
	v_pk_mul_f32 v[4:5], v[14:15], v[4:5] op_sel:[1,0] op_sel_hi:[0,0]
	v_pk_add_f32 v[2:3], v[2:3], v[6:7]
	v_pk_fma_f32 v[6:7], v[14:15], v[70:71], v[4:5] neg_lo:[0,0,1] neg_hi:[0,0,1]
	v_pk_fma_f32 v[4:5], v[14:15], v[70:71], v[4:5] op_sel_hi:[1,0,1]
	s_nop 0
	v_mov_b32_e32 v7, v5
	s_waitcnt vmcnt(0) lgkmcnt(0)
	v_pk_mul_f32 v[4:5], v[16:17], v[78:79] op_sel:[1,1] op_sel_hi:[0,1]
	v_pk_add_f32 v[2:3], v[2:3], v[6:7]
	v_pk_fma_f32 v[6:7], v[16:17], v[78:79], v[4:5] neg_lo:[0,0,1] neg_hi:[0,0,1]
	v_pk_fma_f32 v[4:5], v[16:17], v[78:79], v[4:5] op_sel_hi:[1,0,1]
	s_nop 0
	v_mov_b32_e32 v7, v5
	scratch_load_dwordx2 v[4:5], off, off offset:184
	v_pk_add_f32 v[2:3], v[2:3], v[6:7]
	s_waitcnt vmcnt(0)
	v_pk_add_f32 v[2:3], v[4:5], v[2:3] neg_lo:[0,1] neg_hi:[0,1]
	scratch_store_dwordx2 off, v[2:3], off offset:184
	s_and_saveexec_b64 s[0:1], vcc
	s_cbranch_execz .LBB108_239
; %bb.238:
	scratch_load_dwordx2 v[2:3], off, off offset:176
	v_mov_b32_e32 v11, v10
	scratch_store_dwordx2 off, v[10:11], off offset:176
	s_waitcnt vmcnt(1)
	ds_write_b64 v1, v[2:3]
.LBB108_239:
	s_or_b64 exec, exec, s[0:1]
	s_waitcnt lgkmcnt(0)
	; wave barrier
	scratch_load_dwordx4 v[6:9], off, off offset:184
	scratch_load_dwordx4 v[12:15], off, off offset:200
	;; [unrolled: 1-line block ×7, first 2 shown]
	ds_read2_b64 v[36:39], v10 offset0:69 offset1:70
	ds_read2_b64 v[40:43], v10 offset0:71 offset1:72
	;; [unrolled: 1-line block ×6, first 2 shown]
	scratch_load_dwordx4 v[60:63], off, off offset:296
	scratch_load_dwordx4 v[64:67], off, off offset:312
	;; [unrolled: 1-line block ×4, first 2 shown]
	ds_read2_b64 v[72:75], v10 offset0:81 offset1:82
	ds_read2_b64 v[76:79], v10 offset0:83 offset1:84
	scratch_load_dwordx2 v[80:81], off, off offset:176
	v_cmp_lt_u32_e32 vcc, 21, v0
	s_waitcnt vmcnt(11) lgkmcnt(7)
	v_mul_f32_e32 v11, v36, v7
	v_mul_f32_e32 v82, v38, v9
	;; [unrolled: 1-line block ×3, first 2 shown]
	v_fmac_f32_e32 v11, v37, v6
	s_waitcnt vmcnt(10) lgkmcnt(6)
	v_mul_f32_e32 v84, v40, v13
	v_mul_f32_e32 v9, v39, v9
	v_fmac_f32_e32 v82, v39, v8
	v_fma_f32 v6, v36, v6, -v7
	v_add_f32_e32 v11, 0, v11
	v_mul_f32_e32 v86, v42, v15
	v_fmac_f32_e32 v84, v41, v12
	v_fma_f32 v7, v38, v8, -v9
	v_add_f32_e32 v6, 0, v6
	v_add_f32_e32 v11, v11, v82
	s_waitcnt vmcnt(9) lgkmcnt(5)
	v_mul_f32_e32 v87, v44, v17
	v_mul_f32_e32 v13, v41, v13
	v_fmac_f32_e32 v86, v43, v14
	v_add_f32_e32 v6, v6, v7
	v_add_f32_e32 v7, v11, v84
	v_mul_f32_e32 v88, v46, v19
	v_mul_f32_e32 v15, v43, v15
	v_fmac_f32_e32 v87, v45, v16
	v_fma_f32 v8, v40, v12, -v13
	v_add_f32_e32 v7, v7, v86
	s_waitcnt vmcnt(8) lgkmcnt(4)
	v_mul_f32_e32 v89, v48, v21
	v_mul_f32_e32 v17, v45, v17
	v_fmac_f32_e32 v88, v47, v18
	v_fma_f32 v9, v42, v14, -v15
	v_add_f32_e32 v6, v6, v8
	v_add_f32_e32 v7, v7, v87
	v_mul_f32_e32 v90, v50, v23
	v_mul_f32_e32 v19, v47, v19
	v_fmac_f32_e32 v89, v49, v20
	v_fma_f32 v12, v44, v16, -v17
	v_add_f32_e32 v6, v6, v9
	v_add_f32_e32 v7, v7, v88
	s_waitcnt vmcnt(7) lgkmcnt(3)
	v_mul_f32_e32 v91, v52, v25
	v_mul_f32_e32 v21, v49, v21
	v_fmac_f32_e32 v90, v51, v22
	v_fma_f32 v13, v46, v18, -v19
	v_add_f32_e32 v6, v6, v12
	v_add_f32_e32 v7, v7, v89
	v_mul_f32_e32 v92, v54, v27
	v_mul_f32_e32 v23, v51, v23
	v_fmac_f32_e32 v91, v53, v24
	v_fma_f32 v14, v48, v20, -v21
	v_add_f32_e32 v6, v6, v13
	;; [unrolled: 13-line block ×3, first 2 shown]
	v_add_f32_e32 v7, v7, v92
	v_mul_f32_e32 v29, v57, v29
	v_fmac_f32_e32 v94, v59, v30
	v_fma_f32 v17, v54, v26, -v27
	v_add_f32_e32 v6, v6, v16
	v_add_f32_e32 v7, v7, v93
	v_fma_f32 v18, v56, v28, -v29
	v_add_f32_e32 v6, v6, v17
	v_add_f32_e32 v21, v7, v94
	v_mul_f32_e32 v7, v59, v31
	v_add_f32_e32 v6, v6, v18
	v_fma_f32 v7, v58, v30, -v7
	s_waitcnt vmcnt(5) lgkmcnt(1)
	v_mul_f32_e32 v83, v72, v33
	v_add_f32_e32 v20, v6, v7
	v_mul_f32_e32 v6, v73, v33
	v_fmac_f32_e32 v83, v73, v32
	v_fma_f32 v82, v72, v32, -v6
	v_mul_f32_e32 v6, v75, v35
	v_fma_f32 v84, v74, v34, -v6
	ds_read2_b64 v[6:9], v10 offset0:85 offset1:86
	ds_read2_b64 v[12:15], v10 offset0:87 offset1:88
	;; [unrolled: 1-line block ×3, first 2 shown]
	v_pk_add_f32 v[10:11], v[20:21], v[82:83]
	s_waitcnt vmcnt(4) lgkmcnt(3)
	v_pk_mul_f32 v[20:21], v[76:77], v[60:61] op_sel:[1,1] op_sel_hi:[0,1]
	v_mul_f32_e32 v85, v74, v35
	v_pk_fma_f32 v[22:23], v[76:77], v[60:61], v[20:21] neg_lo:[0,0,1] neg_hi:[0,0,1]
	v_pk_fma_f32 v[20:21], v[76:77], v[60:61], v[20:21] op_sel_hi:[1,0,1]
	v_fmac_f32_e32 v85, v75, v34
	v_mov_b32_e32 v20, v63
	v_pk_add_f32 v[10:11], v[10:11], v[84:85]
	v_mov_b32_e32 v23, v21
	v_pk_mul_f32 v[20:21], v[78:79], v[20:21] op_sel:[1,0] op_sel_hi:[0,0]
	v_pk_add_f32 v[10:11], v[10:11], v[22:23]
	v_pk_fma_f32 v[22:23], v[78:79], v[62:63], v[20:21] neg_lo:[0,0,1] neg_hi:[0,0,1]
	v_pk_fma_f32 v[20:21], v[78:79], v[62:63], v[20:21] op_sel_hi:[1,0,1]
	s_nop 0
	v_mov_b32_e32 v23, v21
	s_waitcnt vmcnt(3) lgkmcnt(2)
	v_pk_mul_f32 v[20:21], v[6:7], v[64:65] op_sel:[1,1] op_sel_hi:[0,1]
	v_pk_add_f32 v[10:11], v[10:11], v[22:23]
	v_pk_fma_f32 v[22:23], v[6:7], v[64:65], v[20:21] neg_lo:[0,0,1] neg_hi:[0,0,1]
	v_pk_fma_f32 v[6:7], v[6:7], v[64:65], v[20:21] op_sel_hi:[1,0,1]
	s_nop 0
	v_mov_b32_e32 v23, v7
	v_pk_add_f32 v[6:7], v[10:11], v[22:23]
	v_mov_b32_e32 v10, v67
	v_pk_mul_f32 v[10:11], v[8:9], v[10:11] op_sel:[1,0] op_sel_hi:[0,0]
	v_pk_fma_f32 v[20:21], v[8:9], v[66:67], v[10:11] neg_lo:[0,0,1] neg_hi:[0,0,1]
	v_pk_fma_f32 v[8:9], v[8:9], v[66:67], v[10:11] op_sel_hi:[1,0,1]
	s_nop 0
	v_mov_b32_e32 v21, v9
	s_waitcnt vmcnt(2) lgkmcnt(1)
	v_pk_mul_f32 v[8:9], v[12:13], v[68:69] op_sel:[1,1] op_sel_hi:[0,1]
	v_pk_fma_f32 v[10:11], v[12:13], v[68:69], v[8:9] neg_lo:[0,0,1] neg_hi:[0,0,1]
	v_pk_fma_f32 v[8:9], v[12:13], v[68:69], v[8:9] op_sel_hi:[1,0,1]
	v_pk_add_f32 v[6:7], v[6:7], v[20:21]
	v_mov_b32_e32 v8, v71
	v_mov_b32_e32 v11, v9
	v_pk_mul_f32 v[8:9], v[14:15], v[8:9] op_sel:[1,0] op_sel_hi:[0,0]
	v_pk_add_f32 v[6:7], v[6:7], v[10:11]
	v_pk_fma_f32 v[10:11], v[14:15], v[70:71], v[8:9] neg_lo:[0,0,1] neg_hi:[0,0,1]
	v_pk_fma_f32 v[8:9], v[14:15], v[70:71], v[8:9] op_sel_hi:[1,0,1]
	s_nop 0
	v_mov_b32_e32 v11, v9
	s_waitcnt vmcnt(1) lgkmcnt(0)
	v_pk_mul_f32 v[8:9], v[16:17], v[2:3] op_sel:[1,1] op_sel_hi:[0,1]
	v_pk_add_f32 v[6:7], v[6:7], v[10:11]
	v_pk_fma_f32 v[10:11], v[16:17], v[2:3], v[8:9] neg_lo:[0,0,1] neg_hi:[0,0,1]
	v_pk_fma_f32 v[2:3], v[16:17], v[2:3], v[8:9] op_sel_hi:[1,0,1]
	s_nop 0
	v_mov_b32_e32 v11, v3
	v_pk_add_f32 v[2:3], v[6:7], v[10:11]
	v_mov_b32_e32 v6, v5
	v_pk_mul_f32 v[6:7], v[18:19], v[6:7] op_sel:[1,0] op_sel_hi:[0,0]
	v_pk_fma_f32 v[8:9], v[18:19], v[4:5], v[6:7] neg_lo:[0,0,1] neg_hi:[0,0,1]
	v_pk_fma_f32 v[4:5], v[18:19], v[4:5], v[6:7] op_sel_hi:[1,0,1]
	s_nop 0
	v_mov_b32_e32 v9, v5
	v_pk_add_f32 v[2:3], v[2:3], v[8:9]
	s_waitcnt vmcnt(0)
	v_pk_add_f32 v[2:3], v[80:81], v[2:3] neg_lo:[0,1] neg_hi:[0,1]
	scratch_store_dwordx2 off, v[2:3], off offset:176
	s_and_saveexec_b64 s[0:1], vcc
	s_cbranch_execz .LBB108_241
; %bb.240:
	scratch_load_dwordx2 v[2:3], off, off offset:168
	v_mov_b32_e32 v4, 0
	v_mov_b32_e32 v5, v4
	scratch_store_dwordx2 off, v[4:5], off offset:168
	s_waitcnt vmcnt(1)
	ds_write_b64 v1, v[2:3]
.LBB108_241:
	s_or_b64 exec, exec, s[0:1]
	s_waitcnt lgkmcnt(0)
	; wave barrier
	scratch_load_dwordx4 v[6:9], off, off offset:176
	scratch_load_dwordx4 v[14:17], off, off offset:192
	;; [unrolled: 1-line block ×11, first 2 shown]
	scratch_load_dwordx2 v[22:23], off, off offset:352
	scratch_load_dwordx2 v[36:37], off, off offset:168
	v_mov_b32_e32 v38, 0
	ds_read_b128 v[52:55], v38 offset:544
	ds_read_b128 v[56:59], v38 offset:560
	;; [unrolled: 1-line block ×8, first 2 shown]
	v_cmp_lt_u32_e32 vcc, 20, v0
	s_waitcnt vmcnt(12) lgkmcnt(7)
	v_mul_f32_e32 v39, v52, v7
	v_mul_f32_e32 v84, v54, v9
	;; [unrolled: 1-line block ×3, first 2 shown]
	v_fmac_f32_e32 v39, v53, v6
	s_waitcnt vmcnt(8) lgkmcnt(3)
	v_mul_f32_e32 v93, v68, v19
	v_mul_f32_e32 v19, v69, v19
	;; [unrolled: 1-line block ×4, first 2 shown]
	v_fmac_f32_e32 v84, v55, v8
	v_fmac_f32_e32 v93, v69, v18
	v_fma_f32 v6, v52, v6, -v7
	v_fma_f32 v18, v68, v18, -v19
	v_add_f32_e32 v19, 0, v39
	v_mul_f32_e32 v88, v58, v17
	v_fmac_f32_e32 v86, v57, v14
	v_fma_f32 v7, v54, v8, -v9
	v_add_f32_e32 v6, 0, v6
	v_add_f32_e32 v19, v19, v84
	v_mul_f32_e32 v89, v60, v25
	v_fmac_f32_e32 v88, v59, v16
	v_add_f32_e32 v6, v6, v7
	v_add_f32_e32 v7, v19, v86
	v_mul_f32_e32 v90, v62, v27
	v_fmac_f32_e32 v89, v61, v24
	v_add_f32_e32 v7, v7, v88
	v_mul_f32_e32 v91, v64, v29
	v_mul_f32_e32 v15, v57, v15
	v_fmac_f32_e32 v90, v63, v26
	v_add_f32_e32 v7, v7, v89
	v_mul_f32_e32 v92, v66, v31
	v_mul_f32_e32 v17, v59, v17
	v_fmac_f32_e32 v91, v65, v28
	v_fma_f32 v8, v56, v14, -v15
	v_add_f32_e32 v7, v7, v90
	v_mul_f32_e32 v25, v61, v25
	v_fmac_f32_e32 v92, v67, v30
	v_fma_f32 v9, v58, v16, -v17
	v_add_f32_e32 v6, v6, v8
	v_add_f32_e32 v7, v7, v91
	v_mul_f32_e32 v94, v70, v21
	v_mul_f32_e32 v27, v63, v27
	v_fma_f32 v14, v60, v24, -v25
	v_add_f32_e32 v6, v6, v9
	v_add_f32_e32 v7, v7, v92
	s_waitcnt vmcnt(7) lgkmcnt(2)
	v_mul_f32_e32 v95, v72, v33
	v_mul_f32_e32 v29, v65, v29
	v_fmac_f32_e32 v94, v71, v20
	v_fma_f32 v15, v62, v26, -v27
	v_add_f32_e32 v6, v6, v14
	v_add_f32_e32 v7, v7, v93
	v_mul_f32_e32 v96, v74, v35
	v_mul_f32_e32 v31, v67, v31
	v_fmac_f32_e32 v95, v73, v32
	v_fma_f32 v16, v64, v28, -v29
	v_add_f32_e32 v6, v6, v15
	v_add_f32_e32 v7, v7, v94
	s_waitcnt vmcnt(6) lgkmcnt(1)
	v_mul_f32_e32 v97, v76, v41
	v_fmac_f32_e32 v96, v75, v34
	v_fma_f32 v17, v66, v30, -v31
	v_add_f32_e32 v6, v6, v16
	v_add_f32_e32 v7, v7, v95
	v_mul_f32_e32 v21, v71, v21
	v_fmac_f32_e32 v97, v77, v40
	v_add_f32_e32 v6, v6, v17
	v_add_f32_e32 v7, v7, v96
	;; [unrolled: 1-line block ×4, first 2 shown]
	v_fma_f32 v7, v70, v20, -v21
	v_add_f32_e32 v6, v6, v7
	v_mul_f32_e32 v7, v73, v33
	v_fma_f32 v7, v72, v32, -v7
	v_add_f32_e32 v6, v6, v7
	v_mul_f32_e32 v7, v75, v35
	;; [unrolled: 3-line block ×4, first 2 shown]
	v_mul_f32_e32 v85, v78, v43
	v_fma_f32 v84, v78, v42, -v6
	s_waitcnt vmcnt(5) lgkmcnt(0)
	v_mul_f32_e32 v6, v81, v45
	v_mov_b32_e32 v28, v47
	v_mul_f32_e32 v87, v80, v45
	v_fmac_f32_e32 v85, v79, v42
	v_fma_f32 v86, v80, v44, -v6
	ds_read_b128 v[6:9], v38 offset:672
	ds_read_b128 v[14:17], v38 offset:688
	;; [unrolled: 1-line block ×3, first 2 shown]
	ds_read_b64 v[26:27], v38 offset:720
	v_pk_mul_f32 v[28:29], v[82:83], v[28:29] op_sel:[1,0] op_sel_hi:[0,0]
	v_fmac_f32_e32 v87, v81, v44
	v_pk_add_f32 v[24:25], v[24:25], v[84:85]
	v_pk_fma_f32 v[30:31], v[82:83], v[46:47], v[28:29] neg_lo:[0,0,1] neg_hi:[0,0,1]
	v_pk_fma_f32 v[28:29], v[82:83], v[46:47], v[28:29] op_sel_hi:[1,0,1]
	v_pk_add_f32 v[24:25], v[24:25], v[86:87]
	v_mov_b32_e32 v31, v29
	s_waitcnt vmcnt(4) lgkmcnt(3)
	v_pk_mul_f32 v[28:29], v[6:7], v[48:49] op_sel:[1,1] op_sel_hi:[0,1]
	v_pk_add_f32 v[24:25], v[24:25], v[30:31]
	v_pk_fma_f32 v[30:31], v[6:7], v[48:49], v[28:29] neg_lo:[0,0,1] neg_hi:[0,0,1]
	v_pk_fma_f32 v[6:7], v[6:7], v[48:49], v[28:29] op_sel_hi:[1,0,1]
	s_nop 0
	v_mov_b32_e32 v31, v7
	v_pk_add_f32 v[6:7], v[24:25], v[30:31]
	v_mov_b32_e32 v24, v51
	v_pk_mul_f32 v[24:25], v[8:9], v[24:25] op_sel:[1,0] op_sel_hi:[0,0]
	v_pk_fma_f32 v[28:29], v[8:9], v[50:51], v[24:25] neg_lo:[0,0,1] neg_hi:[0,0,1]
	v_pk_fma_f32 v[8:9], v[8:9], v[50:51], v[24:25] op_sel_hi:[1,0,1]
	s_nop 0
	v_mov_b32_e32 v29, v9
	s_waitcnt vmcnt(3) lgkmcnt(2)
	v_pk_mul_f32 v[8:9], v[14:15], v[10:11] op_sel:[1,1] op_sel_hi:[0,1]
	v_pk_fma_f32 v[24:25], v[14:15], v[10:11], v[8:9] neg_lo:[0,0,1] neg_hi:[0,0,1]
	v_pk_fma_f32 v[8:9], v[14:15], v[10:11], v[8:9] op_sel_hi:[1,0,1]
	v_pk_add_f32 v[6:7], v[6:7], v[28:29]
	v_mov_b32_e32 v8, v13
	v_mov_b32_e32 v25, v9
	v_pk_mul_f32 v[8:9], v[16:17], v[8:9] op_sel:[1,0] op_sel_hi:[0,0]
	v_pk_fma_f32 v[10:11], v[16:17], v[12:13], v[8:9] neg_lo:[0,0,1] neg_hi:[0,0,1]
	v_pk_fma_f32 v[8:9], v[16:17], v[12:13], v[8:9] op_sel_hi:[1,0,1]
	v_pk_add_f32 v[6:7], v[6:7], v[24:25]
	v_mov_b32_e32 v11, v9
	s_waitcnt vmcnt(2) lgkmcnt(1)
	v_pk_mul_f32 v[8:9], v[18:19], v[2:3] op_sel:[1,1] op_sel_hi:[0,1]
	v_pk_add_f32 v[6:7], v[6:7], v[10:11]
	v_pk_fma_f32 v[10:11], v[18:19], v[2:3], v[8:9] neg_lo:[0,0,1] neg_hi:[0,0,1]
	v_pk_fma_f32 v[2:3], v[18:19], v[2:3], v[8:9] op_sel_hi:[1,0,1]
	s_nop 0
	v_mov_b32_e32 v11, v3
	v_pk_add_f32 v[2:3], v[6:7], v[10:11]
	v_mov_b32_e32 v6, v5
	v_pk_mul_f32 v[6:7], v[20:21], v[6:7] op_sel:[1,0] op_sel_hi:[0,0]
	v_pk_fma_f32 v[8:9], v[20:21], v[4:5], v[6:7] neg_lo:[0,0,1] neg_hi:[0,0,1]
	v_pk_fma_f32 v[4:5], v[20:21], v[4:5], v[6:7] op_sel_hi:[1,0,1]
	s_nop 0
	v_mov_b32_e32 v9, v5
	s_waitcnt vmcnt(1) lgkmcnt(0)
	v_pk_mul_f32 v[4:5], v[26:27], v[22:23] op_sel:[1,1] op_sel_hi:[0,1]
	v_pk_fma_f32 v[6:7], v[26:27], v[22:23], v[4:5] neg_lo:[0,0,1] neg_hi:[0,0,1]
	v_pk_fma_f32 v[4:5], v[26:27], v[22:23], v[4:5] op_sel_hi:[1,0,1]
	v_pk_add_f32 v[2:3], v[2:3], v[8:9]
	v_mov_b32_e32 v7, v5
	v_pk_add_f32 v[2:3], v[2:3], v[6:7]
	s_waitcnt vmcnt(0)
	v_pk_add_f32 v[2:3], v[36:37], v[2:3] neg_lo:[0,1] neg_hi:[0,1]
	scratch_store_dwordx2 off, v[2:3], off offset:168
	s_and_saveexec_b64 s[0:1], vcc
	s_cbranch_execz .LBB108_243
; %bb.242:
	scratch_load_dwordx2 v[2:3], off, off offset:160
	v_mov_b32_e32 v39, v38
	scratch_store_dwordx2 off, v[38:39], off offset:160
	s_waitcnt vmcnt(1)
	ds_write_b64 v1, v[2:3]
.LBB108_243:
	s_or_b64 exec, exec, s[0:1]
	s_waitcnt lgkmcnt(0)
	; wave barrier
	scratch_load_dwordx4 v[2:5], off, off offset:168
	scratch_load_dwordx4 v[14:17], off, off offset:184
	;; [unrolled: 1-line block ×8, first 2 shown]
	ds_read2_b64 v[48:51], v38 offset0:67 offset1:68
	ds_read2_b64 v[52:55], v38 offset0:69 offset1:70
	;; [unrolled: 1-line block ×8, first 2 shown]
	scratch_load_dwordx4 v[80:83], off, off offset:296
	scratch_load_dwordx4 v[26:29], off, off offset:312
	;; [unrolled: 1-line block ×4, first 2 shown]
	scratch_load_dwordx2 v[84:85], off, off offset:160
	v_cmp_lt_u32_e32 vcc, 19, v0
	s_waitcnt vmcnt(12) lgkmcnt(7)
	v_mul_f32_e32 v39, v48, v3
	v_mul_f32_e32 v86, v50, v5
	;; [unrolled: 1-line block ×3, first 2 shown]
	v_fmac_f32_e32 v39, v49, v2
	s_waitcnt vmcnt(8) lgkmcnt(3)
	v_mul_f32_e32 v95, v64, v19
	v_mul_f32_e32 v19, v65, v19
	;; [unrolled: 1-line block ×4, first 2 shown]
	v_fmac_f32_e32 v86, v51, v4
	v_fmac_f32_e32 v95, v65, v18
	v_fma_f32 v2, v48, v2, -v3
	v_fma_f32 v18, v64, v18, -v19
	v_add_f32_e32 v19, 0, v39
	v_mul_f32_e32 v90, v54, v17
	v_fmac_f32_e32 v88, v53, v14
	v_fma_f32 v3, v50, v4, -v5
	v_add_f32_e32 v2, 0, v2
	v_add_f32_e32 v19, v19, v86
	v_mul_f32_e32 v91, v56, v31
	v_fmac_f32_e32 v90, v55, v16
	v_add_f32_e32 v2, v2, v3
	v_add_f32_e32 v3, v19, v88
	v_mul_f32_e32 v92, v58, v33
	v_fmac_f32_e32 v91, v57, v30
	v_add_f32_e32 v3, v3, v90
	v_mul_f32_e32 v93, v60, v41
	v_fmac_f32_e32 v92, v59, v32
	;; [unrolled: 3-line block ×4, first 2 shown]
	v_add_f32_e32 v3, v3, v93
	v_mul_f32_e32 v96, v66, v21
	v_mul_f32_e32 v17, v55, v17
	v_fma_f32 v4, v52, v14, -v15
	v_add_f32_e32 v3, v3, v94
	s_waitcnt vmcnt(7) lgkmcnt(2)
	v_mul_f32_e32 v97, v68, v23
	v_mul_f32_e32 v31, v57, v31
	v_fmac_f32_e32 v96, v67, v20
	v_fma_f32 v5, v54, v16, -v17
	v_add_f32_e32 v2, v2, v4
	v_add_f32_e32 v3, v3, v95
	v_mul_f32_e32 v98, v70, v25
	v_mul_f32_e32 v33, v59, v33
	v_fmac_f32_e32 v97, v69, v22
	v_fma_f32 v14, v56, v30, -v31
	v_add_f32_e32 v2, v2, v5
	v_add_f32_e32 v3, v3, v96
	s_waitcnt vmcnt(6) lgkmcnt(1)
	v_mul_f32_e32 v99, v72, v35
	v_mul_f32_e32 v41, v61, v41
	v_fmac_f32_e32 v98, v71, v24
	v_fma_f32 v15, v58, v32, -v33
	v_add_f32_e32 v2, v2, v14
	v_add_f32_e32 v3, v3, v97
	v_mul_f32_e32 v100, v74, v37
	v_mul_f32_e32 v43, v63, v43
	v_fmac_f32_e32 v99, v73, v34
	v_fma_f32 v16, v60, v40, -v41
	v_add_f32_e32 v2, v2, v15
	v_add_f32_e32 v3, v3, v98
	v_fmac_f32_e32 v100, v75, v36
	v_fma_f32 v17, v62, v42, -v43
	v_add_f32_e32 v2, v2, v16
	v_add_f32_e32 v3, v3, v99
	;; [unrolled: 1-line block ×4, first 2 shown]
	v_mul_f32_e32 v3, v67, v21
	v_add_f32_e32 v2, v2, v18
	v_fma_f32 v3, v66, v20, -v3
	v_add_f32_e32 v2, v2, v3
	v_mul_f32_e32 v3, v69, v23
	v_fma_f32 v3, v68, v22, -v3
	v_add_f32_e32 v2, v2, v3
	v_mul_f32_e32 v3, v71, v25
	v_fma_f32 v3, v70, v24, -v3
	v_add_f32_e32 v2, v2, v3
	v_mul_f32_e32 v3, v73, v35
	v_fma_f32 v3, v72, v34, -v3
	v_add_f32_e32 v2, v2, v3
	v_mul_f32_e32 v3, v75, v37
	v_fma_f32 v3, v74, v36, -v3
	v_add_f32_e32 v30, v2, v3
	s_waitcnt vmcnt(5) lgkmcnt(0)
	v_mul_f32_e32 v2, v77, v45
	v_fma_f32 v86, v76, v44, -v2
	v_mul_f32_e32 v2, v79, v47
	v_fma_f32 v88, v78, v46, -v2
	ds_read2_b64 v[2:5], v38 offset0:83 offset1:84
	ds_read2_b64 v[14:17], v38 offset0:85 offset1:86
	;; [unrolled: 1-line block ×4, first 2 shown]
	v_mul_f32_e32 v87, v76, v45
	v_mul_f32_e32 v89, v78, v47
	v_fmac_f32_e32 v87, v77, v44
	s_waitcnt vmcnt(4) lgkmcnt(3)
	v_pk_mul_f32 v[32:33], v[2:3], v[80:81] op_sel:[1,1] op_sel_hi:[0,1]
	v_fmac_f32_e32 v89, v79, v46
	v_pk_add_f32 v[30:31], v[30:31], v[86:87]
	v_pk_fma_f32 v[34:35], v[2:3], v[80:81], v[32:33] neg_lo:[0,0,1] neg_hi:[0,0,1]
	v_pk_fma_f32 v[2:3], v[2:3], v[80:81], v[32:33] op_sel_hi:[1,0,1]
	v_pk_add_f32 v[30:31], v[30:31], v[88:89]
	v_mov_b32_e32 v35, v3
	v_pk_add_f32 v[2:3], v[30:31], v[34:35]
	v_mov_b32_e32 v30, v83
	v_pk_mul_f32 v[30:31], v[4:5], v[30:31] op_sel:[1,0] op_sel_hi:[0,0]
	v_pk_fma_f32 v[32:33], v[4:5], v[82:83], v[30:31] neg_lo:[0,0,1] neg_hi:[0,0,1]
	v_pk_fma_f32 v[4:5], v[4:5], v[82:83], v[30:31] op_sel_hi:[1,0,1]
	s_nop 0
	v_mov_b32_e32 v33, v5
	s_waitcnt vmcnt(3) lgkmcnt(2)
	v_pk_mul_f32 v[4:5], v[14:15], v[26:27] op_sel:[1,1] op_sel_hi:[0,1]
	v_pk_fma_f32 v[30:31], v[14:15], v[26:27], v[4:5] neg_lo:[0,0,1] neg_hi:[0,0,1]
	v_pk_fma_f32 v[4:5], v[14:15], v[26:27], v[4:5] op_sel_hi:[1,0,1]
	v_pk_add_f32 v[2:3], v[2:3], v[32:33]
	v_mov_b32_e32 v4, v29
	v_mov_b32_e32 v31, v5
	v_pk_mul_f32 v[4:5], v[16:17], v[4:5] op_sel:[1,0] op_sel_hi:[0,0]
	v_pk_fma_f32 v[14:15], v[16:17], v[28:29], v[4:5] neg_lo:[0,0,1] neg_hi:[0,0,1]
	v_pk_fma_f32 v[4:5], v[16:17], v[28:29], v[4:5] op_sel_hi:[1,0,1]
	v_pk_add_f32 v[2:3], v[2:3], v[30:31]
	v_mov_b32_e32 v15, v5
	s_waitcnt vmcnt(2) lgkmcnt(1)
	v_pk_mul_f32 v[4:5], v[18:19], v[10:11] op_sel:[1,1] op_sel_hi:[0,1]
	v_pk_add_f32 v[2:3], v[2:3], v[14:15]
	v_pk_fma_f32 v[14:15], v[18:19], v[10:11], v[4:5] neg_lo:[0,0,1] neg_hi:[0,0,1]
	v_pk_fma_f32 v[4:5], v[18:19], v[10:11], v[4:5] op_sel_hi:[1,0,1]
	s_nop 0
	v_mov_b32_e32 v4, v13
	v_mov_b32_e32 v15, v5
	v_pk_mul_f32 v[4:5], v[20:21], v[4:5] op_sel:[1,0] op_sel_hi:[0,0]
	v_pk_fma_f32 v[10:11], v[20:21], v[12:13], v[4:5] neg_lo:[0,0,1] neg_hi:[0,0,1]
	v_pk_fma_f32 v[4:5], v[20:21], v[12:13], v[4:5] op_sel_hi:[1,0,1]
	v_pk_add_f32 v[2:3], v[2:3], v[14:15]
	v_mov_b32_e32 v11, v5
	s_waitcnt vmcnt(1) lgkmcnt(0)
	v_pk_mul_f32 v[4:5], v[22:23], v[6:7] op_sel:[1,1] op_sel_hi:[0,1]
	v_pk_add_f32 v[2:3], v[2:3], v[10:11]
	v_pk_fma_f32 v[10:11], v[22:23], v[6:7], v[4:5] neg_lo:[0,0,1] neg_hi:[0,0,1]
	v_pk_fma_f32 v[4:5], v[22:23], v[6:7], v[4:5] op_sel_hi:[1,0,1]
	s_nop 0
	v_mov_b32_e32 v4, v9
	v_mov_b32_e32 v11, v5
	v_pk_mul_f32 v[4:5], v[24:25], v[4:5] op_sel:[1,0] op_sel_hi:[0,0]
	v_pk_fma_f32 v[6:7], v[24:25], v[8:9], v[4:5] neg_lo:[0,0,1] neg_hi:[0,0,1]
	v_pk_fma_f32 v[4:5], v[24:25], v[8:9], v[4:5] op_sel_hi:[1,0,1]
	v_pk_add_f32 v[2:3], v[2:3], v[10:11]
	v_mov_b32_e32 v7, v5
	v_pk_add_f32 v[2:3], v[2:3], v[6:7]
	s_waitcnt vmcnt(0)
	v_pk_add_f32 v[2:3], v[84:85], v[2:3] neg_lo:[0,1] neg_hi:[0,1]
	scratch_store_dwordx2 off, v[2:3], off offset:160
	s_and_saveexec_b64 s[0:1], vcc
	s_cbranch_execz .LBB108_245
; %bb.244:
	scratch_load_dwordx2 v[2:3], off, off offset:152
	v_mov_b32_e32 v4, 0
	v_mov_b32_e32 v5, v4
	scratch_store_dwordx2 off, v[4:5], off offset:152
	s_waitcnt vmcnt(1)
	ds_write_b64 v1, v[2:3]
.LBB108_245:
	s_or_b64 exec, exec, s[0:1]
	s_waitcnt lgkmcnt(0)
	; wave barrier
	scratch_load_dwordx4 v[10:13], off, off offset:160
	scratch_load_dwordx4 v[26:29], off, off offset:176
	;; [unrolled: 1-line block ×12, first 2 shown]
	scratch_load_dwordx2 v[50:51], off, off offset:352
	scratch_load_dwordx2 v[56:57], off, off offset:152
	v_mov_b32_e32 v58, 0
	ds_read_b128 v[52:55], v58 offset:528
	ds_read_b128 v[60:63], v58 offset:544
	;; [unrolled: 1-line block ×10, first 2 shown]
	v_cmp_lt_u32_e32 vcc, 18, v0
	s_waitcnt vmcnt(13) lgkmcnt(9)
	v_mul_f32_e32 v59, v52, v11
	v_mul_f32_e32 v96, v54, v13
	v_fmac_f32_e32 v59, v53, v10
	s_waitcnt vmcnt(10) lgkmcnt(6)
	v_mul_f32_e32 v103, v68, v7
	v_mul_f32_e32 v7, v69, v7
	;; [unrolled: 1-line block ×3, first 2 shown]
	v_fmac_f32_e32 v96, v55, v12
	v_fmac_f32_e32 v103, v69, v6
	v_fma_f32 v6, v68, v6, -v7
	v_add_f32_e32 v7, 0, v59
	v_mul_f32_e32 v100, v62, v29
	v_fmac_f32_e32 v98, v61, v26
	v_add_f32_e32 v7, v7, v96
	v_mul_f32_e32 v101, v64, v39
	v_fmac_f32_e32 v100, v63, v28
	;; [unrolled: 3-line block ×3, first 2 shown]
	v_add_f32_e32 v7, v7, v100
	v_fmac_f32_e32 v102, v67, v40
	v_add_f32_e32 v7, v7, v101
	v_mul_f32_e32 v104, v70, v9
	v_add_f32_e32 v7, v7, v102
	s_waitcnt vmcnt(9) lgkmcnt(5)
	v_mul_f32_e32 v105, v72, v15
	v_fmac_f32_e32 v104, v71, v8
	v_add_f32_e32 v7, v7, v103
	v_mul_f32_e32 v106, v74, v17
	v_mul_f32_e32 v11, v53, v11
	v_fmac_f32_e32 v105, v73, v14
	v_add_f32_e32 v7, v7, v104
	s_waitcnt vmcnt(8) lgkmcnt(4)
	v_mul_f32_e32 v107, v76, v23
	v_mul_f32_e32 v13, v55, v13
	v_fmac_f32_e32 v106, v75, v16
	v_fma_f32 v10, v52, v10, -v11
	v_add_f32_e32 v7, v7, v105
	v_mul_f32_e32 v108, v78, v25
	v_mul_f32_e32 v27, v61, v27
	v_fmac_f32_e32 v107, v77, v22
	v_fma_f32 v11, v54, v12, -v13
	v_add_f32_e32 v10, 0, v10
	v_add_f32_e32 v7, v7, v106
	s_waitcnt vmcnt(7) lgkmcnt(3)
	v_mul_f32_e32 v109, v80, v31
	v_mul_f32_e32 v29, v63, v29
	v_fmac_f32_e32 v108, v79, v24
	v_fma_f32 v12, v60, v26, -v27
	v_add_f32_e32 v10, v10, v11
	v_add_f32_e32 v7, v7, v107
	v_mul_f32_e32 v110, v82, v33
	v_mul_f32_e32 v39, v65, v39
	v_fmac_f32_e32 v109, v81, v30
	v_fma_f32 v13, v62, v28, -v29
	v_add_f32_e32 v10, v10, v12
	v_add_f32_e32 v7, v7, v108
	s_waitcnt vmcnt(6) lgkmcnt(2)
	v_mul_f32_e32 v111, v84, v43
	v_mul_f32_e32 v41, v67, v41
	v_fmac_f32_e32 v110, v83, v32
	v_fma_f32 v26, v64, v38, -v39
	v_add_f32_e32 v10, v10, v13
	v_add_f32_e32 v7, v7, v109
	v_fmac_f32_e32 v111, v85, v42
	v_fma_f32 v27, v66, v40, -v41
	v_add_f32_e32 v10, v10, v26
	v_add_f32_e32 v7, v7, v110
	v_add_f32_e32 v10, v10, v27
	v_add_f32_e32 v27, v7, v111
	v_mul_f32_e32 v7, v71, v9
	v_add_f32_e32 v6, v10, v6
	v_fma_f32 v7, v70, v8, -v7
	v_add_f32_e32 v6, v6, v7
	v_mul_f32_e32 v7, v73, v15
	v_fma_f32 v7, v72, v14, -v7
	v_add_f32_e32 v6, v6, v7
	v_mul_f32_e32 v7, v75, v17
	;; [unrolled: 3-line block ×7, first 2 shown]
	v_fma_f32 v7, v84, v42, -v7
	v_mul_f32_e32 v97, v86, v45
	v_add_f32_e32 v26, v6, v7
	v_mul_f32_e32 v6, v87, v45
	s_waitcnt vmcnt(5)
	v_mov_b32_e32 v22, v49
	s_waitcnt lgkmcnt(1)
	v_mul_f32_e32 v99, v88, v47
	v_fmac_f32_e32 v97, v87, v44
	v_fma_f32 v96, v86, v44, -v6
	v_mul_f32_e32 v6, v89, v47
	v_pk_mul_f32 v[22:23], v[90:91], v[22:23] op_sel:[1,0] op_sel_hi:[0,0]
	v_fmac_f32_e32 v99, v89, v46
	v_fma_f32 v98, v88, v46, -v6
	v_pk_add_f32 v[16:17], v[26:27], v[96:97]
	v_pk_fma_f32 v[24:25], v[90:91], v[48:49], v[22:23] neg_lo:[0,0,1] neg_hi:[0,0,1]
	v_pk_fma_f32 v[22:23], v[90:91], v[48:49], v[22:23] op_sel_hi:[1,0,1]
	v_pk_add_f32 v[16:17], v[16:17], v[98:99]
	v_mov_b32_e32 v25, v23
	s_waitcnt vmcnt(4) lgkmcnt(0)
	v_pk_mul_f32 v[22:23], v[92:93], v[34:35] op_sel:[1,1] op_sel_hi:[0,1]
	v_pk_add_f32 v[16:17], v[16:17], v[24:25]
	v_pk_fma_f32 v[24:25], v[92:93], v[34:35], v[22:23] neg_lo:[0,0,1] neg_hi:[0,0,1]
	v_pk_fma_f32 v[22:23], v[92:93], v[34:35], v[22:23] op_sel_hi:[1,0,1]
	ds_read_b128 v[6:9], v58 offset:688
	ds_read_b128 v[10:13], v58 offset:704
	ds_read_b64 v[14:15], v58 offset:720
	v_mov_b32_e32 v22, v37
	v_mov_b32_e32 v25, v23
	v_pk_mul_f32 v[22:23], v[94:95], v[22:23] op_sel:[1,0] op_sel_hi:[0,0]
	v_pk_add_f32 v[16:17], v[16:17], v[24:25]
	v_pk_fma_f32 v[24:25], v[94:95], v[36:37], v[22:23] neg_lo:[0,0,1] neg_hi:[0,0,1]
	v_pk_fma_f32 v[22:23], v[94:95], v[36:37], v[22:23] op_sel_hi:[1,0,1]
	s_nop 0
	v_mov_b32_e32 v25, v23
	s_waitcnt vmcnt(3) lgkmcnt(2)
	v_pk_mul_f32 v[22:23], v[6:7], v[18:19] op_sel:[1,1] op_sel_hi:[0,1]
	v_pk_add_f32 v[16:17], v[16:17], v[24:25]
	v_pk_fma_f32 v[24:25], v[6:7], v[18:19], v[22:23] neg_lo:[0,0,1] neg_hi:[0,0,1]
	v_pk_fma_f32 v[6:7], v[6:7], v[18:19], v[22:23] op_sel_hi:[1,0,1]
	s_nop 0
	v_mov_b32_e32 v25, v7
	v_pk_add_f32 v[6:7], v[16:17], v[24:25]
	v_mov_b32_e32 v16, v21
	v_pk_mul_f32 v[16:17], v[8:9], v[16:17] op_sel:[1,0] op_sel_hi:[0,0]
	v_pk_fma_f32 v[18:19], v[8:9], v[20:21], v[16:17] neg_lo:[0,0,1] neg_hi:[0,0,1]
	v_pk_fma_f32 v[8:9], v[8:9], v[20:21], v[16:17] op_sel_hi:[1,0,1]
	s_nop 0
	v_mov_b32_e32 v19, v9
	s_waitcnt vmcnt(2) lgkmcnt(1)
	v_pk_mul_f32 v[8:9], v[10:11], v[2:3] op_sel:[1,1] op_sel_hi:[0,1]
	v_pk_fma_f32 v[16:17], v[10:11], v[2:3], v[8:9] neg_lo:[0,0,1] neg_hi:[0,0,1]
	v_pk_fma_f32 v[2:3], v[10:11], v[2:3], v[8:9] op_sel_hi:[1,0,1]
	v_pk_add_f32 v[6:7], v[6:7], v[18:19]
	v_mov_b32_e32 v17, v3
	v_pk_add_f32 v[2:3], v[6:7], v[16:17]
	v_mov_b32_e32 v6, v5
	v_pk_mul_f32 v[6:7], v[12:13], v[6:7] op_sel:[1,0] op_sel_hi:[0,0]
	v_pk_fma_f32 v[8:9], v[12:13], v[4:5], v[6:7] neg_lo:[0,0,1] neg_hi:[0,0,1]
	v_pk_fma_f32 v[4:5], v[12:13], v[4:5], v[6:7] op_sel_hi:[1,0,1]
	s_nop 0
	v_mov_b32_e32 v9, v5
	s_waitcnt vmcnt(1) lgkmcnt(0)
	v_pk_mul_f32 v[4:5], v[14:15], v[50:51] op_sel:[1,1] op_sel_hi:[0,1]
	v_pk_fma_f32 v[6:7], v[14:15], v[50:51], v[4:5] neg_lo:[0,0,1] neg_hi:[0,0,1]
	v_pk_fma_f32 v[4:5], v[14:15], v[50:51], v[4:5] op_sel_hi:[1,0,1]
	v_pk_add_f32 v[2:3], v[2:3], v[8:9]
	v_mov_b32_e32 v7, v5
	v_pk_add_f32 v[2:3], v[2:3], v[6:7]
	s_waitcnt vmcnt(0)
	v_pk_add_f32 v[2:3], v[56:57], v[2:3] neg_lo:[0,1] neg_hi:[0,1]
	scratch_store_dwordx2 off, v[2:3], off offset:152
	s_and_saveexec_b64 s[0:1], vcc
	s_cbranch_execz .LBB108_247
; %bb.246:
	scratch_load_dwordx2 v[2:3], off, off offset:144
	v_mov_b32_e32 v59, v58
	scratch_store_dwordx2 off, v[58:59], off offset:144
	s_waitcnt vmcnt(1)
	ds_write_b64 v1, v[2:3]
.LBB108_247:
	s_or_b64 exec, exec, s[0:1]
	s_waitcnt lgkmcnt(0)
	; wave barrier
	scratch_load_dwordx4 v[2:5], off, off offset:152
	scratch_load_dwordx4 v[18:21], off, off offset:168
	;; [unrolled: 1-line block ×9, first 2 shown]
	ds_read2_b64 v[60:63], v58 offset0:65 offset1:66
	ds_read2_b64 v[64:67], v58 offset0:67 offset1:68
	;; [unrolled: 1-line block ×8, first 2 shown]
	scratch_load_dwordx4 v[50:53], off, off offset:296
	scratch_load_dwordx4 v[34:37], off, off offset:312
	scratch_load_dwordx4 v[26:29], off, off offset:328
	scratch_load_dwordx4 v[10:13], off, off offset:344
	ds_read2_b64 v[88:91], v58 offset0:81 offset1:82
	ds_read2_b64 v[92:95], v58 offset0:83 offset1:84
	scratch_load_dwordx2 v[96:97], off, off offset:144
	v_cmp_lt_u32_e32 vcc, 17, v0
	s_waitcnt vmcnt(13) lgkmcnt(9)
	v_mul_f32_e32 v59, v60, v3
	v_mul_f32_e32 v98, v62, v5
	;; [unrolled: 1-line block ×3, first 2 shown]
	s_waitcnt vmcnt(10) lgkmcnt(6)
	v_mul_f32_e32 v105, v72, v7
	v_mul_f32_e32 v7, v73, v7
	v_fmac_f32_e32 v59, v61, v2
	v_mul_f32_e32 v100, v64, v19
	v_mul_f32_e32 v5, v63, v5
	v_fmac_f32_e32 v98, v63, v4
	v_fmac_f32_e32 v105, v73, v6
	v_fma_f32 v2, v60, v2, -v3
	v_fma_f32 v6, v72, v6, -v7
	v_add_f32_e32 v7, 0, v59
	v_mul_f32_e32 v102, v66, v21
	v_fmac_f32_e32 v100, v65, v18
	v_fma_f32 v3, v62, v4, -v5
	v_add_f32_e32 v2, 0, v2
	v_add_f32_e32 v7, v7, v98
	v_mul_f32_e32 v103, v68, v39
	v_fmac_f32_e32 v102, v67, v20
	v_add_f32_e32 v2, v2, v3
	v_add_f32_e32 v3, v7, v100
	v_mul_f32_e32 v104, v70, v41
	v_fmac_f32_e32 v103, v69, v38
	v_add_f32_e32 v3, v3, v102
	v_fmac_f32_e32 v104, v71, v40
	v_add_f32_e32 v3, v3, v103
	v_mul_f32_e32 v106, v74, v9
	v_add_f32_e32 v3, v3, v104
	s_waitcnt vmcnt(9) lgkmcnt(5)
	v_mul_f32_e32 v107, v76, v15
	v_fmac_f32_e32 v106, v75, v8
	v_add_f32_e32 v3, v3, v105
	v_mul_f32_e32 v108, v78, v17
	v_fmac_f32_e32 v107, v77, v14
	v_add_f32_e32 v3, v3, v106
	s_waitcnt vmcnt(8) lgkmcnt(4)
	v_mul_f32_e32 v109, v80, v23
	v_fmac_f32_e32 v108, v79, v16
	v_add_f32_e32 v3, v3, v107
	v_mul_f32_e32 v110, v82, v25
	v_fmac_f32_e32 v109, v81, v22
	v_add_f32_e32 v3, v3, v108
	s_waitcnt vmcnt(7) lgkmcnt(3)
	v_mul_f32_e32 v111, v84, v31
	v_mul_f32_e32 v19, v65, v19
	v_fmac_f32_e32 v110, v83, v24
	v_add_f32_e32 v3, v3, v109
	v_mul_f32_e32 v112, v86, v33
	v_mul_f32_e32 v21, v67, v21
	v_fmac_f32_e32 v111, v85, v30
	v_fma_f32 v4, v64, v18, -v19
	v_add_f32_e32 v3, v3, v110
	s_waitcnt vmcnt(6) lgkmcnt(2)
	v_mul_f32_e32 v113, v54, v43
	v_mul_f32_e32 v39, v69, v39
	v_fmac_f32_e32 v112, v87, v32
	v_fma_f32 v5, v66, v20, -v21
	v_add_f32_e32 v2, v2, v4
	v_add_f32_e32 v3, v3, v111
	v_mul_f32_e32 v114, v56, v45
	v_mul_f32_e32 v41, v71, v41
	v_fmac_f32_e32 v113, v55, v42
	v_fma_f32 v18, v68, v38, -v39
	v_add_f32_e32 v2, v2, v5
	v_add_f32_e32 v3, v3, v112
	v_fmac_f32_e32 v114, v57, v44
	v_fma_f32 v19, v70, v40, -v41
	v_add_f32_e32 v2, v2, v18
	v_add_f32_e32 v3, v3, v113
	;; [unrolled: 1-line block ×4, first 2 shown]
	v_mul_f32_e32 v3, v75, v9
	v_add_f32_e32 v2, v2, v6
	v_fma_f32 v3, v74, v8, -v3
	v_add_f32_e32 v2, v2, v3
	v_mul_f32_e32 v3, v77, v15
	v_fma_f32 v3, v76, v14, -v3
	v_add_f32_e32 v2, v2, v3
	v_mul_f32_e32 v3, v79, v17
	;; [unrolled: 3-line block ×8, first 2 shown]
	v_fma_f32 v3, v56, v44, -v3
	s_waitcnt vmcnt(5) lgkmcnt(1)
	v_mul_f32_e32 v99, v88, v47
	v_add_f32_e32 v18, v2, v3
	v_mul_f32_e32 v2, v89, v47
	s_waitcnt vmcnt(4) lgkmcnt(0)
	v_pk_mul_f32 v[20:21], v[92:93], v[50:51] op_sel:[1,1] op_sel_hi:[0,1]
	v_mul_f32_e32 v101, v90, v49
	v_fmac_f32_e32 v99, v89, v46
	v_fma_f32 v98, v88, v46, -v2
	v_mul_f32_e32 v2, v91, v49
	v_pk_fma_f32 v[22:23], v[92:93], v[50:51], v[20:21] neg_lo:[0,0,1] neg_hi:[0,0,1]
	v_pk_fma_f32 v[20:21], v[92:93], v[50:51], v[20:21] op_sel_hi:[1,0,1]
	v_fmac_f32_e32 v101, v91, v48
	v_fma_f32 v100, v90, v48, -v2
	ds_read2_b64 v[2:5], v58 offset0:85 offset1:86
	ds_read2_b64 v[6:9], v58 offset0:87 offset1:88
	;; [unrolled: 1-line block ×3, first 2 shown]
	v_pk_add_f32 v[18:19], v[18:19], v[98:99]
	v_mov_b32_e32 v20, v53
	v_pk_add_f32 v[18:19], v[18:19], v[100:101]
	v_mov_b32_e32 v23, v21
	v_pk_mul_f32 v[20:21], v[94:95], v[20:21] op_sel:[1,0] op_sel_hi:[0,0]
	v_pk_add_f32 v[18:19], v[18:19], v[22:23]
	v_pk_fma_f32 v[22:23], v[94:95], v[52:53], v[20:21] neg_lo:[0,0,1] neg_hi:[0,0,1]
	v_pk_fma_f32 v[20:21], v[94:95], v[52:53], v[20:21] op_sel_hi:[1,0,1]
	s_nop 0
	v_mov_b32_e32 v23, v21
	s_waitcnt vmcnt(3) lgkmcnt(2)
	v_pk_mul_f32 v[20:21], v[2:3], v[34:35] op_sel:[1,1] op_sel_hi:[0,1]
	v_pk_add_f32 v[18:19], v[18:19], v[22:23]
	v_pk_fma_f32 v[22:23], v[2:3], v[34:35], v[20:21] neg_lo:[0,0,1] neg_hi:[0,0,1]
	v_pk_fma_f32 v[2:3], v[2:3], v[34:35], v[20:21] op_sel_hi:[1,0,1]
	s_nop 0
	v_mov_b32_e32 v23, v3
	v_pk_add_f32 v[2:3], v[18:19], v[22:23]
	v_mov_b32_e32 v18, v37
	v_pk_mul_f32 v[18:19], v[4:5], v[18:19] op_sel:[1,0] op_sel_hi:[0,0]
	v_pk_fma_f32 v[20:21], v[4:5], v[36:37], v[18:19] neg_lo:[0,0,1] neg_hi:[0,0,1]
	v_pk_fma_f32 v[4:5], v[4:5], v[36:37], v[18:19] op_sel_hi:[1,0,1]
	s_nop 0
	v_mov_b32_e32 v21, v5
	s_waitcnt vmcnt(2) lgkmcnt(1)
	v_pk_mul_f32 v[4:5], v[6:7], v[26:27] op_sel:[1,1] op_sel_hi:[0,1]
	v_pk_fma_f32 v[18:19], v[6:7], v[26:27], v[4:5] neg_lo:[0,0,1] neg_hi:[0,0,1]
	v_pk_fma_f32 v[4:5], v[6:7], v[26:27], v[4:5] op_sel_hi:[1,0,1]
	v_pk_add_f32 v[2:3], v[2:3], v[20:21]
	v_mov_b32_e32 v4, v29
	v_mov_b32_e32 v19, v5
	v_pk_mul_f32 v[4:5], v[8:9], v[4:5] op_sel:[1,0] op_sel_hi:[0,0]
	v_pk_fma_f32 v[6:7], v[8:9], v[28:29], v[4:5] neg_lo:[0,0,1] neg_hi:[0,0,1]
	v_pk_fma_f32 v[4:5], v[8:9], v[28:29], v[4:5] op_sel_hi:[1,0,1]
	v_pk_add_f32 v[2:3], v[2:3], v[18:19]
	v_mov_b32_e32 v7, v5
	s_waitcnt vmcnt(1) lgkmcnt(0)
	v_pk_mul_f32 v[4:5], v[14:15], v[10:11] op_sel:[1,1] op_sel_hi:[0,1]
	v_pk_add_f32 v[2:3], v[2:3], v[6:7]
	v_pk_fma_f32 v[6:7], v[14:15], v[10:11], v[4:5] neg_lo:[0,0,1] neg_hi:[0,0,1]
	v_pk_fma_f32 v[4:5], v[14:15], v[10:11], v[4:5] op_sel_hi:[1,0,1]
	s_nop 0
	v_mov_b32_e32 v4, v13
	v_mov_b32_e32 v7, v5
	v_pk_mul_f32 v[4:5], v[16:17], v[4:5] op_sel:[1,0] op_sel_hi:[0,0]
	v_pk_add_f32 v[2:3], v[2:3], v[6:7]
	v_pk_fma_f32 v[6:7], v[16:17], v[12:13], v[4:5] neg_lo:[0,0,1] neg_hi:[0,0,1]
	v_pk_fma_f32 v[4:5], v[16:17], v[12:13], v[4:5] op_sel_hi:[1,0,1]
	s_nop 0
	v_mov_b32_e32 v7, v5
	v_pk_add_f32 v[2:3], v[2:3], v[6:7]
	s_waitcnt vmcnt(0)
	v_pk_add_f32 v[2:3], v[96:97], v[2:3] neg_lo:[0,1] neg_hi:[0,1]
	scratch_store_dwordx2 off, v[2:3], off offset:144
	s_and_saveexec_b64 s[0:1], vcc
	s_cbranch_execz .LBB108_249
; %bb.248:
	scratch_load_dwordx2 v[2:3], off, off offset:136
	v_mov_b32_e32 v4, 0
	v_mov_b32_e32 v5, v4
	scratch_store_dwordx2 off, v[4:5], off offset:136
	s_waitcnt vmcnt(1)
	ds_write_b64 v1, v[2:3]
.LBB108_249:
	s_or_b64 exec, exec, s[0:1]
	s_waitcnt lgkmcnt(0)
	; wave barrier
	scratch_load_dwordx4 v[18:21], off, off offset:144
	scratch_load_dwordx4 v[30:33], off, off offset:160
	;; [unrolled: 1-line block ×13, first 2 shown]
	scratch_load_dwordx2 v[54:55], off, off offset:352
	scratch_load_dwordx2 v[80:81], off, off offset:136
	v_mov_b32_e32 v82, 0
	ds_read_b128 v[56:59], v82 offset:512
	ds_read_b128 v[60:63], v82 offset:528
	;; [unrolled: 1-line block ×10, first 2 shown]
	v_cmp_lt_u32_e32 vcc, 16, v0
	s_waitcnt vmcnt(14) lgkmcnt(9)
	v_mul_f32_e32 v83, v56, v19
	v_mul_f32_e32 v100, v58, v21
	s_waitcnt vmcnt(12) lgkmcnt(7)
	v_mul_f32_e32 v105, v64, v3
	v_mul_f32_e32 v3, v65, v3
	v_fmac_f32_e32 v83, v57, v18
	v_mul_f32_e32 v102, v60, v31
	v_fmac_f32_e32 v100, v59, v20
	v_fmac_f32_e32 v105, v65, v2
	v_fma_f32 v2, v64, v2, -v3
	v_add_f32_e32 v3, 0, v83
	v_mul_f32_e32 v104, v62, v33
	v_fmac_f32_e32 v102, v61, v30
	v_add_f32_e32 v3, v3, v100
	v_fmac_f32_e32 v104, v63, v32
	v_add_f32_e32 v3, v3, v102
	v_mul_f32_e32 v106, v66, v5
	v_add_f32_e32 v3, v3, v104
	s_waitcnt vmcnt(11) lgkmcnt(6)
	v_mul_f32_e32 v107, v68, v7
	v_fmac_f32_e32 v106, v67, v4
	v_add_f32_e32 v3, v3, v105
	v_mul_f32_e32 v108, v70, v9
	v_fmac_f32_e32 v107, v69, v6
	v_add_f32_e32 v3, v3, v106
	s_waitcnt vmcnt(10) lgkmcnt(5)
	v_mul_f32_e32 v109, v72, v15
	v_fmac_f32_e32 v108, v71, v8
	v_add_f32_e32 v3, v3, v107
	v_mul_f32_e32 v110, v74, v17
	v_fmac_f32_e32 v109, v73, v14
	;; [unrolled: 7-line block ×3, first 2 shown]
	v_add_f32_e32 v3, v3, v110
	s_waitcnt vmcnt(8) lgkmcnt(3)
	v_mul_f32_e32 v113, v84, v35
	v_mul_f32_e32 v19, v57, v19
	v_fmac_f32_e32 v112, v79, v24
	v_add_f32_e32 v3, v3, v111
	v_mul_f32_e32 v114, v86, v37
	v_mul_f32_e32 v21, v59, v21
	v_fmac_f32_e32 v113, v85, v34
	v_fma_f32 v18, v56, v18, -v19
	v_add_f32_e32 v3, v3, v112
	s_waitcnt vmcnt(7) lgkmcnt(2)
	v_mul_f32_e32 v115, v88, v39
	v_mul_f32_e32 v31, v61, v31
	v_fmac_f32_e32 v114, v87, v36
	v_fma_f32 v19, v58, v20, -v21
	v_add_f32_e32 v18, 0, v18
	v_add_f32_e32 v3, v3, v113
	v_mul_f32_e32 v116, v90, v41
	v_mul_f32_e32 v33, v63, v33
	v_fmac_f32_e32 v115, v89, v38
	v_fma_f32 v20, v60, v30, -v31
	v_add_f32_e32 v18, v18, v19
	v_add_f32_e32 v3, v3, v114
	s_waitcnt vmcnt(6) lgkmcnt(1)
	v_mul_f32_e32 v117, v92, v51
	v_fmac_f32_e32 v116, v91, v40
	v_fma_f32 v21, v62, v32, -v33
	v_add_f32_e32 v18, v18, v20
	v_add_f32_e32 v3, v3, v115
	v_mul_f32_e32 v5, v67, v5
	v_fmac_f32_e32 v117, v93, v50
	v_add_f32_e32 v18, v18, v21
	v_add_f32_e32 v3, v3, v116
	;; [unrolled: 1-line block ×4, first 2 shown]
	v_fma_f32 v3, v66, v4, -v5
	v_add_f32_e32 v2, v2, v3
	v_mul_f32_e32 v3, v69, v7
	v_fma_f32 v3, v68, v6, -v3
	v_add_f32_e32 v2, v2, v3
	v_mul_f32_e32 v3, v71, v9
	;; [unrolled: 3-line block ×12, first 2 shown]
	v_mul_f32_e32 v101, v94, v53
	v_fma_f32 v100, v94, v52, -v2
	s_waitcnt vmcnt(5) lgkmcnt(0)
	v_mul_f32_e32 v2, v97, v47
	v_mov_b32_e32 v22, v49
	v_mul_f32_e32 v103, v96, v47
	v_fmac_f32_e32 v101, v95, v52
	v_fma_f32 v102, v96, v46, -v2
	ds_read_b128 v[2:5], v82 offset:672
	ds_read_b128 v[6:9], v82 offset:688
	;; [unrolled: 1-line block ×3, first 2 shown]
	ds_read_b64 v[20:21], v82 offset:720
	v_pk_mul_f32 v[22:23], v[98:99], v[22:23] op_sel:[1,0] op_sel_hi:[0,0]
	v_fmac_f32_e32 v103, v97, v46
	v_pk_add_f32 v[18:19], v[18:19], v[100:101]
	v_pk_fma_f32 v[24:25], v[98:99], v[48:49], v[22:23] neg_lo:[0,0,1] neg_hi:[0,0,1]
	v_pk_fma_f32 v[22:23], v[98:99], v[48:49], v[22:23] op_sel_hi:[1,0,1]
	v_pk_add_f32 v[18:19], v[18:19], v[102:103]
	v_mov_b32_e32 v25, v23
	s_waitcnt vmcnt(4) lgkmcnt(3)
	v_pk_mul_f32 v[22:23], v[2:3], v[42:43] op_sel:[1,1] op_sel_hi:[0,1]
	v_pk_add_f32 v[18:19], v[18:19], v[24:25]
	v_pk_fma_f32 v[24:25], v[2:3], v[42:43], v[22:23] neg_lo:[0,0,1] neg_hi:[0,0,1]
	v_pk_fma_f32 v[2:3], v[2:3], v[42:43], v[22:23] op_sel_hi:[1,0,1]
	s_nop 0
	v_mov_b32_e32 v25, v3
	v_pk_add_f32 v[2:3], v[18:19], v[24:25]
	v_mov_b32_e32 v18, v45
	v_pk_mul_f32 v[18:19], v[4:5], v[18:19] op_sel:[1,0] op_sel_hi:[0,0]
	v_pk_fma_f32 v[22:23], v[4:5], v[44:45], v[18:19] neg_lo:[0,0,1] neg_hi:[0,0,1]
	v_pk_fma_f32 v[4:5], v[4:5], v[44:45], v[18:19] op_sel_hi:[1,0,1]
	s_nop 0
	v_mov_b32_e32 v23, v5
	s_waitcnt vmcnt(3) lgkmcnt(2)
	v_pk_mul_f32 v[4:5], v[6:7], v[26:27] op_sel:[1,1] op_sel_hi:[0,1]
	v_pk_fma_f32 v[18:19], v[6:7], v[26:27], v[4:5] neg_lo:[0,0,1] neg_hi:[0,0,1]
	v_pk_fma_f32 v[4:5], v[6:7], v[26:27], v[4:5] op_sel_hi:[1,0,1]
	v_pk_add_f32 v[2:3], v[2:3], v[22:23]
	v_mov_b32_e32 v4, v29
	v_mov_b32_e32 v19, v5
	v_pk_mul_f32 v[4:5], v[8:9], v[4:5] op_sel:[1,0] op_sel_hi:[0,0]
	v_pk_fma_f32 v[6:7], v[8:9], v[28:29], v[4:5] neg_lo:[0,0,1] neg_hi:[0,0,1]
	v_pk_fma_f32 v[4:5], v[8:9], v[28:29], v[4:5] op_sel_hi:[1,0,1]
	v_pk_add_f32 v[2:3], v[2:3], v[18:19]
	v_mov_b32_e32 v7, v5
	s_waitcnt vmcnt(2) lgkmcnt(1)
	v_pk_mul_f32 v[4:5], v[14:15], v[10:11] op_sel:[1,1] op_sel_hi:[0,1]
	v_pk_add_f32 v[2:3], v[2:3], v[6:7]
	v_pk_fma_f32 v[6:7], v[14:15], v[10:11], v[4:5] neg_lo:[0,0,1] neg_hi:[0,0,1]
	v_pk_fma_f32 v[4:5], v[14:15], v[10:11], v[4:5] op_sel_hi:[1,0,1]
	s_nop 0
	v_mov_b32_e32 v4, v13
	v_mov_b32_e32 v7, v5
	v_pk_mul_f32 v[4:5], v[16:17], v[4:5] op_sel:[1,0] op_sel_hi:[0,0]
	v_pk_add_f32 v[2:3], v[2:3], v[6:7]
	v_pk_fma_f32 v[6:7], v[16:17], v[12:13], v[4:5] neg_lo:[0,0,1] neg_hi:[0,0,1]
	v_pk_fma_f32 v[4:5], v[16:17], v[12:13], v[4:5] op_sel_hi:[1,0,1]
	s_nop 0
	v_mov_b32_e32 v7, v5
	s_waitcnt vmcnt(1) lgkmcnt(0)
	v_pk_mul_f32 v[4:5], v[20:21], v[54:55] op_sel:[1,1] op_sel_hi:[0,1]
	v_pk_add_f32 v[2:3], v[2:3], v[6:7]
	v_pk_fma_f32 v[6:7], v[20:21], v[54:55], v[4:5] neg_lo:[0,0,1] neg_hi:[0,0,1]
	v_pk_fma_f32 v[4:5], v[20:21], v[54:55], v[4:5] op_sel_hi:[1,0,1]
	s_nop 0
	v_mov_b32_e32 v7, v5
	v_pk_add_f32 v[2:3], v[2:3], v[6:7]
	s_waitcnt vmcnt(0)
	v_pk_add_f32 v[2:3], v[80:81], v[2:3] neg_lo:[0,1] neg_hi:[0,1]
	scratch_store_dwordx2 off, v[2:3], off offset:136
	s_and_saveexec_b64 s[0:1], vcc
	s_cbranch_execz .LBB108_251
; %bb.250:
	scratch_load_dwordx2 v[2:3], off, off offset:128
	v_mov_b32_e32 v83, v82
	scratch_store_dwordx2 off, v[82:83], off offset:128
	s_waitcnt vmcnt(1)
	ds_write_b64 v1, v[2:3]
.LBB108_251:
	s_or_b64 exec, exec, s[0:1]
	s_waitcnt lgkmcnt(0)
	; wave barrier
	scratch_load_dwordx4 v[10:13], off, off offset:136
	scratch_load_dwordx4 v[26:29], off, off offset:152
	;; [unrolled: 1-line block ×10, first 2 shown]
	ds_read2_b64 v[84:87], v82 offset0:63 offset1:64
	ds_read2_b64 v[88:91], v82 offset0:65 offset1:66
	;; [unrolled: 1-line block ×10, first 2 shown]
	scratch_load_dwordx4 v[54:57], off, off offset:296
	scratch_load_dwordx4 v[46:49], off, off offset:312
	;; [unrolled: 1-line block ×4, first 2 shown]
	scratch_load_dwordx2 v[100:101], off, off offset:128
	v_cmp_lt_u32_e32 vcc, 15, v0
	s_waitcnt vmcnt(14) lgkmcnt(9)
	v_mul_f32_e32 v83, v84, v11
	v_mul_f32_e32 v102, v86, v13
	s_waitcnt vmcnt(12) lgkmcnt(7)
	v_mul_f32_e32 v107, v92, v3
	v_mul_f32_e32 v3, v93, v3
	v_fmac_f32_e32 v83, v85, v10
	v_mul_f32_e32 v104, v88, v27
	v_fmac_f32_e32 v102, v87, v12
	v_fmac_f32_e32 v107, v93, v2
	v_fma_f32 v2, v92, v2, -v3
	v_add_f32_e32 v3, 0, v83
	v_mul_f32_e32 v106, v90, v29
	v_fmac_f32_e32 v104, v89, v26
	v_add_f32_e32 v3, v3, v102
	v_fmac_f32_e32 v106, v91, v28
	v_add_f32_e32 v3, v3, v104
	v_mul_f32_e32 v108, v94, v5
	v_add_f32_e32 v3, v3, v106
	s_waitcnt vmcnt(11) lgkmcnt(6)
	v_mul_f32_e32 v109, v96, v7
	v_fmac_f32_e32 v108, v95, v4
	v_add_f32_e32 v3, v3, v107
	v_mul_f32_e32 v110, v98, v9
	v_fmac_f32_e32 v109, v97, v6
	v_add_f32_e32 v3, v3, v108
	s_waitcnt vmcnt(10) lgkmcnt(5)
	v_mul_f32_e32 v111, v78, v15
	v_fmac_f32_e32 v110, v99, v8
	v_add_f32_e32 v3, v3, v109
	v_mul_f32_e32 v112, v80, v17
	v_fmac_f32_e32 v111, v79, v14
	;; [unrolled: 7-line block ×4, first 2 shown]
	v_add_f32_e32 v3, v3, v114
	s_waitcnt vmcnt(7) lgkmcnt(2)
	v_mul_f32_e32 v117, v66, v39
	v_mul_f32_e32 v11, v85, v11
	v_fmac_f32_e32 v116, v73, v32
	v_add_f32_e32 v3, v3, v115
	v_mul_f32_e32 v118, v68, v41
	v_mul_f32_e32 v13, v87, v13
	v_fmac_f32_e32 v117, v67, v38
	v_fma_f32 v10, v84, v10, -v11
	v_add_f32_e32 v3, v3, v116
	s_waitcnt vmcnt(6) lgkmcnt(1)
	v_mul_f32_e32 v119, v62, v43
	v_mul_f32_e32 v27, v89, v27
	v_fmac_f32_e32 v118, v69, v40
	v_fma_f32 v11, v86, v12, -v13
	v_add_f32_e32 v10, 0, v10
	v_add_f32_e32 v3, v3, v117
	v_mul_f32_e32 v120, v64, v45
	v_mul_f32_e32 v29, v91, v29
	v_fmac_f32_e32 v119, v63, v42
	v_fma_f32 v12, v88, v26, -v27
	v_add_f32_e32 v10, v10, v11
	v_add_f32_e32 v3, v3, v118
	v_fmac_f32_e32 v120, v65, v44
	v_fma_f32 v13, v90, v28, -v29
	v_add_f32_e32 v10, v10, v12
	v_add_f32_e32 v3, v3, v119
	;; [unrolled: 1-line block ×4, first 2 shown]
	v_mul_f32_e32 v3, v95, v5
	v_add_f32_e32 v2, v10, v2
	v_fma_f32 v3, v94, v4, -v3
	v_add_f32_e32 v2, v2, v3
	v_mul_f32_e32 v3, v97, v7
	v_fma_f32 v3, v96, v6, -v3
	v_add_f32_e32 v2, v2, v3
	v_mul_f32_e32 v3, v99, v9
	;; [unrolled: 3-line block ×12, first 2 shown]
	v_fma_f32 v3, v64, v44, -v3
	v_add_f32_e32 v26, v2, v3
	s_waitcnt vmcnt(5) lgkmcnt(0)
	v_mul_f32_e32 v2, v59, v51
	v_fma_f32 v102, v58, v50, -v2
	v_mul_f32_e32 v2, v61, v53
	v_fma_f32 v104, v60, v52, -v2
	ds_read2_b64 v[2:5], v82 offset0:83 offset1:84
	ds_read2_b64 v[6:9], v82 offset0:85 offset1:86
	;; [unrolled: 1-line block ×4, first 2 shown]
	v_mul_f32_e32 v103, v58, v51
	v_mul_f32_e32 v105, v60, v53
	v_fmac_f32_e32 v103, v59, v50
	s_waitcnt vmcnt(4) lgkmcnt(3)
	v_pk_mul_f32 v[24:25], v[2:3], v[54:55] op_sel:[1,1] op_sel_hi:[0,1]
	v_fmac_f32_e32 v105, v61, v52
	v_pk_add_f32 v[22:23], v[26:27], v[102:103]
	v_pk_fma_f32 v[26:27], v[2:3], v[54:55], v[24:25] neg_lo:[0,0,1] neg_hi:[0,0,1]
	v_pk_fma_f32 v[2:3], v[2:3], v[54:55], v[24:25] op_sel_hi:[1,0,1]
	v_pk_add_f32 v[22:23], v[22:23], v[104:105]
	v_mov_b32_e32 v27, v3
	v_pk_add_f32 v[2:3], v[22:23], v[26:27]
	v_mov_b32_e32 v22, v57
	v_pk_mul_f32 v[22:23], v[4:5], v[22:23] op_sel:[1,0] op_sel_hi:[0,0]
	v_pk_fma_f32 v[24:25], v[4:5], v[56:57], v[22:23] neg_lo:[0,0,1] neg_hi:[0,0,1]
	v_pk_fma_f32 v[4:5], v[4:5], v[56:57], v[22:23] op_sel_hi:[1,0,1]
	s_nop 0
	v_mov_b32_e32 v25, v5
	s_waitcnt vmcnt(3) lgkmcnt(2)
	v_pk_mul_f32 v[4:5], v[6:7], v[46:47] op_sel:[1,1] op_sel_hi:[0,1]
	v_pk_fma_f32 v[22:23], v[6:7], v[46:47], v[4:5] neg_lo:[0,0,1] neg_hi:[0,0,1]
	v_pk_fma_f32 v[4:5], v[6:7], v[46:47], v[4:5] op_sel_hi:[1,0,1]
	v_pk_add_f32 v[2:3], v[2:3], v[24:25]
	v_mov_b32_e32 v4, v49
	v_mov_b32_e32 v23, v5
	v_pk_mul_f32 v[4:5], v[8:9], v[4:5] op_sel:[1,0] op_sel_hi:[0,0]
	v_pk_fma_f32 v[6:7], v[8:9], v[48:49], v[4:5] neg_lo:[0,0,1] neg_hi:[0,0,1]
	v_pk_fma_f32 v[4:5], v[8:9], v[48:49], v[4:5] op_sel_hi:[1,0,1]
	v_pk_add_f32 v[2:3], v[2:3], v[22:23]
	v_mov_b32_e32 v7, v5
	s_waitcnt vmcnt(2) lgkmcnt(1)
	v_pk_mul_f32 v[4:5], v[10:11], v[34:35] op_sel:[1,1] op_sel_hi:[0,1]
	v_pk_add_f32 v[2:3], v[2:3], v[6:7]
	v_pk_fma_f32 v[6:7], v[10:11], v[34:35], v[4:5] neg_lo:[0,0,1] neg_hi:[0,0,1]
	v_pk_fma_f32 v[4:5], v[10:11], v[34:35], v[4:5] op_sel_hi:[1,0,1]
	s_nop 0
	v_mov_b32_e32 v4, v37
	v_mov_b32_e32 v7, v5
	v_pk_mul_f32 v[4:5], v[12:13], v[4:5] op_sel:[1,0] op_sel_hi:[0,0]
	v_pk_add_f32 v[2:3], v[2:3], v[6:7]
	v_pk_fma_f32 v[6:7], v[12:13], v[36:37], v[4:5] neg_lo:[0,0,1] neg_hi:[0,0,1]
	v_pk_fma_f32 v[4:5], v[12:13], v[36:37], v[4:5] op_sel_hi:[1,0,1]
	s_nop 0
	v_mov_b32_e32 v7, v5
	s_waitcnt vmcnt(1) lgkmcnt(0)
	v_pk_mul_f32 v[4:5], v[14:15], v[18:19] op_sel:[1,1] op_sel_hi:[0,1]
	v_pk_add_f32 v[2:3], v[2:3], v[6:7]
	v_pk_fma_f32 v[6:7], v[14:15], v[18:19], v[4:5] neg_lo:[0,0,1] neg_hi:[0,0,1]
	v_pk_fma_f32 v[4:5], v[14:15], v[18:19], v[4:5] op_sel_hi:[1,0,1]
	s_nop 0
	v_mov_b32_e32 v4, v21
	v_mov_b32_e32 v7, v5
	v_pk_mul_f32 v[4:5], v[16:17], v[4:5] op_sel:[1,0] op_sel_hi:[0,0]
	v_pk_add_f32 v[2:3], v[2:3], v[6:7]
	v_pk_fma_f32 v[6:7], v[16:17], v[20:21], v[4:5] neg_lo:[0,0,1] neg_hi:[0,0,1]
	v_pk_fma_f32 v[4:5], v[16:17], v[20:21], v[4:5] op_sel_hi:[1,0,1]
	s_nop 0
	v_mov_b32_e32 v7, v5
	v_pk_add_f32 v[2:3], v[2:3], v[6:7]
	s_waitcnt vmcnt(0)
	v_pk_add_f32 v[2:3], v[100:101], v[2:3] neg_lo:[0,1] neg_hi:[0,1]
	scratch_store_dwordx2 off, v[2:3], off offset:128
	s_and_saveexec_b64 s[0:1], vcc
	s_cbranch_execz .LBB108_253
; %bb.252:
	scratch_load_dwordx2 v[2:3], off, off offset:120
	v_mov_b32_e32 v4, 0
	v_mov_b32_e32 v5, v4
	scratch_store_dwordx2 off, v[4:5], off offset:120
	s_waitcnt vmcnt(1)
	ds_write_b64 v1, v[2:3]
.LBB108_253:
	s_or_b64 exec, exec, s[0:1]
	s_waitcnt lgkmcnt(0)
	; wave barrier
	scratch_load_dwordx4 v[26:29], off, off offset:128
	scratch_load_dwordx4 v[2:5], off, off offset:144
	;; [unrolled: 1-line block ×14, first 2 shown]
	scratch_load_dwordx2 v[58:59], off, off offset:352
	scratch_load_dwordx2 v[100:101], off, off offset:120
	v_mov_b32_e32 v102, 0
	ds_read_b128 v[60:63], v102 offset:496
	ds_read_b128 v[64:67], v102 offset:512
	;; [unrolled: 1-line block ×12, first 2 shown]
	v_cmp_lt_u32_e32 vcc, 14, v0
	s_waitcnt vmcnt(15) lgkmcnt(11)
	v_mul_f32_e32 v103, v60, v27
	v_mul_f32_e32 v112, v62, v29
	s_waitcnt vmcnt(14) lgkmcnt(10)
	v_mul_f32_e32 v114, v64, v3
	v_mul_f32_e32 v3, v65, v3
	v_fmac_f32_e32 v103, v61, v26
	v_fmac_f32_e32 v112, v63, v28
	;; [unrolled: 1-line block ×3, first 2 shown]
	v_fma_f32 v2, v64, v2, -v3
	v_add_f32_e32 v3, 0, v103
	v_mul_f32_e32 v116, v66, v5
	v_add_f32_e32 v3, v3, v112
	s_waitcnt vmcnt(13) lgkmcnt(9)
	v_mul_f32_e32 v117, v68, v7
	v_fmac_f32_e32 v116, v67, v4
	v_add_f32_e32 v3, v3, v114
	v_mul_f32_e32 v118, v70, v9
	v_fmac_f32_e32 v117, v69, v6
	v_add_f32_e32 v3, v3, v116
	s_waitcnt vmcnt(12) lgkmcnt(8)
	v_mul_f32_e32 v119, v72, v11
	v_fmac_f32_e32 v118, v71, v8
	v_add_f32_e32 v3, v3, v117
	v_mul_f32_e32 v120, v74, v13
	v_fmac_f32_e32 v119, v73, v10
	;; [unrolled: 7-line block ×6, first 2 shown]
	v_add_f32_e32 v3, v3, v126
	s_waitcnt vmcnt(7) lgkmcnt(3)
	v_mul_f32_e32 v129, v92, v43
	v_fmac_f32_e32 v128, v91, v40
	v_add_f32_e32 v3, v3, v127
	v_mul_f32_e32 v130, v94, v45
	v_mul_f32_e32 v27, v61, v27
	v_fmac_f32_e32 v129, v93, v42
	v_add_f32_e32 v3, v3, v128
	s_waitcnt vmcnt(6) lgkmcnt(2)
	v_mul_f32_e32 v131, v96, v51
	v_mul_f32_e32 v29, v63, v29
	v_fmac_f32_e32 v130, v95, v44
	v_fma_f32 v26, v60, v26, -v27
	v_add_f32_e32 v3, v3, v129
	v_fmac_f32_e32 v131, v97, v50
	v_fma_f32 v27, v62, v28, -v29
	v_add_f32_e32 v26, 0, v26
	v_add_f32_e32 v3, v3, v130
	;; [unrolled: 1-line block ×4, first 2 shown]
	v_mul_f32_e32 v3, v67, v5
	v_add_f32_e32 v2, v26, v2
	v_fma_f32 v3, v66, v4, -v3
	v_add_f32_e32 v2, v2, v3
	v_mul_f32_e32 v3, v69, v7
	v_fma_f32 v3, v68, v6, -v3
	v_add_f32_e32 v2, v2, v3
	v_mul_f32_e32 v3, v71, v9
	;; [unrolled: 3-line block ×15, first 2 shown]
	v_fma_f32 v3, v96, v50, -v3
	v_mul_f32_e32 v113, v98, v53
	v_add_f32_e32 v26, v2, v3
	v_mul_f32_e32 v2, v99, v53
	s_waitcnt vmcnt(5)
	v_mov_b32_e32 v14, v57
	s_waitcnt lgkmcnt(1)
	v_mul_f32_e32 v115, v104, v55
	v_fmac_f32_e32 v113, v99, v52
	v_fma_f32 v112, v98, v52, -v2
	v_mul_f32_e32 v2, v105, v55
	v_pk_mul_f32 v[14:15], v[106:107], v[14:15] op_sel:[1,0] op_sel_hi:[0,0]
	v_fmac_f32_e32 v115, v105, v54
	v_fma_f32 v114, v104, v54, -v2
	v_pk_add_f32 v[12:13], v[26:27], v[112:113]
	v_pk_fma_f32 v[16:17], v[106:107], v[56:57], v[14:15] neg_lo:[0,0,1] neg_hi:[0,0,1]
	v_pk_fma_f32 v[14:15], v[106:107], v[56:57], v[14:15] op_sel_hi:[1,0,1]
	v_pk_add_f32 v[12:13], v[12:13], v[114:115]
	v_mov_b32_e32 v17, v15
	s_waitcnt vmcnt(4) lgkmcnt(0)
	v_pk_mul_f32 v[14:15], v[108:109], v[46:47] op_sel:[1,1] op_sel_hi:[0,1]
	v_pk_add_f32 v[12:13], v[12:13], v[16:17]
	v_pk_fma_f32 v[16:17], v[108:109], v[46:47], v[14:15] neg_lo:[0,0,1] neg_hi:[0,0,1]
	v_pk_fma_f32 v[14:15], v[108:109], v[46:47], v[14:15] op_sel_hi:[1,0,1]
	ds_read_b128 v[2:5], v102 offset:688
	ds_read_b128 v[6:9], v102 offset:704
	ds_read_b64 v[10:11], v102 offset:720
	v_mov_b32_e32 v14, v49
	v_mov_b32_e32 v17, v15
	v_pk_mul_f32 v[14:15], v[110:111], v[14:15] op_sel:[1,0] op_sel_hi:[0,0]
	v_pk_add_f32 v[12:13], v[12:13], v[16:17]
	v_pk_fma_f32 v[16:17], v[110:111], v[48:49], v[14:15] neg_lo:[0,0,1] neg_hi:[0,0,1]
	v_pk_fma_f32 v[14:15], v[110:111], v[48:49], v[14:15] op_sel_hi:[1,0,1]
	s_nop 0
	v_mov_b32_e32 v17, v15
	s_waitcnt vmcnt(3) lgkmcnt(2)
	v_pk_mul_f32 v[14:15], v[2:3], v[34:35] op_sel:[1,1] op_sel_hi:[0,1]
	v_pk_add_f32 v[12:13], v[12:13], v[16:17]
	v_pk_fma_f32 v[16:17], v[2:3], v[34:35], v[14:15] neg_lo:[0,0,1] neg_hi:[0,0,1]
	v_pk_fma_f32 v[2:3], v[2:3], v[34:35], v[14:15] op_sel_hi:[1,0,1]
	s_nop 0
	v_mov_b32_e32 v17, v3
	v_pk_add_f32 v[2:3], v[12:13], v[16:17]
	v_mov_b32_e32 v12, v37
	v_pk_mul_f32 v[12:13], v[4:5], v[12:13] op_sel:[1,0] op_sel_hi:[0,0]
	v_pk_fma_f32 v[14:15], v[4:5], v[36:37], v[12:13] neg_lo:[0,0,1] neg_hi:[0,0,1]
	v_pk_fma_f32 v[4:5], v[4:5], v[36:37], v[12:13] op_sel_hi:[1,0,1]
	s_nop 0
	v_mov_b32_e32 v15, v5
	s_waitcnt vmcnt(2) lgkmcnt(1)
	v_pk_mul_f32 v[4:5], v[6:7], v[18:19] op_sel:[1,1] op_sel_hi:[0,1]
	v_pk_fma_f32 v[12:13], v[6:7], v[18:19], v[4:5] neg_lo:[0,0,1] neg_hi:[0,0,1]
	v_pk_fma_f32 v[4:5], v[6:7], v[18:19], v[4:5] op_sel_hi:[1,0,1]
	v_pk_add_f32 v[2:3], v[2:3], v[14:15]
	v_mov_b32_e32 v4, v21
	v_mov_b32_e32 v13, v5
	v_pk_mul_f32 v[4:5], v[8:9], v[4:5] op_sel:[1,0] op_sel_hi:[0,0]
	v_pk_fma_f32 v[6:7], v[8:9], v[20:21], v[4:5] neg_lo:[0,0,1] neg_hi:[0,0,1]
	v_pk_fma_f32 v[4:5], v[8:9], v[20:21], v[4:5] op_sel_hi:[1,0,1]
	v_pk_add_f32 v[2:3], v[2:3], v[12:13]
	v_mov_b32_e32 v7, v5
	s_waitcnt vmcnt(1) lgkmcnt(0)
	v_pk_mul_f32 v[4:5], v[10:11], v[58:59] op_sel:[1,1] op_sel_hi:[0,1]
	v_pk_add_f32 v[2:3], v[2:3], v[6:7]
	v_pk_fma_f32 v[6:7], v[10:11], v[58:59], v[4:5] neg_lo:[0,0,1] neg_hi:[0,0,1]
	v_pk_fma_f32 v[4:5], v[10:11], v[58:59], v[4:5] op_sel_hi:[1,0,1]
	s_nop 0
	v_mov_b32_e32 v7, v5
	v_pk_add_f32 v[2:3], v[2:3], v[6:7]
	s_waitcnt vmcnt(0)
	v_pk_add_f32 v[2:3], v[100:101], v[2:3] neg_lo:[0,1] neg_hi:[0,1]
	scratch_store_dwordx2 off, v[2:3], off offset:120
	s_and_saveexec_b64 s[0:1], vcc
	s_cbranch_execz .LBB108_255
; %bb.254:
	scratch_load_dwordx2 v[2:3], off, off offset:112
	v_mov_b32_e32 v103, v102
	scratch_store_dwordx2 off, v[102:103], off offset:112
	s_waitcnt vmcnt(1)
	ds_write_b64 v1, v[2:3]
.LBB108_255:
	s_or_b64 exec, exec, s[0:1]
	s_waitcnt lgkmcnt(0)
	; wave barrier
	scratch_load_dwordx4 v[18:21], off, off offset:120
	scratch_load_dwordx4 v[2:5], off, off offset:136
	;; [unrolled: 1-line block ×11, first 2 shown]
	ds_read2_b64 v[104:107], v102 offset0:61 offset1:62
	ds_read2_b64 v[98:101], v102 offset0:63 offset1:64
	;; [unrolled: 1-line block ×10, first 2 shown]
	scratch_load_dwordx4 v[58:61], off, off offset:296
	scratch_load_dwordx4 v[50:53], off, off offset:312
	;; [unrolled: 1-line block ×4, first 2 shown]
	ds_read2_b64 v[78:81], v102 offset0:81 offset1:82
	ds_read2_b64 v[108:111], v102 offset0:83 offset1:84
	scratch_load_dwordx2 v[112:113], off, off offset:112
	v_cmp_lt_u32_e32 vcc, 13, v0
	s_waitcnt vmcnt(15) lgkmcnt(11)
	v_mul_f32_e32 v103, v104, v19
	v_mul_f32_e32 v114, v106, v21
	s_waitcnt vmcnt(14) lgkmcnt(10)
	v_mul_f32_e32 v116, v98, v3
	v_mul_f32_e32 v3, v99, v3
	v_fmac_f32_e32 v103, v105, v18
	v_fmac_f32_e32 v114, v107, v20
	;; [unrolled: 1-line block ×3, first 2 shown]
	v_fma_f32 v2, v98, v2, -v3
	v_add_f32_e32 v3, 0, v103
	v_mul_f32_e32 v118, v100, v5
	v_add_f32_e32 v3, v3, v114
	s_waitcnt vmcnt(13) lgkmcnt(9)
	v_mul_f32_e32 v119, v94, v7
	v_fmac_f32_e32 v118, v101, v4
	v_add_f32_e32 v3, v3, v116
	v_mul_f32_e32 v120, v96, v9
	v_fmac_f32_e32 v119, v95, v6
	v_add_f32_e32 v3, v3, v118
	s_waitcnt vmcnt(12) lgkmcnt(8)
	v_mul_f32_e32 v121, v90, v11
	v_fmac_f32_e32 v120, v97, v8
	v_add_f32_e32 v3, v3, v119
	v_mul_f32_e32 v122, v92, v13
	v_fmac_f32_e32 v121, v91, v10
	;; [unrolled: 7-line block ×7, first 2 shown]
	v_add_f32_e32 v3, v3, v130
	s_waitcnt vmcnt(6) lgkmcnt(2)
	v_mul_f32_e32 v133, v62, v47
	v_mul_f32_e32 v19, v105, v19
	v_fmac_f32_e32 v132, v69, v44
	v_add_f32_e32 v3, v3, v131
	v_mul_f32_e32 v134, v64, v49
	v_mul_f32_e32 v21, v107, v21
	v_fmac_f32_e32 v133, v63, v46
	v_fma_f32 v18, v104, v18, -v19
	v_add_f32_e32 v3, v3, v132
	v_fmac_f32_e32 v134, v65, v48
	v_fma_f32 v19, v106, v20, -v21
	v_add_f32_e32 v18, 0, v18
	v_add_f32_e32 v3, v3, v133
	;; [unrolled: 1-line block ×4, first 2 shown]
	v_mul_f32_e32 v3, v101, v5
	v_add_f32_e32 v2, v18, v2
	v_fma_f32 v3, v100, v4, -v3
	v_add_f32_e32 v2, v2, v3
	v_mul_f32_e32 v3, v95, v7
	v_fma_f32 v3, v94, v6, -v3
	v_add_f32_e32 v2, v2, v3
	v_mul_f32_e32 v3, v97, v9
	;; [unrolled: 3-line block ×16, first 2 shown]
	v_fma_f32 v3, v64, v48, -v3
	s_waitcnt vmcnt(5) lgkmcnt(1)
	v_mul_f32_e32 v115, v78, v55
	v_add_f32_e32 v18, v2, v3
	v_mul_f32_e32 v2, v79, v55
	v_fmac_f32_e32 v115, v79, v54
	v_fma_f32 v114, v78, v54, -v2
	s_waitcnt vmcnt(4) lgkmcnt(0)
	v_pk_mul_f32 v[16:17], v[108:109], v[58:59] op_sel:[1,1] op_sel_hi:[0,1]
	v_mul_f32_e32 v117, v80, v57
	v_mul_f32_e32 v2, v81, v57
	v_pk_add_f32 v[14:15], v[18:19], v[114:115]
	v_pk_fma_f32 v[18:19], v[108:109], v[58:59], v[16:17] neg_lo:[0,0,1] neg_hi:[0,0,1]
	v_pk_fma_f32 v[16:17], v[108:109], v[58:59], v[16:17] op_sel_hi:[1,0,1]
	v_fmac_f32_e32 v117, v81, v56
	v_fma_f32 v116, v80, v56, -v2
	ds_read2_b64 v[2:5], v102 offset0:85 offset1:86
	ds_read2_b64 v[6:9], v102 offset0:87 offset1:88
	;; [unrolled: 1-line block ×3, first 2 shown]
	v_mov_b32_e32 v16, v61
	v_pk_add_f32 v[14:15], v[14:15], v[116:117]
	v_mov_b32_e32 v19, v17
	v_pk_mul_f32 v[16:17], v[110:111], v[16:17] op_sel:[1,0] op_sel_hi:[0,0]
	v_pk_add_f32 v[14:15], v[14:15], v[18:19]
	v_pk_fma_f32 v[18:19], v[110:111], v[60:61], v[16:17] neg_lo:[0,0,1] neg_hi:[0,0,1]
	v_pk_fma_f32 v[16:17], v[110:111], v[60:61], v[16:17] op_sel_hi:[1,0,1]
	s_nop 0
	v_mov_b32_e32 v19, v17
	s_waitcnt vmcnt(3) lgkmcnt(2)
	v_pk_mul_f32 v[16:17], v[2:3], v[50:51] op_sel:[1,1] op_sel_hi:[0,1]
	v_pk_add_f32 v[14:15], v[14:15], v[18:19]
	v_pk_fma_f32 v[18:19], v[2:3], v[50:51], v[16:17] neg_lo:[0,0,1] neg_hi:[0,0,1]
	v_pk_fma_f32 v[2:3], v[2:3], v[50:51], v[16:17] op_sel_hi:[1,0,1]
	s_nop 0
	v_mov_b32_e32 v19, v3
	v_pk_add_f32 v[2:3], v[14:15], v[18:19]
	v_mov_b32_e32 v14, v53
	v_pk_mul_f32 v[14:15], v[4:5], v[14:15] op_sel:[1,0] op_sel_hi:[0,0]
	v_pk_fma_f32 v[16:17], v[4:5], v[52:53], v[14:15] neg_lo:[0,0,1] neg_hi:[0,0,1]
	v_pk_fma_f32 v[4:5], v[4:5], v[52:53], v[14:15] op_sel_hi:[1,0,1]
	s_nop 0
	v_mov_b32_e32 v17, v5
	s_waitcnt vmcnt(2) lgkmcnt(1)
	v_pk_mul_f32 v[4:5], v[6:7], v[38:39] op_sel:[1,1] op_sel_hi:[0,1]
	v_pk_fma_f32 v[14:15], v[6:7], v[38:39], v[4:5] neg_lo:[0,0,1] neg_hi:[0,0,1]
	v_pk_fma_f32 v[4:5], v[6:7], v[38:39], v[4:5] op_sel_hi:[1,0,1]
	v_pk_add_f32 v[2:3], v[2:3], v[16:17]
	v_mov_b32_e32 v4, v41
	v_mov_b32_e32 v15, v5
	v_pk_mul_f32 v[4:5], v[8:9], v[4:5] op_sel:[1,0] op_sel_hi:[0,0]
	v_pk_fma_f32 v[6:7], v[8:9], v[40:41], v[4:5] neg_lo:[0,0,1] neg_hi:[0,0,1]
	v_pk_fma_f32 v[4:5], v[8:9], v[40:41], v[4:5] op_sel_hi:[1,0,1]
	v_pk_add_f32 v[2:3], v[2:3], v[14:15]
	v_mov_b32_e32 v7, v5
	s_waitcnt vmcnt(1) lgkmcnt(0)
	v_pk_mul_f32 v[4:5], v[10:11], v[26:27] op_sel:[1,1] op_sel_hi:[0,1]
	v_pk_add_f32 v[2:3], v[2:3], v[6:7]
	v_pk_fma_f32 v[6:7], v[10:11], v[26:27], v[4:5] neg_lo:[0,0,1] neg_hi:[0,0,1]
	v_pk_fma_f32 v[4:5], v[10:11], v[26:27], v[4:5] op_sel_hi:[1,0,1]
	s_nop 0
	v_mov_b32_e32 v4, v29
	v_mov_b32_e32 v7, v5
	v_pk_mul_f32 v[4:5], v[12:13], v[4:5] op_sel:[1,0] op_sel_hi:[0,0]
	v_pk_add_f32 v[2:3], v[2:3], v[6:7]
	v_pk_fma_f32 v[6:7], v[12:13], v[28:29], v[4:5] neg_lo:[0,0,1] neg_hi:[0,0,1]
	v_pk_fma_f32 v[4:5], v[12:13], v[28:29], v[4:5] op_sel_hi:[1,0,1]
	s_nop 0
	v_mov_b32_e32 v7, v5
	v_pk_add_f32 v[2:3], v[2:3], v[6:7]
	s_waitcnt vmcnt(0)
	v_pk_add_f32 v[2:3], v[112:113], v[2:3] neg_lo:[0,1] neg_hi:[0,1]
	scratch_store_dwordx2 off, v[2:3], off offset:112
	s_and_saveexec_b64 s[0:1], vcc
	s_cbranch_execz .LBB108_257
; %bb.256:
	scratch_load_dwordx2 v[2:3], off, off offset:104
	v_mov_b32_e32 v4, 0
	v_mov_b32_e32 v5, v4
	scratch_store_dwordx2 off, v[4:5], off offset:104
	s_waitcnt vmcnt(1)
	ds_write_b64 v1, v[2:3]
.LBB108_257:
	s_or_b64 exec, exec, s[0:1]
	s_waitcnt lgkmcnt(0)
	; wave barrier
	scratch_load_dwordx4 v[2:5], off, off offset:112
	scratch_load_dwordx4 v[6:9], off, off offset:128
	;; [unrolled: 1-line block ×15, first 2 shown]
	scratch_load_dwordx2 v[62:63], off, off offset:352
	scratch_load_dwordx2 v[112:113], off, off offset:104
	v_mov_b32_e32 v114, 0
	ds_read_b128 v[64:67], v114 offset:480
	ds_read_b128 v[68:71], v114 offset:496
	;; [unrolled: 1-line block ×12, first 2 shown]
	v_cmp_lt_u32_e32 vcc, 12, v0
	s_waitcnt vmcnt(16) lgkmcnt(11)
	v_mul_f32_e32 v115, v64, v3
	v_mul_f32_e32 v116, v66, v5
	;; [unrolled: 1-line block ×3, first 2 shown]
	v_fmac_f32_e32 v115, v65, v2
	s_waitcnt vmcnt(15) lgkmcnt(10)
	v_mul_f32_e32 v118, v68, v7
	v_fmac_f32_e32 v116, v67, v4
	v_fma_f32 v2, v64, v2, -v3
	v_add_f32_e32 v3, 0, v115
	v_mul_f32_e32 v120, v70, v9
	v_fmac_f32_e32 v118, v69, v6
	v_add_f32_e32 v3, v3, v116
	s_waitcnt vmcnt(14) lgkmcnt(9)
	v_mul_f32_e32 v121, v72, v11
	v_fmac_f32_e32 v120, v71, v8
	v_add_f32_e32 v3, v3, v118
	v_mul_f32_e32 v122, v74, v13
	v_fmac_f32_e32 v121, v73, v10
	v_add_f32_e32 v3, v3, v120
	s_waitcnt vmcnt(13) lgkmcnt(8)
	v_mul_f32_e32 v123, v76, v15
	v_fmac_f32_e32 v122, v75, v12
	;; [unrolled: 7-line block ×9, first 2 shown]
	v_add_f32_e32 v3, v3, v135
	v_mul_f32_e32 v5, v67, v5
	v_fmac_f32_e32 v137, v105, v58
	v_add_f32_e32 v3, v3, v136
	v_add_f32_e32 v2, 0, v2
	;; [unrolled: 1-line block ×3, first 2 shown]
	v_fma_f32 v3, v66, v4, -v5
	v_add_f32_e32 v2, v2, v3
	v_mul_f32_e32 v3, v69, v7
	v_fma_f32 v3, v68, v6, -v3
	v_add_f32_e32 v2, v2, v3
	v_mul_f32_e32 v3, v71, v9
	;; [unrolled: 3-line block ×20, first 2 shown]
	v_mul_f32_e32 v117, v106, v61
	v_fma_f32 v116, v106, v60, -v2
	s_waitcnt vmcnt(5) lgkmcnt(0)
	v_mul_f32_e32 v2, v109, v55
	v_mov_b32_e32 v18, v57
	v_mul_f32_e32 v119, v108, v55
	v_fmac_f32_e32 v117, v107, v60
	v_fma_f32 v118, v108, v54, -v2
	ds_read_b128 v[2:5], v114 offset:672
	ds_read_b128 v[6:9], v114 offset:688
	;; [unrolled: 1-line block ×3, first 2 shown]
	ds_read_b64 v[14:15], v114 offset:720
	v_pk_mul_f32 v[18:19], v[110:111], v[18:19] op_sel:[1,0] op_sel_hi:[0,0]
	v_fmac_f32_e32 v119, v109, v54
	v_pk_add_f32 v[16:17], v[64:65], v[116:117]
	v_pk_fma_f32 v[20:21], v[110:111], v[56:57], v[18:19] neg_lo:[0,0,1] neg_hi:[0,0,1]
	v_pk_fma_f32 v[18:19], v[110:111], v[56:57], v[18:19] op_sel_hi:[1,0,1]
	v_pk_add_f32 v[16:17], v[16:17], v[118:119]
	v_mov_b32_e32 v21, v19
	s_waitcnt vmcnt(4) lgkmcnt(3)
	v_pk_mul_f32 v[18:19], v[2:3], v[50:51] op_sel:[1,1] op_sel_hi:[0,1]
	v_pk_add_f32 v[16:17], v[16:17], v[20:21]
	v_pk_fma_f32 v[20:21], v[2:3], v[50:51], v[18:19] neg_lo:[0,0,1] neg_hi:[0,0,1]
	v_pk_fma_f32 v[2:3], v[2:3], v[50:51], v[18:19] op_sel_hi:[1,0,1]
	s_nop 0
	v_mov_b32_e32 v21, v3
	v_pk_add_f32 v[2:3], v[16:17], v[20:21]
	v_mov_b32_e32 v16, v53
	v_pk_mul_f32 v[16:17], v[4:5], v[16:17] op_sel:[1,0] op_sel_hi:[0,0]
	v_pk_fma_f32 v[18:19], v[4:5], v[52:53], v[16:17] neg_lo:[0,0,1] neg_hi:[0,0,1]
	v_pk_fma_f32 v[4:5], v[4:5], v[52:53], v[16:17] op_sel_hi:[1,0,1]
	s_nop 0
	v_mov_b32_e32 v19, v5
	s_waitcnt vmcnt(3) lgkmcnt(2)
	v_pk_mul_f32 v[4:5], v[6:7], v[38:39] op_sel:[1,1] op_sel_hi:[0,1]
	v_pk_fma_f32 v[16:17], v[6:7], v[38:39], v[4:5] neg_lo:[0,0,1] neg_hi:[0,0,1]
	v_pk_fma_f32 v[4:5], v[6:7], v[38:39], v[4:5] op_sel_hi:[1,0,1]
	v_pk_add_f32 v[2:3], v[2:3], v[18:19]
	v_mov_b32_e32 v4, v41
	v_mov_b32_e32 v17, v5
	v_pk_mul_f32 v[4:5], v[8:9], v[4:5] op_sel:[1,0] op_sel_hi:[0,0]
	v_pk_fma_f32 v[6:7], v[8:9], v[40:41], v[4:5] neg_lo:[0,0,1] neg_hi:[0,0,1]
	v_pk_fma_f32 v[4:5], v[8:9], v[40:41], v[4:5] op_sel_hi:[1,0,1]
	v_pk_add_f32 v[2:3], v[2:3], v[16:17]
	v_mov_b32_e32 v7, v5
	s_waitcnt vmcnt(2) lgkmcnt(1)
	v_pk_mul_f32 v[4:5], v[10:11], v[26:27] op_sel:[1,1] op_sel_hi:[0,1]
	v_pk_add_f32 v[2:3], v[2:3], v[6:7]
	v_pk_fma_f32 v[6:7], v[10:11], v[26:27], v[4:5] neg_lo:[0,0,1] neg_hi:[0,0,1]
	v_pk_fma_f32 v[4:5], v[10:11], v[26:27], v[4:5] op_sel_hi:[1,0,1]
	s_nop 0
	v_mov_b32_e32 v4, v29
	v_mov_b32_e32 v7, v5
	v_pk_mul_f32 v[4:5], v[12:13], v[4:5] op_sel:[1,0] op_sel_hi:[0,0]
	v_pk_add_f32 v[2:3], v[2:3], v[6:7]
	v_pk_fma_f32 v[6:7], v[12:13], v[28:29], v[4:5] neg_lo:[0,0,1] neg_hi:[0,0,1]
	v_pk_fma_f32 v[4:5], v[12:13], v[28:29], v[4:5] op_sel_hi:[1,0,1]
	s_nop 0
	v_mov_b32_e32 v7, v5
	s_waitcnt vmcnt(1) lgkmcnt(0)
	v_pk_mul_f32 v[4:5], v[14:15], v[62:63] op_sel:[1,1] op_sel_hi:[0,1]
	v_pk_add_f32 v[2:3], v[2:3], v[6:7]
	v_pk_fma_f32 v[6:7], v[14:15], v[62:63], v[4:5] neg_lo:[0,0,1] neg_hi:[0,0,1]
	v_pk_fma_f32 v[4:5], v[14:15], v[62:63], v[4:5] op_sel_hi:[1,0,1]
	s_nop 0
	v_mov_b32_e32 v7, v5
	v_pk_add_f32 v[2:3], v[2:3], v[6:7]
	s_waitcnt vmcnt(0)
	v_pk_add_f32 v[2:3], v[112:113], v[2:3] neg_lo:[0,1] neg_hi:[0,1]
	scratch_store_dwordx2 off, v[2:3], off offset:104
	s_and_saveexec_b64 s[0:1], vcc
	s_cbranch_execz .LBB108_259
; %bb.258:
	scratch_load_dwordx2 v[2:3], off, off offset:96
	v_mov_b32_e32 v115, v114
	scratch_store_dwordx2 off, v[114:115], off offset:96
	s_waitcnt vmcnt(1)
	ds_write_b64 v1, v[2:3]
.LBB108_259:
	s_or_b64 exec, exec, s[0:1]
	s_waitcnt lgkmcnt(0)
	; wave barrier
	scratch_load_dwordx4 v[2:5], off, off offset:104
	scratch_load_dwordx4 v[6:9], off, off offset:120
	;; [unrolled: 1-line block ×12, first 2 shown]
	ds_read2_b64 v[110:113], v114 offset0:59 offset1:60
	ds_read2_b64 v[106:109], v114 offset0:61 offset1:62
	;; [unrolled: 1-line block ×12, first 2 shown]
	scratch_load_dwordx4 v[62:65], off, off offset:296
	scratch_load_dwordx4 v[54:57], off, off offset:312
	;; [unrolled: 1-line block ×4, first 2 shown]
	scratch_load_dwordx2 v[116:117], off, off offset:96
	v_cmp_lt_u32_e32 vcc, 11, v0
	s_waitcnt vmcnt(16) lgkmcnt(11)
	v_mul_f32_e32 v115, v110, v3
	v_mul_f32_e32 v118, v112, v5
	;; [unrolled: 1-line block ×3, first 2 shown]
	v_fmac_f32_e32 v115, v111, v2
	s_waitcnt vmcnt(15) lgkmcnt(10)
	v_mul_f32_e32 v120, v106, v7
	v_fmac_f32_e32 v118, v113, v4
	v_fma_f32 v2, v110, v2, -v3
	v_add_f32_e32 v3, 0, v115
	v_mul_f32_e32 v122, v108, v9
	v_fmac_f32_e32 v120, v107, v6
	v_add_f32_e32 v3, v3, v118
	s_waitcnt vmcnt(14) lgkmcnt(9)
	v_mul_f32_e32 v123, v102, v11
	v_fmac_f32_e32 v122, v109, v8
	v_add_f32_e32 v3, v3, v120
	v_mul_f32_e32 v124, v104, v13
	v_fmac_f32_e32 v123, v103, v10
	v_add_f32_e32 v3, v3, v122
	s_waitcnt vmcnt(13) lgkmcnt(8)
	v_mul_f32_e32 v125, v98, v15
	v_fmac_f32_e32 v124, v105, v12
	;; [unrolled: 7-line block ×9, first 2 shown]
	v_add_f32_e32 v3, v3, v137
	v_mul_f32_e32 v140, v72, v53
	v_fmac_f32_e32 v139, v71, v50
	v_add_f32_e32 v3, v3, v138
	v_fmac_f32_e32 v140, v73, v52
	v_add_f32_e32 v3, v3, v139
	v_add_f32_e32 v111, v3, v140
	v_mul_f32_e32 v3, v113, v5
	v_add_f32_e32 v2, 0, v2
	v_fma_f32 v3, v112, v4, -v3
	v_add_f32_e32 v2, v2, v3
	v_mul_f32_e32 v3, v107, v7
	v_fma_f32 v3, v106, v6, -v3
	v_add_f32_e32 v2, v2, v3
	v_mul_f32_e32 v3, v109, v9
	;; [unrolled: 3-line block ×20, first 2 shown]
	v_fma_f32 v3, v72, v52, -v3
	v_add_f32_e32 v110, v2, v3
	s_waitcnt vmcnt(5) lgkmcnt(0)
	v_mul_f32_e32 v2, v67, v59
	v_fma_f32 v118, v66, v58, -v2
	v_mul_f32_e32 v2, v69, v61
	v_fma_f32 v120, v68, v60, -v2
	ds_read2_b64 v[2:5], v114 offset0:83 offset1:84
	ds_read2_b64 v[6:9], v114 offset0:85 offset1:86
	;; [unrolled: 1-line block ×4, first 2 shown]
	v_mul_f32_e32 v119, v66, v59
	v_mul_f32_e32 v121, v68, v61
	v_fmac_f32_e32 v119, v67, v58
	s_waitcnt vmcnt(4) lgkmcnt(3)
	v_pk_mul_f32 v[20:21], v[2:3], v[62:63] op_sel:[1,1] op_sel_hi:[0,1]
	v_fmac_f32_e32 v121, v69, v60
	v_pk_add_f32 v[18:19], v[110:111], v[118:119]
	v_pk_fma_f32 v[22:23], v[2:3], v[62:63], v[20:21] neg_lo:[0,0,1] neg_hi:[0,0,1]
	v_pk_fma_f32 v[2:3], v[2:3], v[62:63], v[20:21] op_sel_hi:[1,0,1]
	v_pk_add_f32 v[18:19], v[18:19], v[120:121]
	v_mov_b32_e32 v23, v3
	v_pk_add_f32 v[2:3], v[18:19], v[22:23]
	v_mov_b32_e32 v18, v65
	v_pk_mul_f32 v[18:19], v[4:5], v[18:19] op_sel:[1,0] op_sel_hi:[0,0]
	v_pk_fma_f32 v[20:21], v[4:5], v[64:65], v[18:19] neg_lo:[0,0,1] neg_hi:[0,0,1]
	v_pk_fma_f32 v[4:5], v[4:5], v[64:65], v[18:19] op_sel_hi:[1,0,1]
	s_nop 0
	v_mov_b32_e32 v21, v5
	s_waitcnt vmcnt(3) lgkmcnt(2)
	v_pk_mul_f32 v[4:5], v[6:7], v[54:55] op_sel:[1,1] op_sel_hi:[0,1]
	v_pk_fma_f32 v[18:19], v[6:7], v[54:55], v[4:5] neg_lo:[0,0,1] neg_hi:[0,0,1]
	v_pk_fma_f32 v[4:5], v[6:7], v[54:55], v[4:5] op_sel_hi:[1,0,1]
	v_pk_add_f32 v[2:3], v[2:3], v[20:21]
	v_mov_b32_e32 v4, v57
	v_mov_b32_e32 v19, v5
	v_pk_mul_f32 v[4:5], v[8:9], v[4:5] op_sel:[1,0] op_sel_hi:[0,0]
	v_pk_fma_f32 v[6:7], v[8:9], v[56:57], v[4:5] neg_lo:[0,0,1] neg_hi:[0,0,1]
	v_pk_fma_f32 v[4:5], v[8:9], v[56:57], v[4:5] op_sel_hi:[1,0,1]
	v_pk_add_f32 v[2:3], v[2:3], v[18:19]
	v_mov_b32_e32 v7, v5
	s_waitcnt vmcnt(2) lgkmcnt(1)
	v_pk_mul_f32 v[4:5], v[10:11], v[42:43] op_sel:[1,1] op_sel_hi:[0,1]
	v_pk_add_f32 v[2:3], v[2:3], v[6:7]
	v_pk_fma_f32 v[6:7], v[10:11], v[42:43], v[4:5] neg_lo:[0,0,1] neg_hi:[0,0,1]
	v_pk_fma_f32 v[4:5], v[10:11], v[42:43], v[4:5] op_sel_hi:[1,0,1]
	s_nop 0
	v_mov_b32_e32 v4, v45
	v_mov_b32_e32 v7, v5
	v_pk_mul_f32 v[4:5], v[12:13], v[4:5] op_sel:[1,0] op_sel_hi:[0,0]
	v_pk_add_f32 v[2:3], v[2:3], v[6:7]
	v_pk_fma_f32 v[6:7], v[12:13], v[44:45], v[4:5] neg_lo:[0,0,1] neg_hi:[0,0,1]
	v_pk_fma_f32 v[4:5], v[12:13], v[44:45], v[4:5] op_sel_hi:[1,0,1]
	s_nop 0
	v_mov_b32_e32 v7, v5
	s_waitcnt vmcnt(1) lgkmcnt(0)
	v_pk_mul_f32 v[4:5], v[14:15], v[34:35] op_sel:[1,1] op_sel_hi:[0,1]
	v_pk_add_f32 v[2:3], v[2:3], v[6:7]
	v_pk_fma_f32 v[6:7], v[14:15], v[34:35], v[4:5] neg_lo:[0,0,1] neg_hi:[0,0,1]
	v_pk_fma_f32 v[4:5], v[14:15], v[34:35], v[4:5] op_sel_hi:[1,0,1]
	s_nop 0
	v_mov_b32_e32 v4, v37
	v_mov_b32_e32 v7, v5
	v_pk_mul_f32 v[4:5], v[16:17], v[4:5] op_sel:[1,0] op_sel_hi:[0,0]
	v_pk_add_f32 v[2:3], v[2:3], v[6:7]
	v_pk_fma_f32 v[6:7], v[16:17], v[36:37], v[4:5] neg_lo:[0,0,1] neg_hi:[0,0,1]
	v_pk_fma_f32 v[4:5], v[16:17], v[36:37], v[4:5] op_sel_hi:[1,0,1]
	s_nop 0
	v_mov_b32_e32 v7, v5
	v_pk_add_f32 v[2:3], v[2:3], v[6:7]
	s_waitcnt vmcnt(0)
	v_pk_add_f32 v[2:3], v[116:117], v[2:3] neg_lo:[0,1] neg_hi:[0,1]
	scratch_store_dwordx2 off, v[2:3], off offset:96
	s_and_saveexec_b64 s[0:1], vcc
	s_cbranch_execz .LBB108_261
; %bb.260:
	scratch_load_dwordx2 v[2:3], off, off offset:88
	v_mov_b32_e32 v4, 0
	v_mov_b32_e32 v5, v4
	scratch_store_dwordx2 off, v[4:5], off offset:88
	s_waitcnt vmcnt(1)
	ds_write_b64 v1, v[2:3]
.LBB108_261:
	s_or_b64 exec, exec, s[0:1]
	s_waitcnt lgkmcnt(0)
	; wave barrier
	scratch_load_dwordx4 v[2:5], off, off offset:96
	scratch_load_dwordx4 v[6:9], off, off offset:112
	;; [unrolled: 1-line block ×13, first 2 shown]
	v_mov_b32_e32 v106, 0
	scratch_load_dwordx2 v[124:125], off, off offset:88
	ds_read_b128 v[54:57], v106 offset:464
	ds_read_b128 v[58:61], v106 offset:480
	;; [unrolled: 1-line block ×14, first 2 shown]
	v_cmp_lt_u32_e32 vcc, 10, v0
	s_waitcnt vmcnt(13) lgkmcnt(13)
	v_mul_f32_e32 v107, v54, v3
	v_mul_f32_e32 v112, v56, v5
	v_fmac_f32_e32 v107, v55, v2
	s_waitcnt vmcnt(12) lgkmcnt(12)
	v_mul_f32_e32 v113, v58, v7
	v_fmac_f32_e32 v112, v57, v4
	v_add_f32_e32 v107, 0, v107
	v_mul_f32_e32 v114, v60, v9
	v_fmac_f32_e32 v113, v59, v6
	v_add_f32_e32 v107, v107, v112
	s_waitcnt vmcnt(11) lgkmcnt(11)
	v_mul_f32_e32 v115, v62, v11
	v_fmac_f32_e32 v114, v61, v8
	v_add_f32_e32 v107, v107, v113
	v_mul_f32_e32 v116, v64, v13
	v_fmac_f32_e32 v115, v63, v10
	v_add_f32_e32 v107, v107, v114
	;; [unrolled: 7-line block ×8, first 2 shown]
	s_waitcnt vmcnt(4) lgkmcnt(4)
	v_mul_f32_e32 v133, v90, v39
	v_fmac_f32_e32 v132, v89, v36
	v_add_f32_e32 v107, v107, v131
	v_fmac_f32_e32 v133, v91, v38
	v_add_f32_e32 v107, v107, v132
	v_add_f32_e32 v107, v107, v133
	scratch_load_dwordx4 v[112:115], off, off offset:304
	scratch_load_dwordx4 v[116:119], off, off offset:320
	;; [unrolled: 1-line block ×3, first 2 shown]
	scratch_load_dwordx2 v[132:133], off, off offset:352
	v_mul_f32_e32 v3, v55, v3
	v_fma_f32 v2, v54, v2, -v3
	v_mul_f32_e32 v3, v57, v5
	v_add_f32_e32 v2, 0, v2
	v_fma_f32 v3, v56, v4, -v3
	v_add_f32_e32 v2, v2, v3
	v_mul_f32_e32 v3, v59, v7
	v_fma_f32 v3, v58, v6, -v3
	v_add_f32_e32 v2, v2, v3
	v_mul_f32_e32 v3, v61, v9
	;; [unrolled: 3-line block ×18, first 2 shown]
	v_fma_f32 v3, v92, v40, -v3
	v_add_f32_e32 v2, v2, v3
	s_waitcnt vmcnt(7) lgkmcnt(3)
	v_mul_f32_e32 v3, v95, v43
	v_fma_f32 v3, v94, v42, -v3
	v_mul_f32_e32 v134, v92, v41
	v_add_f32_e32 v2, v2, v3
	v_mul_f32_e32 v3, v97, v45
	v_mul_f32_e32 v135, v94, v43
	v_fmac_f32_e32 v134, v93, v40
	v_fma_f32 v3, v96, v44, -v3
	v_mul_f32_e32 v136, v96, v45
	v_fmac_f32_e32 v135, v95, v42
	v_add_f32_e32 v107, v107, v134
	v_add_f32_e32 v2, v2, v3
	s_waitcnt vmcnt(6) lgkmcnt(2)
	v_mul_f32_e32 v3, v99, v47
	v_mul_f32_e32 v137, v98, v47
	v_fmac_f32_e32 v136, v97, v44
	v_add_f32_e32 v107, v107, v135
	v_fma_f32 v3, v98, v46, -v3
	v_mul_f32_e32 v127, v100, v49
	v_fmac_f32_e32 v137, v99, v46
	v_add_f32_e32 v107, v107, v136
	v_add_f32_e32 v130, v2, v3
	v_mul_f32_e32 v2, v101, v49
	s_waitcnt vmcnt(5)
	v_mov_b32_e32 v14, v53
	s_waitcnt lgkmcnt(1)
	v_mul_f32_e32 v129, v102, v51
	v_fmac_f32_e32 v127, v101, v48
	v_add_f32_e32 v131, v107, v137
	v_fma_f32 v126, v100, v48, -v2
	v_mul_f32_e32 v2, v103, v51
	v_pk_mul_f32 v[14:15], v[104:105], v[14:15] op_sel:[1,0] op_sel_hi:[0,0]
	v_fmac_f32_e32 v129, v103, v50
	v_fma_f32 v128, v102, v50, -v2
	v_pk_add_f32 v[12:13], v[130:131], v[126:127]
	v_pk_fma_f32 v[16:17], v[104:105], v[52:53], v[14:15] neg_lo:[0,0,1] neg_hi:[0,0,1]
	v_pk_fma_f32 v[14:15], v[104:105], v[52:53], v[14:15] op_sel_hi:[1,0,1]
	v_pk_add_f32 v[12:13], v[12:13], v[128:129]
	v_mov_b32_e32 v17, v15
	s_waitcnt vmcnt(3) lgkmcnt(0)
	v_pk_mul_f32 v[14:15], v[108:109], v[112:113] op_sel:[1,1] op_sel_hi:[0,1]
	v_pk_add_f32 v[12:13], v[12:13], v[16:17]
	v_pk_fma_f32 v[16:17], v[108:109], v[112:113], v[14:15] neg_lo:[0,0,1] neg_hi:[0,0,1]
	v_pk_fma_f32 v[14:15], v[108:109], v[112:113], v[14:15] op_sel_hi:[1,0,1]
	ds_read_b128 v[2:5], v106 offset:688
	ds_read_b128 v[6:9], v106 offset:704
	ds_read_b64 v[10:11], v106 offset:720
	v_mov_b32_e32 v14, v115
	v_mov_b32_e32 v17, v15
	v_pk_mul_f32 v[14:15], v[110:111], v[14:15] op_sel:[1,0] op_sel_hi:[0,0]
	v_pk_add_f32 v[12:13], v[12:13], v[16:17]
	v_pk_fma_f32 v[16:17], v[110:111], v[114:115], v[14:15] neg_lo:[0,0,1] neg_hi:[0,0,1]
	v_pk_fma_f32 v[14:15], v[110:111], v[114:115], v[14:15] op_sel_hi:[1,0,1]
	s_nop 0
	v_mov_b32_e32 v17, v15
	s_waitcnt vmcnt(2) lgkmcnt(2)
	v_pk_mul_f32 v[14:15], v[2:3], v[116:117] op_sel:[1,1] op_sel_hi:[0,1]
	v_pk_add_f32 v[12:13], v[12:13], v[16:17]
	v_pk_fma_f32 v[16:17], v[2:3], v[116:117], v[14:15] neg_lo:[0,0,1] neg_hi:[0,0,1]
	v_pk_fma_f32 v[2:3], v[2:3], v[116:117], v[14:15] op_sel_hi:[1,0,1]
	s_nop 0
	v_mov_b32_e32 v17, v3
	v_pk_add_f32 v[2:3], v[12:13], v[16:17]
	v_mov_b32_e32 v12, v119
	v_pk_mul_f32 v[12:13], v[4:5], v[12:13] op_sel:[1,0] op_sel_hi:[0,0]
	v_pk_fma_f32 v[14:15], v[4:5], v[118:119], v[12:13] neg_lo:[0,0,1] neg_hi:[0,0,1]
	v_pk_fma_f32 v[4:5], v[4:5], v[118:119], v[12:13] op_sel_hi:[1,0,1]
	s_nop 0
	v_mov_b32_e32 v15, v5
	s_waitcnt vmcnt(1) lgkmcnt(1)
	v_pk_mul_f32 v[4:5], v[6:7], v[120:121] op_sel:[1,1] op_sel_hi:[0,1]
	v_pk_fma_f32 v[12:13], v[6:7], v[120:121], v[4:5] neg_lo:[0,0,1] neg_hi:[0,0,1]
	v_pk_fma_f32 v[4:5], v[6:7], v[120:121], v[4:5] op_sel_hi:[1,0,1]
	v_pk_add_f32 v[2:3], v[2:3], v[14:15]
	v_mov_b32_e32 v4, v123
	v_mov_b32_e32 v13, v5
	v_pk_mul_f32 v[4:5], v[8:9], v[4:5] op_sel:[1,0] op_sel_hi:[0,0]
	v_pk_fma_f32 v[6:7], v[8:9], v[122:123], v[4:5] neg_lo:[0,0,1] neg_hi:[0,0,1]
	v_pk_fma_f32 v[4:5], v[8:9], v[122:123], v[4:5] op_sel_hi:[1,0,1]
	v_pk_add_f32 v[2:3], v[2:3], v[12:13]
	v_mov_b32_e32 v7, v5
	s_waitcnt vmcnt(0) lgkmcnt(0)
	v_pk_mul_f32 v[4:5], v[10:11], v[132:133] op_sel:[1,1] op_sel_hi:[0,1]
	v_pk_add_f32 v[2:3], v[2:3], v[6:7]
	v_pk_fma_f32 v[6:7], v[10:11], v[132:133], v[4:5] neg_lo:[0,0,1] neg_hi:[0,0,1]
	v_pk_fma_f32 v[4:5], v[10:11], v[132:133], v[4:5] op_sel_hi:[1,0,1]
	s_nop 0
	v_mov_b32_e32 v7, v5
	v_pk_add_f32 v[2:3], v[2:3], v[6:7]
	s_nop 0
	v_pk_add_f32 v[2:3], v[124:125], v[2:3] neg_lo:[0,1] neg_hi:[0,1]
	scratch_store_dwordx2 off, v[2:3], off offset:88
	s_and_saveexec_b64 s[0:1], vcc
	s_cbranch_execz .LBB108_263
; %bb.262:
	scratch_load_dwordx2 v[2:3], off, off offset:80
	v_mov_b32_e32 v107, v106
	scratch_store_dwordx2 off, v[106:107], off offset:80
	s_waitcnt vmcnt(1)
	ds_write_b64 v1, v[2:3]
.LBB108_263:
	s_or_b64 exec, exec, s[0:1]
	s_waitcnt lgkmcnt(0)
	; wave barrier
	scratch_load_dwordx4 v[2:5], off, off offset:88
	scratch_load_dwordx4 v[6:9], off, off offset:104
	scratch_load_dwordx4 v[10:13], off, off offset:120
	scratch_load_dwordx4 v[14:17], off, off offset:136
	scratch_load_dwordx4 v[18:21], off, off offset:152
	scratch_load_dwordx4 v[22:25], off, off offset:168
	scratch_load_dwordx4 v[26:29], off, off offset:184
	scratch_load_dwordx4 v[30:33], off, off offset:200
	scratch_load_dwordx4 v[34:37], off, off offset:216
	scratch_load_dwordx4 v[38:41], off, off offset:232
	scratch_load_dwordx4 v[42:45], off, off offset:248
	scratch_load_dwordx4 v[46:49], off, off offset:264
	scratch_load_dwordx4 v[50:53], off, off offset:280
	ds_read2_b64 v[102:105], v106 offset0:57 offset1:58
	ds_read2_b64 v[98:101], v106 offset0:59 offset1:60
	ds_read2_b64 v[94:97], v106 offset0:61 offset1:62
	ds_read2_b64 v[90:93], v106 offset0:63 offset1:64
	ds_read2_b64 v[86:89], v106 offset0:65 offset1:66
	ds_read2_b64 v[82:85], v106 offset0:67 offset1:68
	ds_read2_b64 v[78:81], v106 offset0:69 offset1:70
	ds_read2_b64 v[74:77], v106 offset0:71 offset1:72
	ds_read2_b64 v[70:73], v106 offset0:73 offset1:74
	ds_read2_b64 v[66:69], v106 offset0:75 offset1:76
	ds_read2_b64 v[62:65], v106 offset0:77 offset1:78
	ds_read2_b64 v[58:61], v106 offset0:79 offset1:80
	ds_read2_b64 v[54:57], v106 offset0:81 offset1:82
	ds_read2_b64 v[108:111], v106 offset0:83 offset1:84
	scratch_load_dwordx2 v[128:129], off, off offset:80
	v_cmp_lt_u32_e32 vcc, 9, v0
	s_waitcnt vmcnt(13) lgkmcnt(13)
	v_mul_f32_e32 v107, v102, v3
	v_mul_f32_e32 v112, v104, v5
	v_fmac_f32_e32 v107, v103, v2
	s_waitcnt vmcnt(12) lgkmcnt(12)
	v_mul_f32_e32 v113, v98, v7
	v_fmac_f32_e32 v112, v105, v4
	v_add_f32_e32 v107, 0, v107
	v_mul_f32_e32 v114, v100, v9
	v_fmac_f32_e32 v113, v99, v6
	v_add_f32_e32 v107, v107, v112
	s_waitcnt vmcnt(11) lgkmcnt(11)
	v_mul_f32_e32 v115, v94, v11
	v_fmac_f32_e32 v114, v101, v8
	v_add_f32_e32 v107, v107, v113
	v_mul_f32_e32 v116, v96, v13
	v_fmac_f32_e32 v115, v95, v10
	v_add_f32_e32 v107, v107, v114
	;; [unrolled: 7-line block ×7, first 2 shown]
	s_waitcnt vmcnt(5) lgkmcnt(5)
	v_mul_f32_e32 v127, v70, v35
	v_fmac_f32_e32 v126, v77, v32
	v_add_f32_e32 v107, v107, v125
	v_fmac_f32_e32 v127, v71, v34
	v_add_f32_e32 v107, v107, v126
	v_add_f32_e32 v107, v107, v127
	scratch_load_dwordx4 v[112:115], off, off offset:296
	scratch_load_dwordx4 v[116:119], off, off offset:312
	scratch_load_dwordx4 v[120:123], off, off offset:328
	scratch_load_dwordx4 v[124:127], off, off offset:344
	v_mul_f32_e32 v3, v103, v3
	v_fma_f32 v2, v102, v2, -v3
	v_mul_f32_e32 v3, v105, v5
	v_add_f32_e32 v2, 0, v2
	v_fma_f32 v3, v104, v4, -v3
	v_add_f32_e32 v2, v2, v3
	v_mul_f32_e32 v3, v99, v7
	v_fma_f32 v3, v98, v6, -v3
	v_add_f32_e32 v2, v2, v3
	v_mul_f32_e32 v3, v101, v9
	;; [unrolled: 3-line block ×16, first 2 shown]
	v_fma_f32 v3, v72, v36, -v3
	v_add_f32_e32 v2, v2, v3
	s_waitcnt vmcnt(8) lgkmcnt(4)
	v_mul_f32_e32 v3, v67, v39
	v_fma_f32 v3, v66, v38, -v3
	v_add_f32_e32 v2, v2, v3
	v_mul_f32_e32 v3, v69, v41
	v_fma_f32 v3, v68, v40, -v3
	v_add_f32_e32 v2, v2, v3
	s_waitcnt vmcnt(7) lgkmcnt(3)
	v_mul_f32_e32 v3, v63, v43
	v_mul_f32_e32 v130, v72, v37
	v_fma_f32 v3, v62, v42, -v3
	v_mul_f32_e32 v132, v66, v39
	v_fmac_f32_e32 v130, v73, v36
	v_add_f32_e32 v2, v2, v3
	v_mul_f32_e32 v3, v65, v45
	v_mul_f32_e32 v134, v68, v41
	v_fmac_f32_e32 v132, v67, v38
	v_add_f32_e32 v107, v107, v130
	v_fma_f32 v3, v64, v44, -v3
	v_mul_f32_e32 v135, v62, v43
	v_fmac_f32_e32 v134, v69, v40
	v_add_f32_e32 v107, v107, v132
	v_add_f32_e32 v2, v2, v3
	s_waitcnt vmcnt(6) lgkmcnt(2)
	v_mul_f32_e32 v3, v59, v47
	v_mul_f32_e32 v136, v64, v45
	v_fmac_f32_e32 v135, v63, v42
	v_add_f32_e32 v107, v107, v134
	v_fma_f32 v3, v58, v46, -v3
	v_mul_f32_e32 v137, v58, v47
	v_fmac_f32_e32 v136, v65, v44
	v_add_f32_e32 v107, v107, v135
	v_add_f32_e32 v2, v2, v3
	v_mul_f32_e32 v3, v61, v49
	v_mul_f32_e32 v138, v60, v49
	v_fmac_f32_e32 v137, v59, v46
	v_add_f32_e32 v107, v107, v136
	v_fma_f32 v3, v60, v48, -v3
	s_waitcnt vmcnt(5) lgkmcnt(1)
	v_mul_f32_e32 v131, v54, v51
	v_fmac_f32_e32 v138, v61, v48
	v_add_f32_e32 v107, v107, v137
	v_add_f32_e32 v134, v2, v3
	v_mul_f32_e32 v2, v55, v51
	s_waitcnt vmcnt(3) lgkmcnt(0)
	v_pk_mul_f32 v[16:17], v[108:109], v[112:113] op_sel:[1,1] op_sel_hi:[0,1]
	v_mul_f32_e32 v133, v56, v53
	v_fmac_f32_e32 v131, v55, v50
	v_add_f32_e32 v135, v107, v138
	v_fma_f32 v130, v54, v50, -v2
	v_mul_f32_e32 v2, v57, v53
	v_pk_fma_f32 v[18:19], v[108:109], v[112:113], v[16:17] neg_lo:[0,0,1] neg_hi:[0,0,1]
	v_pk_fma_f32 v[16:17], v[108:109], v[112:113], v[16:17] op_sel_hi:[1,0,1]
	v_fmac_f32_e32 v133, v57, v52
	v_fma_f32 v132, v56, v52, -v2
	ds_read2_b64 v[2:5], v106 offset0:85 offset1:86
	ds_read2_b64 v[6:9], v106 offset0:87 offset1:88
	;; [unrolled: 1-line block ×3, first 2 shown]
	v_pk_add_f32 v[14:15], v[134:135], v[130:131]
	v_mov_b32_e32 v16, v115
	v_pk_add_f32 v[14:15], v[14:15], v[132:133]
	v_mov_b32_e32 v19, v17
	v_pk_mul_f32 v[16:17], v[110:111], v[16:17] op_sel:[1,0] op_sel_hi:[0,0]
	v_pk_add_f32 v[14:15], v[14:15], v[18:19]
	v_pk_fma_f32 v[18:19], v[110:111], v[114:115], v[16:17] neg_lo:[0,0,1] neg_hi:[0,0,1]
	v_pk_fma_f32 v[16:17], v[110:111], v[114:115], v[16:17] op_sel_hi:[1,0,1]
	s_nop 0
	v_mov_b32_e32 v19, v17
	s_waitcnt vmcnt(2) lgkmcnt(2)
	v_pk_mul_f32 v[16:17], v[2:3], v[116:117] op_sel:[1,1] op_sel_hi:[0,1]
	v_pk_add_f32 v[14:15], v[14:15], v[18:19]
	v_pk_fma_f32 v[18:19], v[2:3], v[116:117], v[16:17] neg_lo:[0,0,1] neg_hi:[0,0,1]
	v_pk_fma_f32 v[2:3], v[2:3], v[116:117], v[16:17] op_sel_hi:[1,0,1]
	s_nop 0
	v_mov_b32_e32 v19, v3
	v_pk_add_f32 v[2:3], v[14:15], v[18:19]
	v_mov_b32_e32 v14, v119
	v_pk_mul_f32 v[14:15], v[4:5], v[14:15] op_sel:[1,0] op_sel_hi:[0,0]
	v_pk_fma_f32 v[16:17], v[4:5], v[118:119], v[14:15] neg_lo:[0,0,1] neg_hi:[0,0,1]
	v_pk_fma_f32 v[4:5], v[4:5], v[118:119], v[14:15] op_sel_hi:[1,0,1]
	s_nop 0
	v_mov_b32_e32 v17, v5
	s_waitcnt vmcnt(1) lgkmcnt(1)
	v_pk_mul_f32 v[4:5], v[6:7], v[120:121] op_sel:[1,1] op_sel_hi:[0,1]
	v_pk_fma_f32 v[14:15], v[6:7], v[120:121], v[4:5] neg_lo:[0,0,1] neg_hi:[0,0,1]
	v_pk_fma_f32 v[4:5], v[6:7], v[120:121], v[4:5] op_sel_hi:[1,0,1]
	v_pk_add_f32 v[2:3], v[2:3], v[16:17]
	v_mov_b32_e32 v4, v123
	v_mov_b32_e32 v15, v5
	v_pk_mul_f32 v[4:5], v[8:9], v[4:5] op_sel:[1,0] op_sel_hi:[0,0]
	v_pk_fma_f32 v[6:7], v[8:9], v[122:123], v[4:5] neg_lo:[0,0,1] neg_hi:[0,0,1]
	v_pk_fma_f32 v[4:5], v[8:9], v[122:123], v[4:5] op_sel_hi:[1,0,1]
	v_pk_add_f32 v[2:3], v[2:3], v[14:15]
	v_mov_b32_e32 v7, v5
	s_waitcnt vmcnt(0) lgkmcnt(0)
	v_pk_mul_f32 v[4:5], v[10:11], v[124:125] op_sel:[1,1] op_sel_hi:[0,1]
	v_pk_add_f32 v[2:3], v[2:3], v[6:7]
	v_pk_fma_f32 v[6:7], v[10:11], v[124:125], v[4:5] neg_lo:[0,0,1] neg_hi:[0,0,1]
	v_pk_fma_f32 v[4:5], v[10:11], v[124:125], v[4:5] op_sel_hi:[1,0,1]
	s_nop 0
	v_mov_b32_e32 v4, v127
	v_mov_b32_e32 v7, v5
	v_pk_mul_f32 v[4:5], v[12:13], v[4:5] op_sel:[1,0] op_sel_hi:[0,0]
	v_pk_add_f32 v[2:3], v[2:3], v[6:7]
	v_pk_fma_f32 v[6:7], v[12:13], v[126:127], v[4:5] neg_lo:[0,0,1] neg_hi:[0,0,1]
	v_pk_fma_f32 v[4:5], v[12:13], v[126:127], v[4:5] op_sel_hi:[1,0,1]
	s_nop 0
	v_mov_b32_e32 v7, v5
	v_pk_add_f32 v[2:3], v[2:3], v[6:7]
	s_nop 0
	v_pk_add_f32 v[2:3], v[128:129], v[2:3] neg_lo:[0,1] neg_hi:[0,1]
	scratch_store_dwordx2 off, v[2:3], off offset:80
	s_and_saveexec_b64 s[0:1], vcc
	s_cbranch_execz .LBB108_265
; %bb.264:
	scratch_load_dwordx2 v[2:3], off, off offset:72
	v_mov_b32_e32 v4, 0
	v_mov_b32_e32 v5, v4
	scratch_store_dwordx2 off, v[4:5], off offset:72
	s_waitcnt vmcnt(1)
	ds_write_b64 v1, v[2:3]
.LBB108_265:
	s_or_b64 exec, exec, s[0:1]
	s_waitcnt lgkmcnt(0)
	; wave barrier
	scratch_load_dwordx4 v[2:5], off, off offset:80
	scratch_load_dwordx4 v[6:9], off, off offset:96
	;; [unrolled: 1-line block ×13, first 2 shown]
	v_mov_b32_e32 v114, 0
	scratch_load_dwordx4 v[54:57], off, off offset:288
	scratch_load_dwordx2 v[128:129], off, off offset:72
	ds_read_b128 v[58:61], v114 offset:448
	ds_read_b128 v[62:65], v114 offset:464
	;; [unrolled: 1-line block ×14, first 2 shown]
	v_cmp_lt_u32_e32 vcc, 8, v0
	s_waitcnt vmcnt(14) lgkmcnt(13)
	v_mul_f32_e32 v115, v58, v3
	v_mul_f32_e32 v116, v60, v5
	v_fmac_f32_e32 v115, v59, v2
	s_waitcnt vmcnt(13) lgkmcnt(12)
	v_mul_f32_e32 v117, v62, v7
	v_fmac_f32_e32 v116, v61, v4
	v_add_f32_e32 v115, 0, v115
	v_mul_f32_e32 v118, v64, v9
	v_fmac_f32_e32 v117, v63, v6
	v_add_f32_e32 v115, v115, v116
	s_waitcnt vmcnt(12) lgkmcnt(11)
	v_mul_f32_e32 v119, v66, v11
	v_fmac_f32_e32 v118, v65, v8
	v_add_f32_e32 v115, v115, v117
	v_mul_f32_e32 v120, v68, v13
	v_fmac_f32_e32 v119, v67, v10
	v_add_f32_e32 v115, v115, v118
	;; [unrolled: 7-line block ×6, first 2 shown]
	s_waitcnt vmcnt(7) lgkmcnt(6)
	v_mul_f32_e32 v131, v86, v31
	v_fmac_f32_e32 v130, v85, v28
	v_add_f32_e32 v115, v115, v127
	scratch_load_dwordx4 v[116:119], off, off offset:304
	v_mul_f32_e32 v132, v88, v33
	v_fmac_f32_e32 v131, v87, v30
	v_add_f32_e32 v115, v115, v130
	s_waitcnt vmcnt(7) lgkmcnt(5)
	v_mul_f32_e32 v133, v90, v35
	v_fmac_f32_e32 v132, v89, v32
	v_add_f32_e32 v115, v115, v131
	v_mul_f32_e32 v134, v92, v37
	v_fmac_f32_e32 v133, v91, v34
	v_add_f32_e32 v115, v115, v132
	s_waitcnt vmcnt(6) lgkmcnt(4)
	v_mul_f32_e32 v135, v94, v39
	v_fmac_f32_e32 v134, v93, v36
	v_add_f32_e32 v115, v115, v133
	;; [unrolled: 7-line block ×3, first 2 shown]
	v_fmac_f32_e32 v137, v99, v42
	v_add_f32_e32 v115, v115, v136
	v_add_f32_e32 v115, v115, v137
	scratch_load_dwordx4 v[120:123], off, off offset:320
	scratch_load_dwordx4 v[124:127], off, off offset:336
	scratch_load_dwordx2 v[136:137], off, off offset:352
	v_mul_f32_e32 v3, v59, v3
	v_fma_f32 v2, v58, v2, -v3
	v_mul_f32_e32 v3, v61, v5
	v_add_f32_e32 v2, 0, v2
	v_fma_f32 v3, v60, v4, -v3
	v_add_f32_e32 v2, v2, v3
	v_mul_f32_e32 v3, v63, v7
	v_fma_f32 v3, v62, v6, -v3
	v_add_f32_e32 v2, v2, v3
	v_mul_f32_e32 v3, v65, v9
	;; [unrolled: 3-line block ×20, first 2 shown]
	v_fma_f32 v3, v100, v44, -v3
	v_add_f32_e32 v2, v2, v3
	s_waitcnt vmcnt(7) lgkmcnt(2)
	v_mul_f32_e32 v3, v103, v47
	v_fma_f32 v3, v102, v46, -v3
	v_add_f32_e32 v2, v2, v3
	v_mul_f32_e32 v3, v105, v49
	v_mul_f32_e32 v138, v100, v45
	v_fma_f32 v3, v104, v48, -v3
	v_mul_f32_e32 v139, v102, v47
	v_fmac_f32_e32 v138, v101, v44
	v_add_f32_e32 v2, v2, v3
	s_waitcnt vmcnt(6) lgkmcnt(1)
	v_mul_f32_e32 v3, v107, v51
	v_mul_f32_e32 v140, v104, v49
	v_fmac_f32_e32 v139, v103, v46
	v_add_f32_e32 v115, v115, v138
	v_fma_f32 v3, v106, v50, -v3
	v_mul_f32_e32 v141, v106, v51
	v_fmac_f32_e32 v140, v105, v48
	v_add_f32_e32 v115, v115, v139
	v_add_f32_e32 v130, v2, v3
	v_mul_f32_e32 v2, v109, v53
	v_fmac_f32_e32 v141, v107, v50
	v_add_f32_e32 v115, v115, v140
	v_mul_f32_e32 v133, v108, v53
	v_fma_f32 v132, v108, v52, -v2
	s_waitcnt vmcnt(5) lgkmcnt(0)
	v_mul_f32_e32 v2, v111, v55
	v_mov_b32_e32 v18, v57
	v_add_f32_e32 v131, v115, v141
	v_fmac_f32_e32 v133, v109, v52
	v_mul_f32_e32 v135, v110, v55
	v_fma_f32 v134, v110, v54, -v2
	ds_read_b128 v[2:5], v114 offset:672
	ds_read_b128 v[6:9], v114 offset:688
	;; [unrolled: 1-line block ×3, first 2 shown]
	ds_read_b64 v[14:15], v114 offset:720
	v_pk_mul_f32 v[18:19], v[112:113], v[18:19] op_sel:[1,0] op_sel_hi:[0,0]
	v_fmac_f32_e32 v135, v111, v54
	v_pk_add_f32 v[16:17], v[130:131], v[132:133]
	v_pk_fma_f32 v[20:21], v[112:113], v[56:57], v[18:19] neg_lo:[0,0,1] neg_hi:[0,0,1]
	v_pk_fma_f32 v[18:19], v[112:113], v[56:57], v[18:19] op_sel_hi:[1,0,1]
	v_pk_add_f32 v[16:17], v[16:17], v[134:135]
	v_mov_b32_e32 v21, v19
	s_waitcnt vmcnt(3) lgkmcnt(3)
	v_pk_mul_f32 v[18:19], v[2:3], v[116:117] op_sel:[1,1] op_sel_hi:[0,1]
	v_pk_add_f32 v[16:17], v[16:17], v[20:21]
	v_pk_fma_f32 v[20:21], v[2:3], v[116:117], v[18:19] neg_lo:[0,0,1] neg_hi:[0,0,1]
	v_pk_fma_f32 v[2:3], v[2:3], v[116:117], v[18:19] op_sel_hi:[1,0,1]
	s_nop 0
	v_mov_b32_e32 v21, v3
	v_pk_add_f32 v[2:3], v[16:17], v[20:21]
	v_mov_b32_e32 v16, v119
	v_pk_mul_f32 v[16:17], v[4:5], v[16:17] op_sel:[1,0] op_sel_hi:[0,0]
	v_pk_fma_f32 v[18:19], v[4:5], v[118:119], v[16:17] neg_lo:[0,0,1] neg_hi:[0,0,1]
	v_pk_fma_f32 v[4:5], v[4:5], v[118:119], v[16:17] op_sel_hi:[1,0,1]
	s_nop 0
	v_mov_b32_e32 v19, v5
	s_waitcnt vmcnt(2) lgkmcnt(2)
	v_pk_mul_f32 v[4:5], v[6:7], v[120:121] op_sel:[1,1] op_sel_hi:[0,1]
	v_pk_fma_f32 v[16:17], v[6:7], v[120:121], v[4:5] neg_lo:[0,0,1] neg_hi:[0,0,1]
	v_pk_fma_f32 v[4:5], v[6:7], v[120:121], v[4:5] op_sel_hi:[1,0,1]
	v_pk_add_f32 v[2:3], v[2:3], v[18:19]
	v_mov_b32_e32 v4, v123
	v_mov_b32_e32 v17, v5
	v_pk_mul_f32 v[4:5], v[8:9], v[4:5] op_sel:[1,0] op_sel_hi:[0,0]
	v_pk_fma_f32 v[6:7], v[8:9], v[122:123], v[4:5] neg_lo:[0,0,1] neg_hi:[0,0,1]
	v_pk_fma_f32 v[4:5], v[8:9], v[122:123], v[4:5] op_sel_hi:[1,0,1]
	v_pk_add_f32 v[2:3], v[2:3], v[16:17]
	v_mov_b32_e32 v7, v5
	s_waitcnt vmcnt(1) lgkmcnt(1)
	v_pk_mul_f32 v[4:5], v[10:11], v[124:125] op_sel:[1,1] op_sel_hi:[0,1]
	v_pk_add_f32 v[2:3], v[2:3], v[6:7]
	v_pk_fma_f32 v[6:7], v[10:11], v[124:125], v[4:5] neg_lo:[0,0,1] neg_hi:[0,0,1]
	v_pk_fma_f32 v[4:5], v[10:11], v[124:125], v[4:5] op_sel_hi:[1,0,1]
	s_nop 0
	v_mov_b32_e32 v4, v127
	v_mov_b32_e32 v7, v5
	v_pk_mul_f32 v[4:5], v[12:13], v[4:5] op_sel:[1,0] op_sel_hi:[0,0]
	v_pk_add_f32 v[2:3], v[2:3], v[6:7]
	v_pk_fma_f32 v[6:7], v[12:13], v[126:127], v[4:5] neg_lo:[0,0,1] neg_hi:[0,0,1]
	v_pk_fma_f32 v[4:5], v[12:13], v[126:127], v[4:5] op_sel_hi:[1,0,1]
	s_nop 0
	v_mov_b32_e32 v7, v5
	s_waitcnt vmcnt(0) lgkmcnt(0)
	v_pk_mul_f32 v[4:5], v[14:15], v[136:137] op_sel:[1,1] op_sel_hi:[0,1]
	v_pk_add_f32 v[2:3], v[2:3], v[6:7]
	v_pk_fma_f32 v[6:7], v[14:15], v[136:137], v[4:5] neg_lo:[0,0,1] neg_hi:[0,0,1]
	v_pk_fma_f32 v[4:5], v[14:15], v[136:137], v[4:5] op_sel_hi:[1,0,1]
	s_nop 0
	v_mov_b32_e32 v7, v5
	v_pk_add_f32 v[2:3], v[2:3], v[6:7]
	s_nop 0
	v_pk_add_f32 v[2:3], v[128:129], v[2:3] neg_lo:[0,1] neg_hi:[0,1]
	scratch_store_dwordx2 off, v[2:3], off offset:72
	s_and_saveexec_b64 s[0:1], vcc
	s_cbranch_execz .LBB108_267
; %bb.266:
	scratch_load_dwordx2 v[2:3], off, off offset:64
	v_mov_b32_e32 v115, v114
	scratch_store_dwordx2 off, v[114:115], off offset:64
	s_waitcnt vmcnt(1)
	ds_write_b64 v1, v[2:3]
.LBB108_267:
	s_or_b64 exec, exec, s[0:1]
	s_waitcnt lgkmcnt(0)
	; wave barrier
	scratch_load_dwordx4 v[2:5], off, off offset:72
	scratch_load_dwordx4 v[6:9], off, off offset:88
	scratch_load_dwordx4 v[10:13], off, off offset:104
	scratch_load_dwordx4 v[14:17], off, off offset:120
	scratch_load_dwordx4 v[18:21], off, off offset:136
	scratch_load_dwordx4 v[22:25], off, off offset:152
	scratch_load_dwordx4 v[26:29], off, off offset:168
	scratch_load_dwordx4 v[30:33], off, off offset:184
	scratch_load_dwordx4 v[34:37], off, off offset:200
	scratch_load_dwordx4 v[38:41], off, off offset:216
	scratch_load_dwordx4 v[42:45], off, off offset:232
	scratch_load_dwordx4 v[46:49], off, off offset:248
	scratch_load_dwordx4 v[50:53], off, off offset:264
	ds_read2_b64 v[110:113], v114 offset0:55 offset1:56
	ds_read2_b64 v[106:109], v114 offset0:57 offset1:58
	;; [unrolled: 1-line block ×14, first 2 shown]
	scratch_load_dwordx4 v[66:69], off, off offset:280
	scratch_load_dwordx2 v[132:133], off, off offset:64
	v_cmp_lt_u32_e32 vcc, 7, v0
	s_waitcnt vmcnt(14) lgkmcnt(13)
	v_mul_f32_e32 v115, v110, v3
	v_mul_f32_e32 v116, v112, v5
	v_fmac_f32_e32 v115, v111, v2
	s_waitcnt vmcnt(13) lgkmcnt(12)
	v_mul_f32_e32 v117, v106, v7
	v_fmac_f32_e32 v116, v113, v4
	v_add_f32_e32 v115, 0, v115
	v_mul_f32_e32 v118, v108, v9
	v_fmac_f32_e32 v117, v107, v6
	v_add_f32_e32 v115, v115, v116
	s_waitcnt vmcnt(12) lgkmcnt(11)
	v_mul_f32_e32 v119, v102, v11
	v_fmac_f32_e32 v118, v109, v8
	v_add_f32_e32 v115, v115, v117
	v_mul_f32_e32 v120, v104, v13
	v_fmac_f32_e32 v119, v103, v10
	v_add_f32_e32 v115, v115, v118
	;; [unrolled: 7-line block ×4, first 2 shown]
	s_waitcnt vmcnt(9) lgkmcnt(8)
	v_mul_f32_e32 v125, v90, v23
	v_fmac_f32_e32 v124, v97, v20
	v_add_f32_e32 v115, v115, v123
	scratch_load_dwordx4 v[116:119], off, off offset:296
	v_mul_f32_e32 v126, v92, v25
	v_fmac_f32_e32 v125, v91, v22
	v_add_f32_e32 v115, v115, v124
	s_waitcnt vmcnt(9) lgkmcnt(7)
	v_mul_f32_e32 v127, v86, v27
	v_fmac_f32_e32 v126, v93, v24
	v_add_f32_e32 v115, v115, v125
	v_mul_f32_e32 v128, v88, v29
	v_fmac_f32_e32 v127, v87, v26
	v_add_f32_e32 v115, v115, v126
	s_waitcnt vmcnt(8) lgkmcnt(6)
	v_mul_f32_e32 v129, v82, v31
	v_fmac_f32_e32 v128, v89, v28
	v_add_f32_e32 v115, v115, v127
	;; [unrolled: 7-line block ×3, first 2 shown]
	v_fmac_f32_e32 v131, v79, v34
	v_add_f32_e32 v115, v115, v130
	v_add_f32_e32 v115, v115, v131
	scratch_load_dwordx4 v[120:123], off, off offset:312
	scratch_load_dwordx4 v[124:127], off, off offset:328
	;; [unrolled: 1-line block ×3, first 2 shown]
	v_mul_f32_e32 v3, v111, v3
	v_fma_f32 v2, v110, v2, -v3
	v_mul_f32_e32 v3, v113, v5
	v_add_f32_e32 v2, 0, v2
	v_fma_f32 v3, v112, v4, -v3
	v_add_f32_e32 v2, v2, v3
	v_mul_f32_e32 v3, v107, v7
	v_fma_f32 v3, v106, v6, -v3
	v_add_f32_e32 v2, v2, v3
	v_mul_f32_e32 v3, v109, v9
	;; [unrolled: 3-line block ×16, first 2 shown]
	v_fma_f32 v3, v80, v36, -v3
	v_add_f32_e32 v2, v2, v3
	s_waitcnt vmcnt(9) lgkmcnt(4)
	v_mul_f32_e32 v3, v75, v39
	v_fma_f32 v3, v74, v38, -v3
	v_add_f32_e32 v2, v2, v3
	v_mul_f32_e32 v3, v77, v41
	v_fma_f32 v3, v76, v40, -v3
	v_add_f32_e32 v2, v2, v3
	s_waitcnt vmcnt(8) lgkmcnt(3)
	v_mul_f32_e32 v3, v71, v43
	v_fma_f32 v3, v70, v42, -v3
	v_add_f32_e32 v2, v2, v3
	v_mul_f32_e32 v3, v73, v45
	v_fma_f32 v3, v72, v44, -v3
	v_add_f32_e32 v2, v2, v3
	s_waitcnt vmcnt(7) lgkmcnt(2)
	v_mul_f32_e32 v3, v63, v47
	v_fma_f32 v3, v62, v46, -v3
	v_mul_f32_e32 v134, v80, v37
	v_add_f32_e32 v2, v2, v3
	v_mul_f32_e32 v3, v65, v49
	v_mul_f32_e32 v135, v74, v39
	v_fmac_f32_e32 v134, v81, v36
	v_fma_f32 v3, v64, v48, -v3
	v_mul_f32_e32 v136, v76, v41
	v_fmac_f32_e32 v135, v75, v38
	v_add_f32_e32 v115, v115, v134
	v_add_f32_e32 v2, v2, v3
	s_waitcnt vmcnt(6) lgkmcnt(1)
	v_mul_f32_e32 v3, v55, v51
	v_mul_f32_e32 v137, v70, v43
	v_fmac_f32_e32 v136, v77, v40
	v_add_f32_e32 v115, v115, v135
	v_fma_f32 v3, v54, v50, -v3
	v_mul_f32_e32 v138, v72, v45
	v_fmac_f32_e32 v137, v71, v42
	v_add_f32_e32 v115, v115, v136
	v_add_f32_e32 v2, v2, v3
	v_mul_f32_e32 v3, v57, v53
	v_mul_f32_e32 v139, v62, v47
	v_fmac_f32_e32 v138, v73, v44
	v_add_f32_e32 v115, v115, v137
	v_fma_f32 v3, v56, v52, -v3
	v_mul_f32_e32 v140, v64, v49
	v_fmac_f32_e32 v139, v63, v46
	v_add_f32_e32 v115, v115, v138
	v_add_f32_e32 v134, v2, v3
	s_waitcnt vmcnt(5) lgkmcnt(0)
	v_mul_f32_e32 v2, v59, v67
	v_mul_f32_e32 v141, v54, v51
	v_fmac_f32_e32 v140, v65, v48
	v_add_f32_e32 v115, v115, v139
	v_fma_f32 v136, v58, v66, -v2
	v_mul_f32_e32 v2, v61, v69
	v_mul_f32_e32 v142, v56, v53
	v_fmac_f32_e32 v141, v55, v50
	v_add_f32_e32 v115, v115, v140
	v_fma_f32 v138, v60, v68, -v2
	ds_read2_b64 v[2:5], v114 offset0:83 offset1:84
	ds_read2_b64 v[6:9], v114 offset0:85 offset1:86
	;; [unrolled: 1-line block ×4, first 2 shown]
	v_add_f32_e32 v115, v115, v141
	v_fmac_f32_e32 v142, v57, v52
	v_mul_f32_e32 v137, v58, v67
	v_add_f32_e32 v135, v115, v142
	v_fmac_f32_e32 v137, v59, v66
	v_mul_f32_e32 v139, v60, v69
	s_waitcnt vmcnt(3) lgkmcnt(3)
	v_pk_mul_f32 v[20:21], v[2:3], v[116:117] op_sel:[1,1] op_sel_hi:[0,1]
	v_fmac_f32_e32 v139, v61, v68
	v_pk_add_f32 v[18:19], v[134:135], v[136:137]
	v_pk_fma_f32 v[22:23], v[2:3], v[116:117], v[20:21] neg_lo:[0,0,1] neg_hi:[0,0,1]
	v_pk_fma_f32 v[2:3], v[2:3], v[116:117], v[20:21] op_sel_hi:[1,0,1]
	v_pk_add_f32 v[18:19], v[18:19], v[138:139]
	v_mov_b32_e32 v23, v3
	v_pk_add_f32 v[2:3], v[18:19], v[22:23]
	v_mov_b32_e32 v18, v119
	v_pk_mul_f32 v[18:19], v[4:5], v[18:19] op_sel:[1,0] op_sel_hi:[0,0]
	v_pk_fma_f32 v[20:21], v[4:5], v[118:119], v[18:19] neg_lo:[0,0,1] neg_hi:[0,0,1]
	v_pk_fma_f32 v[4:5], v[4:5], v[118:119], v[18:19] op_sel_hi:[1,0,1]
	s_nop 0
	v_mov_b32_e32 v21, v5
	s_waitcnt vmcnt(2) lgkmcnt(2)
	v_pk_mul_f32 v[4:5], v[6:7], v[120:121] op_sel:[1,1] op_sel_hi:[0,1]
	v_pk_fma_f32 v[18:19], v[6:7], v[120:121], v[4:5] neg_lo:[0,0,1] neg_hi:[0,0,1]
	v_pk_fma_f32 v[4:5], v[6:7], v[120:121], v[4:5] op_sel_hi:[1,0,1]
	v_pk_add_f32 v[2:3], v[2:3], v[20:21]
	v_mov_b32_e32 v4, v123
	v_mov_b32_e32 v19, v5
	v_pk_mul_f32 v[4:5], v[8:9], v[4:5] op_sel:[1,0] op_sel_hi:[0,0]
	v_pk_fma_f32 v[6:7], v[8:9], v[122:123], v[4:5] neg_lo:[0,0,1] neg_hi:[0,0,1]
	v_pk_fma_f32 v[4:5], v[8:9], v[122:123], v[4:5] op_sel_hi:[1,0,1]
	v_pk_add_f32 v[2:3], v[2:3], v[18:19]
	v_mov_b32_e32 v7, v5
	s_waitcnt vmcnt(1) lgkmcnt(1)
	v_pk_mul_f32 v[4:5], v[10:11], v[124:125] op_sel:[1,1] op_sel_hi:[0,1]
	v_pk_add_f32 v[2:3], v[2:3], v[6:7]
	v_pk_fma_f32 v[6:7], v[10:11], v[124:125], v[4:5] neg_lo:[0,0,1] neg_hi:[0,0,1]
	v_pk_fma_f32 v[4:5], v[10:11], v[124:125], v[4:5] op_sel_hi:[1,0,1]
	s_nop 0
	v_mov_b32_e32 v4, v127
	v_mov_b32_e32 v7, v5
	v_pk_mul_f32 v[4:5], v[12:13], v[4:5] op_sel:[1,0] op_sel_hi:[0,0]
	v_pk_add_f32 v[2:3], v[2:3], v[6:7]
	v_pk_fma_f32 v[6:7], v[12:13], v[126:127], v[4:5] neg_lo:[0,0,1] neg_hi:[0,0,1]
	v_pk_fma_f32 v[4:5], v[12:13], v[126:127], v[4:5] op_sel_hi:[1,0,1]
	s_nop 0
	v_mov_b32_e32 v7, v5
	s_waitcnt vmcnt(0) lgkmcnt(0)
	v_pk_mul_f32 v[4:5], v[14:15], v[128:129] op_sel:[1,1] op_sel_hi:[0,1]
	v_pk_add_f32 v[2:3], v[2:3], v[6:7]
	v_pk_fma_f32 v[6:7], v[14:15], v[128:129], v[4:5] neg_lo:[0,0,1] neg_hi:[0,0,1]
	v_pk_fma_f32 v[4:5], v[14:15], v[128:129], v[4:5] op_sel_hi:[1,0,1]
	s_nop 0
	v_mov_b32_e32 v4, v131
	v_mov_b32_e32 v7, v5
	v_pk_mul_f32 v[4:5], v[16:17], v[4:5] op_sel:[1,0] op_sel_hi:[0,0]
	v_pk_add_f32 v[2:3], v[2:3], v[6:7]
	v_pk_fma_f32 v[6:7], v[16:17], v[130:131], v[4:5] neg_lo:[0,0,1] neg_hi:[0,0,1]
	v_pk_fma_f32 v[4:5], v[16:17], v[130:131], v[4:5] op_sel_hi:[1,0,1]
	s_nop 0
	v_mov_b32_e32 v7, v5
	v_pk_add_f32 v[2:3], v[2:3], v[6:7]
	s_nop 0
	v_pk_add_f32 v[2:3], v[132:133], v[2:3] neg_lo:[0,1] neg_hi:[0,1]
	scratch_store_dwordx2 off, v[2:3], off offset:64
	s_and_saveexec_b64 s[0:1], vcc
	s_cbranch_execz .LBB108_269
; %bb.268:
	scratch_load_dwordx2 v[2:3], off, off offset:56
	v_mov_b32_e32 v4, 0
	v_mov_b32_e32 v5, v4
	scratch_store_dwordx2 off, v[4:5], off offset:56
	s_waitcnt vmcnt(1)
	ds_write_b64 v1, v[2:3]
.LBB108_269:
	s_or_b64 exec, exec, s[0:1]
	s_waitcnt lgkmcnt(0)
	; wave barrier
	scratch_load_dwordx4 v[2:5], off, off offset:64
	scratch_load_dwordx4 v[6:9], off, off offset:80
	;; [unrolled: 1-line block ×15, first 2 shown]
	scratch_load_dwordx2 v[140:141], off, off offset:56
	v_mov_b32_e32 v118, 0
	ds_read_b128 v[62:65], v118 offset:432
	ds_read_b128 v[66:69], v118 offset:448
	;; [unrolled: 1-line block ×14, first 2 shown]
	v_cmp_lt_u32_e32 vcc, 6, v0
	s_waitcnt vmcnt(15) lgkmcnt(13)
	v_mul_f32_e32 v119, v62, v3
	v_mul_f32_e32 v120, v64, v5
	v_fmac_f32_e32 v119, v63, v2
	s_waitcnt vmcnt(14) lgkmcnt(12)
	v_mul_f32_e32 v121, v66, v7
	v_fmac_f32_e32 v120, v65, v4
	v_add_f32_e32 v119, 0, v119
	v_mul_f32_e32 v122, v68, v9
	v_fmac_f32_e32 v121, v67, v6
	v_add_f32_e32 v119, v119, v120
	s_waitcnt vmcnt(13) lgkmcnt(11)
	v_mul_f32_e32 v123, v70, v11
	v_fmac_f32_e32 v122, v69, v8
	v_add_f32_e32 v119, v119, v121
	v_mul_f32_e32 v124, v72, v13
	v_fmac_f32_e32 v123, v71, v10
	v_add_f32_e32 v119, v119, v122
	;; [unrolled: 7-line block ×11, first 2 shown]
	s_waitcnt vmcnt(3) lgkmcnt(1)
	v_mul_f32_e32 v145, v110, v51
	v_fmac_f32_e32 v144, v109, v48
	v_add_f32_e32 v119, v119, v143
	v_add_f32_e32 v119, v119, v144
	v_fmac_f32_e32 v145, v111, v50
	v_mul_f32_e32 v120, v112, v53
	v_add_f32_e32 v119, v119, v145
	v_fmac_f32_e32 v120, v113, v52
	s_waitcnt vmcnt(2) lgkmcnt(0)
	v_mul_f32_e32 v124, v114, v55
	v_add_f32_e32 v119, v119, v120
	v_fmac_f32_e32 v124, v115, v54
	ds_read_b128 v[120:123], v118 offset:656
	v_add_f32_e32 v143, v119, v124
	ds_read_b128 v[124:127], v118 offset:672
	scratch_load_dwordx4 v[128:131], off, off offset:304
	scratch_load_dwordx4 v[132:135], off, off offset:320
	;; [unrolled: 1-line block ×3, first 2 shown]
	scratch_load_dwordx2 v[148:149], off, off offset:352
	v_mul_f32_e32 v3, v63, v3
	v_fma_f32 v2, v62, v2, -v3
	v_mul_f32_e32 v3, v65, v5
	v_add_f32_e32 v2, 0, v2
	v_fma_f32 v3, v64, v4, -v3
	v_add_f32_e32 v2, v2, v3
	v_mul_f32_e32 v3, v67, v7
	v_fma_f32 v3, v66, v6, -v3
	v_add_f32_e32 v2, v2, v3
	v_mul_f32_e32 v3, v69, v9
	;; [unrolled: 3-line block ×25, first 2 shown]
	v_fma_f32 v3, v114, v54, -v3
	v_mul_f32_e32 v145, v116, v57
	v_add_f32_e32 v142, v2, v3
	v_mul_f32_e32 v2, v117, v57
	s_waitcnt vmcnt(5)
	v_mov_b32_e32 v14, v61
	v_fmac_f32_e32 v145, v117, v56
	s_waitcnt lgkmcnt(1)
	v_mul_f32_e32 v147, v120, v59
	v_fma_f32 v144, v116, v56, -v2
	v_mul_f32_e32 v2, v121, v59
	v_pk_mul_f32 v[14:15], v[122:123], v[14:15] op_sel:[1,0] op_sel_hi:[0,0]
	v_fmac_f32_e32 v147, v121, v58
	v_fma_f32 v146, v120, v58, -v2
	v_pk_add_f32 v[12:13], v[142:143], v[144:145]
	v_pk_fma_f32 v[16:17], v[122:123], v[60:61], v[14:15] neg_lo:[0,0,1] neg_hi:[0,0,1]
	v_pk_fma_f32 v[14:15], v[122:123], v[60:61], v[14:15] op_sel_hi:[1,0,1]
	v_pk_add_f32 v[12:13], v[12:13], v[146:147]
	v_mov_b32_e32 v17, v15
	s_waitcnt vmcnt(3) lgkmcnt(0)
	v_pk_mul_f32 v[14:15], v[124:125], v[128:129] op_sel:[1,1] op_sel_hi:[0,1]
	v_pk_add_f32 v[12:13], v[12:13], v[16:17]
	v_pk_fma_f32 v[16:17], v[124:125], v[128:129], v[14:15] neg_lo:[0,0,1] neg_hi:[0,0,1]
	v_pk_fma_f32 v[14:15], v[124:125], v[128:129], v[14:15] op_sel_hi:[1,0,1]
	ds_read_b128 v[2:5], v118 offset:688
	ds_read_b128 v[6:9], v118 offset:704
	ds_read_b64 v[10:11], v118 offset:720
	v_mov_b32_e32 v14, v131
	v_mov_b32_e32 v17, v15
	v_pk_mul_f32 v[14:15], v[126:127], v[14:15] op_sel:[1,0] op_sel_hi:[0,0]
	v_pk_add_f32 v[12:13], v[12:13], v[16:17]
	v_pk_fma_f32 v[16:17], v[126:127], v[130:131], v[14:15] neg_lo:[0,0,1] neg_hi:[0,0,1]
	v_pk_fma_f32 v[14:15], v[126:127], v[130:131], v[14:15] op_sel_hi:[1,0,1]
	s_nop 0
	v_mov_b32_e32 v17, v15
	s_waitcnt vmcnt(2) lgkmcnt(2)
	v_pk_mul_f32 v[14:15], v[2:3], v[132:133] op_sel:[1,1] op_sel_hi:[0,1]
	v_pk_add_f32 v[12:13], v[12:13], v[16:17]
	v_pk_fma_f32 v[16:17], v[2:3], v[132:133], v[14:15] neg_lo:[0,0,1] neg_hi:[0,0,1]
	v_pk_fma_f32 v[2:3], v[2:3], v[132:133], v[14:15] op_sel_hi:[1,0,1]
	s_nop 0
	v_mov_b32_e32 v17, v3
	v_pk_add_f32 v[2:3], v[12:13], v[16:17]
	v_mov_b32_e32 v12, v135
	v_pk_mul_f32 v[12:13], v[4:5], v[12:13] op_sel:[1,0] op_sel_hi:[0,0]
	v_pk_fma_f32 v[14:15], v[4:5], v[134:135], v[12:13] neg_lo:[0,0,1] neg_hi:[0,0,1]
	v_pk_fma_f32 v[4:5], v[4:5], v[134:135], v[12:13] op_sel_hi:[1,0,1]
	s_nop 0
	v_mov_b32_e32 v15, v5
	s_waitcnt vmcnt(1) lgkmcnt(1)
	v_pk_mul_f32 v[4:5], v[6:7], v[136:137] op_sel:[1,1] op_sel_hi:[0,1]
	v_pk_fma_f32 v[12:13], v[6:7], v[136:137], v[4:5] neg_lo:[0,0,1] neg_hi:[0,0,1]
	v_pk_fma_f32 v[4:5], v[6:7], v[136:137], v[4:5] op_sel_hi:[1,0,1]
	v_pk_add_f32 v[2:3], v[2:3], v[14:15]
	v_mov_b32_e32 v4, v139
	v_mov_b32_e32 v13, v5
	v_pk_mul_f32 v[4:5], v[8:9], v[4:5] op_sel:[1,0] op_sel_hi:[0,0]
	v_pk_fma_f32 v[6:7], v[8:9], v[138:139], v[4:5] neg_lo:[0,0,1] neg_hi:[0,0,1]
	v_pk_fma_f32 v[4:5], v[8:9], v[138:139], v[4:5] op_sel_hi:[1,0,1]
	v_pk_add_f32 v[2:3], v[2:3], v[12:13]
	v_mov_b32_e32 v7, v5
	s_waitcnt vmcnt(0) lgkmcnt(0)
	v_pk_mul_f32 v[4:5], v[10:11], v[148:149] op_sel:[1,1] op_sel_hi:[0,1]
	v_pk_add_f32 v[2:3], v[2:3], v[6:7]
	v_pk_fma_f32 v[6:7], v[10:11], v[148:149], v[4:5] neg_lo:[0,0,1] neg_hi:[0,0,1]
	v_pk_fma_f32 v[4:5], v[10:11], v[148:149], v[4:5] op_sel_hi:[1,0,1]
	s_nop 0
	v_mov_b32_e32 v7, v5
	v_pk_add_f32 v[2:3], v[2:3], v[6:7]
	s_nop 0
	v_pk_add_f32 v[2:3], v[140:141], v[2:3] neg_lo:[0,1] neg_hi:[0,1]
	scratch_store_dwordx2 off, v[2:3], off offset:56
	s_and_saveexec_b64 s[0:1], vcc
	s_cbranch_execz .LBB108_271
; %bb.270:
	scratch_load_dwordx2 v[2:3], off, off offset:48
	v_mov_b32_e32 v119, v118
	scratch_store_dwordx2 off, v[118:119], off offset:48
	s_waitcnt vmcnt(1)
	ds_write_b64 v1, v[2:3]
.LBB108_271:
	s_or_b64 exec, exec, s[0:1]
	s_waitcnt lgkmcnt(0)
	; wave barrier
	scratch_load_dwordx4 v[2:5], off, off offset:56
	scratch_load_dwordx4 v[6:9], off, off offset:72
	;; [unrolled: 1-line block ×13, first 2 shown]
	ds_read2_b64 v[114:117], v118 offset0:53 offset1:54
	ds_read2_b64 v[110:113], v118 offset0:55 offset1:56
	;; [unrolled: 1-line block ×14, first 2 shown]
	scratch_load_dwordx4 v[62:65], off, off offset:264
	scratch_load_dwordx4 v[70:73], off, off offset:280
	scratch_load_dwordx2 v[144:145], off, off offset:48
	v_cmp_lt_u32_e32 vcc, 5, v0
	s_waitcnt vmcnt(15) lgkmcnt(13)
	v_mul_f32_e32 v119, v114, v3
	v_mul_f32_e32 v120, v116, v5
	v_fmac_f32_e32 v119, v115, v2
	s_waitcnt vmcnt(14) lgkmcnt(12)
	v_mul_f32_e32 v121, v110, v7
	v_fmac_f32_e32 v120, v117, v4
	v_add_f32_e32 v119, 0, v119
	v_mul_f32_e32 v122, v112, v9
	v_fmac_f32_e32 v121, v111, v6
	v_add_f32_e32 v119, v119, v120
	s_waitcnt vmcnt(13) lgkmcnt(11)
	v_mul_f32_e32 v123, v106, v11
	v_fmac_f32_e32 v122, v113, v8
	v_add_f32_e32 v119, v119, v121
	v_mul_f32_e32 v124, v108, v13
	v_fmac_f32_e32 v123, v107, v10
	v_add_f32_e32 v119, v119, v122
	;; [unrolled: 7-line block ×11, first 2 shown]
	s_waitcnt vmcnt(3) lgkmcnt(1)
	v_mul_f32_e32 v143, v54, v51
	v_fmac_f32_e32 v142, v69, v48
	v_add_f32_e32 v119, v119, v141
	v_fmac_f32_e32 v143, v55, v50
	v_add_f32_e32 v119, v119, v142
	v_mul_f32_e32 v120, v56, v53
	v_add_f32_e32 v119, v119, v143
	v_fmac_f32_e32 v120, v57, v52
	v_add_f32_e32 v119, v119, v120
	s_waitcnt vmcnt(2) lgkmcnt(0)
	v_mul_f32_e32 v120, v58, v63
	v_fmac_f32_e32 v120, v59, v62
	v_mul_f32_e32 v124, v60, v65
	v_add_f32_e32 v119, v119, v120
	v_fmac_f32_e32 v124, v61, v64
	ds_read2_b64 v[120:123], v118 offset0:81 offset1:82
	v_add_f32_e32 v147, v119, v124
	ds_read2_b64 v[124:127], v118 offset0:83 offset1:84
	scratch_load_dwordx4 v[128:131], off, off offset:296
	scratch_load_dwordx4 v[132:135], off, off offset:312
	;; [unrolled: 1-line block ×4, first 2 shown]
	v_mul_f32_e32 v3, v115, v3
	v_fma_f32 v2, v114, v2, -v3
	v_mul_f32_e32 v3, v117, v5
	v_add_f32_e32 v2, 0, v2
	v_fma_f32 v3, v116, v4, -v3
	v_add_f32_e32 v2, v2, v3
	v_mul_f32_e32 v3, v111, v7
	v_fma_f32 v3, v110, v6, -v3
	v_add_f32_e32 v2, v2, v3
	v_mul_f32_e32 v3, v113, v9
	;; [unrolled: 3-line block ×26, first 2 shown]
	v_fma_f32 v3, v60, v64, -v3
	s_waitcnt vmcnt(5) lgkmcnt(1)
	v_mul_f32_e32 v149, v120, v71
	v_add_f32_e32 v146, v2, v3
	v_mul_f32_e32 v2, v121, v71
	s_waitcnt vmcnt(3) lgkmcnt(0)
	v_pk_mul_f32 v[16:17], v[124:125], v[128:129] op_sel:[1,1] op_sel_hi:[0,1]
	v_fmac_f32_e32 v149, v121, v70
	v_mul_f32_e32 v151, v122, v73
	v_fma_f32 v148, v120, v70, -v2
	v_mul_f32_e32 v2, v123, v73
	v_pk_fma_f32 v[18:19], v[124:125], v[128:129], v[16:17] neg_lo:[0,0,1] neg_hi:[0,0,1]
	v_pk_fma_f32 v[16:17], v[124:125], v[128:129], v[16:17] op_sel_hi:[1,0,1]
	v_fmac_f32_e32 v151, v123, v72
	v_fma_f32 v150, v122, v72, -v2
	ds_read2_b64 v[2:5], v118 offset0:85 offset1:86
	ds_read2_b64 v[6:9], v118 offset0:87 offset1:88
	;; [unrolled: 1-line block ×3, first 2 shown]
	v_pk_add_f32 v[14:15], v[146:147], v[148:149]
	v_mov_b32_e32 v16, v131
	v_pk_add_f32 v[14:15], v[14:15], v[150:151]
	v_mov_b32_e32 v19, v17
	v_pk_mul_f32 v[16:17], v[126:127], v[16:17] op_sel:[1,0] op_sel_hi:[0,0]
	v_pk_add_f32 v[14:15], v[14:15], v[18:19]
	v_pk_fma_f32 v[18:19], v[126:127], v[130:131], v[16:17] neg_lo:[0,0,1] neg_hi:[0,0,1]
	v_pk_fma_f32 v[16:17], v[126:127], v[130:131], v[16:17] op_sel_hi:[1,0,1]
	s_nop 0
	v_mov_b32_e32 v19, v17
	s_waitcnt vmcnt(2) lgkmcnt(2)
	v_pk_mul_f32 v[16:17], v[2:3], v[132:133] op_sel:[1,1] op_sel_hi:[0,1]
	v_pk_add_f32 v[14:15], v[14:15], v[18:19]
	v_pk_fma_f32 v[18:19], v[2:3], v[132:133], v[16:17] neg_lo:[0,0,1] neg_hi:[0,0,1]
	v_pk_fma_f32 v[2:3], v[2:3], v[132:133], v[16:17] op_sel_hi:[1,0,1]
	s_nop 0
	v_mov_b32_e32 v19, v3
	v_pk_add_f32 v[2:3], v[14:15], v[18:19]
	v_mov_b32_e32 v14, v135
	v_pk_mul_f32 v[14:15], v[4:5], v[14:15] op_sel:[1,0] op_sel_hi:[0,0]
	v_pk_fma_f32 v[16:17], v[4:5], v[134:135], v[14:15] neg_lo:[0,0,1] neg_hi:[0,0,1]
	v_pk_fma_f32 v[4:5], v[4:5], v[134:135], v[14:15] op_sel_hi:[1,0,1]
	s_nop 0
	v_mov_b32_e32 v17, v5
	s_waitcnt vmcnt(1) lgkmcnt(1)
	v_pk_mul_f32 v[4:5], v[6:7], v[136:137] op_sel:[1,1] op_sel_hi:[0,1]
	v_pk_fma_f32 v[14:15], v[6:7], v[136:137], v[4:5] neg_lo:[0,0,1] neg_hi:[0,0,1]
	v_pk_fma_f32 v[4:5], v[6:7], v[136:137], v[4:5] op_sel_hi:[1,0,1]
	v_pk_add_f32 v[2:3], v[2:3], v[16:17]
	v_mov_b32_e32 v4, v139
	v_mov_b32_e32 v15, v5
	v_pk_mul_f32 v[4:5], v[8:9], v[4:5] op_sel:[1,0] op_sel_hi:[0,0]
	v_pk_fma_f32 v[6:7], v[8:9], v[138:139], v[4:5] neg_lo:[0,0,1] neg_hi:[0,0,1]
	v_pk_fma_f32 v[4:5], v[8:9], v[138:139], v[4:5] op_sel_hi:[1,0,1]
	v_pk_add_f32 v[2:3], v[2:3], v[14:15]
	v_mov_b32_e32 v7, v5
	s_waitcnt vmcnt(0) lgkmcnt(0)
	v_pk_mul_f32 v[4:5], v[10:11], v[140:141] op_sel:[1,1] op_sel_hi:[0,1]
	v_pk_add_f32 v[2:3], v[2:3], v[6:7]
	v_pk_fma_f32 v[6:7], v[10:11], v[140:141], v[4:5] neg_lo:[0,0,1] neg_hi:[0,0,1]
	v_pk_fma_f32 v[4:5], v[10:11], v[140:141], v[4:5] op_sel_hi:[1,0,1]
	s_nop 0
	v_mov_b32_e32 v4, v143
	v_mov_b32_e32 v7, v5
	v_pk_mul_f32 v[4:5], v[12:13], v[4:5] op_sel:[1,0] op_sel_hi:[0,0]
	v_pk_add_f32 v[2:3], v[2:3], v[6:7]
	v_pk_fma_f32 v[6:7], v[12:13], v[142:143], v[4:5] neg_lo:[0,0,1] neg_hi:[0,0,1]
	v_pk_fma_f32 v[4:5], v[12:13], v[142:143], v[4:5] op_sel_hi:[1,0,1]
	s_nop 0
	v_mov_b32_e32 v7, v5
	v_pk_add_f32 v[2:3], v[2:3], v[6:7]
	s_nop 0
	v_pk_add_f32 v[2:3], v[144:145], v[2:3] neg_lo:[0,1] neg_hi:[0,1]
	scratch_store_dwordx2 off, v[2:3], off offset:48
	s_and_saveexec_b64 s[0:1], vcc
	s_cbranch_execz .LBB108_273
; %bb.272:
	scratch_load_dwordx2 v[2:3], off, off offset:40
	v_mov_b32_e32 v4, 0
	v_mov_b32_e32 v5, v4
	scratch_store_dwordx2 off, v[4:5], off offset:40
	s_waitcnt vmcnt(1)
	ds_write_b64 v1, v[2:3]
.LBB108_273:
	s_or_b64 exec, exec, s[0:1]
	s_waitcnt lgkmcnt(0)
	; wave barrier
	scratch_load_dwordx4 v[2:5], off, off offset:48
	scratch_load_dwordx4 v[6:9], off, off offset:64
	;; [unrolled: 1-line block ×16, first 2 shown]
	scratch_load_dwordx2 v[144:145], off, off offset:40
	v_mov_b32_e32 v122, 0
	ds_read_b128 v[66:69], v122 offset:416
	ds_read_b128 v[70:73], v122 offset:432
	;; [unrolled: 1-line block ×14, first 2 shown]
	v_cmp_lt_u32_e32 vcc, 4, v0
	s_waitcnt vmcnt(16) lgkmcnt(13)
	v_mul_f32_e32 v123, v66, v3
	v_mul_f32_e32 v124, v68, v5
	v_fmac_f32_e32 v123, v67, v2
	s_waitcnt vmcnt(15) lgkmcnt(12)
	v_mul_f32_e32 v125, v70, v7
	v_fmac_f32_e32 v124, v69, v4
	v_add_f32_e32 v123, 0, v123
	v_mul_f32_e32 v126, v72, v9
	v_fmac_f32_e32 v125, v71, v6
	v_add_f32_e32 v123, v123, v124
	s_waitcnt vmcnt(14) lgkmcnt(11)
	v_mul_f32_e32 v127, v74, v11
	v_fmac_f32_e32 v126, v73, v8
	v_add_f32_e32 v123, v123, v125
	v_mul_f32_e32 v128, v76, v13
	v_fmac_f32_e32 v127, v75, v10
	v_add_f32_e32 v123, v123, v126
	s_waitcnt vmcnt(13) lgkmcnt(10)
	v_mul_f32_e32 v129, v78, v15
	v_fmac_f32_e32 v128, v77, v12
	v_add_f32_e32 v123, v123, v127
	v_mul_f32_e32 v130, v80, v17
	v_fmac_f32_e32 v129, v79, v14
	v_add_f32_e32 v123, v123, v128
	s_waitcnt vmcnt(12) lgkmcnt(9)
	v_mul_f32_e32 v131, v82, v19
	v_fmac_f32_e32 v130, v81, v16
	v_add_f32_e32 v123, v123, v129
	v_mul_f32_e32 v132, v84, v21
	v_fmac_f32_e32 v131, v83, v18
	v_add_f32_e32 v123, v123, v130
	s_waitcnt vmcnt(11) lgkmcnt(8)
	v_mul_f32_e32 v133, v86, v23
	v_fmac_f32_e32 v132, v85, v20
	v_add_f32_e32 v123, v123, v131
	v_mul_f32_e32 v134, v88, v25
	v_fmac_f32_e32 v133, v87, v22
	v_add_f32_e32 v123, v123, v132
	s_waitcnt vmcnt(10) lgkmcnt(7)
	v_mul_f32_e32 v135, v90, v27
	v_fmac_f32_e32 v134, v89, v24
	v_add_f32_e32 v123, v123, v133
	v_mul_f32_e32 v136, v92, v29
	v_fmac_f32_e32 v135, v91, v26
	v_add_f32_e32 v123, v123, v134
	s_waitcnt vmcnt(9) lgkmcnt(6)
	v_mul_f32_e32 v137, v94, v31
	v_fmac_f32_e32 v136, v93, v28
	v_add_f32_e32 v123, v123, v135
	v_mul_f32_e32 v138, v96, v33
	v_fmac_f32_e32 v137, v95, v30
	v_add_f32_e32 v123, v123, v136
	s_waitcnt vmcnt(8) lgkmcnt(5)
	v_mul_f32_e32 v139, v98, v35
	v_fmac_f32_e32 v138, v97, v32
	v_add_f32_e32 v123, v123, v137
	v_mul_f32_e32 v140, v100, v37
	v_fmac_f32_e32 v139, v99, v34
	v_add_f32_e32 v123, v123, v138
	s_waitcnt vmcnt(7) lgkmcnt(4)
	v_mul_f32_e32 v141, v102, v39
	v_fmac_f32_e32 v140, v101, v36
	v_add_f32_e32 v123, v123, v139
	v_mul_f32_e32 v142, v104, v41
	v_fmac_f32_e32 v141, v103, v38
	v_add_f32_e32 v123, v123, v140
	s_waitcnt vmcnt(6) lgkmcnt(3)
	v_mul_f32_e32 v143, v106, v43
	v_fmac_f32_e32 v142, v105, v40
	v_add_f32_e32 v123, v123, v141
	v_mul_f32_e32 v146, v108, v45
	v_fmac_f32_e32 v143, v107, v42
	v_add_f32_e32 v123, v123, v142
	s_waitcnt vmcnt(5) lgkmcnt(2)
	v_mul_f32_e32 v147, v110, v47
	v_fmac_f32_e32 v146, v109, v44
	v_add_f32_e32 v123, v123, v143
	v_mul_f32_e32 v148, v112, v49
	v_fmac_f32_e32 v147, v111, v46
	v_add_f32_e32 v123, v123, v146
	v_fmac_f32_e32 v148, v113, v48
	v_add_f32_e32 v123, v123, v147
	s_waitcnt vmcnt(4) lgkmcnt(1)
	v_mul_f32_e32 v124, v114, v51
	v_add_f32_e32 v123, v123, v148
	v_fmac_f32_e32 v124, v115, v50
	v_add_f32_e32 v123, v123, v124
	v_mul_f32_e32 v124, v116, v53
	v_fmac_f32_e32 v124, v117, v52
	v_add_f32_e32 v123, v123, v124
	s_waitcnt vmcnt(3) lgkmcnt(0)
	v_mul_f32_e32 v124, v118, v55
	v_fmac_f32_e32 v124, v119, v54
	v_add_f32_e32 v123, v123, v124
	ds_read_b128 v[124:127], v122 offset:640
	v_mul_f32_e32 v128, v120, v57
	v_fmac_f32_e32 v128, v121, v56
	v_add_f32_e32 v123, v123, v128
	ds_read_b128 v[128:131], v122 offset:656
	s_waitcnt vmcnt(2) lgkmcnt(1)
	v_mul_f32_e32 v132, v124, v63
	v_fmac_f32_e32 v132, v125, v62
	v_add_f32_e32 v147, v123, v132
	scratch_load_dwordx4 v[132:135], off, off offset:304
	scratch_load_dwordx4 v[136:139], off, off offset:320
	;; [unrolled: 1-line block ×3, first 2 shown]
	scratch_load_dwordx2 v[152:153], off, off offset:352
	v_mul_f32_e32 v3, v67, v3
	v_fma_f32 v2, v66, v2, -v3
	v_mul_f32_e32 v3, v69, v5
	v_add_f32_e32 v2, 0, v2
	v_fma_f32 v3, v68, v4, -v3
	v_add_f32_e32 v2, v2, v3
	v_mul_f32_e32 v3, v71, v7
	v_fma_f32 v3, v70, v6, -v3
	v_add_f32_e32 v2, v2, v3
	v_mul_f32_e32 v3, v73, v9
	;; [unrolled: 3-line block ×28, first 2 shown]
	v_mul_f32_e32 v149, v126, v65
	v_fma_f32 v148, v126, v64, -v2
	s_waitcnt vmcnt(5) lgkmcnt(0)
	v_mul_f32_e32 v2, v129, v59
	v_mov_b32_e32 v18, v61
	v_fmac_f32_e32 v149, v127, v64
	v_mul_f32_e32 v151, v128, v59
	v_fma_f32 v150, v128, v58, -v2
	ds_read_b128 v[2:5], v122 offset:672
	ds_read_b128 v[6:9], v122 offset:688
	ds_read_b128 v[10:13], v122 offset:704
	ds_read_b64 v[14:15], v122 offset:720
	v_pk_mul_f32 v[18:19], v[130:131], v[18:19] op_sel:[1,0] op_sel_hi:[0,0]
	v_fmac_f32_e32 v151, v129, v58
	v_pk_add_f32 v[16:17], v[146:147], v[148:149]
	v_pk_fma_f32 v[20:21], v[130:131], v[60:61], v[18:19] neg_lo:[0,0,1] neg_hi:[0,0,1]
	v_pk_fma_f32 v[18:19], v[130:131], v[60:61], v[18:19] op_sel_hi:[1,0,1]
	v_pk_add_f32 v[16:17], v[16:17], v[150:151]
	v_mov_b32_e32 v21, v19
	s_waitcnt vmcnt(3) lgkmcnt(3)
	v_pk_mul_f32 v[18:19], v[2:3], v[132:133] op_sel:[1,1] op_sel_hi:[0,1]
	v_pk_add_f32 v[16:17], v[16:17], v[20:21]
	v_pk_fma_f32 v[20:21], v[2:3], v[132:133], v[18:19] neg_lo:[0,0,1] neg_hi:[0,0,1]
	v_pk_fma_f32 v[2:3], v[2:3], v[132:133], v[18:19] op_sel_hi:[1,0,1]
	s_nop 0
	v_mov_b32_e32 v21, v3
	v_pk_add_f32 v[2:3], v[16:17], v[20:21]
	v_mov_b32_e32 v16, v135
	v_pk_mul_f32 v[16:17], v[4:5], v[16:17] op_sel:[1,0] op_sel_hi:[0,0]
	v_pk_fma_f32 v[18:19], v[4:5], v[134:135], v[16:17] neg_lo:[0,0,1] neg_hi:[0,0,1]
	v_pk_fma_f32 v[4:5], v[4:5], v[134:135], v[16:17] op_sel_hi:[1,0,1]
	s_nop 0
	v_mov_b32_e32 v19, v5
	s_waitcnt vmcnt(2) lgkmcnt(2)
	v_pk_mul_f32 v[4:5], v[6:7], v[136:137] op_sel:[1,1] op_sel_hi:[0,1]
	v_pk_fma_f32 v[16:17], v[6:7], v[136:137], v[4:5] neg_lo:[0,0,1] neg_hi:[0,0,1]
	v_pk_fma_f32 v[4:5], v[6:7], v[136:137], v[4:5] op_sel_hi:[1,0,1]
	v_pk_add_f32 v[2:3], v[2:3], v[18:19]
	v_mov_b32_e32 v4, v139
	v_mov_b32_e32 v17, v5
	v_pk_mul_f32 v[4:5], v[8:9], v[4:5] op_sel:[1,0] op_sel_hi:[0,0]
	v_pk_fma_f32 v[6:7], v[8:9], v[138:139], v[4:5] neg_lo:[0,0,1] neg_hi:[0,0,1]
	v_pk_fma_f32 v[4:5], v[8:9], v[138:139], v[4:5] op_sel_hi:[1,0,1]
	v_pk_add_f32 v[2:3], v[2:3], v[16:17]
	v_mov_b32_e32 v7, v5
	s_waitcnt vmcnt(1) lgkmcnt(1)
	v_pk_mul_f32 v[4:5], v[10:11], v[140:141] op_sel:[1,1] op_sel_hi:[0,1]
	v_pk_add_f32 v[2:3], v[2:3], v[6:7]
	v_pk_fma_f32 v[6:7], v[10:11], v[140:141], v[4:5] neg_lo:[0,0,1] neg_hi:[0,0,1]
	v_pk_fma_f32 v[4:5], v[10:11], v[140:141], v[4:5] op_sel_hi:[1,0,1]
	s_nop 0
	v_mov_b32_e32 v4, v143
	v_mov_b32_e32 v7, v5
	v_pk_mul_f32 v[4:5], v[12:13], v[4:5] op_sel:[1,0] op_sel_hi:[0,0]
	v_pk_add_f32 v[2:3], v[2:3], v[6:7]
	v_pk_fma_f32 v[6:7], v[12:13], v[142:143], v[4:5] neg_lo:[0,0,1] neg_hi:[0,0,1]
	v_pk_fma_f32 v[4:5], v[12:13], v[142:143], v[4:5] op_sel_hi:[1,0,1]
	s_nop 0
	v_mov_b32_e32 v7, v5
	s_waitcnt vmcnt(0) lgkmcnt(0)
	v_pk_mul_f32 v[4:5], v[14:15], v[152:153] op_sel:[1,1] op_sel_hi:[0,1]
	v_pk_add_f32 v[2:3], v[2:3], v[6:7]
	v_pk_fma_f32 v[6:7], v[14:15], v[152:153], v[4:5] neg_lo:[0,0,1] neg_hi:[0,0,1]
	v_pk_fma_f32 v[4:5], v[14:15], v[152:153], v[4:5] op_sel_hi:[1,0,1]
	s_nop 0
	v_mov_b32_e32 v7, v5
	v_pk_add_f32 v[2:3], v[2:3], v[6:7]
	s_nop 0
	v_pk_add_f32 v[2:3], v[144:145], v[2:3] neg_lo:[0,1] neg_hi:[0,1]
	scratch_store_dwordx2 off, v[2:3], off offset:40
	s_and_saveexec_b64 s[0:1], vcc
	s_cbranch_execz .LBB108_275
; %bb.274:
	scratch_load_dwordx2 v[2:3], off, off offset:32
	v_mov_b32_e32 v123, v122
	scratch_store_dwordx2 off, v[122:123], off offset:32
	s_waitcnt vmcnt(1)
	ds_write_b64 v1, v[2:3]
.LBB108_275:
	s_or_b64 exec, exec, s[0:1]
	s_waitcnt lgkmcnt(0)
	; wave barrier
	scratch_load_dwordx4 v[2:5], off, off offset:40
	scratch_load_dwordx4 v[6:9], off, off offset:56
	;; [unrolled: 1-line block ×13, first 2 shown]
	ds_read2_b64 v[118:121], v122 offset0:51 offset1:52
	ds_read2_b64 v[114:117], v122 offset0:53 offset1:54
	;; [unrolled: 1-line block ×14, first 2 shown]
	scratch_load_dwordx4 v[62:65], off, off offset:248
	scratch_load_dwordx4 v[70:73], off, off offset:264
	;; [unrolled: 1-line block ×3, first 2 shown]
	scratch_load_dwordx2 v[148:149], off, off offset:32
	v_cmp_lt_u32_e32 vcc, 3, v0
	s_waitcnt vmcnt(16) lgkmcnt(13)
	v_mul_f32_e32 v123, v118, v3
	v_mul_f32_e32 v124, v120, v5
	v_fmac_f32_e32 v123, v119, v2
	s_waitcnt vmcnt(15) lgkmcnt(12)
	v_mul_f32_e32 v125, v114, v7
	v_fmac_f32_e32 v124, v121, v4
	v_add_f32_e32 v123, 0, v123
	v_mul_f32_e32 v126, v116, v9
	v_fmac_f32_e32 v125, v115, v6
	v_add_f32_e32 v123, v123, v124
	s_waitcnt vmcnt(14) lgkmcnt(11)
	v_mul_f32_e32 v127, v110, v11
	v_fmac_f32_e32 v126, v117, v8
	v_add_f32_e32 v123, v123, v125
	v_mul_f32_e32 v128, v112, v13
	v_fmac_f32_e32 v127, v111, v10
	v_add_f32_e32 v123, v123, v126
	;; [unrolled: 7-line block ×11, first 2 shown]
	s_waitcnt vmcnt(4) lgkmcnt(1)
	v_mul_f32_e32 v147, v54, v51
	v_fmac_f32_e32 v146, v69, v48
	v_add_f32_e32 v123, v123, v145
	v_add_f32_e32 v123, v123, v146
	v_fmac_f32_e32 v147, v55, v50
	v_mul_f32_e32 v124, v56, v53
	v_add_f32_e32 v123, v123, v147
	v_fmac_f32_e32 v124, v57, v52
	v_add_f32_e32 v123, v123, v124
	s_waitcnt vmcnt(3) lgkmcnt(0)
	v_mul_f32_e32 v124, v58, v63
	v_fmac_f32_e32 v124, v59, v62
	v_add_f32_e32 v123, v123, v124
	ds_read2_b64 v[124:127], v122 offset0:79 offset1:80
	v_mul_f32_e32 v128, v60, v65
	v_fmac_f32_e32 v128, v61, v64
	v_add_f32_e32 v123, v123, v128
	ds_read2_b64 v[128:131], v122 offset0:81 offset1:82
	s_waitcnt vmcnt(2) lgkmcnt(1)
	v_mul_f32_e32 v132, v124, v71
	v_fmac_f32_e32 v132, v125, v70
	v_add_f32_e32 v123, v123, v132
	v_mul_f32_e32 v132, v126, v73
	v_fmac_f32_e32 v132, v127, v72
	v_add_f32_e32 v151, v123, v132
	scratch_load_dwordx4 v[132:135], off, off offset:296
	scratch_load_dwordx4 v[136:139], off, off offset:312
	;; [unrolled: 1-line block ×4, first 2 shown]
	v_mul_f32_e32 v3, v119, v3
	v_fma_f32 v2, v118, v2, -v3
	v_mul_f32_e32 v3, v121, v5
	v_add_f32_e32 v2, 0, v2
	v_fma_f32 v3, v120, v4, -v3
	v_add_f32_e32 v2, v2, v3
	v_mul_f32_e32 v3, v115, v7
	v_fma_f32 v3, v114, v6, -v3
	v_add_f32_e32 v2, v2, v3
	v_mul_f32_e32 v3, v117, v9
	;; [unrolled: 3-line block ×28, first 2 shown]
	v_fma_f32 v3, v126, v72, -v3
	v_add_f32_e32 v150, v2, v3
	s_waitcnt vmcnt(5) lgkmcnt(0)
	v_mul_f32_e32 v2, v129, v79
	v_fma_f32 v152, v128, v78, -v2
	v_mul_f32_e32 v2, v131, v81
	v_fma_f32 v154, v130, v80, -v2
	ds_read2_b64 v[2:5], v122 offset0:83 offset1:84
	ds_read2_b64 v[6:9], v122 offset0:85 offset1:86
	ds_read2_b64 v[10:13], v122 offset0:87 offset1:88
	ds_read2_b64 v[14:17], v122 offset0:89 offset1:90
	v_mul_f32_e32 v153, v128, v79
	v_fmac_f32_e32 v153, v129, v78
	v_mul_f32_e32 v155, v130, v81
	s_waitcnt vmcnt(3) lgkmcnt(3)
	v_pk_mul_f32 v[20:21], v[2:3], v[132:133] op_sel:[1,1] op_sel_hi:[0,1]
	v_fmac_f32_e32 v155, v131, v80
	v_pk_add_f32 v[18:19], v[150:151], v[152:153]
	v_pk_fma_f32 v[22:23], v[2:3], v[132:133], v[20:21] neg_lo:[0,0,1] neg_hi:[0,0,1]
	v_pk_fma_f32 v[2:3], v[2:3], v[132:133], v[20:21] op_sel_hi:[1,0,1]
	v_pk_add_f32 v[18:19], v[18:19], v[154:155]
	v_mov_b32_e32 v23, v3
	v_pk_add_f32 v[2:3], v[18:19], v[22:23]
	v_mov_b32_e32 v18, v135
	v_pk_mul_f32 v[18:19], v[4:5], v[18:19] op_sel:[1,0] op_sel_hi:[0,0]
	v_pk_fma_f32 v[20:21], v[4:5], v[134:135], v[18:19] neg_lo:[0,0,1] neg_hi:[0,0,1]
	v_pk_fma_f32 v[4:5], v[4:5], v[134:135], v[18:19] op_sel_hi:[1,0,1]
	s_nop 0
	v_mov_b32_e32 v21, v5
	s_waitcnt vmcnt(2) lgkmcnt(2)
	v_pk_mul_f32 v[4:5], v[6:7], v[136:137] op_sel:[1,1] op_sel_hi:[0,1]
	v_pk_fma_f32 v[18:19], v[6:7], v[136:137], v[4:5] neg_lo:[0,0,1] neg_hi:[0,0,1]
	v_pk_fma_f32 v[4:5], v[6:7], v[136:137], v[4:5] op_sel_hi:[1,0,1]
	v_pk_add_f32 v[2:3], v[2:3], v[20:21]
	v_mov_b32_e32 v4, v139
	v_mov_b32_e32 v19, v5
	v_pk_mul_f32 v[4:5], v[8:9], v[4:5] op_sel:[1,0] op_sel_hi:[0,0]
	v_pk_fma_f32 v[6:7], v[8:9], v[138:139], v[4:5] neg_lo:[0,0,1] neg_hi:[0,0,1]
	v_pk_fma_f32 v[4:5], v[8:9], v[138:139], v[4:5] op_sel_hi:[1,0,1]
	v_pk_add_f32 v[2:3], v[2:3], v[18:19]
	v_mov_b32_e32 v7, v5
	s_waitcnt vmcnt(1) lgkmcnt(1)
	v_pk_mul_f32 v[4:5], v[10:11], v[140:141] op_sel:[1,1] op_sel_hi:[0,1]
	v_pk_add_f32 v[2:3], v[2:3], v[6:7]
	v_pk_fma_f32 v[6:7], v[10:11], v[140:141], v[4:5] neg_lo:[0,0,1] neg_hi:[0,0,1]
	v_pk_fma_f32 v[4:5], v[10:11], v[140:141], v[4:5] op_sel_hi:[1,0,1]
	s_nop 0
	v_mov_b32_e32 v4, v143
	v_mov_b32_e32 v7, v5
	v_pk_mul_f32 v[4:5], v[12:13], v[4:5] op_sel:[1,0] op_sel_hi:[0,0]
	v_pk_add_f32 v[2:3], v[2:3], v[6:7]
	v_pk_fma_f32 v[6:7], v[12:13], v[142:143], v[4:5] neg_lo:[0,0,1] neg_hi:[0,0,1]
	v_pk_fma_f32 v[4:5], v[12:13], v[142:143], v[4:5] op_sel_hi:[1,0,1]
	s_nop 0
	v_mov_b32_e32 v7, v5
	s_waitcnt vmcnt(0) lgkmcnt(0)
	v_pk_mul_f32 v[4:5], v[14:15], v[144:145] op_sel:[1,1] op_sel_hi:[0,1]
	v_pk_add_f32 v[2:3], v[2:3], v[6:7]
	v_pk_fma_f32 v[6:7], v[14:15], v[144:145], v[4:5] neg_lo:[0,0,1] neg_hi:[0,0,1]
	v_pk_fma_f32 v[4:5], v[14:15], v[144:145], v[4:5] op_sel_hi:[1,0,1]
	s_nop 0
	v_mov_b32_e32 v4, v147
	v_mov_b32_e32 v7, v5
	v_pk_mul_f32 v[4:5], v[16:17], v[4:5] op_sel:[1,0] op_sel_hi:[0,0]
	v_pk_add_f32 v[2:3], v[2:3], v[6:7]
	v_pk_fma_f32 v[6:7], v[16:17], v[146:147], v[4:5] neg_lo:[0,0,1] neg_hi:[0,0,1]
	v_pk_fma_f32 v[4:5], v[16:17], v[146:147], v[4:5] op_sel_hi:[1,0,1]
	s_nop 0
	v_mov_b32_e32 v7, v5
	v_pk_add_f32 v[2:3], v[2:3], v[6:7]
	s_nop 0
	v_pk_add_f32 v[2:3], v[148:149], v[2:3] neg_lo:[0,1] neg_hi:[0,1]
	scratch_store_dwordx2 off, v[2:3], off offset:32
	s_and_saveexec_b64 s[0:1], vcc
	s_cbranch_execz .LBB108_277
; %bb.276:
	scratch_load_dwordx2 v[2:3], off, off offset:24
	v_mov_b32_e32 v4, 0
	v_mov_b32_e32 v5, v4
	scratch_store_dwordx2 off, v[4:5], off offset:24
	s_waitcnt vmcnt(1)
	ds_write_b64 v1, v[2:3]
.LBB108_277:
	s_or_b64 exec, exec, s[0:1]
	s_waitcnt lgkmcnt(0)
	; wave barrier
	scratch_load_dwordx4 v[2:5], off, off offset:32
	scratch_load_dwordx4 v[6:9], off, off offset:48
	scratch_load_dwordx4 v[10:13], off, off offset:64
	scratch_load_dwordx4 v[14:17], off, off offset:80
	scratch_load_dwordx4 v[18:21], off, off offset:96
	scratch_load_dwordx4 v[22:25], off, off offset:112
	scratch_load_dwordx4 v[26:29], off, off offset:128
	scratch_load_dwordx4 v[30:33], off, off offset:144
	scratch_load_dwordx4 v[34:37], off, off offset:160
	scratch_load_dwordx4 v[38:41], off, off offset:176
	scratch_load_dwordx4 v[42:45], off, off offset:192
	scratch_load_dwordx4 v[46:49], off, off offset:208
	v_mov_b32_e32 v126, 0
	scratch_load_dwordx4 v[50:53], off, off offset:224
	scratch_load_dwordx4 v[54:57], off, off offset:240
	;; [unrolled: 1-line block ×5, first 2 shown]
	scratch_load_dwordx2 v[70:71], off, off offset:24
	ds_read_b128 v[72:75], v126 offset:400
	ds_read_b128 v[76:79], v126 offset:416
	;; [unrolled: 1-line block ×13, first 2 shown]
	v_cmp_lt_u32_e32 vcc, 2, v0
	s_waitcnt vmcnt(17) lgkmcnt(12)
	v_mul_f32_e32 v124, v72, v3
	v_mul_f32_e32 v125, v74, v5
	v_fmac_f32_e32 v124, v73, v2
	s_waitcnt vmcnt(16) lgkmcnt(11)
	v_mul_f32_e32 v127, v76, v7
	v_fmac_f32_e32 v125, v75, v4
	v_add_f32_e32 v124, 0, v124
	v_mul_f32_e32 v128, v78, v9
	v_fmac_f32_e32 v127, v77, v6
	v_add_f32_e32 v124, v124, v125
	s_waitcnt vmcnt(15) lgkmcnt(10)
	v_mul_f32_e32 v129, v80, v11
	v_fmac_f32_e32 v128, v79, v8
	v_add_f32_e32 v124, v124, v127
	v_mul_f32_e32 v130, v82, v13
	v_fmac_f32_e32 v129, v81, v10
	v_add_f32_e32 v124, v124, v128
	;; [unrolled: 7-line block ×11, first 2 shown]
	v_fmac_f32_e32 v148, v119, v48
	v_add_f32_e32 v124, v124, v147
	v_add_f32_e32 v124, v124, v148
	ds_read_b128 v[128:131], v126 offset:608
	ds_read_b128 v[132:135], v126 offset:624
	;; [unrolled: 1-line block ×5, first 2 shown]
	scratch_load_dwordx4 v[148:151], off, off offset:304
	scratch_load_dwordx4 v[152:155], off, off offset:320
	;; [unrolled: 1-line block ×3, first 2 shown]
	scratch_load_dwordx2 v[250:251], off, off offset:352
	v_mul_f32_e32 v3, v73, v3
	v_fma_f32 v2, v72, v2, -v3
	v_mul_f32_e32 v3, v75, v5
	v_add_f32_e32 v2, 0, v2
	v_fma_f32 v3, v74, v4, -v3
	v_add_f32_e32 v2, v2, v3
	v_mul_f32_e32 v3, v77, v7
	v_fma_f32 v3, v76, v6, -v3
	v_add_f32_e32 v2, v2, v3
	v_mul_f32_e32 v3, v79, v9
	;; [unrolled: 3-line block ×22, first 2 shown]
	v_fma_f32 v3, v118, v48, -v3
	s_waitcnt vmcnt(9) lgkmcnt(5)
	v_mul_f32_e32 v125, v120, v51
	v_add_f32_e32 v2, v2, v3
	v_mul_f32_e32 v3, v121, v51
	v_fmac_f32_e32 v125, v121, v50
	v_fma_f32 v3, v120, v50, -v3
	v_add_f32_e32 v124, v124, v125
	v_mul_f32_e32 v125, v122, v53
	v_add_f32_e32 v2, v2, v3
	v_mul_f32_e32 v3, v123, v53
	v_fmac_f32_e32 v125, v123, v52
	v_fma_f32 v3, v122, v52, -v3
	v_add_f32_e32 v124, v124, v125
	s_waitcnt vmcnt(8) lgkmcnt(4)
	v_mul_f32_e32 v125, v128, v55
	v_add_f32_e32 v2, v2, v3
	v_mul_f32_e32 v3, v129, v55
	v_fmac_f32_e32 v125, v129, v54
	v_fma_f32 v3, v128, v54, -v3
	v_add_f32_e32 v124, v124, v125
	v_mul_f32_e32 v125, v130, v57
	v_add_f32_e32 v2, v2, v3
	v_mul_f32_e32 v3, v131, v57
	v_fmac_f32_e32 v125, v131, v56
	v_fma_f32 v3, v130, v56, -v3
	v_add_f32_e32 v124, v124, v125
	;; [unrolled: 13-line block ×3, first 2 shown]
	s_waitcnt vmcnt(6) lgkmcnt(2)
	v_mul_f32_e32 v125, v136, v63
	v_add_f32_e32 v2, v2, v3
	v_mul_f32_e32 v3, v137, v63
	v_fmac_f32_e32 v125, v137, v62
	v_fma_f32 v3, v136, v62, -v3
	v_add_f32_e32 v125, v124, v125
	v_mul_f32_e32 v163, v138, v65
	v_add_f32_e32 v124, v2, v3
	v_mul_f32_e32 v2, v139, v65
	s_waitcnt vmcnt(5)
	v_mov_b32_e32 v14, v69
	v_fmac_f32_e32 v163, v139, v64
	s_waitcnt lgkmcnt(1)
	v_mul_f32_e32 v165, v140, v67
	v_fma_f32 v162, v138, v64, -v2
	v_mul_f32_e32 v2, v141, v67
	v_pk_mul_f32 v[14:15], v[142:143], v[14:15] op_sel:[1,0] op_sel_hi:[0,0]
	v_fmac_f32_e32 v165, v141, v66
	v_fma_f32 v164, v140, v66, -v2
	v_pk_add_f32 v[12:13], v[124:125], v[162:163]
	v_pk_fma_f32 v[16:17], v[142:143], v[68:69], v[14:15] neg_lo:[0,0,1] neg_hi:[0,0,1]
	v_pk_fma_f32 v[14:15], v[142:143], v[68:69], v[14:15] op_sel_hi:[1,0,1]
	v_pk_add_f32 v[12:13], v[12:13], v[164:165]
	v_mov_b32_e32 v17, v15
	s_waitcnt vmcnt(3) lgkmcnt(0)
	v_pk_mul_f32 v[14:15], v[144:145], v[148:149] op_sel:[1,1] op_sel_hi:[0,1]
	v_pk_add_f32 v[12:13], v[12:13], v[16:17]
	v_pk_fma_f32 v[16:17], v[144:145], v[148:149], v[14:15] neg_lo:[0,0,1] neg_hi:[0,0,1]
	v_pk_fma_f32 v[14:15], v[144:145], v[148:149], v[14:15] op_sel_hi:[1,0,1]
	ds_read_b128 v[2:5], v126 offset:688
	ds_read_b128 v[6:9], v126 offset:704
	ds_read_b64 v[10:11], v126 offset:720
	v_mov_b32_e32 v14, v151
	v_mov_b32_e32 v17, v15
	v_pk_mul_f32 v[14:15], v[146:147], v[14:15] op_sel:[1,0] op_sel_hi:[0,0]
	v_pk_add_f32 v[12:13], v[12:13], v[16:17]
	v_pk_fma_f32 v[16:17], v[146:147], v[150:151], v[14:15] neg_lo:[0,0,1] neg_hi:[0,0,1]
	v_pk_fma_f32 v[14:15], v[146:147], v[150:151], v[14:15] op_sel_hi:[1,0,1]
	s_nop 0
	v_mov_b32_e32 v17, v15
	s_waitcnt vmcnt(2) lgkmcnt(2)
	v_pk_mul_f32 v[14:15], v[2:3], v[152:153] op_sel:[1,1] op_sel_hi:[0,1]
	v_pk_add_f32 v[12:13], v[12:13], v[16:17]
	v_pk_fma_f32 v[16:17], v[2:3], v[152:153], v[14:15] neg_lo:[0,0,1] neg_hi:[0,0,1]
	v_pk_fma_f32 v[2:3], v[2:3], v[152:153], v[14:15] op_sel_hi:[1,0,1]
	s_nop 0
	v_mov_b32_e32 v17, v3
	v_pk_add_f32 v[2:3], v[12:13], v[16:17]
	v_mov_b32_e32 v12, v155
	v_pk_mul_f32 v[12:13], v[4:5], v[12:13] op_sel:[1,0] op_sel_hi:[0,0]
	v_pk_fma_f32 v[14:15], v[4:5], v[154:155], v[12:13] neg_lo:[0,0,1] neg_hi:[0,0,1]
	v_pk_fma_f32 v[4:5], v[4:5], v[154:155], v[12:13] op_sel_hi:[1,0,1]
	s_nop 0
	v_mov_b32_e32 v15, v5
	s_waitcnt vmcnt(1) lgkmcnt(1)
	v_pk_mul_f32 v[4:5], v[6:7], v[156:157] op_sel:[1,1] op_sel_hi:[0,1]
	v_pk_fma_f32 v[12:13], v[6:7], v[156:157], v[4:5] neg_lo:[0,0,1] neg_hi:[0,0,1]
	v_pk_fma_f32 v[4:5], v[6:7], v[156:157], v[4:5] op_sel_hi:[1,0,1]
	v_pk_add_f32 v[2:3], v[2:3], v[14:15]
	v_mov_b32_e32 v4, v159
	v_mov_b32_e32 v13, v5
	v_pk_mul_f32 v[4:5], v[8:9], v[4:5] op_sel:[1,0] op_sel_hi:[0,0]
	v_pk_fma_f32 v[6:7], v[8:9], v[158:159], v[4:5] neg_lo:[0,0,1] neg_hi:[0,0,1]
	v_pk_fma_f32 v[4:5], v[8:9], v[158:159], v[4:5] op_sel_hi:[1,0,1]
	v_pk_add_f32 v[2:3], v[2:3], v[12:13]
	v_mov_b32_e32 v7, v5
	s_waitcnt vmcnt(0) lgkmcnt(0)
	v_pk_mul_f32 v[4:5], v[10:11], v[250:251] op_sel:[1,1] op_sel_hi:[0,1]
	v_pk_add_f32 v[2:3], v[2:3], v[6:7]
	v_pk_fma_f32 v[6:7], v[10:11], v[250:251], v[4:5] neg_lo:[0,0,1] neg_hi:[0,0,1]
	v_pk_fma_f32 v[4:5], v[10:11], v[250:251], v[4:5] op_sel_hi:[1,0,1]
	s_nop 0
	v_mov_b32_e32 v7, v5
	v_pk_add_f32 v[2:3], v[2:3], v[6:7]
	s_nop 0
	v_pk_add_f32 v[2:3], v[70:71], v[2:3] neg_lo:[0,1] neg_hi:[0,1]
	scratch_store_dwordx2 off, v[2:3], off offset:24
	s_and_saveexec_b64 s[0:1], vcc
	s_cbranch_execz .LBB108_279
; %bb.278:
	scratch_load_dwordx2 v[2:3], off, off offset:16
	v_mov_b32_e32 v127, v126
	scratch_store_dwordx2 off, v[126:127], off offset:16
	s_waitcnt vmcnt(1)
	ds_write_b64 v1, v[2:3]
.LBB108_279:
	s_or_b64 exec, exec, s[0:1]
	s_waitcnt lgkmcnt(0)
	; wave barrier
	scratch_load_dwordx4 v[2:5], off, off offset:24
	scratch_load_dwordx4 v[6:9], off, off offset:40
	scratch_load_dwordx4 v[10:13], off, off offset:56
	scratch_load_dwordx4 v[14:17], off, off offset:72
	scratch_load_dwordx4 v[18:21], off, off offset:88
	scratch_load_dwordx4 v[22:25], off, off offset:104
	scratch_load_dwordx4 v[26:29], off, off offset:120
	scratch_load_dwordx4 v[30:33], off, off offset:136
	scratch_load_dwordx4 v[34:37], off, off offset:152
	scratch_load_dwordx4 v[38:41], off, off offset:168
	scratch_load_dwordx4 v[42:45], off, off offset:184
	scratch_load_dwordx4 v[46:49], off, off offset:200
	ds_read2_b64 v[122:125], v126 offset0:49 offset1:50
	ds_read2_b64 v[118:121], v126 offset0:51 offset1:52
	;; [unrolled: 1-line block ×12, first 2 shown]
	scratch_load_dwordx4 v[54:57], off, off offset:216
	ds_read2_b64 v[62:65], v126 offset0:73 offset1:74
	ds_read2_b64 v[66:69], v126 offset0:75 offset1:76
	scratch_load_dwordx4 v[70:73], off, off offset:232
	scratch_load_dwordx4 v[78:81], off, off offset:248
	;; [unrolled: 1-line block ×4, first 2 shown]
	scratch_load_dwordx2 v[128:129], off, off offset:16
	v_cmp_lt_u32_e32 vcc, 1, v0
	s_waitcnt vmcnt(17) lgkmcnt(13)
	v_mul_f32_e32 v127, v122, v3
	v_mul_f32_e32 v130, v124, v5
	v_fmac_f32_e32 v127, v123, v2
	s_waitcnt vmcnt(16) lgkmcnt(12)
	v_mul_f32_e32 v131, v118, v7
	v_fmac_f32_e32 v130, v125, v4
	v_add_f32_e32 v127, 0, v127
	v_mul_f32_e32 v132, v120, v9
	v_fmac_f32_e32 v131, v119, v6
	v_add_f32_e32 v127, v127, v130
	s_waitcnt vmcnt(15) lgkmcnt(11)
	v_mul_f32_e32 v133, v114, v11
	v_fmac_f32_e32 v132, v121, v8
	v_add_f32_e32 v127, v127, v131
	v_mul_f32_e32 v134, v116, v13
	v_fmac_f32_e32 v133, v115, v10
	v_add_f32_e32 v127, v127, v132
	s_waitcnt vmcnt(14) lgkmcnt(10)
	v_mul_f32_e32 v135, v110, v15
	v_fmac_f32_e32 v134, v117, v12
	v_add_f32_e32 v127, v127, v133
	v_mul_f32_e32 v136, v112, v17
	v_fmac_f32_e32 v135, v111, v14
	v_add_f32_e32 v127, v127, v134
	s_waitcnt vmcnt(13) lgkmcnt(9)
	v_mul_f32_e32 v137, v106, v19
	v_fmac_f32_e32 v136, v113, v16
	v_add_f32_e32 v127, v127, v135
	v_mul_f32_e32 v138, v108, v21
	v_fmac_f32_e32 v137, v107, v18
	v_add_f32_e32 v127, v127, v136
	s_waitcnt vmcnt(12) lgkmcnt(8)
	v_mul_f32_e32 v139, v102, v23
	v_fmac_f32_e32 v138, v109, v20
	v_add_f32_e32 v127, v127, v137
	v_mul_f32_e32 v140, v104, v25
	v_fmac_f32_e32 v139, v103, v22
	v_add_f32_e32 v127, v127, v138
	s_waitcnt vmcnt(11) lgkmcnt(7)
	v_mul_f32_e32 v141, v98, v27
	v_fmac_f32_e32 v140, v105, v24
	v_add_f32_e32 v127, v127, v139
	v_mul_f32_e32 v142, v100, v29
	v_fmac_f32_e32 v141, v99, v26
	v_add_f32_e32 v127, v127, v140
	s_waitcnt vmcnt(10) lgkmcnt(6)
	v_mul_f32_e32 v143, v90, v31
	v_fmac_f32_e32 v142, v101, v28
	v_add_f32_e32 v127, v127, v141
	v_mul_f32_e32 v144, v92, v33
	v_fmac_f32_e32 v143, v91, v30
	v_add_f32_e32 v127, v127, v142
	s_waitcnt vmcnt(9) lgkmcnt(5)
	v_mul_f32_e32 v145, v82, v35
	v_fmac_f32_e32 v144, v93, v32
	v_add_f32_e32 v127, v127, v143
	v_mul_f32_e32 v146, v84, v37
	v_fmac_f32_e32 v145, v83, v34
	v_add_f32_e32 v127, v127, v144
	s_waitcnt vmcnt(8) lgkmcnt(4)
	v_mul_f32_e32 v147, v74, v39
	v_fmac_f32_e32 v146, v85, v36
	v_add_f32_e32 v127, v127, v145
	v_mul_f32_e32 v148, v76, v41
	v_fmac_f32_e32 v147, v75, v38
	v_add_f32_e32 v127, v127, v146
	s_waitcnt vmcnt(7) lgkmcnt(3)
	v_mul_f32_e32 v149, v58, v43
	v_fmac_f32_e32 v148, v77, v40
	v_add_f32_e32 v127, v127, v147
	v_mul_f32_e32 v150, v60, v45
	v_fmac_f32_e32 v149, v59, v42
	v_add_f32_e32 v127, v127, v148
	s_waitcnt vmcnt(6) lgkmcnt(2)
	v_mul_f32_e32 v151, v50, v47
	v_fmac_f32_e32 v150, v61, v44
	v_add_f32_e32 v127, v127, v149
	v_mul_f32_e32 v152, v52, v49
	v_fmac_f32_e32 v151, v51, v46
	v_add_f32_e32 v127, v127, v150
	v_fmac_f32_e32 v152, v53, v48
	v_add_f32_e32 v127, v127, v151
	s_waitcnt vmcnt(5) lgkmcnt(1)
	v_mul_f32_e32 v130, v62, v55
	v_add_f32_e32 v127, v127, v152
	v_fmac_f32_e32 v130, v63, v54
	v_add_f32_e32 v127, v127, v130
	v_mul_f32_e32 v130, v64, v57
	v_fmac_f32_e32 v130, v65, v56
	v_add_f32_e32 v127, v127, v130
	s_waitcnt vmcnt(4) lgkmcnt(0)
	v_mul_f32_e32 v130, v66, v71
	v_fmac_f32_e32 v130, v67, v70
	v_add_f32_e32 v127, v127, v130
	ds_read2_b64 v[130:133], v126 offset0:77 offset1:78
	v_mul_f32_e32 v134, v68, v73
	v_fmac_f32_e32 v134, v69, v72
	v_add_f32_e32 v127, v127, v134
	ds_read2_b64 v[134:137], v126 offset0:79 offset1:80
	s_waitcnt vmcnt(3) lgkmcnt(1)
	v_mul_f32_e32 v138, v130, v79
	v_fmac_f32_e32 v138, v131, v78
	v_add_f32_e32 v127, v127, v138
	v_mul_f32_e32 v138, v132, v81
	v_fmac_f32_e32 v138, v133, v80
	v_add_f32_e32 v127, v127, v138
	s_waitcnt vmcnt(2) lgkmcnt(0)
	v_mul_f32_e32 v138, v134, v87
	v_fmac_f32_e32 v138, v135, v86
	v_mul_f32_e32 v142, v136, v89
	v_add_f32_e32 v127, v127, v138
	v_fmac_f32_e32 v142, v137, v88
	ds_read2_b64 v[138:141], v126 offset0:81 offset1:82
	v_add_f32_e32 v159, v127, v142
	ds_read2_b64 v[142:145], v126 offset0:83 offset1:84
	scratch_load_dwordx4 v[146:149], off, off offset:296
	scratch_load_dwordx4 v[150:153], off, off offset:312
	;; [unrolled: 1-line block ×4, first 2 shown]
	v_mul_f32_e32 v3, v123, v3
	v_fma_f32 v2, v122, v2, -v3
	v_mul_f32_e32 v3, v125, v5
	v_add_f32_e32 v2, 0, v2
	v_fma_f32 v3, v124, v4, -v3
	v_add_f32_e32 v2, v2, v3
	v_mul_f32_e32 v3, v119, v7
	v_fma_f32 v3, v118, v6, -v3
	v_add_f32_e32 v2, v2, v3
	v_mul_f32_e32 v3, v121, v9
	;; [unrolled: 3-line block ×30, first 2 shown]
	v_fma_f32 v3, v136, v88, -v3
	s_waitcnt vmcnt(5) lgkmcnt(1)
	v_mul_f32_e32 v163, v138, v95
	v_add_f32_e32 v158, v2, v3
	v_mul_f32_e32 v2, v139, v95
	s_waitcnt vmcnt(3) lgkmcnt(0)
	v_pk_mul_f32 v[16:17], v[142:143], v[146:147] op_sel:[1,1] op_sel_hi:[0,1]
	v_fmac_f32_e32 v163, v139, v94
	v_mul_f32_e32 v165, v140, v97
	v_fma_f32 v162, v138, v94, -v2
	v_mul_f32_e32 v2, v141, v97
	v_pk_fma_f32 v[18:19], v[142:143], v[146:147], v[16:17] neg_lo:[0,0,1] neg_hi:[0,0,1]
	v_pk_fma_f32 v[16:17], v[142:143], v[146:147], v[16:17] op_sel_hi:[1,0,1]
	v_fmac_f32_e32 v165, v141, v96
	v_fma_f32 v164, v140, v96, -v2
	ds_read2_b64 v[2:5], v126 offset0:85 offset1:86
	ds_read2_b64 v[6:9], v126 offset0:87 offset1:88
	;; [unrolled: 1-line block ×3, first 2 shown]
	v_pk_add_f32 v[14:15], v[158:159], v[162:163]
	v_mov_b32_e32 v16, v149
	v_pk_add_f32 v[14:15], v[14:15], v[164:165]
	v_mov_b32_e32 v19, v17
	v_pk_mul_f32 v[16:17], v[144:145], v[16:17] op_sel:[1,0] op_sel_hi:[0,0]
	v_pk_add_f32 v[14:15], v[14:15], v[18:19]
	v_pk_fma_f32 v[18:19], v[144:145], v[148:149], v[16:17] neg_lo:[0,0,1] neg_hi:[0,0,1]
	v_pk_fma_f32 v[16:17], v[144:145], v[148:149], v[16:17] op_sel_hi:[1,0,1]
	s_nop 0
	v_mov_b32_e32 v19, v17
	s_waitcnt vmcnt(2) lgkmcnt(2)
	v_pk_mul_f32 v[16:17], v[2:3], v[150:151] op_sel:[1,1] op_sel_hi:[0,1]
	v_pk_add_f32 v[14:15], v[14:15], v[18:19]
	v_pk_fma_f32 v[18:19], v[2:3], v[150:151], v[16:17] neg_lo:[0,0,1] neg_hi:[0,0,1]
	v_pk_fma_f32 v[2:3], v[2:3], v[150:151], v[16:17] op_sel_hi:[1,0,1]
	s_nop 0
	v_mov_b32_e32 v19, v3
	v_pk_add_f32 v[2:3], v[14:15], v[18:19]
	v_mov_b32_e32 v14, v153
	v_pk_mul_f32 v[14:15], v[4:5], v[14:15] op_sel:[1,0] op_sel_hi:[0,0]
	v_pk_fma_f32 v[16:17], v[4:5], v[152:153], v[14:15] neg_lo:[0,0,1] neg_hi:[0,0,1]
	v_pk_fma_f32 v[4:5], v[4:5], v[152:153], v[14:15] op_sel_hi:[1,0,1]
	s_nop 0
	v_mov_b32_e32 v17, v5
	s_waitcnt vmcnt(1) lgkmcnt(1)
	v_pk_mul_f32 v[4:5], v[6:7], v[154:155] op_sel:[1,1] op_sel_hi:[0,1]
	v_pk_fma_f32 v[14:15], v[6:7], v[154:155], v[4:5] neg_lo:[0,0,1] neg_hi:[0,0,1]
	v_pk_fma_f32 v[4:5], v[6:7], v[154:155], v[4:5] op_sel_hi:[1,0,1]
	v_pk_add_f32 v[2:3], v[2:3], v[16:17]
	v_mov_b32_e32 v4, v157
	v_mov_b32_e32 v15, v5
	v_pk_mul_f32 v[4:5], v[8:9], v[4:5] op_sel:[1,0] op_sel_hi:[0,0]
	v_pk_fma_f32 v[6:7], v[8:9], v[156:157], v[4:5] neg_lo:[0,0,1] neg_hi:[0,0,1]
	v_pk_fma_f32 v[4:5], v[8:9], v[156:157], v[4:5] op_sel_hi:[1,0,1]
	v_pk_add_f32 v[2:3], v[2:3], v[14:15]
	v_mov_b32_e32 v7, v5
	s_waitcnt vmcnt(0) lgkmcnt(0)
	v_pk_mul_f32 v[4:5], v[10:11], v[250:251] op_sel:[1,1] op_sel_hi:[0,1]
	v_pk_add_f32 v[2:3], v[2:3], v[6:7]
	v_pk_fma_f32 v[6:7], v[10:11], v[250:251], v[4:5] neg_lo:[0,0,1] neg_hi:[0,0,1]
	v_pk_fma_f32 v[4:5], v[10:11], v[250:251], v[4:5] op_sel_hi:[1,0,1]
	s_nop 0
	v_mov_b32_e32 v4, v253
	v_mov_b32_e32 v7, v5
	v_pk_mul_f32 v[4:5], v[12:13], v[4:5] op_sel:[1,0] op_sel_hi:[0,0]
	v_pk_add_f32 v[2:3], v[2:3], v[6:7]
	v_pk_fma_f32 v[6:7], v[12:13], v[252:253], v[4:5] neg_lo:[0,0,1] neg_hi:[0,0,1]
	v_pk_fma_f32 v[4:5], v[12:13], v[252:253], v[4:5] op_sel_hi:[1,0,1]
	s_nop 0
	v_mov_b32_e32 v7, v5
	v_pk_add_f32 v[2:3], v[2:3], v[6:7]
	s_nop 0
	v_pk_add_f32 v[2:3], v[128:129], v[2:3] neg_lo:[0,1] neg_hi:[0,1]
	scratch_store_dwordx2 off, v[2:3], off offset:16
	s_and_saveexec_b64 s[0:1], vcc
	s_cbranch_execz .LBB108_281
; %bb.280:
	scratch_load_dwordx2 v[2:3], off, off offset:8
	v_mov_b32_e32 v4, 0
	v_mov_b32_e32 v5, v4
	scratch_store_dwordx2 off, v[4:5], off offset:8
	s_waitcnt vmcnt(1)
	ds_write_b64 v1, v[2:3]
.LBB108_281:
	s_or_b64 exec, exec, s[0:1]
	s_waitcnt lgkmcnt(0)
	; wave barrier
	scratch_load_dwordx4 v[62:65], off, off offset:16
	scratch_load_dwordx4 v[66:69], off, off offset:32
	;; [unrolled: 1-line block ×18, first 2 shown]
	v_mov_b32_e32 v250, 0
	ds_read_b128 v[118:121], v250 offset:384
	ds_read_b128 v[122:125], v250 offset:400
	;; [unrolled: 1-line block ×15, first 2 shown]
	v_cmp_ne_u32_e32 vcc, 0, v0
	s_waitcnt vmcnt(17) lgkmcnt(14)
	v_mul_f32_e32 v30, v118, v63
	v_mul_f32_e32 v31, v120, v65
	v_fmac_f32_e32 v30, v119, v62
	s_waitcnt vmcnt(16) lgkmcnt(13)
	v_mul_f32_e32 v32, v122, v67
	v_fmac_f32_e32 v31, v121, v64
	v_add_f32_e32 v30, 0, v30
	v_mul_f32_e32 v33, v124, v69
	v_fmac_f32_e32 v32, v123, v66
	v_add_f32_e32 v30, v30, v31
	s_waitcnt vmcnt(15) lgkmcnt(12)
	v_mul_f32_e32 v34, v126, v71
	v_fmac_f32_e32 v33, v125, v68
	v_add_f32_e32 v30, v30, v32
	v_mul_f32_e32 v35, v128, v73
	v_fmac_f32_e32 v34, v127, v70
	v_add_f32_e32 v30, v30, v33
	;; [unrolled: 7-line block ×11, first 2 shown]
	ds_read_b128 v[46:49], v250 offset:592
	v_fmac_f32_e32 v53, v165, v108
	v_add_f32_e32 v30, v30, v52
	s_waitcnt vmcnt(5) lgkmcnt(3)
	v_mul_f32_e32 v31, v26, v3
	v_add_f32_e32 v30, v30, v53
	v_fmac_f32_e32 v31, v27, v2
	v_add_f32_e32 v30, v30, v31
	v_mul_f32_e32 v31, v28, v5
	v_fmac_f32_e32 v31, v29, v4
	ds_read_b128 v[50:53], v250 offset:608
	v_add_f32_e32 v30, v30, v31
	s_waitcnt vmcnt(4) lgkmcnt(1)
	v_mul_f32_e32 v31, v46, v7
	v_fmac_f32_e32 v31, v47, v6
	v_add_f32_e32 v30, v30, v31
	v_mul_f32_e32 v31, v48, v9
	v_fmac_f32_e32 v31, v49, v8
	v_add_f32_e32 v30, v30, v31
	s_waitcnt vmcnt(3) lgkmcnt(0)
	v_mul_f32_e32 v31, v50, v11
	v_fmac_f32_e32 v31, v51, v10
	v_add_f32_e32 v30, v30, v31
	v_mul_f32_e32 v31, v52, v13
	v_fmac_f32_e32 v31, v53, v12
	v_add_f32_e32 v30, v30, v31
	s_waitcnt vmcnt(2)
	v_mul_f32_e32 v31, v54, v15
	v_fmac_f32_e32 v31, v55, v14
	v_add_f32_e32 v30, v30, v31
	v_mul_f32_e32 v31, v56, v17
	v_fmac_f32_e32 v31, v57, v16
	v_add_f32_e32 v30, v30, v31
	s_waitcnt vmcnt(1)
	v_mul_f32_e32 v31, v58, v19
	v_fmac_f32_e32 v31, v59, v18
	ds_read_b128 v[42:45], v250 offset:656
	v_add_f32_e32 v113, v30, v31
	scratch_load_dwordx4 v[38:41], off, off offset:304
	scratch_load_dwordx4 v[34:37], off, off offset:320
	;; [unrolled: 1-line block ×3, first 2 shown]
	scratch_load_dwordx2 v[110:111], off, off offset:352
	v_mul_f32_e32 v63, v119, v63
	v_fma_f32 v62, v118, v62, -v63
	v_mul_f32_e32 v63, v121, v65
	v_add_f32_e32 v62, 0, v62
	v_fma_f32 v63, v120, v64, -v63
	v_add_f32_e32 v62, v62, v63
	v_mul_f32_e32 v63, v123, v67
	v_fma_f32 v63, v122, v66, -v63
	v_add_f32_e32 v62, v62, v63
	v_mul_f32_e32 v63, v125, v69
	v_mul_f32_e32 v3, v27, v3
	v_fma_f32 v63, v124, v68, -v63
	v_fma_f32 v26, v26, v2, -v3
	scratch_load_dwordx2 v[2:3], off, off offset:8
	v_add_f32_e32 v62, v62, v63
	v_mul_f32_e32 v63, v127, v71
	v_fma_f32 v63, v126, v70, -v63
	v_add_f32_e32 v62, v62, v63
	v_mul_f32_e32 v63, v129, v73
	v_fma_f32 v63, v128, v72, -v63
	v_add_f32_e32 v62, v62, v63
	v_mul_f32_e32 v63, v131, v75
	v_fma_f32 v63, v130, v74, -v63
	v_add_f32_e32 v62, v62, v63
	v_mul_f32_e32 v63, v133, v77
	v_fma_f32 v63, v132, v76, -v63
	v_add_f32_e32 v62, v62, v63
	v_mul_f32_e32 v63, v135, v79
	v_fma_f32 v63, v134, v78, -v63
	v_add_f32_e32 v62, v62, v63
	v_mul_f32_e32 v63, v137, v81
	v_fma_f32 v63, v136, v80, -v63
	v_add_f32_e32 v62, v62, v63
	v_mul_f32_e32 v63, v139, v83
	v_fma_f32 v63, v138, v82, -v63
	v_add_f32_e32 v62, v62, v63
	v_mul_f32_e32 v63, v141, v85
	v_fma_f32 v63, v140, v84, -v63
	v_add_f32_e32 v62, v62, v63
	v_mul_f32_e32 v63, v143, v87
	v_fma_f32 v63, v142, v86, -v63
	v_add_f32_e32 v62, v62, v63
	v_mul_f32_e32 v63, v145, v89
	v_fma_f32 v63, v144, v88, -v63
	v_add_f32_e32 v62, v62, v63
	v_mul_f32_e32 v63, v147, v91
	v_fma_f32 v63, v146, v90, -v63
	v_add_f32_e32 v62, v62, v63
	v_mul_f32_e32 v63, v149, v93
	v_fma_f32 v63, v148, v92, -v63
	v_add_f32_e32 v62, v62, v63
	v_mul_f32_e32 v63, v151, v95
	v_fma_f32 v63, v150, v94, -v63
	v_add_f32_e32 v62, v62, v63
	v_mul_f32_e32 v63, v153, v97
	v_fma_f32 v63, v152, v96, -v63
	v_add_f32_e32 v62, v62, v63
	v_mul_f32_e32 v63, v155, v99
	v_fma_f32 v63, v154, v98, -v63
	v_add_f32_e32 v62, v62, v63
	v_mul_f32_e32 v63, v157, v101
	v_fma_f32 v63, v156, v100, -v63
	v_add_f32_e32 v62, v62, v63
	v_mul_f32_e32 v63, v253, v103
	v_fma_f32 v63, v252, v102, -v63
	v_add_f32_e32 v62, v62, v63
	v_mul_f32_e32 v63, v255, v105
	v_fma_f32 v63, v254, v104, -v63
	v_add_f32_e32 v62, v62, v63
	v_mul_f32_e32 v63, v163, v107
	v_fma_f32 v63, v162, v106, -v63
	v_add_f32_e32 v62, v62, v63
	v_mul_f32_e32 v63, v165, v109
	v_fma_f32 v63, v164, v108, -v63
	v_add_f32_e32 v62, v62, v63
	v_mul_f32_e32 v5, v29, v5
	v_add_f32_e32 v26, v62, v26
	v_fma_f32 v4, v28, v4, -v5
	v_mul_f32_e32 v5, v47, v7
	v_add_f32_e32 v4, v26, v4
	v_fma_f32 v5, v46, v6, -v5
	v_add_f32_e32 v4, v4, v5
	v_mul_f32_e32 v5, v49, v9
	v_fma_f32 v5, v48, v8, -v5
	v_add_f32_e32 v4, v4, v5
	v_mul_f32_e32 v5, v51, v11
	;; [unrolled: 3-line block ×6, first 2 shown]
	v_fma_f32 v5, v58, v18, -v5
	v_mul_f32_e32 v115, v60, v21
	v_add_f32_e32 v112, v4, v5
	v_mul_f32_e32 v4, v61, v21
	v_fmac_f32_e32 v115, v61, v20
	v_fma_f32 v114, v60, v20, -v4
	s_waitcnt vmcnt(5) lgkmcnt(0)
	v_mul_f32_e32 v4, v43, v23
	v_mov_b32_e32 v20, v25
	v_mul_f32_e32 v117, v42, v23
	v_fma_f32 v116, v42, v22, -v4
	ds_read_b128 v[4:7], v250 offset:672
	ds_read_b128 v[8:11], v250 offset:688
	ds_read_b128 v[12:15], v250 offset:704
	ds_read_b64 v[16:17], v250 offset:720
	v_pk_mul_f32 v[20:21], v[44:45], v[20:21] op_sel:[1,0] op_sel_hi:[0,0]
	v_fmac_f32_e32 v117, v43, v22
	v_pk_add_f32 v[18:19], v[112:113], v[114:115]
	v_pk_fma_f32 v[22:23], v[44:45], v[24:25], v[20:21] neg_lo:[0,0,1] neg_hi:[0,0,1]
	v_pk_fma_f32 v[20:21], v[44:45], v[24:25], v[20:21] op_sel_hi:[1,0,1]
	v_pk_add_f32 v[18:19], v[18:19], v[116:117]
	v_mov_b32_e32 v23, v21
	s_waitcnt vmcnt(4) lgkmcnt(3)
	v_pk_mul_f32 v[20:21], v[4:5], v[38:39] op_sel:[1,1] op_sel_hi:[0,1]
	v_pk_add_f32 v[18:19], v[18:19], v[22:23]
	v_pk_fma_f32 v[22:23], v[4:5], v[38:39], v[20:21] neg_lo:[0,0,1] neg_hi:[0,0,1]
	v_pk_fma_f32 v[4:5], v[4:5], v[38:39], v[20:21] op_sel_hi:[1,0,1]
	s_nop 0
	v_mov_b32_e32 v23, v5
	v_pk_add_f32 v[4:5], v[18:19], v[22:23]
	v_mov_b32_e32 v18, v41
	v_pk_mul_f32 v[18:19], v[6:7], v[18:19] op_sel:[1,0] op_sel_hi:[0,0]
	v_pk_fma_f32 v[20:21], v[6:7], v[40:41], v[18:19] neg_lo:[0,0,1] neg_hi:[0,0,1]
	v_pk_fma_f32 v[6:7], v[6:7], v[40:41], v[18:19] op_sel_hi:[1,0,1]
	s_nop 0
	v_mov_b32_e32 v21, v7
	s_waitcnt vmcnt(3) lgkmcnt(2)
	v_pk_mul_f32 v[6:7], v[8:9], v[34:35] op_sel:[1,1] op_sel_hi:[0,1]
	v_pk_fma_f32 v[18:19], v[8:9], v[34:35], v[6:7] neg_lo:[0,0,1] neg_hi:[0,0,1]
	v_pk_fma_f32 v[6:7], v[8:9], v[34:35], v[6:7] op_sel_hi:[1,0,1]
	v_pk_add_f32 v[4:5], v[4:5], v[20:21]
	v_mov_b32_e32 v6, v37
	v_mov_b32_e32 v19, v7
	v_pk_mul_f32 v[6:7], v[10:11], v[6:7] op_sel:[1,0] op_sel_hi:[0,0]
	v_pk_fma_f32 v[8:9], v[10:11], v[36:37], v[6:7] neg_lo:[0,0,1] neg_hi:[0,0,1]
	v_pk_fma_f32 v[6:7], v[10:11], v[36:37], v[6:7] op_sel_hi:[1,0,1]
	v_pk_add_f32 v[4:5], v[4:5], v[18:19]
	v_mov_b32_e32 v9, v7
	s_waitcnt vmcnt(2) lgkmcnt(1)
	v_pk_mul_f32 v[6:7], v[12:13], v[30:31] op_sel:[1,1] op_sel_hi:[0,1]
	v_pk_add_f32 v[4:5], v[4:5], v[8:9]
	v_pk_fma_f32 v[8:9], v[12:13], v[30:31], v[6:7] neg_lo:[0,0,1] neg_hi:[0,0,1]
	v_pk_fma_f32 v[6:7], v[12:13], v[30:31], v[6:7] op_sel_hi:[1,0,1]
	s_nop 0
	v_mov_b32_e32 v6, v33
	v_mov_b32_e32 v9, v7
	v_pk_mul_f32 v[6:7], v[14:15], v[6:7] op_sel:[1,0] op_sel_hi:[0,0]
	v_pk_add_f32 v[4:5], v[4:5], v[8:9]
	v_pk_fma_f32 v[8:9], v[14:15], v[32:33], v[6:7] neg_lo:[0,0,1] neg_hi:[0,0,1]
	v_pk_fma_f32 v[6:7], v[14:15], v[32:33], v[6:7] op_sel_hi:[1,0,1]
	s_nop 0
	v_mov_b32_e32 v9, v7
	s_waitcnt vmcnt(1) lgkmcnt(0)
	v_pk_mul_f32 v[6:7], v[16:17], v[110:111] op_sel:[1,1] op_sel_hi:[0,1]
	v_pk_add_f32 v[4:5], v[4:5], v[8:9]
	v_pk_fma_f32 v[8:9], v[16:17], v[110:111], v[6:7] neg_lo:[0,0,1] neg_hi:[0,0,1]
	v_pk_fma_f32 v[6:7], v[16:17], v[110:111], v[6:7] op_sel_hi:[1,0,1]
	s_nop 0
	v_mov_b32_e32 v9, v7
	v_pk_add_f32 v[4:5], v[4:5], v[8:9]
	s_waitcnt vmcnt(0)
	v_pk_add_f32 v[2:3], v[2:3], v[4:5] neg_lo:[0,1] neg_hi:[0,1]
	scratch_store_dwordx2 off, v[2:3], off offset:8
	s_and_saveexec_b64 s[0:1], vcc
	s_cbranch_execz .LBB108_283
; %bb.282:
	scratch_load_dwordx2 v[2:3], off, off
	v_mov_b32_e32 v251, v250
	scratch_store_dwordx2 off, v[250:251], off
	s_waitcnt vmcnt(1)
	ds_write_b64 v1, v[2:3]
.LBB108_283:
	s_or_b64 exec, exec, s[0:1]
	s_waitcnt lgkmcnt(0)
	; wave barrier
	scratch_load_dwordx4 v[56:59], off, off offset:8
	scratch_load_dwordx4 v[60:63], off, off offset:24
	;; [unrolled: 1-line block ×13, first 2 shown]
	ds_read2_b64 v[156:159], v250 offset0:47 offset1:48
	ds_read2_b64 v[152:155], v250 offset0:49 offset1:50
	;; [unrolled: 1-line block ×13, first 2 shown]
	scratch_load_dwordx4 v[0:3], off, off offset:216
	scratch_load_dwordx4 v[4:7], off, off offset:232
	;; [unrolled: 1-line block ×5, first 2 shown]
	ds_read2_b64 v[52:55], v250 offset0:81 offset1:82
	s_and_b64 vcc, exec, s[10:11]
	ds_read2_b64 v[48:51], v250 offset0:79 offset1:80
	s_waitcnt vmcnt(17) lgkmcnt(14)
	v_mul_f32_e32 v20, v156, v57
	v_mul_f32_e32 v21, v158, v59
	v_fmac_f32_e32 v20, v157, v56
	s_waitcnt vmcnt(16) lgkmcnt(13)
	v_mul_f32_e32 v22, v152, v61
	v_fmac_f32_e32 v21, v159, v58
	v_add_f32_e32 v20, 0, v20
	v_mul_f32_e32 v23, v154, v63
	v_fmac_f32_e32 v22, v153, v60
	v_add_f32_e32 v20, v20, v21
	s_waitcnt vmcnt(15) lgkmcnt(12)
	v_mul_f32_e32 v24, v148, v65
	v_fmac_f32_e32 v23, v155, v62
	v_add_f32_e32 v20, v20, v22
	v_mul_f32_e32 v25, v150, v67
	v_fmac_f32_e32 v24, v149, v64
	v_add_f32_e32 v20, v20, v23
	;; [unrolled: 7-line block ×6, first 2 shown]
	v_mul_f32_e32 v57, v157, v57
	s_waitcnt vmcnt(10) lgkmcnt(7)
	v_mul_f32_e32 v34, v128, v85
	v_fmac_f32_e32 v33, v135, v82
	v_add_f32_e32 v20, v20, v32
	v_fma_f32 v56, v156, v56, -v57
	v_mul_f32_e32 v57, v159, v59
	v_mul_f32_e32 v35, v130, v87
	v_fmac_f32_e32 v34, v129, v84
	v_add_f32_e32 v20, v20, v33
	v_add_f32_e32 v56, 0, v56
	v_fma_f32 v57, v158, v58, -v57
	s_waitcnt vmcnt(9) lgkmcnt(6)
	v_mul_f32_e32 v36, v124, v89
	v_fmac_f32_e32 v35, v131, v86
	v_add_f32_e32 v20, v20, v34
	v_add_f32_e32 v56, v56, v57
	v_mul_f32_e32 v57, v153, v61
	v_mul_f32_e32 v37, v126, v91
	v_fmac_f32_e32 v36, v125, v88
	v_add_f32_e32 v20, v20, v35
	v_fma_f32 v57, v152, v60, -v57
	s_waitcnt vmcnt(8) lgkmcnt(5)
	v_mul_f32_e32 v38, v120, v93
	v_fmac_f32_e32 v37, v127, v90
	v_add_f32_e32 v20, v20, v36
	v_add_f32_e32 v56, v56, v57
	v_mul_f32_e32 v57, v155, v63
	v_mul_f32_e32 v39, v122, v95
	v_fmac_f32_e32 v38, v121, v92
	;; [unrolled: 10-line block ×3, first 2 shown]
	v_add_f32_e32 v20, v20, v39
	v_fma_f32 v57, v148, v64, -v57
	s_waitcnt vmcnt(6) lgkmcnt(3)
	v_mul_f32_e32 v42, v112, v101
	v_fmac_f32_e32 v41, v119, v98
	v_add_f32_e32 v20, v20, v40
	ds_read2_b64 v[36:39], v250 offset0:73 offset1:74
	v_add_f32_e32 v56, v56, v57
	v_mul_f32_e32 v57, v151, v67
	v_mul_f32_e32 v43, v114, v103
	v_fmac_f32_e32 v42, v113, v100
	v_add_f32_e32 v20, v20, v41
	v_fma_f32 v57, v150, v66, -v57
	s_waitcnt vmcnt(5) lgkmcnt(3)
	v_mul_f32_e32 v44, v108, v105
	v_fmac_f32_e32 v43, v115, v102
	v_add_f32_e32 v20, v20, v42
	v_add_f32_e32 v56, v56, v57
	v_mul_f32_e32 v57, v145, v69
	v_add_f32_e32 v20, v20, v43
	v_fmac_f32_e32 v44, v109, v104
	v_mul_f32_e32 v21, v110, v107
	v_fma_f32 v57, v144, v68, -v57
	v_add_f32_e32 v20, v20, v44
	v_fmac_f32_e32 v21, v111, v106
	ds_read2_b64 v[40:43], v250 offset0:75 offset1:76
	v_add_f32_e32 v56, v56, v57
	v_mul_f32_e32 v57, v147, v71
	v_add_f32_e32 v20, v20, v21
	s_waitcnt vmcnt(4) lgkmcnt(1)
	v_mul_f32_e32 v21, v36, v1
	v_fma_f32 v57, v146, v70, -v57
	v_fmac_f32_e32 v21, v37, v0
	v_add_f32_e32 v56, v56, v57
	v_mul_f32_e32 v57, v141, v73
	v_add_f32_e32 v20, v20, v21
	v_mul_f32_e32 v21, v38, v3
	v_fma_f32 v57, v140, v72, -v57
	v_fmac_f32_e32 v21, v39, v2
	ds_read2_b64 v[44:47], v250 offset0:77 offset1:78
	v_add_f32_e32 v56, v56, v57
	v_mul_f32_e32 v57, v143, v75
	v_add_f32_e32 v20, v20, v21
	s_waitcnt vmcnt(3) lgkmcnt(1)
	v_mul_f32_e32 v21, v40, v5
	v_fma_f32 v57, v142, v74, -v57
	v_fmac_f32_e32 v21, v41, v4
	v_add_f32_e32 v56, v56, v57
	v_mul_f32_e32 v57, v137, v77
	v_add_f32_e32 v20, v20, v21
	v_mul_f32_e32 v21, v42, v7
	v_fma_f32 v57, v136, v76, -v57
	v_fmac_f32_e32 v21, v43, v6
	v_add_f32_e32 v56, v56, v57
	v_mul_f32_e32 v57, v139, v79
	v_add_f32_e32 v20, v20, v21
	s_waitcnt vmcnt(2) lgkmcnt(0)
	v_mul_f32_e32 v21, v44, v9
	v_fma_f32 v57, v138, v78, -v57
	v_fmac_f32_e32 v21, v45, v8
	v_add_f32_e32 v56, v56, v57
	v_mul_f32_e32 v57, v133, v81
	v_add_f32_e32 v20, v20, v21
	v_mul_f32_e32 v21, v46, v11
	v_fma_f32 v57, v132, v80, -v57
	v_fmac_f32_e32 v21, v47, v10
	v_add_f32_e32 v56, v56, v57
	v_mul_f32_e32 v57, v135, v83
	v_add_f32_e32 v20, v20, v21
	s_waitcnt vmcnt(1)
	v_mul_f32_e32 v21, v48, v13
	v_fma_f32 v57, v134, v82, -v57
	v_fmac_f32_e32 v21, v49, v12
	v_add_f32_e32 v56, v56, v57
	v_mul_f32_e32 v57, v129, v85
	v_add_f32_e32 v20, v20, v21
	v_mul_f32_e32 v21, v50, v15
	v_fma_f32 v57, v128, v84, -v57
	v_fmac_f32_e32 v21, v51, v14
	v_add_f32_e32 v56, v56, v57
	v_mul_f32_e32 v57, v131, v87
	v_add_f32_e32 v253, v20, v21
	scratch_load_dwordx4 v[32:35], off, off offset:296
	scratch_load_dwordx4 v[28:31], off, off offset:312
	;; [unrolled: 1-line block ×4, first 2 shown]
	v_fma_f32 v57, v130, v86, -v57
	v_add_f32_e32 v56, v56, v57
	v_mul_f32_e32 v57, v125, v89
	v_fma_f32 v57, v124, v88, -v57
	v_add_f32_e32 v56, v56, v57
	v_mul_f32_e32 v57, v127, v91
	;; [unrolled: 3-line block ×10, first 2 shown]
	v_fma_f32 v59, v110, v106, -v56
	scratch_load_dwordx2 v[56:57], off, off
	v_mul_f32_e32 v1, v37, v1
	v_add_f32_e32 v58, v58, v59
	v_fma_f32 v0, v36, v0, -v1
	v_mul_f32_e32 v1, v39, v3
	v_add_f32_e32 v0, v58, v0
	v_fma_f32 v1, v38, v2, -v1
	v_add_f32_e32 v0, v0, v1
	v_mul_f32_e32 v1, v41, v5
	v_fma_f32 v1, v40, v4, -v1
	v_add_f32_e32 v0, v0, v1
	v_mul_f32_e32 v1, v43, v7
	;; [unrolled: 3-line block ×6, first 2 shown]
	v_fma_f32 v1, v50, v14, -v1
	v_add_f32_e32 v252, v0, v1
	s_waitcnt vmcnt(5)
	v_mul_f32_e32 v0, v53, v17
	v_fma_f32 v254, v52, v16, -v0
	v_mul_f32_e32 v0, v55, v19
	v_fma_f32 v162, v54, v18, -v0
	ds_read2_b64 v[0:3], v250 offset0:83 offset1:84
	ds_read2_b64 v[4:7], v250 offset0:85 offset1:86
	;; [unrolled: 1-line block ×4, first 2 shown]
	v_mul_f32_e32 v255, v52, v17
	v_mul_f32_e32 v163, v54, v19
	v_fmac_f32_e32 v255, v53, v16
	v_fmac_f32_e32 v163, v55, v18
	v_pk_add_f32 v[16:17], v[252:253], v[254:255]
	s_waitcnt vmcnt(4) lgkmcnt(3)
	v_pk_mul_f32 v[18:19], v[0:1], v[32:33] op_sel:[1,1] op_sel_hi:[0,1]
	v_pk_fma_f32 v[36:37], v[0:1], v[32:33], v[18:19] neg_lo:[0,0,1] neg_hi:[0,0,1]
	v_pk_fma_f32 v[0:1], v[0:1], v[32:33], v[18:19] op_sel_hi:[1,0,1]
	v_pk_add_f32 v[16:17], v[16:17], v[162:163]
	v_mov_b32_e32 v37, v1
	v_pk_add_f32 v[0:1], v[16:17], v[36:37]
	v_mov_b32_e32 v16, v35
	v_pk_mul_f32 v[16:17], v[2:3], v[16:17] op_sel:[1,0] op_sel_hi:[0,0]
	v_pk_fma_f32 v[18:19], v[2:3], v[34:35], v[16:17] neg_lo:[0,0,1] neg_hi:[0,0,1]
	v_pk_fma_f32 v[2:3], v[2:3], v[34:35], v[16:17] op_sel_hi:[1,0,1]
	s_nop 0
	v_mov_b32_e32 v19, v3
	s_waitcnt vmcnt(3) lgkmcnt(2)
	v_pk_mul_f32 v[2:3], v[4:5], v[28:29] op_sel:[1,1] op_sel_hi:[0,1]
	v_pk_fma_f32 v[16:17], v[4:5], v[28:29], v[2:3] neg_lo:[0,0,1] neg_hi:[0,0,1]
	v_pk_fma_f32 v[2:3], v[4:5], v[28:29], v[2:3] op_sel_hi:[1,0,1]
	v_pk_add_f32 v[0:1], v[0:1], v[18:19]
	v_mov_b32_e32 v2, v31
	v_mov_b32_e32 v17, v3
	v_pk_mul_f32 v[2:3], v[6:7], v[2:3] op_sel:[1,0] op_sel_hi:[0,0]
	v_pk_fma_f32 v[4:5], v[6:7], v[30:31], v[2:3] neg_lo:[0,0,1] neg_hi:[0,0,1]
	v_pk_fma_f32 v[2:3], v[6:7], v[30:31], v[2:3] op_sel_hi:[1,0,1]
	v_pk_add_f32 v[0:1], v[0:1], v[16:17]
	v_mov_b32_e32 v5, v3
	s_waitcnt vmcnt(2) lgkmcnt(1)
	v_pk_mul_f32 v[2:3], v[8:9], v[24:25] op_sel:[1,1] op_sel_hi:[0,1]
	v_pk_add_f32 v[0:1], v[0:1], v[4:5]
	v_pk_fma_f32 v[4:5], v[8:9], v[24:25], v[2:3] neg_lo:[0,0,1] neg_hi:[0,0,1]
	v_pk_fma_f32 v[2:3], v[8:9], v[24:25], v[2:3] op_sel_hi:[1,0,1]
	s_nop 0
	v_mov_b32_e32 v2, v27
	v_mov_b32_e32 v5, v3
	v_pk_mul_f32 v[2:3], v[10:11], v[2:3] op_sel:[1,0] op_sel_hi:[0,0]
	v_pk_add_f32 v[0:1], v[0:1], v[4:5]
	v_pk_fma_f32 v[4:5], v[10:11], v[26:27], v[2:3] neg_lo:[0,0,1] neg_hi:[0,0,1]
	v_pk_fma_f32 v[2:3], v[10:11], v[26:27], v[2:3] op_sel_hi:[1,0,1]
	s_nop 0
	v_mov_b32_e32 v5, v3
	s_waitcnt vmcnt(1) lgkmcnt(0)
	v_pk_mul_f32 v[2:3], v[12:13], v[20:21] op_sel:[1,1] op_sel_hi:[0,1]
	v_pk_add_f32 v[0:1], v[0:1], v[4:5]
	v_pk_fma_f32 v[4:5], v[12:13], v[20:21], v[2:3] neg_lo:[0,0,1] neg_hi:[0,0,1]
	v_pk_fma_f32 v[2:3], v[12:13], v[20:21], v[2:3] op_sel_hi:[1,0,1]
	s_nop 0
	v_mov_b32_e32 v2, v23
	v_mov_b32_e32 v5, v3
	v_pk_mul_f32 v[2:3], v[14:15], v[2:3] op_sel:[1,0] op_sel_hi:[0,0]
	v_pk_add_f32 v[0:1], v[0:1], v[4:5]
	v_pk_fma_f32 v[4:5], v[14:15], v[22:23], v[2:3] neg_lo:[0,0,1] neg_hi:[0,0,1]
	v_pk_fma_f32 v[2:3], v[14:15], v[22:23], v[2:3] op_sel_hi:[1,0,1]
	s_nop 0
	v_mov_b32_e32 v5, v3
	v_pk_add_f32 v[0:1], v[0:1], v[4:5]
	s_waitcnt vmcnt(0)
	v_pk_add_f32 v[0:1], v[56:57], v[0:1] neg_lo:[0,1] neg_hi:[0,1]
	scratch_store_dwordx2 off, v[0:1], off
	s_cbranch_vccz .LBB108_372
; %bb.284:
	v_mov_b32_e32 v0, 0
	global_load_dword v1, v0, s[8:9] offset:172
	s_waitcnt vmcnt(0)
	v_readfirstlane_b32 s0, v1
	s_add_i32 s0, s0, -1
	s_cmp_lg_u32 s0, 43
	s_cbranch_scc0 .LBB108_286
; %bb.285:
	s_lshl_b32 s0, s0, 3
	s_nop 0
	scratch_load_dwordx2 v[2:3], off, s0
	scratch_load_dwordx2 v[4:5], off, off offset:344
	s_waitcnt vmcnt(1)
	scratch_store_dwordx2 off, v[2:3], off offset:344
	s_waitcnt vmcnt(1)
	scratch_store_dwordx2 off, v[4:5], s0
.LBB108_286:
	global_load_dword v0, v0, s[8:9] offset:168
	s_waitcnt vmcnt(0)
	v_readfirstlane_b32 s0, v0
	s_add_i32 s0, s0, -1
	s_cmp_eq_u32 s0, 42
	s_cbranch_scc1 .LBB108_288
; %bb.287:
	s_lshl_b32 s0, s0, 3
	s_nop 0
	scratch_load_dwordx2 v[0:1], off, s0
	scratch_load_dwordx2 v[2:3], off, off offset:336
	s_waitcnt vmcnt(1)
	scratch_store_dwordx2 off, v[0:1], off offset:336
	s_waitcnt vmcnt(1)
	scratch_store_dwordx2 off, v[2:3], s0
.LBB108_288:
	v_mov_b32_e32 v0, 0
	global_load_dword v1, v0, s[8:9] offset:164
	s_waitcnt vmcnt(0)
	v_readfirstlane_b32 s0, v1
	s_add_i32 s0, s0, -1
	s_cmp_eq_u32 s0, 41
	s_cbranch_scc1 .LBB108_290
; %bb.289:
	s_lshl_b32 s0, s0, 3
	s_nop 0
	scratch_load_dwordx2 v[2:3], off, s0
	scratch_load_dwordx2 v[4:5], off, off offset:328
	s_waitcnt vmcnt(1)
	scratch_store_dwordx2 off, v[2:3], off offset:328
	s_waitcnt vmcnt(1)
	scratch_store_dwordx2 off, v[4:5], s0
.LBB108_290:
	global_load_dword v0, v0, s[8:9] offset:160
	s_waitcnt vmcnt(0)
	v_readfirstlane_b32 s0, v0
	s_add_i32 s0, s0, -1
	s_cmp_eq_u32 s0, 40
	s_cbranch_scc1 .LBB108_292
; %bb.291:
	s_lshl_b32 s0, s0, 3
	s_nop 0
	scratch_load_dwordx2 v[0:1], off, s0
	scratch_load_dwordx2 v[2:3], off, off offset:320
	s_waitcnt vmcnt(1)
	scratch_store_dwordx2 off, v[0:1], off offset:320
	s_waitcnt vmcnt(1)
	scratch_store_dwordx2 off, v[2:3], s0
.LBB108_292:
	v_mov_b32_e32 v0, 0
	global_load_dword v1, v0, s[8:9] offset:156
	s_waitcnt vmcnt(0)
	v_readfirstlane_b32 s0, v1
	s_add_i32 s0, s0, -1
	s_cmp_eq_u32 s0, 39
	s_cbranch_scc1 .LBB108_294
; %bb.293:
	s_lshl_b32 s0, s0, 3
	s_nop 0
	scratch_load_dwordx2 v[2:3], off, s0
	scratch_load_dwordx2 v[4:5], off, off offset:312
	s_waitcnt vmcnt(1)
	scratch_store_dwordx2 off, v[2:3], off offset:312
	s_waitcnt vmcnt(1)
	scratch_store_dwordx2 off, v[4:5], s0
.LBB108_294:
	;; [unrolled: 33-line block ×21, first 2 shown]
	global_load_dword v2, v0, s[8:9]
	s_nop 0
	scratch_load_dwordx2 v[0:1], off, off
	s_waitcnt vmcnt(1)
	v_readfirstlane_b32 s0, v2
	s_add_i32 s0, s0, -1
	s_cmp_eq_u32 s0, 0
	s_cbranch_scc1 .LBB108_372
; %bb.371:
	s_lshl_b32 s0, s0, 3
	s_nop 0
	scratch_load_dwordx2 v[2:3], off, s0
	s_waitcnt vmcnt(0)
	scratch_store_dwordx2 off, v[2:3], off
	scratch_store_dwordx2 off, v[0:1], s0
	scratch_load_dwordx2 v[0:1], off, off
.LBB108_372:
	s_waitcnt vmcnt(0)
	flat_store_dwordx2 v[160:161], v[0:1]
	scratch_load_dwordx2 v[0:1], off, off offset:8
	v_accvgpr_read_b32 v3, a1
	v_accvgpr_read_b32 v2, a0
	s_waitcnt vmcnt(0)
	flat_store_dwordx2 v[2:3], v[0:1]
	scratch_load_dwordx2 v[0:1], off, off offset:16
	v_accvgpr_read_b32 v2, a2
	v_accvgpr_read_b32 v3, a3
	s_waitcnt vmcnt(0)
	flat_store_dwordx2 v[2:3], v[0:1]
	scratch_load_dwordx2 v[0:1], off, off offset:24
	s_waitcnt vmcnt(0)
	flat_store_dwordx2 v[166:167], v[0:1]
	scratch_load_dwordx2 v[0:1], off, off offset:32
	;; [unrolled: 3-line block ×42, first 2 shown]
	s_waitcnt vmcnt(0)
	flat_store_dwordx2 v[248:249], v[0:1]
	s_endpgm
	.section	.rodata,"a",@progbits
	.p2align	6, 0x0
	.amdhsa_kernel _ZN9rocsolver6v33100L18getri_kernel_smallILi45E19rocblas_complex_numIfEPKPS3_EEvT1_iilPiilS8_bb
		.amdhsa_group_segment_fixed_size 728
		.amdhsa_private_segment_fixed_size 368
		.amdhsa_kernarg_size 60
		.amdhsa_user_sgpr_count 2
		.amdhsa_user_sgpr_dispatch_ptr 0
		.amdhsa_user_sgpr_queue_ptr 0
		.amdhsa_user_sgpr_kernarg_segment_ptr 1
		.amdhsa_user_sgpr_dispatch_id 0
		.amdhsa_user_sgpr_kernarg_preload_length 0
		.amdhsa_user_sgpr_kernarg_preload_offset 0
		.amdhsa_user_sgpr_private_segment_size 0
		.amdhsa_uses_dynamic_stack 0
		.amdhsa_enable_private_segment 1
		.amdhsa_system_sgpr_workgroup_id_x 1
		.amdhsa_system_sgpr_workgroup_id_y 0
		.amdhsa_system_sgpr_workgroup_id_z 0
		.amdhsa_system_sgpr_workgroup_info 0
		.amdhsa_system_vgpr_workitem_id 0
		.amdhsa_next_free_vgpr 260
		.amdhsa_next_free_sgpr 17
		.amdhsa_accum_offset 256
		.amdhsa_reserve_vcc 1
		.amdhsa_float_round_mode_32 0
		.amdhsa_float_round_mode_16_64 0
		.amdhsa_float_denorm_mode_32 3
		.amdhsa_float_denorm_mode_16_64 3
		.amdhsa_dx10_clamp 1
		.amdhsa_ieee_mode 1
		.amdhsa_fp16_overflow 0
		.amdhsa_tg_split 0
		.amdhsa_exception_fp_ieee_invalid_op 0
		.amdhsa_exception_fp_denorm_src 0
		.amdhsa_exception_fp_ieee_div_zero 0
		.amdhsa_exception_fp_ieee_overflow 0
		.amdhsa_exception_fp_ieee_underflow 0
		.amdhsa_exception_fp_ieee_inexact 0
		.amdhsa_exception_int_div_zero 0
	.end_amdhsa_kernel
	.section	.text._ZN9rocsolver6v33100L18getri_kernel_smallILi45E19rocblas_complex_numIfEPKPS3_EEvT1_iilPiilS8_bb,"axG",@progbits,_ZN9rocsolver6v33100L18getri_kernel_smallILi45E19rocblas_complex_numIfEPKPS3_EEvT1_iilPiilS8_bb,comdat
.Lfunc_end108:
	.size	_ZN9rocsolver6v33100L18getri_kernel_smallILi45E19rocblas_complex_numIfEPKPS3_EEvT1_iilPiilS8_bb, .Lfunc_end108-_ZN9rocsolver6v33100L18getri_kernel_smallILi45E19rocblas_complex_numIfEPKPS3_EEvT1_iilPiilS8_bb
                                        ; -- End function
	.set _ZN9rocsolver6v33100L18getri_kernel_smallILi45E19rocblas_complex_numIfEPKPS3_EEvT1_iilPiilS8_bb.num_vgpr, 256
	.set _ZN9rocsolver6v33100L18getri_kernel_smallILi45E19rocblas_complex_numIfEPKPS3_EEvT1_iilPiilS8_bb.num_agpr, 4
	.set _ZN9rocsolver6v33100L18getri_kernel_smallILi45E19rocblas_complex_numIfEPKPS3_EEvT1_iilPiilS8_bb.numbered_sgpr, 17
	.set _ZN9rocsolver6v33100L18getri_kernel_smallILi45E19rocblas_complex_numIfEPKPS3_EEvT1_iilPiilS8_bb.num_named_barrier, 0
	.set _ZN9rocsolver6v33100L18getri_kernel_smallILi45E19rocblas_complex_numIfEPKPS3_EEvT1_iilPiilS8_bb.private_seg_size, 368
	.set _ZN9rocsolver6v33100L18getri_kernel_smallILi45E19rocblas_complex_numIfEPKPS3_EEvT1_iilPiilS8_bb.uses_vcc, 1
	.set _ZN9rocsolver6v33100L18getri_kernel_smallILi45E19rocblas_complex_numIfEPKPS3_EEvT1_iilPiilS8_bb.uses_flat_scratch, 0
	.set _ZN9rocsolver6v33100L18getri_kernel_smallILi45E19rocblas_complex_numIfEPKPS3_EEvT1_iilPiilS8_bb.has_dyn_sized_stack, 0
	.set _ZN9rocsolver6v33100L18getri_kernel_smallILi45E19rocblas_complex_numIfEPKPS3_EEvT1_iilPiilS8_bb.has_recursion, 0
	.set _ZN9rocsolver6v33100L18getri_kernel_smallILi45E19rocblas_complex_numIfEPKPS3_EEvT1_iilPiilS8_bb.has_indirect_call, 0
	.section	.AMDGPU.csdata,"",@progbits
; Kernel info:
; codeLenInByte = 61764
; TotalNumSgprs: 23
; NumVgprs: 256
; NumAgprs: 4
; TotalNumVgprs: 260
; ScratchSize: 368
; MemoryBound: 0
; FloatMode: 240
; IeeeMode: 1
; LDSByteSize: 728 bytes/workgroup (compile time only)
; SGPRBlocks: 2
; VGPRBlocks: 32
; NumSGPRsForWavesPerEU: 23
; NumVGPRsForWavesPerEU: 260
; AccumOffset: 256
; Occupancy: 1
; WaveLimiterHint : 1
; COMPUTE_PGM_RSRC2:SCRATCH_EN: 1
; COMPUTE_PGM_RSRC2:USER_SGPR: 2
; COMPUTE_PGM_RSRC2:TRAP_HANDLER: 0
; COMPUTE_PGM_RSRC2:TGID_X_EN: 1
; COMPUTE_PGM_RSRC2:TGID_Y_EN: 0
; COMPUTE_PGM_RSRC2:TGID_Z_EN: 0
; COMPUTE_PGM_RSRC2:TIDIG_COMP_CNT: 0
; COMPUTE_PGM_RSRC3_GFX90A:ACCUM_OFFSET: 63
; COMPUTE_PGM_RSRC3_GFX90A:TG_SPLIT: 0
	.section	.text._ZN9rocsolver6v33100L18getri_kernel_smallILi46E19rocblas_complex_numIfEPKPS3_EEvT1_iilPiilS8_bb,"axG",@progbits,_ZN9rocsolver6v33100L18getri_kernel_smallILi46E19rocblas_complex_numIfEPKPS3_EEvT1_iilPiilS8_bb,comdat
	.globl	_ZN9rocsolver6v33100L18getri_kernel_smallILi46E19rocblas_complex_numIfEPKPS3_EEvT1_iilPiilS8_bb ; -- Begin function _ZN9rocsolver6v33100L18getri_kernel_smallILi46E19rocblas_complex_numIfEPKPS3_EEvT1_iilPiilS8_bb
	.p2align	8
	.type	_ZN9rocsolver6v33100L18getri_kernel_smallILi46E19rocblas_complex_numIfEPKPS3_EEvT1_iilPiilS8_bb,@function
_ZN9rocsolver6v33100L18getri_kernel_smallILi46E19rocblas_complex_numIfEPKPS3_EEvT1_iilPiilS8_bb: ; @_ZN9rocsolver6v33100L18getri_kernel_smallILi46E19rocblas_complex_numIfEPKPS3_EEvT1_iilPiilS8_bb
; %bb.0:
	v_cmp_gt_u32_e32 vcc, 46, v0
	s_and_saveexec_b64 s[4:5], vcc
	s_cbranch_execz .LBB109_198
; %bb.1:
	s_load_dword s14, s[0:1], 0x38
	s_load_dwordx2 s[8:9], s[0:1], 0x0
	s_load_dwordx4 s[4:7], s[0:1], 0x28
	s_waitcnt lgkmcnt(0)
	s_bitcmp1_b32 s14, 8
	s_cselect_b64 s[10:11], -1, 0
	s_ashr_i32 s3, s2, 31
	s_lshl_b64 s[12:13], s[2:3], 3
	s_add_u32 s8, s8, s12
	s_addc_u32 s9, s9, s13
	s_load_dwordx2 s[12:13], s[8:9], 0x0
	s_bfe_u32 s8, s14, 0x10008
	s_cmp_eq_u32 s8, 0
                                        ; implicit-def: $sgpr8_sgpr9
	s_cbranch_scc1 .LBB109_3
; %bb.2:
	s_load_dword s8, s[0:1], 0x20
	s_load_dwordx2 s[14:15], s[0:1], 0x18
	s_mul_i32 s9, s4, s3
	s_mul_hi_u32 s16, s4, s2
	s_add_i32 s16, s16, s9
	s_mul_i32 s5, s5, s2
	s_add_i32 s5, s16, s5
	s_mul_i32 s4, s4, s2
	s_waitcnt lgkmcnt(0)
	s_ashr_i32 s9, s8, 31
	s_lshl_b64 s[4:5], s[4:5], 2
	s_add_u32 s14, s14, s4
	s_addc_u32 s15, s15, s5
	s_lshl_b64 s[4:5], s[8:9], 2
	s_add_u32 s8, s14, s4
	s_addc_u32 s9, s15, s5
.LBB109_3:
	s_load_dwordx2 s[4:5], s[0:1], 0x8
	s_load_dword s14, s[0:1], 0x38
	v_lshlrev_b32_e32 v2, 3, v0
	v_mov_b32_e32 v3, 0
	s_waitcnt lgkmcnt(0)
	s_ashr_i32 s1, s4, 31
	s_mov_b32 s0, s4
	s_lshl_b64 s[0:1], s[0:1], 3
	s_add_u32 s0, s12, s0
	s_addc_u32 s1, s13, s1
	v_lshl_add_u64 v[154:155], s[0:1], 0, v[2:3]
	flat_load_dwordx2 v[4:5], v[154:155]
	s_mov_b32 s12, s5
	s_ashr_i32 s13, s5, 31
	v_lshl_add_u64 v[6:7], s[12:13], 3, v[154:155]
	v_accvgpr_write_b32 a0, v6
	s_add_i32 s4, s5, s5
	v_accvgpr_write_b32 a1, v7
	s_bitcmp0_b32 s14, 0
	s_waitcnt vmcnt(0) lgkmcnt(0)
	scratch_store_dwordx2 off, v[4:5], off
	flat_load_dwordx2 v[4:5], v[6:7]
	v_add_u32_e32 v6, s4, v0
	v_ashrrev_i32_e32 v7, 31, v6
	v_lshl_add_u64 v[8:9], v[6:7], 3, s[0:1]
	v_add_u32_e32 v6, s5, v6
	v_accvgpr_write_b32 a2, v8
	v_ashrrev_i32_e32 v7, 31, v6
	v_accvgpr_write_b32 a3, v9
	s_waitcnt vmcnt(0) lgkmcnt(0)
	scratch_store_dwordx2 off, v[4:5], off offset:8
	flat_load_dwordx2 v[4:5], v[8:9]
	v_lshl_add_u64 v[8:9], v[6:7], 3, s[0:1]
	v_add_u32_e32 v6, s5, v6
	v_accvgpr_write_b32 a4, v8
	v_ashrrev_i32_e32 v7, 31, v6
	v_accvgpr_write_b32 a5, v9
	s_waitcnt vmcnt(0) lgkmcnt(0)
	scratch_store_dwordx2 off, v[4:5], off offset:16
	flat_load_dwordx2 v[4:5], v[8:9]
	;; [unrolled: 8-line block ×3, first 2 shown]
	v_lshl_add_u64 v[8:9], v[6:7], 3, s[0:1]
	v_add_u32_e32 v6, s5, v6
	v_ashrrev_i32_e32 v7, 31, v6
	v_lshl_add_u64 v[166:167], v[6:7], 3, s[0:1]
	v_add_u32_e32 v6, s5, v6
	v_ashrrev_i32_e32 v7, 31, v6
	;; [unrolled: 3-line block ×26, first 2 shown]
	v_lshl_add_u64 v[216:217], v[6:7], 3, s[0:1]
	s_waitcnt vmcnt(0) lgkmcnt(0)
	scratch_store_dwordx2 off, v[4:5], off offset:32
	flat_load_dwordx2 v[4:5], v[8:9]
	v_add_u32_e32 v6, s5, v6
	v_ashrrev_i32_e32 v7, 31, v6
	v_lshl_add_u64 v[218:219], v[6:7], 3, s[0:1]
	v_add_u32_e32 v6, s5, v6
	v_ashrrev_i32_e32 v7, 31, v6
	v_lshl_add_u64 v[220:221], v[6:7], 3, s[0:1]
	v_add_u32_e32 v6, s5, v6
	v_ashrrev_i32_e32 v7, 31, v6
	v_lshl_add_u64 v[222:223], v[6:7], 3, s[0:1]
	v_add_u32_e32 v6, s5, v6
	v_ashrrev_i32_e32 v7, 31, v6
	v_lshl_add_u64 v[224:225], v[6:7], 3, s[0:1]
	v_add_u32_e32 v6, s5, v6
	v_ashrrev_i32_e32 v7, 31, v6
	v_lshl_add_u64 v[226:227], v[6:7], 3, s[0:1]
	v_add_u32_e32 v6, s5, v6
	v_ashrrev_i32_e32 v7, 31, v6
	v_lshl_add_u64 v[228:229], v[6:7], 3, s[0:1]
	v_add_u32_e32 v6, s5, v6
	v_ashrrev_i32_e32 v7, 31, v6
	v_lshl_add_u64 v[230:231], v[6:7], 3, s[0:1]
	v_add_u32_e32 v6, s5, v6
	v_ashrrev_i32_e32 v7, 31, v6
	v_lshl_add_u64 v[232:233], v[6:7], 3, s[0:1]
	v_add_u32_e32 v6, s5, v6
	v_ashrrev_i32_e32 v7, 31, v6
	v_lshl_add_u64 v[234:235], v[6:7], 3, s[0:1]
	v_add_u32_e32 v6, s5, v6
	v_ashrrev_i32_e32 v7, 31, v6
	v_lshl_add_u64 v[236:237], v[6:7], 3, s[0:1]
	v_add_u32_e32 v6, s5, v6
	v_ashrrev_i32_e32 v7, 31, v6
	v_lshl_add_u64 v[238:239], v[6:7], 3, s[0:1]
	v_add_u32_e32 v6, s5, v6
	v_ashrrev_i32_e32 v7, 31, v6
	v_lshl_add_u64 v[240:241], v[6:7], 3, s[0:1]
	v_add_u32_e32 v6, s5, v6
	v_ashrrev_i32_e32 v7, 31, v6
	v_lshl_add_u64 v[242:243], v[6:7], 3, s[0:1]
	v_add_u32_e32 v6, s5, v6
	v_ashrrev_i32_e32 v7, 31, v6
	v_lshl_add_u64 v[244:245], v[6:7], 3, s[0:1]
	v_accvgpr_write_b32 a8, v8
	v_accvgpr_write_b32 a9, v9
	s_mov_b64 s[4:5], -1
	s_waitcnt vmcnt(0) lgkmcnt(0)
	scratch_store_dwordx2 off, v[4:5], off offset:40
	flat_load_dwordx2 v[4:5], v[166:167]
	s_waitcnt vmcnt(0) lgkmcnt(0)
	scratch_store_dwordx2 off, v[4:5], off offset:48
	flat_load_dwordx2 v[4:5], v[168:169]
	;; [unrolled: 3-line block ×40, first 2 shown]
	s_waitcnt vmcnt(0) lgkmcnt(0)
	scratch_store_dwordx2 off, v[4:5], off offset:360
	s_cbranch_scc1 .LBB109_196
; %bb.4:
	v_cmp_eq_u32_e64 s[0:1], 0, v0
	s_and_saveexec_b64 s[4:5], s[0:1]
; %bb.5:
	v_mov_b32_e32 v1, 0
	ds_write_b32 v1, v1 offset:736
; %bb.6:
	s_or_b64 exec, exec, s[4:5]
	s_waitcnt lgkmcnt(0)
	; wave barrier
	scratch_load_dwordx2 v[4:5], v2, off
	s_waitcnt vmcnt(0)
	v_cmp_eq_f32_e32 vcc, 0, v4
	v_cmp_eq_f32_e64 s[4:5], 0, v5
	s_and_b64 s[4:5], vcc, s[4:5]
	s_and_saveexec_b64 s[12:13], s[4:5]
	s_cbranch_execz .LBB109_10
; %bb.7:
	v_mov_b32_e32 v1, 0
	ds_read_b32 v4, v1 offset:736
	v_add_u32_e32 v3, 1, v0
	s_waitcnt lgkmcnt(0)
	v_readfirstlane_b32 s4, v4
	s_cmp_eq_u32 s4, 0
	s_cselect_b64 s[14:15], -1, 0
	v_cmp_gt_i32_e32 vcc, s4, v3
	s_or_b64 s[14:15], s[14:15], vcc
	s_and_b64 exec, exec, s[14:15]
	s_cbranch_execz .LBB109_10
; %bb.8:
	s_mov_b64 s[14:15], 0
	v_mov_b32_e32 v4, s4
.LBB109_9:                              ; =>This Inner Loop Header: Depth=1
	ds_cmpst_rtn_b32 v4, v1, v4, v3 offset:736
	s_waitcnt lgkmcnt(0)
	v_cmp_ne_u32_e32 vcc, 0, v4
	v_cmp_le_i32_e64 s[4:5], v4, v3
	s_and_b64 s[4:5], vcc, s[4:5]
	s_and_b64 s[4:5], exec, s[4:5]
	s_or_b64 s[14:15], s[4:5], s[14:15]
	s_andn2_b64 exec, exec, s[14:15]
	s_cbranch_execnz .LBB109_9
.LBB109_10:
	s_or_b64 exec, exec, s[12:13]
	v_mov_b32_e32 v3, 0
	; wave barrier
	ds_read_b32 v1, v3 offset:736
	s_and_saveexec_b64 s[4:5], s[0:1]
	s_cbranch_execz .LBB109_12
; %bb.11:
	s_lshl_b64 s[12:13], s[2:3], 2
	s_add_u32 s12, s6, s12
	s_addc_u32 s13, s7, s13
	s_waitcnt lgkmcnt(0)
	global_store_dword v3, v1, s[12:13]
.LBB109_12:
	s_or_b64 exec, exec, s[4:5]
	s_waitcnt lgkmcnt(0)
	v_cmp_ne_u32_e32 vcc, 0, v1
	s_mov_b64 s[4:5], 0
	s_cbranch_vccnz .LBB109_196
; %bb.13:
	v_mov_b32_e32 v3, v2
	scratch_load_dwordx2 v[4:5], v3, off
                                        ; implicit-def: $vgpr7
                                        ; implicit-def: $vgpr8
	s_waitcnt vmcnt(0)
	v_cmp_ngt_f32_e64 s[4:5], |v4|, |v5|
	s_and_saveexec_b64 s[12:13], s[4:5]
	s_xor_b64 s[4:5], exec, s[12:13]
	s_cbranch_execz .LBB109_15
; %bb.14:
	v_div_scale_f32 v1, s[12:13], v5, v5, v4
	v_rcp_f32_e32 v6, v1
	v_div_scale_f32 v7, vcc, v4, v5, v4
	v_fma_f32 v8, -v1, v6, 1.0
	v_fmac_f32_e32 v6, v8, v6
	v_mul_f32_e32 v8, v7, v6
	v_fma_f32 v9, -v1, v8, v7
	v_fmac_f32_e32 v8, v9, v6
	v_fma_f32 v1, -v1, v8, v7
	v_div_fmas_f32 v1, v1, v6, v8
	v_div_fixup_f32 v1, v1, v5, v4
	v_fmac_f32_e32 v5, v4, v1
	v_div_scale_f32 v4, s[12:13], v5, v5, -1.0
	v_rcp_f32_e32 v6, v4
	s_nop 0
	v_fma_f32 v7, -v4, v6, 1.0
	v_fmac_f32_e32 v6, v7, v6
	v_div_scale_f32 v7, vcc, -1.0, v5, -1.0
	v_mul_f32_e32 v8, v7, v6
	v_fma_f32 v9, -v4, v8, v7
	v_fmac_f32_e32 v8, v9, v6
	v_fma_f32 v4, -v4, v8, v7
	v_div_fmas_f32 v4, v4, v6, v8
	v_div_fixup_f32 v7, v4, v5, -1.0
	v_mul_f32_e32 v8, v1, v7
	v_xor_b32_e32 v6, 0x80000000, v8
                                        ; implicit-def: $vgpr4_vgpr5
.LBB109_15:
	s_andn2_saveexec_b64 s[4:5], s[4:5]
	s_cbranch_execz .LBB109_17
; %bb.16:
	v_div_scale_f32 v1, s[12:13], v4, v4, v5
	v_rcp_f32_e32 v6, v1
	v_div_scale_f32 v7, vcc, v5, v4, v5
	v_fma_f32 v8, -v1, v6, 1.0
	v_fmac_f32_e32 v6, v8, v6
	v_mul_f32_e32 v8, v7, v6
	v_fma_f32 v9, -v1, v8, v7
	v_fmac_f32_e32 v8, v9, v6
	v_fma_f32 v1, -v1, v8, v7
	v_div_fmas_f32 v1, v1, v6, v8
	v_div_fixup_f32 v1, v1, v4, v5
	v_fmac_f32_e32 v4, v5, v1
	v_div_scale_f32 v5, s[12:13], v4, v4, 1.0
	v_rcp_f32_e32 v6, v5
	s_nop 0
	v_fma_f32 v7, -v5, v6, 1.0
	v_fmac_f32_e32 v6, v7, v6
	v_div_scale_f32 v7, vcc, 1.0, v4, 1.0
	v_mul_f32_e32 v8, v7, v6
	v_fma_f32 v9, -v5, v8, v7
	v_fmac_f32_e32 v8, v9, v6
	v_fma_f32 v5, -v5, v8, v7
	v_div_fmas_f32 v5, v5, v6, v8
	v_div_fixup_f32 v6, v5, v4, 1.0
	v_xor_b32_e32 v8, 0x80000000, v6
	v_mul_f32_e64 v7, v1, -v6
.LBB109_17:
	s_or_b64 exec, exec, s[4:5]
	scratch_store_dwordx2 v3, v[6:7], off
	scratch_load_dwordx2 v[4:5], off, off offset:8
	v_xor_b32_e32 v9, 0x80000000, v7
	v_add_u32_e32 v1, 0x170, v2
	s_waitcnt vmcnt(0)
	ds_write2_b64 v2, v[8:9], v[4:5] offset1:46
	s_waitcnt lgkmcnt(0)
	; wave barrier
	s_and_saveexec_b64 s[4:5], s[0:1]
	s_cbranch_execz .LBB109_19
; %bb.18:
	scratch_load_dwordx2 v[4:5], v3, off
	ds_read_b64 v[6:7], v1
	v_mov_b32_e32 v8, 0
	ds_read_b64 v[8:9], v8 offset:8
	s_waitcnt vmcnt(0) lgkmcnt(1)
	v_pk_mul_f32 v[10:11], v[6:7], v[4:5] op_sel:[1,1] op_sel_hi:[0,1]
	v_pk_fma_f32 v[12:13], v[6:7], v[4:5], v[10:11] neg_lo:[0,0,1] neg_hi:[0,0,1]
	v_pk_fma_f32 v[4:5], v[6:7], v[4:5], v[10:11] op_sel_hi:[1,0,1]
	s_nop 0
	v_mov_b32_e32 v13, v5
	v_pk_add_f32 v[4:5], v[12:13], 0 op_sel_hi:[1,0]
	s_waitcnt lgkmcnt(0)
	v_pk_mul_f32 v[6:7], v[4:5], v[8:9] op_sel:[1,1] op_sel_hi:[0,1]
	v_pk_fma_f32 v[10:11], v[4:5], v[8:9], v[6:7] neg_lo:[0,0,1] neg_hi:[0,0,1]
	v_pk_fma_f32 v[4:5], v[4:5], v[8:9], v[6:7] op_sel_hi:[1,0,1]
	s_nop 0
	v_mov_b32_e32 v11, v5
	scratch_store_dwordx2 off, v[10:11], off offset:8
.LBB109_19:
	s_or_b64 exec, exec, s[4:5]
	; wave barrier
	scratch_load_dwordx2 v[4:5], off, off offset:16
	v_cmp_gt_u32_e32 vcc, 2, v0
	s_waitcnt vmcnt(0)
	ds_write_b64 v1, v[4:5]
	s_waitcnt lgkmcnt(0)
	; wave barrier
	s_and_saveexec_b64 s[4:5], vcc
	s_cbranch_execz .LBB109_23
; %bb.20:
	scratch_load_dwordx2 v[4:5], v3, off
	ds_read_b64 v[6:7], v1
	s_waitcnt vmcnt(0) lgkmcnt(0)
	v_pk_mul_f32 v[8:9], v[6:7], v[4:5] op_sel:[1,1] op_sel_hi:[0,1]
	v_pk_fma_f32 v[10:11], v[6:7], v[4:5], v[8:9] neg_lo:[0,0,1] neg_hi:[0,0,1]
	v_pk_fma_f32 v[4:5], v[6:7], v[4:5], v[8:9] op_sel_hi:[1,0,1]
	s_nop 0
	v_mov_b32_e32 v11, v5
	v_pk_add_f32 v[4:5], v[10:11], 0 op_sel_hi:[1,0]
	s_and_saveexec_b64 s[12:13], s[0:1]
	s_cbranch_execz .LBB109_22
; %bb.21:
	scratch_load_dwordx2 v[6:7], off, off offset:8
	v_mov_b32_e32 v3, 0
	ds_read_b64 v[8:9], v3 offset:376
	s_waitcnt vmcnt(0) lgkmcnt(0)
	v_pk_mul_f32 v[10:11], v[8:9], v[6:7] op_sel:[1,1] op_sel_hi:[0,1]
	v_pk_fma_f32 v[12:13], v[8:9], v[6:7], v[10:11] neg_lo:[0,0,1] neg_hi:[0,0,1]
	v_pk_fma_f32 v[6:7], v[8:9], v[6:7], v[10:11] op_sel_hi:[1,0,1]
	s_nop 0
	v_mov_b32_e32 v13, v7
	v_pk_add_f32 v[4:5], v[4:5], v[12:13]
.LBB109_22:
	s_or_b64 exec, exec, s[12:13]
	v_mov_b32_e32 v3, 0
	ds_read_b64 v[6:7], v3 offset:16
	s_waitcnt lgkmcnt(0)
	v_pk_mul_f32 v[8:9], v[4:5], v[6:7] op_sel:[1,1] op_sel_hi:[0,1]
	v_pk_fma_f32 v[10:11], v[4:5], v[6:7], v[8:9] neg_lo:[0,0,1] neg_hi:[0,0,1]
	v_pk_fma_f32 v[4:5], v[4:5], v[6:7], v[8:9] op_sel_hi:[1,0,1]
	s_nop 0
	v_mov_b32_e32 v11, v5
	scratch_store_dwordx2 off, v[10:11], off offset:16
.LBB109_23:
	s_or_b64 exec, exec, s[4:5]
	; wave barrier
	scratch_load_dwordx2 v[4:5], off, off offset:24
	v_cmp_gt_u32_e32 vcc, 3, v0
	v_add_u32_e32 v6, -1, v0
	s_waitcnt vmcnt(0)
	ds_write_b64 v1, v[4:5]
	s_waitcnt lgkmcnt(0)
	; wave barrier
	s_and_saveexec_b64 s[0:1], vcc
	s_cbranch_execz .LBB109_27
; %bb.24:
	v_mov_b32_e32 v4, 0
	v_add_u32_e32 v3, -1, v0
	v_add_u32_e32 v7, 0x170, v2
	v_mov_b32_e32 v8, v2
	s_mov_b64 s[4:5], 0
	v_mov_b32_e32 v5, v4
.LBB109_25:                             ; =>This Inner Loop Header: Depth=1
	scratch_load_dwordx2 v[10:11], v8, off
	ds_read_b64 v[12:13], v7
	v_add_u32_e32 v3, 1, v3
	v_cmp_lt_u32_e32 vcc, 1, v3
	v_add_u32_e32 v7, 8, v7
	v_add_u32_e32 v8, 8, v8
	s_or_b64 s[4:5], vcc, s[4:5]
	s_waitcnt vmcnt(0) lgkmcnt(0)
	v_pk_mul_f32 v[14:15], v[12:13], v[10:11] op_sel:[1,1] op_sel_hi:[0,1]
	v_pk_fma_f32 v[16:17], v[12:13], v[10:11], v[14:15] neg_lo:[0,0,1] neg_hi:[0,0,1]
	v_pk_fma_f32 v[10:11], v[12:13], v[10:11], v[14:15] op_sel_hi:[1,0,1]
	s_nop 0
	v_mov_b32_e32 v17, v11
	v_pk_add_f32 v[4:5], v[4:5], v[16:17]
	s_andn2_b64 exec, exec, s[4:5]
	s_cbranch_execnz .LBB109_25
; %bb.26:
	s_or_b64 exec, exec, s[4:5]
	v_mov_b32_e32 v3, 0
	ds_read_b64 v[8:9], v3 offset:24
	s_waitcnt lgkmcnt(0)
	v_pk_mul_f32 v[10:11], v[4:5], v[8:9] op_sel:[1,1] op_sel_hi:[0,1]
	v_pk_fma_f32 v[12:13], v[4:5], v[8:9], v[10:11] neg_lo:[0,0,1] neg_hi:[0,0,1]
	v_pk_fma_f32 v[4:5], v[4:5], v[8:9], v[10:11] op_sel_hi:[1,0,1]
	s_nop 0
	v_mov_b32_e32 v13, v5
	scratch_store_dwordx2 off, v[12:13], off offset:24
.LBB109_27:
	s_or_b64 exec, exec, s[0:1]
	; wave barrier
	scratch_load_dwordx2 v[4:5], off, off offset:32
	v_cmp_gt_u32_e32 vcc, 4, v0
	s_waitcnt vmcnt(0)
	ds_write_b64 v1, v[4:5]
	s_waitcnt lgkmcnt(0)
	; wave barrier
	s_and_saveexec_b64 s[0:1], vcc
	s_cbranch_execz .LBB109_31
; %bb.28:
	v_mov_b32_e32 v4, 0
	v_add_u32_e32 v3, -1, v0
	v_add_u32_e32 v7, 0x170, v2
	v_mov_b32_e32 v8, v2
	s_mov_b64 s[4:5], 0
	v_mov_b32_e32 v5, v4
.LBB109_29:                             ; =>This Inner Loop Header: Depth=1
	scratch_load_dwordx2 v[10:11], v8, off
	ds_read_b64 v[12:13], v7
	v_add_u32_e32 v3, 1, v3
	v_cmp_lt_u32_e32 vcc, 2, v3
	v_add_u32_e32 v7, 8, v7
	v_add_u32_e32 v8, 8, v8
	s_or_b64 s[4:5], vcc, s[4:5]
	s_waitcnt vmcnt(0) lgkmcnt(0)
	v_pk_mul_f32 v[14:15], v[12:13], v[10:11] op_sel:[1,1] op_sel_hi:[0,1]
	v_pk_fma_f32 v[16:17], v[12:13], v[10:11], v[14:15] neg_lo:[0,0,1] neg_hi:[0,0,1]
	v_pk_fma_f32 v[10:11], v[12:13], v[10:11], v[14:15] op_sel_hi:[1,0,1]
	s_nop 0
	v_mov_b32_e32 v17, v11
	v_pk_add_f32 v[4:5], v[4:5], v[16:17]
	s_andn2_b64 exec, exec, s[4:5]
	s_cbranch_execnz .LBB109_29
; %bb.30:
	s_or_b64 exec, exec, s[4:5]
	v_mov_b32_e32 v3, 0
	ds_read_b64 v[8:9], v3 offset:32
	s_waitcnt lgkmcnt(0)
	v_pk_mul_f32 v[10:11], v[4:5], v[8:9] op_sel:[1,1] op_sel_hi:[0,1]
	v_pk_fma_f32 v[12:13], v[4:5], v[8:9], v[10:11] neg_lo:[0,0,1] neg_hi:[0,0,1]
	v_pk_fma_f32 v[4:5], v[4:5], v[8:9], v[10:11] op_sel_hi:[1,0,1]
	s_nop 0
	v_mov_b32_e32 v13, v5
	scratch_store_dwordx2 off, v[12:13], off offset:32
.LBB109_31:
	s_or_b64 exec, exec, s[0:1]
	; wave barrier
	scratch_load_dwordx2 v[4:5], off, off offset:40
	v_cmp_gt_u32_e32 vcc, 5, v0
	;; [unrolled: 46-line block ×19, first 2 shown]
	s_waitcnt vmcnt(0)
	ds_write_b64 v1, v[4:5]
	s_waitcnt lgkmcnt(0)
	; wave barrier
	s_and_saveexec_b64 s[0:1], vcc
	s_cbranch_execz .LBB109_103
; %bb.100:
	v_mov_b32_e32 v4, 0
	v_add_u32_e32 v3, -1, v0
	v_add_u32_e32 v7, 0x170, v2
	v_mov_b32_e32 v8, v2
	s_mov_b64 s[4:5], 0
	v_mov_b32_e32 v5, v4
.LBB109_101:                            ; =>This Inner Loop Header: Depth=1
	scratch_load_dwordx2 v[10:11], v8, off
	ds_read_b64 v[12:13], v7
	v_add_u32_e32 v3, 1, v3
	v_cmp_lt_u32_e32 vcc, 20, v3
	v_add_u32_e32 v7, 8, v7
	v_add_u32_e32 v8, 8, v8
	s_or_b64 s[4:5], vcc, s[4:5]
	s_waitcnt vmcnt(0) lgkmcnt(0)
	v_pk_mul_f32 v[14:15], v[12:13], v[10:11] op_sel:[1,1] op_sel_hi:[0,1]
	v_pk_fma_f32 v[16:17], v[12:13], v[10:11], v[14:15] neg_lo:[0,0,1] neg_hi:[0,0,1]
	v_pk_fma_f32 v[10:11], v[12:13], v[10:11], v[14:15] op_sel_hi:[1,0,1]
	s_nop 0
	v_mov_b32_e32 v17, v11
	v_pk_add_f32 v[4:5], v[4:5], v[16:17]
	s_andn2_b64 exec, exec, s[4:5]
	s_cbranch_execnz .LBB109_101
; %bb.102:
	s_or_b64 exec, exec, s[4:5]
	v_mov_b32_e32 v3, 0
	ds_read_b64 v[8:9], v3 offset:176
	s_waitcnt lgkmcnt(0)
	v_pk_mul_f32 v[10:11], v[4:5], v[8:9] op_sel:[1,1] op_sel_hi:[0,1]
	v_pk_fma_f32 v[12:13], v[4:5], v[8:9], v[10:11] neg_lo:[0,0,1] neg_hi:[0,0,1]
	v_pk_fma_f32 v[4:5], v[4:5], v[8:9], v[10:11] op_sel_hi:[1,0,1]
	s_nop 0
	v_mov_b32_e32 v13, v5
	scratch_store_dwordx2 off, v[12:13], off offset:176
.LBB109_103:
	s_or_b64 exec, exec, s[0:1]
	; wave barrier
	scratch_load_dwordx2 v[4:5], off, off offset:184
	v_cmp_gt_u32_e32 vcc, 23, v0
	s_waitcnt vmcnt(0)
	ds_write_b64 v1, v[4:5]
	s_waitcnt lgkmcnt(0)
	; wave barrier
	s_and_saveexec_b64 s[0:1], vcc
	s_cbranch_execz .LBB109_107
; %bb.104:
	v_mov_b32_e32 v4, 0
	v_add_u32_e32 v3, -1, v0
	v_add_u32_e32 v7, 0x170, v2
	v_mov_b32_e32 v8, v2
	s_mov_b64 s[4:5], 0
	v_mov_b32_e32 v5, v4
.LBB109_105:                            ; =>This Inner Loop Header: Depth=1
	scratch_load_dwordx2 v[10:11], v8, off
	ds_read_b64 v[12:13], v7
	v_add_u32_e32 v3, 1, v3
	v_cmp_lt_u32_e32 vcc, 21, v3
	v_add_u32_e32 v7, 8, v7
	v_add_u32_e32 v8, 8, v8
	s_or_b64 s[4:5], vcc, s[4:5]
	s_waitcnt vmcnt(0) lgkmcnt(0)
	v_pk_mul_f32 v[14:15], v[12:13], v[10:11] op_sel:[1,1] op_sel_hi:[0,1]
	v_pk_fma_f32 v[16:17], v[12:13], v[10:11], v[14:15] neg_lo:[0,0,1] neg_hi:[0,0,1]
	v_pk_fma_f32 v[10:11], v[12:13], v[10:11], v[14:15] op_sel_hi:[1,0,1]
	s_nop 0
	v_mov_b32_e32 v17, v11
	v_pk_add_f32 v[4:5], v[4:5], v[16:17]
	s_andn2_b64 exec, exec, s[4:5]
	s_cbranch_execnz .LBB109_105
; %bb.106:
	s_or_b64 exec, exec, s[4:5]
	v_mov_b32_e32 v3, 0
	ds_read_b64 v[8:9], v3 offset:184
	s_waitcnt lgkmcnt(0)
	v_pk_mul_f32 v[10:11], v[4:5], v[8:9] op_sel:[1,1] op_sel_hi:[0,1]
	v_pk_fma_f32 v[12:13], v[4:5], v[8:9], v[10:11] neg_lo:[0,0,1] neg_hi:[0,0,1]
	v_pk_fma_f32 v[4:5], v[4:5], v[8:9], v[10:11] op_sel_hi:[1,0,1]
	s_nop 0
	v_mov_b32_e32 v13, v5
	scratch_store_dwordx2 off, v[12:13], off offset:184
.LBB109_107:
	s_or_b64 exec, exec, s[0:1]
	; wave barrier
	scratch_load_dwordx2 v[4:5], off, off offset:192
	v_cmp_gt_u32_e32 vcc, 24, v0
	;; [unrolled: 46-line block ×22, first 2 shown]
	s_waitcnt vmcnt(0)
	ds_write_b64 v1, v[4:5]
	s_waitcnt lgkmcnt(0)
	; wave barrier
	s_and_saveexec_b64 s[0:1], vcc
	s_cbranch_execz .LBB109_191
; %bb.188:
	v_mov_b32_e32 v4, 0
	v_add_u32_e32 v3, -1, v0
	v_add_u32_e32 v7, 0x170, v2
	v_mov_b32_e32 v8, v2
	s_mov_b64 s[4:5], 0
	v_mov_b32_e32 v5, v4
.LBB109_189:                            ; =>This Inner Loop Header: Depth=1
	scratch_load_dwordx2 v[10:11], v8, off
	ds_read_b64 v[12:13], v7
	v_add_u32_e32 v3, 1, v3
	v_cmp_lt_u32_e32 vcc, 42, v3
	v_add_u32_e32 v7, 8, v7
	v_add_u32_e32 v8, 8, v8
	s_or_b64 s[4:5], vcc, s[4:5]
	s_waitcnt vmcnt(0) lgkmcnt(0)
	v_pk_mul_f32 v[14:15], v[12:13], v[10:11] op_sel:[1,1] op_sel_hi:[0,1]
	v_pk_fma_f32 v[16:17], v[12:13], v[10:11], v[14:15] neg_lo:[0,0,1] neg_hi:[0,0,1]
	v_pk_fma_f32 v[10:11], v[12:13], v[10:11], v[14:15] op_sel_hi:[1,0,1]
	s_nop 0
	v_mov_b32_e32 v17, v11
	v_pk_add_f32 v[4:5], v[4:5], v[16:17]
	s_andn2_b64 exec, exec, s[4:5]
	s_cbranch_execnz .LBB109_189
; %bb.190:
	s_or_b64 exec, exec, s[4:5]
	v_mov_b32_e32 v3, 0
	ds_read_b64 v[8:9], v3 offset:352
	s_waitcnt lgkmcnt(0)
	v_pk_mul_f32 v[10:11], v[4:5], v[8:9] op_sel:[1,1] op_sel_hi:[0,1]
	v_pk_fma_f32 v[12:13], v[4:5], v[8:9], v[10:11] neg_lo:[0,0,1] neg_hi:[0,0,1]
	v_pk_fma_f32 v[4:5], v[4:5], v[8:9], v[10:11] op_sel_hi:[1,0,1]
	s_nop 0
	v_mov_b32_e32 v13, v5
	scratch_store_dwordx2 off, v[12:13], off offset:352
.LBB109_191:
	s_or_b64 exec, exec, s[0:1]
	; wave barrier
	scratch_load_dwordx2 v[4:5], off, off offset:360
	v_cmp_ne_u32_e32 vcc, 45, v0
	s_waitcnt vmcnt(0)
	ds_write_b64 v1, v[4:5]
	s_waitcnt lgkmcnt(0)
	; wave barrier
	s_and_saveexec_b64 s[0:1], vcc
	s_cbranch_execz .LBB109_195
; %bb.192:
	v_add_u32_e32 v1, 0x170, v2
	v_mov_b32_e32 v4, v2
	v_mov_b32_e32 v2, 0
	s_mov_b64 s[4:5], 0
	v_mov_b32_e32 v3, v2
.LBB109_193:                            ; =>This Inner Loop Header: Depth=1
	scratch_load_dwordx2 v[8:9], v4, off
	ds_read_b64 v[10:11], v1
	v_add_u32_e32 v6, 1, v6
	v_cmp_lt_u32_e32 vcc, 43, v6
	v_add_u32_e32 v1, 8, v1
	v_add_u32_e32 v4, 8, v4
	s_or_b64 s[4:5], vcc, s[4:5]
	s_waitcnt vmcnt(0) lgkmcnt(0)
	v_pk_mul_f32 v[12:13], v[10:11], v[8:9] op_sel:[1,1] op_sel_hi:[0,1]
	v_pk_fma_f32 v[14:15], v[10:11], v[8:9], v[12:13] neg_lo:[0,0,1] neg_hi:[0,0,1]
	v_pk_fma_f32 v[8:9], v[10:11], v[8:9], v[12:13] op_sel_hi:[1,0,1]
	s_nop 0
	v_mov_b32_e32 v15, v9
	v_pk_add_f32 v[2:3], v[2:3], v[14:15]
	s_andn2_b64 exec, exec, s[4:5]
	s_cbranch_execnz .LBB109_193
; %bb.194:
	s_or_b64 exec, exec, s[4:5]
	v_mov_b32_e32 v1, 0
	ds_read_b64 v[4:5], v1 offset:360
	s_waitcnt lgkmcnt(0)
	v_pk_mul_f32 v[6:7], v[2:3], v[4:5] op_sel:[1,1] op_sel_hi:[0,1]
	v_pk_fma_f32 v[8:9], v[2:3], v[4:5], v[6:7] neg_lo:[0,0,1] neg_hi:[0,0,1]
	v_pk_fma_f32 v[2:3], v[2:3], v[4:5], v[6:7] op_sel_hi:[1,0,1]
	s_nop 0
	v_mov_b32_e32 v9, v3
	scratch_store_dwordx2 off, v[8:9], off offset:360
.LBB109_195:
	s_or_b64 exec, exec, s[0:1]
	s_mov_b64 s[4:5], -1
	; wave barrier
.LBB109_196:
	s_and_b64 vcc, exec, s[4:5]
	s_cbranch_vccz .LBB109_198
; %bb.197:
	s_lshl_b64 s[0:1], s[2:3], 2
	s_add_u32 s0, s6, s0
	s_addc_u32 s1, s7, s1
	v_mov_b32_e32 v1, 0
	global_load_dword v1, v1, s[0:1]
	s_waitcnt vmcnt(0)
	v_cmp_ne_u32_e32 vcc, 0, v1
	s_cbranch_vccz .LBB109_199
.LBB109_198:
	s_endpgm
.LBB109_199:
	v_mov_b32_e32 v1, 0x170
	v_lshl_add_u32 v1, v0, 3, v1
	v_cmp_eq_u32_e32 vcc, 45, v0
	s_and_saveexec_b64 s[0:1], vcc
	s_cbranch_execz .LBB109_201
; %bb.200:
	scratch_load_dwordx2 v[2:3], off, off offset:352
	v_mov_b32_e32 v4, 0
	v_mov_b32_e32 v5, v4
	scratch_store_dwordx2 off, v[4:5], off offset:352
	s_waitcnt vmcnt(1)
	ds_write_b64 v1, v[2:3]
.LBB109_201:
	s_or_b64 exec, exec, s[0:1]
	s_waitcnt lgkmcnt(0)
	; wave barrier
	scratch_load_dwordx2 v[4:5], off, off offset:360
	scratch_load_dwordx2 v[6:7], off, off offset:352
	v_mov_b32_e32 v2, 0
	ds_read_b64 v[8:9], v2 offset:728
	v_cmp_lt_u32_e32 vcc, 43, v0
	s_waitcnt vmcnt(1) lgkmcnt(0)
	v_pk_mul_f32 v[10:11], v[8:9], v[4:5] op_sel:[1,1] op_sel_hi:[0,1]
	v_pk_fma_f32 v[12:13], v[8:9], v[4:5], v[10:11] neg_lo:[0,0,1] neg_hi:[0,0,1]
	v_pk_fma_f32 v[4:5], v[8:9], v[4:5], v[10:11] op_sel_hi:[1,0,1]
	s_nop 0
	v_mov_b32_e32 v13, v5
	v_pk_add_f32 v[4:5], v[12:13], 0 op_sel_hi:[1,0]
	s_waitcnt vmcnt(0)
	v_pk_add_f32 v[4:5], v[6:7], v[4:5] neg_lo:[0,1] neg_hi:[0,1]
	scratch_store_dwordx2 off, v[4:5], off offset:352
	s_and_saveexec_b64 s[0:1], vcc
	s_cbranch_execz .LBB109_203
; %bb.202:
	scratch_load_dwordx2 v[4:5], off, off offset:344
	v_mov_b32_e32 v3, v2
	scratch_store_dwordx2 off, v[2:3], off offset:344
	s_waitcnt vmcnt(1)
	ds_write_b64 v1, v[4:5]
.LBB109_203:
	s_or_b64 exec, exec, s[0:1]
	s_waitcnt lgkmcnt(0)
	; wave barrier
	scratch_load_dwordx4 v[4:7], off, off offset:352
	scratch_load_dwordx2 v[12:13], off, off offset:344
	ds_read_b128 v[8:11], v2 offset:720
	v_cmp_lt_u32_e32 vcc, 42, v0
	s_waitcnt vmcnt(1) lgkmcnt(0)
	v_pk_mul_f32 v[2:3], v[8:9], v[4:5] op_sel:[1,1] op_sel_hi:[0,1]
	v_mov_b32_e32 v14, v7
	v_pk_fma_f32 v[16:17], v[8:9], v[4:5], v[2:3] neg_lo:[0,0,1] neg_hi:[0,0,1]
	v_pk_fma_f32 v[2:3], v[8:9], v[4:5], v[2:3] op_sel_hi:[1,0,1]
	v_pk_mul_f32 v[4:5], v[10:11], v[14:15] op_sel:[1,0] op_sel_hi:[0,0]
	v_mov_b32_e32 v17, v3
	v_pk_fma_f32 v[2:3], v[10:11], v[6:7], v[4:5] neg_lo:[0,0,1] neg_hi:[0,0,1]
	v_pk_fma_f32 v[4:5], v[10:11], v[6:7], v[4:5] op_sel_hi:[1,0,1]
	v_pk_add_f32 v[6:7], v[16:17], 0 op_sel_hi:[1,0]
	v_mov_b32_e32 v3, v5
	v_pk_add_f32 v[2:3], v[6:7], v[2:3]
	s_waitcnt vmcnt(0)
	v_pk_add_f32 v[2:3], v[12:13], v[2:3] neg_lo:[0,1] neg_hi:[0,1]
	scratch_store_dwordx2 off, v[2:3], off offset:344
	s_and_saveexec_b64 s[0:1], vcc
	s_cbranch_execz .LBB109_205
; %bb.204:
	scratch_load_dwordx2 v[2:3], off, off offset:336
	v_mov_b32_e32 v4, 0
	v_mov_b32_e32 v5, v4
	scratch_store_dwordx2 off, v[4:5], off offset:336
	s_waitcnt vmcnt(1)
	ds_write_b64 v1, v[2:3]
.LBB109_205:
	s_or_b64 exec, exec, s[0:1]
	s_waitcnt lgkmcnt(0)
	; wave barrier
	scratch_load_dwordx4 v[4:7], off, off offset:344
	scratch_load_dwordx2 v[12:13], off, off offset:360
	scratch_load_dwordx2 v[14:15], off, off offset:336
	v_mov_b32_e32 v2, 0
	ds_read2_b64 v[8:11], v2 offset0:89 offset1:90
	ds_read_b64 v[16:17], v2 offset:728
	v_cmp_lt_u32_e32 vcc, 41, v0
	s_waitcnt vmcnt(2) lgkmcnt(1)
	v_pk_mul_f32 v[18:19], v[8:9], v[4:5] op_sel:[1,1] op_sel_hi:[0,1]
	v_mov_b32_e32 v20, v7
	v_pk_fma_f32 v[24:25], v[8:9], v[4:5], v[18:19] neg_lo:[0,0,1] neg_hi:[0,0,1]
	v_pk_fma_f32 v[4:5], v[8:9], v[4:5], v[18:19] op_sel_hi:[1,0,1]
	v_pk_mul_f32 v[8:9], v[10:11], v[20:21] op_sel:[1,0] op_sel_hi:[0,0]
	s_waitcnt vmcnt(1) lgkmcnt(0)
	v_pk_mul_f32 v[22:23], v[16:17], v[12:13] op_sel:[1,1] op_sel_hi:[0,1]
	v_mov_b32_e32 v25, v5
	v_pk_fma_f32 v[4:5], v[10:11], v[6:7], v[8:9] neg_lo:[0,0,1] neg_hi:[0,0,1]
	v_pk_fma_f32 v[6:7], v[10:11], v[6:7], v[8:9] op_sel_hi:[1,0,1]
	v_pk_fma_f32 v[18:19], v[16:17], v[12:13], v[22:23] neg_lo:[0,0,1] neg_hi:[0,0,1]
	v_pk_fma_f32 v[12:13], v[16:17], v[12:13], v[22:23] op_sel_hi:[1,0,1]
	v_pk_add_f32 v[8:9], v[24:25], 0 op_sel_hi:[1,0]
	v_mov_b32_e32 v5, v7
	v_mov_b32_e32 v19, v13
	v_pk_add_f32 v[4:5], v[8:9], v[4:5]
	s_nop 0
	v_pk_add_f32 v[4:5], v[4:5], v[18:19]
	s_waitcnt vmcnt(0)
	v_pk_add_f32 v[4:5], v[14:15], v[4:5] neg_lo:[0,1] neg_hi:[0,1]
	scratch_store_dwordx2 off, v[4:5], off offset:336
	s_and_saveexec_b64 s[0:1], vcc
	s_cbranch_execz .LBB109_207
; %bb.206:
	scratch_load_dwordx2 v[4:5], off, off offset:328
	v_mov_b32_e32 v3, v2
	scratch_store_dwordx2 off, v[2:3], off offset:328
	s_waitcnt vmcnt(1)
	ds_write_b64 v1, v[4:5]
.LBB109_207:
	s_or_b64 exec, exec, s[0:1]
	s_waitcnt lgkmcnt(0)
	; wave barrier
	scratch_load_dwordx4 v[4:7], off, off offset:336
	scratch_load_dwordx4 v[8:11], off, off offset:352
	scratch_load_dwordx2 v[20:21], off, off offset:328
	ds_read_b128 v[12:15], v2 offset:704
	ds_read_b128 v[16:19], v2 offset:720
	v_cmp_lt_u32_e32 vcc, 40, v0
	s_waitcnt vmcnt(2) lgkmcnt(1)
	v_pk_mul_f32 v[2:3], v[12:13], v[4:5] op_sel:[1,1] op_sel_hi:[0,1]
	v_mov_b32_e32 v22, v7
	s_waitcnt vmcnt(1) lgkmcnt(0)
	v_pk_mul_f32 v[24:25], v[16:17], v[8:9] op_sel:[1,1] op_sel_hi:[0,1]
	v_mov_b32_e32 v26, v11
	v_pk_fma_f32 v[28:29], v[12:13], v[4:5], v[2:3] neg_lo:[0,0,1] neg_hi:[0,0,1]
	v_pk_fma_f32 v[2:3], v[12:13], v[4:5], v[2:3] op_sel_hi:[1,0,1]
	v_pk_mul_f32 v[4:5], v[14:15], v[22:23] op_sel:[1,0] op_sel_hi:[0,0]
	v_pk_fma_f32 v[12:13], v[16:17], v[8:9], v[24:25] neg_lo:[0,0,1] neg_hi:[0,0,1]
	v_pk_fma_f32 v[8:9], v[16:17], v[8:9], v[24:25] op_sel_hi:[1,0,1]
	v_pk_mul_f32 v[16:17], v[18:19], v[26:27] op_sel:[1,0] op_sel_hi:[0,0]
	v_mov_b32_e32 v29, v3
	v_pk_fma_f32 v[2:3], v[14:15], v[6:7], v[4:5] neg_lo:[0,0,1] neg_hi:[0,0,1]
	v_pk_fma_f32 v[4:5], v[14:15], v[6:7], v[4:5] op_sel_hi:[1,0,1]
	v_mov_b32_e32 v13, v9
	v_pk_fma_f32 v[6:7], v[18:19], v[10:11], v[16:17] neg_lo:[0,0,1] neg_hi:[0,0,1]
	v_pk_fma_f32 v[8:9], v[18:19], v[10:11], v[16:17] op_sel_hi:[1,0,1]
	v_pk_add_f32 v[10:11], v[28:29], 0 op_sel_hi:[1,0]
	v_mov_b32_e32 v3, v5
	v_pk_add_f32 v[2:3], v[10:11], v[2:3]
	v_mov_b32_e32 v7, v9
	v_pk_add_f32 v[2:3], v[2:3], v[12:13]
	s_nop 0
	v_pk_add_f32 v[2:3], v[2:3], v[6:7]
	s_waitcnt vmcnt(0)
	v_pk_add_f32 v[2:3], v[20:21], v[2:3] neg_lo:[0,1] neg_hi:[0,1]
	scratch_store_dwordx2 off, v[2:3], off offset:328
	s_and_saveexec_b64 s[0:1], vcc
	s_cbranch_execz .LBB109_209
; %bb.208:
	scratch_load_dwordx2 v[2:3], off, off offset:320
	v_mov_b32_e32 v4, 0
	v_mov_b32_e32 v5, v4
	scratch_store_dwordx2 off, v[4:5], off offset:320
	s_waitcnt vmcnt(1)
	ds_write_b64 v1, v[2:3]
.LBB109_209:
	s_or_b64 exec, exec, s[0:1]
	s_waitcnt lgkmcnt(0)
	; wave barrier
	scratch_load_dwordx4 v[4:7], off, off offset:328
	scratch_load_dwordx4 v[8:11], off, off offset:344
	scratch_load_dwordx2 v[20:21], off, off offset:360
	scratch_load_dwordx2 v[22:23], off, off offset:320
	v_mov_b32_e32 v2, 0
	ds_read2_b64 v[12:15], v2 offset0:87 offset1:88
	ds_read2_b64 v[16:19], v2 offset0:89 offset1:90
	ds_read_b64 v[24:25], v2 offset:728
	v_cmp_lt_u32_e32 vcc, 39, v0
	s_waitcnt vmcnt(3) lgkmcnt(2)
	v_pk_mul_f32 v[26:27], v[12:13], v[4:5] op_sel:[1,1] op_sel_hi:[0,1]
	v_mov_b32_e32 v28, v7
	v_pk_fma_f32 v[36:37], v[12:13], v[4:5], v[26:27] neg_lo:[0,0,1] neg_hi:[0,0,1]
	v_pk_fma_f32 v[4:5], v[12:13], v[4:5], v[26:27] op_sel_hi:[1,0,1]
	v_pk_mul_f32 v[12:13], v[14:15], v[28:29] op_sel:[1,0] op_sel_hi:[0,0]
	s_waitcnt vmcnt(2) lgkmcnt(1)
	v_pk_mul_f32 v[30:31], v[16:17], v[8:9] op_sel:[1,1] op_sel_hi:[0,1]
	v_mov_b32_e32 v32, v11
	v_mov_b32_e32 v37, v5
	v_pk_fma_f32 v[4:5], v[14:15], v[6:7], v[12:13] neg_lo:[0,0,1] neg_hi:[0,0,1]
	v_pk_fma_f32 v[6:7], v[14:15], v[6:7], v[12:13] op_sel_hi:[1,0,1]
	v_pk_fma_f32 v[26:27], v[16:17], v[8:9], v[30:31] neg_lo:[0,0,1] neg_hi:[0,0,1]
	v_pk_fma_f32 v[8:9], v[16:17], v[8:9], v[30:31] op_sel_hi:[1,0,1]
	v_pk_mul_f32 v[16:17], v[18:19], v[32:33] op_sel:[1,0] op_sel_hi:[0,0]
	v_pk_add_f32 v[12:13], v[36:37], 0 op_sel_hi:[1,0]
	v_mov_b32_e32 v5, v7
	s_waitcnt vmcnt(1) lgkmcnt(0)
	v_pk_mul_f32 v[34:35], v[24:25], v[20:21] op_sel:[1,1] op_sel_hi:[0,1]
	v_mov_b32_e32 v27, v9
	v_pk_fma_f32 v[8:9], v[18:19], v[10:11], v[16:17] neg_lo:[0,0,1] neg_hi:[0,0,1]
	v_pk_fma_f32 v[10:11], v[18:19], v[10:11], v[16:17] op_sel_hi:[1,0,1]
	v_pk_add_f32 v[4:5], v[12:13], v[4:5]
	v_pk_fma_f32 v[28:29], v[24:25], v[20:21], v[34:35] neg_lo:[0,0,1] neg_hi:[0,0,1]
	v_pk_fma_f32 v[20:21], v[24:25], v[20:21], v[34:35] op_sel_hi:[1,0,1]
	v_mov_b32_e32 v9, v11
	v_pk_add_f32 v[4:5], v[4:5], v[26:27]
	v_mov_b32_e32 v29, v21
	v_pk_add_f32 v[4:5], v[4:5], v[8:9]
	s_nop 0
	v_pk_add_f32 v[4:5], v[4:5], v[28:29]
	s_waitcnt vmcnt(0)
	v_pk_add_f32 v[4:5], v[22:23], v[4:5] neg_lo:[0,1] neg_hi:[0,1]
	scratch_store_dwordx2 off, v[4:5], off offset:320
	s_and_saveexec_b64 s[0:1], vcc
	s_cbranch_execz .LBB109_211
; %bb.210:
	scratch_load_dwordx2 v[4:5], off, off offset:312
	v_mov_b32_e32 v3, v2
	scratch_store_dwordx2 off, v[2:3], off offset:312
	s_waitcnt vmcnt(1)
	ds_write_b64 v1, v[4:5]
.LBB109_211:
	s_or_b64 exec, exec, s[0:1]
	s_waitcnt lgkmcnt(0)
	; wave barrier
	scratch_load_dwordx4 v[4:7], off, off offset:320
	scratch_load_dwordx4 v[8:11], off, off offset:336
	;; [unrolled: 1-line block ×3, first 2 shown]
	ds_read_b128 v[16:19], v2 offset:688
	ds_read_b128 v[20:23], v2 offset:704
	ds_read_b128 v[24:27], v2 offset:720
	v_cmp_lt_u32_e32 vcc, 38, v0
	s_waitcnt vmcnt(2) lgkmcnt(2)
	v_pk_mul_f32 v[2:3], v[16:17], v[4:5] op_sel:[1,1] op_sel_hi:[0,1]
	v_pk_fma_f32 v[28:29], v[16:17], v[4:5], v[2:3] neg_lo:[0,0,1] neg_hi:[0,0,1]
	v_pk_fma_f32 v[2:3], v[16:17], v[4:5], v[2:3] op_sel_hi:[1,0,1]
	v_mov_b32_e32 v4, v7
	v_pk_mul_f32 v[4:5], v[18:19], v[4:5] op_sel:[1,0] op_sel_hi:[0,0]
	v_pk_fma_f32 v[16:17], v[18:19], v[6:7], v[4:5] neg_lo:[0,0,1] neg_hi:[0,0,1]
	v_pk_fma_f32 v[4:5], v[18:19], v[6:7], v[4:5] op_sel_hi:[1,0,1]
	v_mov_b32_e32 v29, v3
	v_mov_b32_e32 v17, v5
	s_waitcnt vmcnt(1) lgkmcnt(1)
	v_pk_mul_f32 v[4:5], v[20:21], v[8:9] op_sel:[1,1] op_sel_hi:[0,1]
	v_pk_fma_f32 v[6:7], v[20:21], v[8:9], v[4:5] neg_lo:[0,0,1] neg_hi:[0,0,1]
	v_pk_fma_f32 v[4:5], v[20:21], v[8:9], v[4:5] op_sel_hi:[1,0,1]
	v_pk_add_f32 v[2:3], v[28:29], 0 op_sel_hi:[1,0]
	v_mov_b32_e32 v4, v11
	v_pk_add_f32 v[2:3], v[2:3], v[16:17]
	v_mov_b32_e32 v7, v5
	v_pk_mul_f32 v[4:5], v[22:23], v[4:5] op_sel:[1,0] op_sel_hi:[0,0]
	v_pk_add_f32 v[2:3], v[2:3], v[6:7]
	v_pk_fma_f32 v[6:7], v[22:23], v[10:11], v[4:5] neg_lo:[0,0,1] neg_hi:[0,0,1]
	v_pk_fma_f32 v[4:5], v[22:23], v[10:11], v[4:5] op_sel_hi:[1,0,1]
	s_nop 0
	v_mov_b32_e32 v7, v5
	s_waitcnt vmcnt(0) lgkmcnt(0)
	v_pk_mul_f32 v[4:5], v[24:25], v[12:13] op_sel:[1,1] op_sel_hi:[0,1]
	v_pk_add_f32 v[2:3], v[2:3], v[6:7]
	v_pk_fma_f32 v[6:7], v[24:25], v[12:13], v[4:5] neg_lo:[0,0,1] neg_hi:[0,0,1]
	v_pk_fma_f32 v[4:5], v[24:25], v[12:13], v[4:5] op_sel_hi:[1,0,1]
	s_nop 0
	v_mov_b32_e32 v4, v15
	v_mov_b32_e32 v7, v5
	v_pk_mul_f32 v[4:5], v[26:27], v[4:5] op_sel:[1,0] op_sel_hi:[0,0]
	v_pk_add_f32 v[2:3], v[2:3], v[6:7]
	v_pk_fma_f32 v[6:7], v[26:27], v[14:15], v[4:5] neg_lo:[0,0,1] neg_hi:[0,0,1]
	v_pk_fma_f32 v[4:5], v[26:27], v[14:15], v[4:5] op_sel_hi:[1,0,1]
	s_nop 0
	v_mov_b32_e32 v7, v5
	scratch_load_dwordx2 v[4:5], off, off offset:312
	v_pk_add_f32 v[2:3], v[2:3], v[6:7]
	s_waitcnt vmcnt(0)
	v_pk_add_f32 v[2:3], v[4:5], v[2:3] neg_lo:[0,1] neg_hi:[0,1]
	scratch_store_dwordx2 off, v[2:3], off offset:312
	s_and_saveexec_b64 s[0:1], vcc
	s_cbranch_execz .LBB109_213
; %bb.212:
	scratch_load_dwordx2 v[2:3], off, off offset:304
	v_mov_b32_e32 v4, 0
	v_mov_b32_e32 v5, v4
	scratch_store_dwordx2 off, v[4:5], off offset:304
	s_waitcnt vmcnt(1)
	ds_write_b64 v1, v[2:3]
.LBB109_213:
	s_or_b64 exec, exec, s[0:1]
	s_waitcnt lgkmcnt(0)
	; wave barrier
	scratch_load_dwordx4 v[4:7], off, off offset:312
	scratch_load_dwordx4 v[8:11], off, off offset:328
	;; [unrolled: 1-line block ×3, first 2 shown]
	scratch_load_dwordx2 v[28:29], off, off offset:360
	v_mov_b32_e32 v2, 0
	ds_read2_b64 v[16:19], v2 offset0:85 offset1:86
	ds_read2_b64 v[20:23], v2 offset0:87 offset1:88
	;; [unrolled: 1-line block ×3, first 2 shown]
	ds_read_b64 v[30:31], v2 offset:728
	v_cmp_lt_u32_e32 vcc, 37, v0
	s_waitcnt vmcnt(3) lgkmcnt(3)
	v_pk_mul_f32 v[32:33], v[16:17], v[4:5] op_sel:[1,1] op_sel_hi:[0,1]
	v_pk_fma_f32 v[34:35], v[16:17], v[4:5], v[32:33] neg_lo:[0,0,1] neg_hi:[0,0,1]
	v_pk_fma_f32 v[4:5], v[16:17], v[4:5], v[32:33] op_sel_hi:[1,0,1]
	v_mov_b32_e32 v16, v7
	v_pk_mul_f32 v[16:17], v[18:19], v[16:17] op_sel:[1,0] op_sel_hi:[0,0]
	v_pk_fma_f32 v[32:33], v[18:19], v[6:7], v[16:17] neg_lo:[0,0,1] neg_hi:[0,0,1]
	v_pk_fma_f32 v[6:7], v[18:19], v[6:7], v[16:17] op_sel_hi:[1,0,1]
	v_mov_b32_e32 v35, v5
	v_mov_b32_e32 v33, v7
	s_waitcnt vmcnt(2) lgkmcnt(2)
	v_pk_mul_f32 v[6:7], v[20:21], v[8:9] op_sel:[1,1] op_sel_hi:[0,1]
	v_pk_fma_f32 v[16:17], v[20:21], v[8:9], v[6:7] neg_lo:[0,0,1] neg_hi:[0,0,1]
	v_pk_fma_f32 v[6:7], v[20:21], v[8:9], v[6:7] op_sel_hi:[1,0,1]
	v_pk_add_f32 v[4:5], v[34:35], 0 op_sel_hi:[1,0]
	v_mov_b32_e32 v6, v11
	v_mov_b32_e32 v17, v7
	v_pk_mul_f32 v[6:7], v[22:23], v[6:7] op_sel:[1,0] op_sel_hi:[0,0]
	v_pk_add_f32 v[4:5], v[4:5], v[32:33]
	v_pk_fma_f32 v[8:9], v[22:23], v[10:11], v[6:7] neg_lo:[0,0,1] neg_hi:[0,0,1]
	v_pk_fma_f32 v[6:7], v[22:23], v[10:11], v[6:7] op_sel_hi:[1,0,1]
	v_pk_add_f32 v[4:5], v[4:5], v[16:17]
	v_mov_b32_e32 v9, v7
	s_waitcnt vmcnt(1) lgkmcnt(1)
	v_pk_mul_f32 v[6:7], v[24:25], v[12:13] op_sel:[1,1] op_sel_hi:[0,1]
	v_pk_add_f32 v[4:5], v[4:5], v[8:9]
	v_pk_fma_f32 v[8:9], v[24:25], v[12:13], v[6:7] neg_lo:[0,0,1] neg_hi:[0,0,1]
	v_pk_fma_f32 v[6:7], v[24:25], v[12:13], v[6:7] op_sel_hi:[1,0,1]
	s_nop 0
	v_mov_b32_e32 v6, v15
	v_mov_b32_e32 v9, v7
	v_pk_mul_f32 v[6:7], v[26:27], v[6:7] op_sel:[1,0] op_sel_hi:[0,0]
	v_pk_add_f32 v[4:5], v[4:5], v[8:9]
	v_pk_fma_f32 v[8:9], v[26:27], v[14:15], v[6:7] neg_lo:[0,0,1] neg_hi:[0,0,1]
	v_pk_fma_f32 v[6:7], v[26:27], v[14:15], v[6:7] op_sel_hi:[1,0,1]
	s_nop 0
	v_mov_b32_e32 v9, v7
	s_waitcnt vmcnt(0) lgkmcnt(0)
	v_pk_mul_f32 v[6:7], v[30:31], v[28:29] op_sel:[1,1] op_sel_hi:[0,1]
	v_pk_add_f32 v[4:5], v[4:5], v[8:9]
	v_pk_fma_f32 v[8:9], v[30:31], v[28:29], v[6:7] neg_lo:[0,0,1] neg_hi:[0,0,1]
	v_pk_fma_f32 v[6:7], v[30:31], v[28:29], v[6:7] op_sel_hi:[1,0,1]
	s_nop 0
	v_mov_b32_e32 v9, v7
	scratch_load_dwordx2 v[6:7], off, off offset:304
	v_pk_add_f32 v[4:5], v[4:5], v[8:9]
	s_waitcnt vmcnt(0)
	v_pk_add_f32 v[4:5], v[6:7], v[4:5] neg_lo:[0,1] neg_hi:[0,1]
	scratch_store_dwordx2 off, v[4:5], off offset:304
	s_and_saveexec_b64 s[0:1], vcc
	s_cbranch_execz .LBB109_215
; %bb.214:
	scratch_load_dwordx2 v[4:5], off, off offset:296
	v_mov_b32_e32 v3, v2
	scratch_store_dwordx2 off, v[2:3], off offset:296
	s_waitcnt vmcnt(1)
	ds_write_b64 v1, v[4:5]
.LBB109_215:
	s_or_b64 exec, exec, s[0:1]
	s_waitcnt lgkmcnt(0)
	; wave barrier
	scratch_load_dwordx4 v[4:7], off, off offset:304
	scratch_load_dwordx4 v[8:11], off, off offset:320
	;; [unrolled: 1-line block ×4, first 2 shown]
	scratch_load_dwordx2 v[36:37], off, off offset:296
	ds_read_b128 v[20:23], v2 offset:672
	ds_read_b128 v[24:27], v2 offset:688
	;; [unrolled: 1-line block ×4, first 2 shown]
	v_cmp_lt_u32_e32 vcc, 36, v0
	s_waitcnt vmcnt(4) lgkmcnt(3)
	v_pk_mul_f32 v[2:3], v[20:21], v[4:5] op_sel:[1,1] op_sel_hi:[0,1]
	v_mov_b32_e32 v38, v7
	s_waitcnt vmcnt(3) lgkmcnt(2)
	v_pk_mul_f32 v[40:41], v[24:25], v[8:9] op_sel:[1,1] op_sel_hi:[0,1]
	v_mov_b32_e32 v42, v11
	;; [unrolled: 3-line block ×4, first 2 shown]
	v_pk_fma_f32 v[52:53], v[20:21], v[4:5], v[2:3] neg_lo:[0,0,1] neg_hi:[0,0,1]
	v_pk_fma_f32 v[2:3], v[20:21], v[4:5], v[2:3] op_sel_hi:[1,0,1]
	v_pk_mul_f32 v[4:5], v[22:23], v[38:39] op_sel:[1,0] op_sel_hi:[0,0]
	v_pk_fma_f32 v[20:21], v[24:25], v[8:9], v[40:41] neg_lo:[0,0,1] neg_hi:[0,0,1]
	v_pk_fma_f32 v[8:9], v[24:25], v[8:9], v[40:41] op_sel_hi:[1,0,1]
	v_pk_mul_f32 v[24:25], v[26:27], v[42:43] op_sel:[1,0] op_sel_hi:[0,0]
	;; [unrolled: 3-line block ×4, first 2 shown]
	v_mov_b32_e32 v53, v3
	v_pk_fma_f32 v[2:3], v[22:23], v[6:7], v[4:5] neg_lo:[0,0,1] neg_hi:[0,0,1]
	v_pk_fma_f32 v[4:5], v[22:23], v[6:7], v[4:5] op_sel_hi:[1,0,1]
	v_mov_b32_e32 v21, v9
	v_pk_fma_f32 v[6:7], v[26:27], v[10:11], v[24:25] neg_lo:[0,0,1] neg_hi:[0,0,1]
	v_pk_fma_f32 v[8:9], v[26:27], v[10:11], v[24:25] op_sel_hi:[1,0,1]
	;; [unrolled: 3-line block ×4, first 2 shown]
	v_pk_add_f32 v[18:19], v[52:53], 0 op_sel_hi:[1,0]
	v_mov_b32_e32 v3, v5
	v_pk_add_f32 v[2:3], v[18:19], v[2:3]
	v_mov_b32_e32 v7, v9
	v_pk_add_f32 v[2:3], v[2:3], v[20:21]
	;; [unrolled: 2-line block ×4, first 2 shown]
	s_nop 0
	v_pk_add_f32 v[2:3], v[2:3], v[10:11]
	s_nop 0
	v_pk_add_f32 v[2:3], v[2:3], v[40:41]
	;; [unrolled: 2-line block ×3, first 2 shown]
	s_waitcnt vmcnt(0)
	v_pk_add_f32 v[2:3], v[36:37], v[2:3] neg_lo:[0,1] neg_hi:[0,1]
	scratch_store_dwordx2 off, v[2:3], off offset:296
	s_and_saveexec_b64 s[0:1], vcc
	s_cbranch_execz .LBB109_217
; %bb.216:
	scratch_load_dwordx2 v[2:3], off, off offset:288
	v_mov_b32_e32 v4, 0
	v_mov_b32_e32 v5, v4
	scratch_store_dwordx2 off, v[4:5], off offset:288
	s_waitcnt vmcnt(1)
	ds_write_b64 v1, v[2:3]
.LBB109_217:
	s_or_b64 exec, exec, s[0:1]
	s_waitcnt lgkmcnt(0)
	; wave barrier
	scratch_load_dwordx4 v[4:7], off, off offset:296
	scratch_load_dwordx4 v[8:11], off, off offset:312
	;; [unrolled: 1-line block ×4, first 2 shown]
	scratch_load_dwordx2 v[36:37], off, off offset:360
	scratch_load_dwordx2 v[38:39], off, off offset:288
	v_mov_b32_e32 v2, 0
	ds_read2_b64 v[20:23], v2 offset0:83 offset1:84
	ds_read2_b64 v[24:27], v2 offset0:85 offset1:86
	;; [unrolled: 1-line block ×4, first 2 shown]
	ds_read_b64 v[40:41], v2 offset:728
	v_cmp_lt_u32_e32 vcc, 35, v0
	s_waitcnt vmcnt(5) lgkmcnt(4)
	v_mul_f32_e32 v43, v20, v5
	v_mul_f32_e32 v3, v21, v5
	v_mov_b32_e32 v44, v7
	s_waitcnt vmcnt(4) lgkmcnt(3)
	v_pk_mul_f32 v[46:47], v[24:25], v[8:9] op_sel:[1,1] op_sel_hi:[0,1]
	v_mov_b32_e32 v48, v11
	s_waitcnt vmcnt(1) lgkmcnt(0)
	v_pk_mul_f32 v[58:59], v[40:41], v[36:37] op_sel:[1,1] op_sel_hi:[0,1]
	v_fmac_f32_e32 v43, v21, v4
	v_fma_f32 v42, v20, v4, -v3
	v_pk_mul_f32 v[4:5], v[22:23], v[44:45] op_sel:[1,0] op_sel_hi:[0,0]
	v_pk_fma_f32 v[20:21], v[24:25], v[8:9], v[46:47] neg_lo:[0,0,1] neg_hi:[0,0,1]
	v_pk_fma_f32 v[8:9], v[24:25], v[8:9], v[46:47] op_sel_hi:[1,0,1]
	v_pk_mul_f32 v[24:25], v[26:27], v[48:49] op_sel:[1,0] op_sel_hi:[0,0]
	v_pk_fma_f32 v[48:49], v[40:41], v[36:37], v[58:59] neg_lo:[0,0,1] neg_hi:[0,0,1]
	v_pk_fma_f32 v[36:37], v[40:41], v[36:37], v[58:59] op_sel_hi:[1,0,1]
	v_pk_add_f32 v[40:41], v[42:43], 0 op_sel_hi:[1,0]
	v_pk_fma_f32 v[42:43], v[22:23], v[6:7], v[4:5] neg_lo:[0,0,1] neg_hi:[0,0,1]
	v_pk_fma_f32 v[4:5], v[22:23], v[6:7], v[4:5] op_sel_hi:[1,0,1]
	v_pk_mul_f32 v[50:51], v[28:29], v[12:13] op_sel:[1,1] op_sel_hi:[0,1]
	v_mov_b32_e32 v43, v5
	v_mov_b32_e32 v52, v15
	;; [unrolled: 1-line block ×3, first 2 shown]
	v_pk_fma_f32 v[6:7], v[26:27], v[10:11], v[24:25] neg_lo:[0,0,1] neg_hi:[0,0,1]
	v_pk_fma_f32 v[8:9], v[26:27], v[10:11], v[24:25] op_sel_hi:[1,0,1]
	v_pk_add_f32 v[4:5], v[40:41], v[42:43]
	v_pk_fma_f32 v[44:45], v[28:29], v[12:13], v[50:51] neg_lo:[0,0,1] neg_hi:[0,0,1]
	v_pk_fma_f32 v[12:13], v[28:29], v[12:13], v[50:51] op_sel_hi:[1,0,1]
	v_pk_mul_f32 v[28:29], v[30:31], v[52:53] op_sel:[1,0] op_sel_hi:[0,0]
	v_mov_b32_e32 v7, v9
	v_pk_add_f32 v[4:5], v[4:5], v[20:21]
	v_pk_mul_f32 v[54:55], v[32:33], v[16:17] op_sel:[1,1] op_sel_hi:[0,1]
	v_mov_b32_e32 v56, v19
	v_mov_b32_e32 v45, v13
	v_pk_fma_f32 v[10:11], v[30:31], v[14:15], v[28:29] neg_lo:[0,0,1] neg_hi:[0,0,1]
	v_pk_fma_f32 v[12:13], v[30:31], v[14:15], v[28:29] op_sel_hi:[1,0,1]
	v_pk_add_f32 v[4:5], v[4:5], v[6:7]
	v_pk_fma_f32 v[46:47], v[32:33], v[16:17], v[54:55] neg_lo:[0,0,1] neg_hi:[0,0,1]
	v_pk_fma_f32 v[16:17], v[32:33], v[16:17], v[54:55] op_sel_hi:[1,0,1]
	v_pk_mul_f32 v[32:33], v[34:35], v[56:57] op_sel:[1,0] op_sel_hi:[0,0]
	v_mov_b32_e32 v11, v13
	v_pk_add_f32 v[4:5], v[4:5], v[44:45]
	v_mov_b32_e32 v47, v17
	v_pk_fma_f32 v[14:15], v[34:35], v[18:19], v[32:33] neg_lo:[0,0,1] neg_hi:[0,0,1]
	v_pk_fma_f32 v[16:17], v[34:35], v[18:19], v[32:33] op_sel_hi:[1,0,1]
	v_pk_add_f32 v[4:5], v[4:5], v[10:11]
	v_mov_b32_e32 v15, v17
	v_pk_add_f32 v[4:5], v[4:5], v[46:47]
	v_mov_b32_e32 v49, v37
	v_pk_add_f32 v[4:5], v[4:5], v[14:15]
	s_nop 0
	v_pk_add_f32 v[4:5], v[4:5], v[48:49]
	s_waitcnt vmcnt(0)
	v_pk_add_f32 v[4:5], v[38:39], v[4:5] neg_lo:[0,1] neg_hi:[0,1]
	scratch_store_dwordx2 off, v[4:5], off offset:288
	s_and_saveexec_b64 s[0:1], vcc
	s_cbranch_execz .LBB109_219
; %bb.218:
	scratch_load_dwordx2 v[4:5], off, off offset:280
	v_mov_b32_e32 v3, v2
	scratch_store_dwordx2 off, v[2:3], off offset:280
	s_waitcnt vmcnt(1)
	ds_write_b64 v1, v[4:5]
.LBB109_219:
	s_or_b64 exec, exec, s[0:1]
	s_waitcnt lgkmcnt(0)
	; wave barrier
	scratch_load_dwordx4 v[4:7], off, off offset:288
	scratch_load_dwordx4 v[8:11], off, off offset:304
	;; [unrolled: 1-line block ×5, first 2 shown]
	scratch_load_dwordx2 v[44:45], off, off offset:280
	ds_read_b128 v[24:27], v2 offset:656
	ds_read_b128 v[28:31], v2 offset:672
	;; [unrolled: 1-line block ×5, first 2 shown]
	v_cmp_lt_u32_e32 vcc, 34, v0
	s_waitcnt vmcnt(5) lgkmcnt(4)
	v_mul_f32_e32 v3, v24, v5
	v_mul_f32_e32 v2, v25, v5
	;; [unrolled: 1-line block ×4, first 2 shown]
	s_waitcnt vmcnt(4) lgkmcnt(3)
	v_pk_mul_f32 v[48:49], v[28:29], v[8:9] op_sel:[1,1] op_sel_hi:[0,1]
	v_mov_b32_e32 v50, v11
	v_fmac_f32_e32 v3, v25, v4
	v_fma_f32 v2, v24, v4, -v2
	v_fmac_f32_e32 v47, v27, v6
	v_fma_f32 v46, v26, v6, -v5
	v_pk_fma_f32 v[4:5], v[28:29], v[8:9], v[48:49] neg_lo:[0,0,1] neg_hi:[0,0,1]
	v_pk_fma_f32 v[6:7], v[28:29], v[8:9], v[48:49] op_sel_hi:[1,0,1]
	v_pk_mul_f32 v[8:9], v[30:31], v[50:51] op_sel:[1,0] op_sel_hi:[0,0]
	v_pk_add_f32 v[2:3], v[2:3], 0 op_sel_hi:[1,0]
	s_waitcnt vmcnt(3) lgkmcnt(2)
	v_pk_mul_f32 v[52:53], v[32:33], v[12:13] op_sel:[1,1] op_sel_hi:[0,1]
	v_mov_b32_e32 v54, v15
	v_mov_b32_e32 v5, v7
	v_pk_fma_f32 v[6:7], v[30:31], v[10:11], v[8:9] neg_lo:[0,0,1] neg_hi:[0,0,1]
	v_pk_fma_f32 v[8:9], v[30:31], v[10:11], v[8:9] op_sel_hi:[1,0,1]
	v_pk_add_f32 v[2:3], v[2:3], v[46:47]
	v_pk_fma_f32 v[24:25], v[32:33], v[12:13], v[52:53] neg_lo:[0,0,1] neg_hi:[0,0,1]
	v_pk_fma_f32 v[12:13], v[32:33], v[12:13], v[52:53] op_sel_hi:[1,0,1]
	v_pk_mul_f32 v[26:27], v[34:35], v[54:55] op_sel:[1,0] op_sel_hi:[0,0]
	v_mov_b32_e32 v7, v9
	v_pk_add_f32 v[2:3], v[2:3], v[4:5]
	s_waitcnt vmcnt(2) lgkmcnt(1)
	v_pk_mul_f32 v[56:57], v[36:37], v[16:17] op_sel:[1,1] op_sel_hi:[0,1]
	v_mov_b32_e32 v58, v19
	v_mov_b32_e32 v25, v13
	v_pk_fma_f32 v[10:11], v[34:35], v[14:15], v[26:27] neg_lo:[0,0,1] neg_hi:[0,0,1]
	v_pk_fma_f32 v[12:13], v[34:35], v[14:15], v[26:27] op_sel_hi:[1,0,1]
	v_pk_add_f32 v[2:3], v[2:3], v[6:7]
	v_pk_fma_f32 v[28:29], v[36:37], v[16:17], v[56:57] neg_lo:[0,0,1] neg_hi:[0,0,1]
	v_pk_fma_f32 v[16:17], v[36:37], v[16:17], v[56:57] op_sel_hi:[1,0,1]
	v_pk_mul_f32 v[32:33], v[38:39], v[58:59] op_sel:[1,0] op_sel_hi:[0,0]
	v_mov_b32_e32 v11, v13
	v_pk_add_f32 v[2:3], v[2:3], v[24:25]
	;; [unrolled: 12-line block ×3, first 2 shown]
	v_mov_b32_e32 v37, v21
	v_pk_fma_f32 v[18:19], v[42:43], v[22:23], v[40:41] neg_lo:[0,0,1] neg_hi:[0,0,1]
	v_pk_fma_f32 v[20:21], v[42:43], v[22:23], v[40:41] op_sel_hi:[1,0,1]
	v_pk_add_f32 v[2:3], v[2:3], v[14:15]
	v_mov_b32_e32 v19, v21
	v_pk_add_f32 v[2:3], v[2:3], v[36:37]
	s_nop 0
	v_pk_add_f32 v[2:3], v[2:3], v[18:19]
	s_waitcnt vmcnt(0)
	v_pk_add_f32 v[2:3], v[44:45], v[2:3] neg_lo:[0,1] neg_hi:[0,1]
	scratch_store_dwordx2 off, v[2:3], off offset:280
	s_and_saveexec_b64 s[0:1], vcc
	s_cbranch_execz .LBB109_221
; %bb.220:
	scratch_load_dwordx2 v[2:3], off, off offset:272
	v_mov_b32_e32 v4, 0
	v_mov_b32_e32 v5, v4
	scratch_store_dwordx2 off, v[4:5], off offset:272
	s_waitcnt vmcnt(1)
	ds_write_b64 v1, v[2:3]
.LBB109_221:
	s_or_b64 exec, exec, s[0:1]
	s_waitcnt lgkmcnt(0)
	; wave barrier
	scratch_load_dwordx4 v[4:7], off, off offset:280
	scratch_load_dwordx4 v[8:11], off, off offset:296
	;; [unrolled: 1-line block ×5, first 2 shown]
	scratch_load_dwordx2 v[44:45], off, off offset:360
	scratch_load_dwordx2 v[46:47], off, off offset:272
	v_mov_b32_e32 v2, 0
	ds_read2_b64 v[24:27], v2 offset0:81 offset1:82
	ds_read2_b64 v[28:31], v2 offset0:83 offset1:84
	;; [unrolled: 1-line block ×5, first 2 shown]
	ds_read_b64 v[48:49], v2 offset:728
	v_cmp_lt_u32_e32 vcc, 33, v0
	s_waitcnt vmcnt(6) lgkmcnt(5)
	v_mul_f32_e32 v3, v24, v5
	v_mul_f32_e32 v5, v25, v5
	;; [unrolled: 1-line block ×3, first 2 shown]
	s_waitcnt vmcnt(5) lgkmcnt(4)
	v_mul_f32_e32 v53, v28, v9
	v_mul_f32_e32 v7, v27, v7
	;; [unrolled: 1-line block ×3, first 2 shown]
	v_mov_b32_e32 v54, v11
	s_waitcnt vmcnt(3) lgkmcnt(2)
	v_pk_mul_f32 v[60:61], v[36:37], v[16:17] op_sel:[1,1] op_sel_hi:[0,1]
	s_waitcnt vmcnt(2) lgkmcnt(1)
	v_pk_mul_f32 v[64:65], v[40:41], v[20:21] op_sel:[1,1] op_sel_hi:[0,1]
	;; [unrolled: 2-line block ×3, first 2 shown]
	v_fmac_f32_e32 v3, v25, v4
	v_fma_f32 v55, v24, v4, -v5
	v_fmac_f32_e32 v51, v27, v6
	v_fmac_f32_e32 v53, v29, v8
	v_fma_f32 v50, v26, v6, -v7
	v_fma_f32 v52, v28, v8, -v9
	v_pk_mul_f32 v[4:5], v[30:31], v[54:55] op_sel:[1,0] op_sel_hi:[0,0]
	v_pk_fma_f32 v[24:25], v[36:37], v[16:17], v[60:61] neg_lo:[0,0,1] neg_hi:[0,0,1]
	v_pk_fma_f32 v[16:17], v[36:37], v[16:17], v[60:61] op_sel_hi:[1,0,1]
	v_pk_fma_f32 v[28:29], v[40:41], v[20:21], v[64:65] neg_lo:[0,0,1] neg_hi:[0,0,1]
	v_pk_fma_f32 v[20:21], v[40:41], v[20:21], v[64:65] op_sel_hi:[1,0,1]
	v_pk_fma_f32 v[36:37], v[48:49], v[44:45], v[68:69] neg_lo:[0,0,1] neg_hi:[0,0,1]
	v_pk_fma_f32 v[40:41], v[48:49], v[44:45], v[68:69] op_sel_hi:[1,0,1]
	v_add_f32_e32 v45, 0, v3
	v_add_f32_e32 v44, 0, v55
	v_pk_mul_f32 v[56:57], v[32:33], v[12:13] op_sel:[1,1] op_sel_hi:[0,1]
	v_mov_b32_e32 v58, v15
	v_pk_fma_f32 v[48:49], v[30:31], v[10:11], v[4:5] neg_lo:[0,0,1] neg_hi:[0,0,1]
	v_pk_fma_f32 v[4:5], v[30:31], v[10:11], v[4:5] op_sel_hi:[1,0,1]
	v_mov_b32_e32 v29, v21
	v_pk_add_f32 v[20:21], v[44:45], v[50:51]
	v_pk_fma_f32 v[6:7], v[32:33], v[12:13], v[56:57] neg_lo:[0,0,1] neg_hi:[0,0,1]
	v_pk_fma_f32 v[8:9], v[32:33], v[12:13], v[56:57] op_sel_hi:[1,0,1]
	v_pk_mul_f32 v[12:13], v[34:35], v[58:59] op_sel:[1,0] op_sel_hi:[0,0]
	v_mov_b32_e32 v49, v5
	v_pk_add_f32 v[4:5], v[20:21], v[52:53]
	v_mov_b32_e32 v62, v19
	v_mov_b32_e32 v7, v9
	v_pk_fma_f32 v[8:9], v[34:35], v[14:15], v[12:13] neg_lo:[0,0,1] neg_hi:[0,0,1]
	v_pk_fma_f32 v[10:11], v[34:35], v[14:15], v[12:13] op_sel_hi:[1,0,1]
	v_pk_add_f32 v[4:5], v[4:5], v[48:49]
	v_pk_mul_f32 v[26:27], v[38:39], v[62:63] op_sel:[1,0] op_sel_hi:[0,0]
	v_mov_b32_e32 v9, v11
	v_pk_add_f32 v[4:5], v[4:5], v[6:7]
	v_mov_b32_e32 v66, v23
	v_mov_b32_e32 v25, v17
	v_pk_fma_f32 v[12:13], v[38:39], v[18:19], v[26:27] neg_lo:[0,0,1] neg_hi:[0,0,1]
	v_pk_fma_f32 v[14:15], v[38:39], v[18:19], v[26:27] op_sel_hi:[1,0,1]
	v_pk_add_f32 v[4:5], v[4:5], v[8:9]
	v_pk_mul_f32 v[32:33], v[42:43], v[66:67] op_sel:[1,0] op_sel_hi:[0,0]
	v_mov_b32_e32 v13, v15
	v_pk_add_f32 v[4:5], v[4:5], v[24:25]
	v_pk_fma_f32 v[16:17], v[42:43], v[22:23], v[32:33] neg_lo:[0,0,1] neg_hi:[0,0,1]
	v_pk_fma_f32 v[18:19], v[42:43], v[22:23], v[32:33] op_sel_hi:[1,0,1]
	v_pk_add_f32 v[4:5], v[4:5], v[12:13]
	v_mov_b32_e32 v17, v19
	v_pk_add_f32 v[4:5], v[4:5], v[28:29]
	v_mov_b32_e32 v37, v41
	v_pk_add_f32 v[4:5], v[4:5], v[16:17]
	s_nop 0
	v_pk_add_f32 v[4:5], v[4:5], v[36:37]
	s_waitcnt vmcnt(0)
	v_pk_add_f32 v[4:5], v[46:47], v[4:5] neg_lo:[0,1] neg_hi:[0,1]
	scratch_store_dwordx2 off, v[4:5], off offset:272
	s_and_saveexec_b64 s[0:1], vcc
	s_cbranch_execz .LBB109_223
; %bb.222:
	scratch_load_dwordx2 v[4:5], off, off offset:264
	v_mov_b32_e32 v3, v2
	scratch_store_dwordx2 off, v[2:3], off offset:264
	s_waitcnt vmcnt(1)
	ds_write_b64 v1, v[4:5]
.LBB109_223:
	s_or_b64 exec, exec, s[0:1]
	s_waitcnt lgkmcnt(0)
	; wave barrier
	scratch_load_dwordx4 v[4:7], off, off offset:272
	scratch_load_dwordx4 v[8:11], off, off offset:288
	scratch_load_dwordx4 v[12:15], off, off offset:304
	scratch_load_dwordx4 v[16:19], off, off offset:320
	scratch_load_dwordx4 v[20:23], off, off offset:336
	scratch_load_dwordx4 v[24:27], off, off offset:352
	scratch_load_dwordx2 v[52:53], off, off offset:264
	ds_read_b128 v[28:31], v2 offset:640
	ds_read_b128 v[32:35], v2 offset:656
	;; [unrolled: 1-line block ×6, first 2 shown]
	v_cmp_lt_u32_e32 vcc, 32, v0
	s_waitcnt vmcnt(6) lgkmcnt(5)
	v_mul_f32_e32 v59, v28, v5
	v_mul_f32_e32 v63, v30, v7
	s_waitcnt vmcnt(5) lgkmcnt(4)
	v_mul_f32_e32 v3, v32, v9
	v_mul_f32_e32 v2, v29, v5
	;; [unrolled: 1-line block ×4, first 2 shown]
	s_waitcnt vmcnt(1) lgkmcnt(0)
	v_pk_mul_f32 v[68:69], v[48:49], v[24:25] op_sel:[1,1] op_sel_hi:[0,1]
	v_pk_mul_f32 v[56:57], v[36:37], v[12:13] op_sel:[1,1] op_sel_hi:[0,1]
	v_fmac_f32_e32 v59, v29, v4
	v_fmac_f32_e32 v3, v33, v8
	v_fma_f32 v67, v28, v4, -v2
	v_fma_f32 v2, v32, v8, -v7
	v_pk_fma_f32 v[32:33], v[48:49], v[24:25], v[68:69] neg_lo:[0,0,1] neg_hi:[0,0,1]
	v_pk_fma_f32 v[24:25], v[48:49], v[24:25], v[68:69] op_sel_hi:[1,0,1]
	v_fmac_f32_e32 v63, v31, v6
	v_fma_f32 v71, v30, v6, -v5
	v_pk_fma_f32 v[4:5], v[36:37], v[12:13], v[56:57] neg_lo:[0,0,1] neg_hi:[0,0,1]
	v_pk_fma_f32 v[6:7], v[36:37], v[12:13], v[56:57] op_sel_hi:[1,0,1]
	v_add_f32_e32 v24, 0, v59
	v_add_f32_e32 v36, 0, v67
	v_mul_f32_e32 v55, v34, v11
	v_mul_f32_e32 v9, v35, v11
	v_mov_b32_e32 v58, v15
	v_mov_b32_e32 v33, v25
	v_add_f32_e32 v25, v24, v63
	v_add_f32_e32 v24, v36, v71
	v_fmac_f32_e32 v55, v35, v10
	v_fma_f32 v54, v34, v10, -v9
	v_pk_mul_f32 v[8:9], v[38:39], v[58:59] op_sel:[1,0] op_sel_hi:[0,0]
	v_pk_add_f32 v[2:3], v[24:25], v[2:3]
	v_pk_mul_f32 v[60:61], v[40:41], v[16:17] op_sel:[1,1] op_sel_hi:[0,1]
	v_mov_b32_e32 v62, v19
	v_mov_b32_e32 v5, v7
	v_pk_fma_f32 v[6:7], v[38:39], v[14:15], v[8:9] neg_lo:[0,0,1] neg_hi:[0,0,1]
	v_pk_fma_f32 v[8:9], v[38:39], v[14:15], v[8:9] op_sel_hi:[1,0,1]
	v_pk_add_f32 v[2:3], v[2:3], v[54:55]
	v_pk_fma_f32 v[10:11], v[40:41], v[16:17], v[60:61] neg_lo:[0,0,1] neg_hi:[0,0,1]
	v_pk_fma_f32 v[12:13], v[40:41], v[16:17], v[60:61] op_sel_hi:[1,0,1]
	v_pk_mul_f32 v[16:17], v[42:43], v[62:63] op_sel:[1,0] op_sel_hi:[0,0]
	v_mov_b32_e32 v7, v9
	v_pk_add_f32 v[2:3], v[2:3], v[4:5]
	v_pk_mul_f32 v[64:65], v[44:45], v[20:21] op_sel:[1,1] op_sel_hi:[0,1]
	v_mov_b32_e32 v66, v23
	v_mov_b32_e32 v11, v13
	v_pk_fma_f32 v[12:13], v[42:43], v[18:19], v[16:17] neg_lo:[0,0,1] neg_hi:[0,0,1]
	v_pk_fma_f32 v[14:15], v[42:43], v[18:19], v[16:17] op_sel_hi:[1,0,1]
	v_pk_add_f32 v[2:3], v[2:3], v[6:7]
	v_pk_fma_f32 v[28:29], v[44:45], v[20:21], v[64:65] neg_lo:[0,0,1] neg_hi:[0,0,1]
	v_pk_fma_f32 v[20:21], v[44:45], v[20:21], v[64:65] op_sel_hi:[1,0,1]
	v_pk_mul_f32 v[30:31], v[46:47], v[66:67] op_sel:[1,0] op_sel_hi:[0,0]
	v_mov_b32_e32 v13, v15
	v_pk_add_f32 v[2:3], v[2:3], v[10:11]
	v_mov_b32_e32 v70, v27
	v_mov_b32_e32 v29, v21
	v_pk_fma_f32 v[16:17], v[46:47], v[22:23], v[30:31] neg_lo:[0,0,1] neg_hi:[0,0,1]
	v_pk_fma_f32 v[18:19], v[46:47], v[22:23], v[30:31] op_sel_hi:[1,0,1]
	v_pk_add_f32 v[2:3], v[2:3], v[12:13]
	v_pk_mul_f32 v[34:35], v[50:51], v[70:71] op_sel:[1,0] op_sel_hi:[0,0]
	v_mov_b32_e32 v17, v19
	v_pk_add_f32 v[2:3], v[2:3], v[28:29]
	v_pk_fma_f32 v[20:21], v[50:51], v[26:27], v[34:35] neg_lo:[0,0,1] neg_hi:[0,0,1]
	v_pk_fma_f32 v[22:23], v[50:51], v[26:27], v[34:35] op_sel_hi:[1,0,1]
	v_pk_add_f32 v[2:3], v[2:3], v[16:17]
	v_mov_b32_e32 v21, v23
	v_pk_add_f32 v[2:3], v[2:3], v[32:33]
	s_nop 0
	v_pk_add_f32 v[2:3], v[2:3], v[20:21]
	s_waitcnt vmcnt(0)
	v_pk_add_f32 v[2:3], v[52:53], v[2:3] neg_lo:[0,1] neg_hi:[0,1]
	scratch_store_dwordx2 off, v[2:3], off offset:264
	s_and_saveexec_b64 s[0:1], vcc
	s_cbranch_execz .LBB109_225
; %bb.224:
	scratch_load_dwordx2 v[2:3], off, off offset:256
	v_mov_b32_e32 v4, 0
	v_mov_b32_e32 v5, v4
	scratch_store_dwordx2 off, v[4:5], off offset:256
	s_waitcnt vmcnt(1)
	ds_write_b64 v1, v[2:3]
.LBB109_225:
	s_or_b64 exec, exec, s[0:1]
	s_waitcnt lgkmcnt(0)
	; wave barrier
	scratch_load_dwordx4 v[4:7], off, off offset:264
	scratch_load_dwordx4 v[8:11], off, off offset:280
	;; [unrolled: 1-line block ×6, first 2 shown]
	scratch_load_dwordx2 v[52:53], off, off offset:360
	scratch_load_dwordx2 v[54:55], off, off offset:256
	v_mov_b32_e32 v2, 0
	ds_read2_b64 v[28:31], v2 offset0:79 offset1:80
	ds_read2_b64 v[32:35], v2 offset0:81 offset1:82
	;; [unrolled: 1-line block ×6, first 2 shown]
	ds_read_b64 v[56:57], v2 offset:728
	v_cmp_lt_u32_e32 vcc, 31, v0
	s_waitcnt vmcnt(7) lgkmcnt(6)
	v_mul_f32_e32 v63, v30, v7
	v_mul_f32_e32 v3, v28, v5
	s_waitcnt vmcnt(5) lgkmcnt(4)
	v_mul_f32_e32 v61, v36, v13
	v_mul_f32_e32 v5, v29, v5
	v_mov_b32_e32 v62, v15
	s_waitcnt vmcnt(2) lgkmcnt(1)
	v_pk_mul_f32 v[72:73], v[48:49], v[24:25] op_sel:[1,1] op_sel_hi:[0,1]
	v_fmac_f32_e32 v63, v31, v6
	v_mul_f32_e32 v7, v31, v7
	v_mul_f32_e32 v13, v37, v13
	v_fmac_f32_e32 v3, v29, v4
	v_fmac_f32_e32 v61, v37, v12
	v_fma_f32 v37, v28, v4, -v5
	v_pk_mul_f32 v[4:5], v[38:39], v[62:63] op_sel:[1,0] op_sel_hi:[0,0]
	v_pk_fma_f32 v[28:29], v[48:49], v[24:25], v[72:73] neg_lo:[0,0,1] neg_hi:[0,0,1]
	v_pk_fma_f32 v[24:25], v[48:49], v[24:25], v[72:73] op_sel_hi:[1,0,1]
	v_mul_f32_e32 v67, v32, v9
	v_mul_f32_e32 v9, v33, v9
	v_fma_f32 v71, v30, v6, -v7
	v_fma_f32 v60, v36, v12, -v13
	v_add_f32_e32 v3, 0, v3
	v_add_f32_e32 v24, 0, v37
	v_pk_fma_f32 v[36:37], v[38:39], v[14:15], v[4:5] neg_lo:[0,0,1] neg_hi:[0,0,1]
	v_pk_fma_f32 v[4:5], v[38:39], v[14:15], v[4:5] op_sel_hi:[1,0,1]
	v_mul_f32_e32 v59, v34, v11
	v_mul_f32_e32 v11, v35, v11
	v_fmac_f32_e32 v67, v33, v8
	v_fma_f32 v75, v32, v8, -v9
	v_add_f32_e32 v3, v3, v63
	v_add_f32_e32 v4, v24, v71
	v_fmac_f32_e32 v59, v35, v10
	v_fma_f32 v58, v34, v10, -v11
	v_mov_b32_e32 v37, v5
	v_add_f32_e32 v5, v3, v67
	v_add_f32_e32 v4, v4, v75
	v_pk_mul_f32 v[64:65], v[40:41], v[16:17] op_sel:[1,1] op_sel_hi:[0,1]
	v_mov_b32_e32 v66, v19
	v_pk_add_f32 v[4:5], v[4:5], v[58:59]
	v_pk_fma_f32 v[6:7], v[40:41], v[16:17], v[64:65] neg_lo:[0,0,1] neg_hi:[0,0,1]
	v_pk_fma_f32 v[8:9], v[40:41], v[16:17], v[64:65] op_sel_hi:[1,0,1]
	v_pk_mul_f32 v[10:11], v[42:43], v[66:67] op_sel:[1,0] op_sel_hi:[0,0]
	v_pk_add_f32 v[4:5], v[4:5], v[60:61]
	v_pk_mul_f32 v[68:69], v[44:45], v[20:21] op_sel:[1,1] op_sel_hi:[0,1]
	v_mov_b32_e32 v70, v23
	v_mov_b32_e32 v7, v9
	v_pk_fma_f32 v[8:9], v[42:43], v[18:19], v[10:11] neg_lo:[0,0,1] neg_hi:[0,0,1]
	v_pk_fma_f32 v[10:11], v[42:43], v[18:19], v[10:11] op_sel_hi:[1,0,1]
	v_pk_add_f32 v[4:5], v[4:5], v[36:37]
	v_pk_fma_f32 v[12:13], v[44:45], v[20:21], v[68:69] neg_lo:[0,0,1] neg_hi:[0,0,1]
	v_pk_fma_f32 v[16:17], v[44:45], v[20:21], v[68:69] op_sel_hi:[1,0,1]
	v_pk_mul_f32 v[20:21], v[46:47], v[70:71] op_sel:[1,0] op_sel_hi:[0,0]
	v_mov_b32_e32 v9, v11
	v_pk_add_f32 v[4:5], v[4:5], v[6:7]
	v_mov_b32_e32 v74, v27
	v_mov_b32_e32 v13, v17
	v_pk_fma_f32 v[14:15], v[46:47], v[22:23], v[20:21] neg_lo:[0,0,1] neg_hi:[0,0,1]
	v_pk_fma_f32 v[16:17], v[46:47], v[22:23], v[20:21] op_sel_hi:[1,0,1]
	v_pk_add_f32 v[4:5], v[4:5], v[8:9]
	v_pk_mul_f32 v[30:31], v[50:51], v[74:75] op_sel:[1,0] op_sel_hi:[0,0]
	v_mov_b32_e32 v15, v17
	v_pk_add_f32 v[4:5], v[4:5], v[12:13]
	s_waitcnt vmcnt(1) lgkmcnt(0)
	v_pk_mul_f32 v[76:77], v[56:57], v[52:53] op_sel:[1,1] op_sel_hi:[0,1]
	v_mov_b32_e32 v29, v25
	v_pk_fma_f32 v[18:19], v[50:51], v[26:27], v[30:31] neg_lo:[0,0,1] neg_hi:[0,0,1]
	v_pk_fma_f32 v[20:21], v[50:51], v[26:27], v[30:31] op_sel_hi:[1,0,1]
	v_pk_add_f32 v[4:5], v[4:5], v[14:15]
	v_pk_fma_f32 v[32:33], v[56:57], v[52:53], v[76:77] neg_lo:[0,0,1] neg_hi:[0,0,1]
	v_pk_fma_f32 v[34:35], v[56:57], v[52:53], v[76:77] op_sel_hi:[1,0,1]
	v_mov_b32_e32 v19, v21
	v_pk_add_f32 v[4:5], v[4:5], v[28:29]
	v_mov_b32_e32 v33, v35
	v_pk_add_f32 v[4:5], v[4:5], v[18:19]
	s_nop 0
	v_pk_add_f32 v[4:5], v[4:5], v[32:33]
	s_waitcnt vmcnt(0)
	v_pk_add_f32 v[4:5], v[54:55], v[4:5] neg_lo:[0,1] neg_hi:[0,1]
	scratch_store_dwordx2 off, v[4:5], off offset:256
	s_and_saveexec_b64 s[0:1], vcc
	s_cbranch_execz .LBB109_227
; %bb.226:
	scratch_load_dwordx2 v[4:5], off, off offset:248
	v_mov_b32_e32 v3, v2
	scratch_store_dwordx2 off, v[2:3], off offset:248
	s_waitcnt vmcnt(1)
	ds_write_b64 v1, v[4:5]
.LBB109_227:
	s_or_b64 exec, exec, s[0:1]
	s_waitcnt lgkmcnt(0)
	; wave barrier
	ds_read_b128 v[4:7], v2 offset:624
	ds_read_b128 v[8:11], v2 offset:640
	;; [unrolled: 1-line block ×4, first 2 shown]
	scratch_load_dwordx4 v[20:23], off, off offset:256
	v_cmp_lt_u32_e32 vcc, 30, v0
	s_waitcnt vmcnt(0) lgkmcnt(3)
	v_mul_f32_e32 v3, v4, v21
	v_fmac_f32_e32 v3, v5, v20
	v_mul_f32_e32 v24, v6, v23
	v_add_f32_e32 v3, 0, v3
	v_fmac_f32_e32 v24, v7, v22
	v_add_f32_e32 v3, v3, v24
	scratch_load_dwordx4 v[24:27], off, off offset:272
	s_waitcnt vmcnt(0) lgkmcnt(2)
	v_mul_f32_e32 v28, v8, v25
	v_fmac_f32_e32 v28, v9, v24
	v_add_f32_e32 v3, v3, v28
	v_mul_f32_e32 v28, v10, v27
	v_fmac_f32_e32 v28, v11, v26
	v_add_f32_e32 v49, v3, v28
	scratch_load_dwordx4 v[28:31], off, off offset:288
	scratch_load_dwordx4 v[32:35], off, off offset:304
	;; [unrolled: 1-line block ×5, first 2 shown]
	v_mul_f32_e32 v3, v5, v21
	v_fma_f32 v3, v4, v20, -v3
	v_mul_f32_e32 v4, v7, v23
	v_add_f32_e32 v3, 0, v3
	v_fma_f32 v4, v6, v22, -v4
	v_add_f32_e32 v3, v3, v4
	v_mul_f32_e32 v4, v9, v25
	v_fma_f32 v4, v8, v24, -v4
	v_add_f32_e32 v3, v3, v4
	v_mul_f32_e32 v4, v11, v27
	v_fma_f32 v4, v10, v26, -v4
	v_add_f32_e32 v48, v3, v4
	s_waitcnt vmcnt(3) lgkmcnt(0)
	v_pk_mul_f32 v[20:21], v[16:17], v[32:33] op_sel:[1,1] op_sel_hi:[0,1]
	v_pk_fma_f32 v[22:23], v[16:17], v[32:33], v[20:21] neg_lo:[0,0,1] neg_hi:[0,0,1]
	v_mul_f32_e32 v3, v13, v29
	v_mul_f32_e32 v51, v12, v29
	v_mul_f32_e32 v53, v14, v31
	v_fma_f32 v50, v12, v28, -v3
	v_mul_f32_e32 v3, v15, v31
	v_pk_fma_f32 v[16:17], v[16:17], v[32:33], v[20:21] op_sel_hi:[1,0,1]
	v_fmac_f32_e32 v51, v13, v28
	v_fmac_f32_e32 v53, v15, v30
	v_fma_f32 v52, v14, v30, -v3
	ds_read_b128 v[4:7], v2 offset:688
	ds_read_b128 v[8:11], v2 offset:704
	;; [unrolled: 1-line block ×3, first 2 shown]
	v_mov_b32_e32 v16, v35
	v_mov_b32_e32 v23, v17
	v_pk_mul_f32 v[16:17], v[18:19], v[16:17] op_sel:[1,0] op_sel_hi:[0,0]
	v_pk_fma_f32 v[20:21], v[18:19], v[34:35], v[16:17] neg_lo:[0,0,1] neg_hi:[0,0,1]
	v_pk_fma_f32 v[16:17], v[18:19], v[34:35], v[16:17] op_sel_hi:[1,0,1]
	v_pk_add_f32 v[2:3], v[48:49], v[50:51]
	v_mov_b32_e32 v21, v17
	s_waitcnt vmcnt(2) lgkmcnt(2)
	v_pk_mul_f32 v[16:17], v[4:5], v[36:37] op_sel:[1,1] op_sel_hi:[0,1]
	v_pk_fma_f32 v[18:19], v[4:5], v[36:37], v[16:17] neg_lo:[0,0,1] neg_hi:[0,0,1]
	v_pk_fma_f32 v[4:5], v[4:5], v[36:37], v[16:17] op_sel_hi:[1,0,1]
	v_pk_add_f32 v[2:3], v[2:3], v[52:53]
	v_mov_b32_e32 v4, v39
	v_mov_b32_e32 v19, v5
	v_pk_mul_f32 v[4:5], v[6:7], v[4:5] op_sel:[1,0] op_sel_hi:[0,0]
	v_pk_fma_f32 v[16:17], v[6:7], v[38:39], v[4:5] neg_lo:[0,0,1] neg_hi:[0,0,1]
	v_pk_fma_f32 v[4:5], v[6:7], v[38:39], v[4:5] op_sel_hi:[1,0,1]
	v_pk_add_f32 v[2:3], v[2:3], v[22:23]
	v_mov_b32_e32 v17, v5
	s_waitcnt vmcnt(1) lgkmcnt(1)
	v_pk_mul_f32 v[4:5], v[8:9], v[40:41] op_sel:[1,1] op_sel_hi:[0,1]
	v_pk_add_f32 v[2:3], v[2:3], v[20:21]
	v_pk_fma_f32 v[6:7], v[8:9], v[40:41], v[4:5] neg_lo:[0,0,1] neg_hi:[0,0,1]
	v_pk_fma_f32 v[4:5], v[8:9], v[40:41], v[4:5] op_sel_hi:[1,0,1]
	v_pk_add_f32 v[2:3], v[2:3], v[18:19]
	v_mov_b32_e32 v4, v43
	v_pk_add_f32 v[2:3], v[2:3], v[16:17]
	v_mov_b32_e32 v7, v5
	v_pk_mul_f32 v[4:5], v[10:11], v[4:5] op_sel:[1,0] op_sel_hi:[0,0]
	v_pk_add_f32 v[2:3], v[2:3], v[6:7]
	v_pk_fma_f32 v[6:7], v[10:11], v[42:43], v[4:5] neg_lo:[0,0,1] neg_hi:[0,0,1]
	v_pk_fma_f32 v[4:5], v[10:11], v[42:43], v[4:5] op_sel_hi:[1,0,1]
	s_nop 0
	v_mov_b32_e32 v7, v5
	s_waitcnt vmcnt(0) lgkmcnt(0)
	v_pk_mul_f32 v[4:5], v[12:13], v[44:45] op_sel:[1,1] op_sel_hi:[0,1]
	v_pk_add_f32 v[2:3], v[2:3], v[6:7]
	v_pk_fma_f32 v[6:7], v[12:13], v[44:45], v[4:5] neg_lo:[0,0,1] neg_hi:[0,0,1]
	v_pk_fma_f32 v[4:5], v[12:13], v[44:45], v[4:5] op_sel_hi:[1,0,1]
	s_nop 0
	v_mov_b32_e32 v4, v47
	v_mov_b32_e32 v7, v5
	v_pk_mul_f32 v[4:5], v[14:15], v[4:5] op_sel:[1,0] op_sel_hi:[0,0]
	v_pk_add_f32 v[2:3], v[2:3], v[6:7]
	v_pk_fma_f32 v[6:7], v[14:15], v[46:47], v[4:5] neg_lo:[0,0,1] neg_hi:[0,0,1]
	v_pk_fma_f32 v[4:5], v[14:15], v[46:47], v[4:5] op_sel_hi:[1,0,1]
	s_nop 0
	v_mov_b32_e32 v7, v5
	scratch_load_dwordx2 v[4:5], off, off offset:248
	v_pk_add_f32 v[2:3], v[2:3], v[6:7]
	s_waitcnt vmcnt(0)
	v_pk_add_f32 v[2:3], v[4:5], v[2:3] neg_lo:[0,1] neg_hi:[0,1]
	scratch_store_dwordx2 off, v[2:3], off offset:248
	s_and_saveexec_b64 s[0:1], vcc
	s_cbranch_execz .LBB109_229
; %bb.228:
	scratch_load_dwordx2 v[2:3], off, off offset:240
	v_mov_b32_e32 v4, 0
	v_mov_b32_e32 v5, v4
	scratch_store_dwordx2 off, v[4:5], off offset:240
	s_waitcnt vmcnt(1)
	ds_write_b64 v1, v[2:3]
.LBB109_229:
	s_or_b64 exec, exec, s[0:1]
	s_waitcnt lgkmcnt(0)
	; wave barrier
	scratch_load_dwordx4 v[8:11], off, off offset:248
	scratch_load_dwordx4 v[16:19], off, off offset:264
	;; [unrolled: 1-line block ×4, first 2 shown]
	v_mov_b32_e32 v2, 0
	ds_read2_b64 v[4:7], v2 offset0:77 offset1:78
	v_cmp_lt_u32_e32 vcc, 29, v0
	s_waitcnt vmcnt(3) lgkmcnt(0)
	v_mul_f32_e32 v3, v4, v9
	v_fmac_f32_e32 v3, v5, v8
	v_mul_f32_e32 v12, v6, v11
	v_add_f32_e32 v3, 0, v3
	v_fmac_f32_e32 v12, v7, v10
	v_add_f32_e32 v3, v3, v12
	ds_read2_b64 v[12:15], v2 offset0:79 offset1:80
	s_waitcnt vmcnt(2) lgkmcnt(0)
	v_mul_f32_e32 v20, v12, v17
	v_fmac_f32_e32 v20, v13, v16
	v_add_f32_e32 v3, v3, v20
	v_mul_f32_e32 v20, v14, v19
	v_fmac_f32_e32 v20, v15, v18
	v_add_f32_e32 v3, v3, v20
	ds_read2_b64 v[20:23], v2 offset0:81 offset1:82
	s_waitcnt vmcnt(1) lgkmcnt(0)
	v_mul_f32_e32 v28, v20, v25
	v_fmac_f32_e32 v28, v21, v24
	v_add_f32_e32 v49, v3, v28
	ds_read2_b64 v[28:31], v2 offset0:83 offset1:84
	scratch_load_dwordx4 v[36:39], off, off offset:312
	scratch_load_dwordx4 v[40:43], off, off offset:328
	;; [unrolled: 1-line block ×3, first 2 shown]
	scratch_load_dwordx2 v[54:55], off, off offset:360
	v_mul_f32_e32 v3, v5, v9
	v_fma_f32 v3, v4, v8, -v3
	v_mul_f32_e32 v4, v7, v11
	v_add_f32_e32 v3, 0, v3
	v_fma_f32 v4, v6, v10, -v4
	v_add_f32_e32 v3, v3, v4
	v_mul_f32_e32 v4, v13, v17
	v_fma_f32 v4, v12, v16, -v4
	v_add_f32_e32 v3, v3, v4
	v_mul_f32_e32 v4, v15, v19
	v_fma_f32 v4, v14, v18, -v4
	v_add_f32_e32 v3, v3, v4
	v_mul_f32_e32 v4, v21, v25
	v_fma_f32 v4, v20, v24, -v4
	v_mul_f32_e32 v51, v22, v27
	v_add_f32_e32 v48, v3, v4
	v_mul_f32_e32 v3, v23, v27
	s_waitcnt vmcnt(4)
	v_mov_b32_e32 v20, v35
	v_fmac_f32_e32 v51, v23, v26
	s_waitcnt lgkmcnt(0)
	v_mul_f32_e32 v53, v28, v33
	v_fma_f32 v50, v22, v26, -v3
	v_mul_f32_e32 v3, v29, v33
	ds_read2_b64 v[4:7], v2 offset0:85 offset1:86
	ds_read2_b64 v[8:11], v2 offset0:87 offset1:88
	;; [unrolled: 1-line block ×3, first 2 shown]
	ds_read_b64 v[16:17], v2 offset:728
	v_pk_mul_f32 v[20:21], v[30:31], v[20:21] op_sel:[1,0] op_sel_hi:[0,0]
	v_fmac_f32_e32 v53, v29, v32
	v_fma_f32 v52, v28, v32, -v3
	v_pk_add_f32 v[18:19], v[48:49], v[50:51]
	v_pk_fma_f32 v[22:23], v[30:31], v[34:35], v[20:21] neg_lo:[0,0,1] neg_hi:[0,0,1]
	v_pk_fma_f32 v[20:21], v[30:31], v[34:35], v[20:21] op_sel_hi:[1,0,1]
	v_pk_add_f32 v[18:19], v[18:19], v[52:53]
	v_mov_b32_e32 v23, v21
	v_pk_add_f32 v[18:19], v[18:19], v[22:23]
	s_waitcnt vmcnt(3) lgkmcnt(3)
	v_pk_mul_f32 v[20:21], v[4:5], v[36:37] op_sel:[1,1] op_sel_hi:[0,1]
	v_pk_fma_f32 v[22:23], v[4:5], v[36:37], v[20:21] neg_lo:[0,0,1] neg_hi:[0,0,1]
	v_pk_fma_f32 v[4:5], v[4:5], v[36:37], v[20:21] op_sel_hi:[1,0,1]
	s_nop 0
	v_mov_b32_e32 v23, v5
	v_pk_add_f32 v[4:5], v[18:19], v[22:23]
	v_mov_b32_e32 v18, v39
	v_pk_mul_f32 v[18:19], v[6:7], v[18:19] op_sel:[1,0] op_sel_hi:[0,0]
	v_pk_fma_f32 v[20:21], v[6:7], v[38:39], v[18:19] neg_lo:[0,0,1] neg_hi:[0,0,1]
	v_pk_fma_f32 v[6:7], v[6:7], v[38:39], v[18:19] op_sel_hi:[1,0,1]
	s_nop 0
	v_mov_b32_e32 v21, v7
	s_waitcnt vmcnt(2) lgkmcnt(2)
	v_pk_mul_f32 v[6:7], v[8:9], v[40:41] op_sel:[1,1] op_sel_hi:[0,1]
	v_pk_fma_f32 v[18:19], v[8:9], v[40:41], v[6:7] neg_lo:[0,0,1] neg_hi:[0,0,1]
	v_pk_fma_f32 v[6:7], v[8:9], v[40:41], v[6:7] op_sel_hi:[1,0,1]
	v_pk_add_f32 v[4:5], v[4:5], v[20:21]
	v_mov_b32_e32 v6, v43
	v_mov_b32_e32 v19, v7
	v_pk_mul_f32 v[6:7], v[10:11], v[6:7] op_sel:[1,0] op_sel_hi:[0,0]
	v_pk_fma_f32 v[8:9], v[10:11], v[42:43], v[6:7] neg_lo:[0,0,1] neg_hi:[0,0,1]
	v_pk_fma_f32 v[6:7], v[10:11], v[42:43], v[6:7] op_sel_hi:[1,0,1]
	v_pk_add_f32 v[4:5], v[4:5], v[18:19]
	v_mov_b32_e32 v9, v7
	s_waitcnt vmcnt(1) lgkmcnt(1)
	v_pk_mul_f32 v[6:7], v[12:13], v[44:45] op_sel:[1,1] op_sel_hi:[0,1]
	v_pk_add_f32 v[4:5], v[4:5], v[8:9]
	v_pk_fma_f32 v[8:9], v[12:13], v[44:45], v[6:7] neg_lo:[0,0,1] neg_hi:[0,0,1]
	v_pk_fma_f32 v[6:7], v[12:13], v[44:45], v[6:7] op_sel_hi:[1,0,1]
	s_nop 0
	v_mov_b32_e32 v6, v47
	v_mov_b32_e32 v9, v7
	v_pk_mul_f32 v[6:7], v[14:15], v[6:7] op_sel:[1,0] op_sel_hi:[0,0]
	v_pk_add_f32 v[4:5], v[4:5], v[8:9]
	v_pk_fma_f32 v[8:9], v[14:15], v[46:47], v[6:7] neg_lo:[0,0,1] neg_hi:[0,0,1]
	v_pk_fma_f32 v[6:7], v[14:15], v[46:47], v[6:7] op_sel_hi:[1,0,1]
	s_nop 0
	v_mov_b32_e32 v9, v7
	s_waitcnt vmcnt(0) lgkmcnt(0)
	v_pk_mul_f32 v[6:7], v[16:17], v[54:55] op_sel:[1,1] op_sel_hi:[0,1]
	v_pk_add_f32 v[4:5], v[4:5], v[8:9]
	v_pk_fma_f32 v[8:9], v[16:17], v[54:55], v[6:7] neg_lo:[0,0,1] neg_hi:[0,0,1]
	v_pk_fma_f32 v[6:7], v[16:17], v[54:55], v[6:7] op_sel_hi:[1,0,1]
	s_nop 0
	v_mov_b32_e32 v9, v7
	scratch_load_dwordx2 v[6:7], off, off offset:240
	v_pk_add_f32 v[4:5], v[4:5], v[8:9]
	s_waitcnt vmcnt(0)
	v_pk_add_f32 v[4:5], v[6:7], v[4:5] neg_lo:[0,1] neg_hi:[0,1]
	scratch_store_dwordx2 off, v[4:5], off offset:240
	s_and_saveexec_b64 s[0:1], vcc
	s_cbranch_execz .LBB109_231
; %bb.230:
	scratch_load_dwordx2 v[4:5], off, off offset:232
	v_mov_b32_e32 v3, v2
	scratch_store_dwordx2 off, v[2:3], off offset:232
	s_waitcnt vmcnt(1)
	ds_write_b64 v1, v[4:5]
.LBB109_231:
	s_or_b64 exec, exec, s[0:1]
	s_waitcnt lgkmcnt(0)
	; wave barrier
	ds_read_b128 v[4:7], v2 offset:608
	ds_read_b128 v[8:11], v2 offset:624
	;; [unrolled: 1-line block ×4, first 2 shown]
	scratch_load_dwordx4 v[20:23], off, off offset:240
	v_cmp_lt_u32_e32 vcc, 28, v0
	s_waitcnt vmcnt(0) lgkmcnt(3)
	v_mul_f32_e32 v3, v4, v21
	v_fmac_f32_e32 v3, v5, v20
	v_mul_f32_e32 v24, v6, v23
	v_add_f32_e32 v3, 0, v3
	v_fmac_f32_e32 v24, v7, v22
	v_add_f32_e32 v3, v3, v24
	scratch_load_dwordx4 v[24:27], off, off offset:256
	s_waitcnt vmcnt(0) lgkmcnt(2)
	v_mul_f32_e32 v28, v8, v25
	v_fmac_f32_e32 v28, v9, v24
	v_add_f32_e32 v3, v3, v28
	v_mul_f32_e32 v28, v10, v27
	v_fmac_f32_e32 v28, v11, v26
	v_add_f32_e32 v3, v3, v28
	scratch_load_dwordx4 v[28:31], off, off offset:272
	s_waitcnt vmcnt(0) lgkmcnt(1)
	v_mul_f32_e32 v32, v12, v29
	v_fmac_f32_e32 v32, v13, v28
	v_add_f32_e32 v3, v3, v32
	v_mul_f32_e32 v32, v14, v31
	v_fmac_f32_e32 v32, v15, v30
	v_add_f32_e32 v53, v3, v32
	scratch_load_dwordx4 v[32:35], off, off offset:288
	scratch_load_dwordx4 v[36:39], off, off offset:304
	;; [unrolled: 1-line block ×5, first 2 shown]
	v_mul_f32_e32 v3, v5, v21
	v_fma_f32 v3, v4, v20, -v3
	v_mul_f32_e32 v4, v7, v23
	v_add_f32_e32 v3, 0, v3
	v_fma_f32 v4, v6, v22, -v4
	v_add_f32_e32 v3, v3, v4
	v_mul_f32_e32 v4, v9, v25
	v_fma_f32 v4, v8, v24, -v4
	v_add_f32_e32 v3, v3, v4
	v_mul_f32_e32 v4, v11, v27
	;; [unrolled: 3-line block ×4, first 2 shown]
	v_fma_f32 v4, v14, v30, -v4
	v_add_f32_e32 v52, v3, v4
	s_waitcnt vmcnt(4) lgkmcnt(0)
	v_mul_f32_e32 v3, v17, v33
	v_mul_f32_e32 v55, v16, v33
	;; [unrolled: 1-line block ×3, first 2 shown]
	v_fma_f32 v54, v16, v32, -v3
	v_mul_f32_e32 v3, v19, v35
	v_fmac_f32_e32 v55, v17, v32
	v_fmac_f32_e32 v57, v19, v34
	v_fma_f32 v56, v18, v34, -v3
	ds_read_b128 v[4:7], v2 offset:672
	ds_read_b128 v[8:11], v2 offset:688
	;; [unrolled: 1-line block ×4, first 2 shown]
	v_pk_add_f32 v[2:3], v[52:53], v[54:55]
	s_waitcnt vmcnt(3) lgkmcnt(3)
	v_pk_mul_f32 v[20:21], v[4:5], v[36:37] op_sel:[1,1] op_sel_hi:[0,1]
	v_pk_fma_f32 v[22:23], v[4:5], v[36:37], v[20:21] neg_lo:[0,0,1] neg_hi:[0,0,1]
	v_pk_fma_f32 v[4:5], v[4:5], v[36:37], v[20:21] op_sel_hi:[1,0,1]
	v_pk_add_f32 v[2:3], v[2:3], v[56:57]
	v_mov_b32_e32 v4, v39
	v_mov_b32_e32 v23, v5
	v_pk_mul_f32 v[4:5], v[6:7], v[4:5] op_sel:[1,0] op_sel_hi:[0,0]
	v_pk_fma_f32 v[20:21], v[6:7], v[38:39], v[4:5] neg_lo:[0,0,1] neg_hi:[0,0,1]
	v_pk_fma_f32 v[4:5], v[6:7], v[38:39], v[4:5] op_sel_hi:[1,0,1]
	v_pk_add_f32 v[2:3], v[2:3], v[22:23]
	v_mov_b32_e32 v21, v5
	s_waitcnt vmcnt(2) lgkmcnt(2)
	v_pk_mul_f32 v[4:5], v[8:9], v[40:41] op_sel:[1,1] op_sel_hi:[0,1]
	v_pk_fma_f32 v[6:7], v[8:9], v[40:41], v[4:5] neg_lo:[0,0,1] neg_hi:[0,0,1]
	v_pk_fma_f32 v[4:5], v[8:9], v[40:41], v[4:5] op_sel_hi:[1,0,1]
	v_pk_add_f32 v[2:3], v[2:3], v[20:21]
	v_mov_b32_e32 v4, v43
	v_mov_b32_e32 v7, v5
	v_pk_mul_f32 v[4:5], v[10:11], v[4:5] op_sel:[1,0] op_sel_hi:[0,0]
	v_pk_add_f32 v[2:3], v[2:3], v[6:7]
	v_pk_fma_f32 v[6:7], v[10:11], v[42:43], v[4:5] neg_lo:[0,0,1] neg_hi:[0,0,1]
	v_pk_fma_f32 v[4:5], v[10:11], v[42:43], v[4:5] op_sel_hi:[1,0,1]
	s_nop 0
	v_mov_b32_e32 v7, v5
	s_waitcnt vmcnt(1) lgkmcnt(1)
	v_pk_mul_f32 v[4:5], v[12:13], v[44:45] op_sel:[1,1] op_sel_hi:[0,1]
	v_pk_add_f32 v[2:3], v[2:3], v[6:7]
	v_pk_fma_f32 v[6:7], v[12:13], v[44:45], v[4:5] neg_lo:[0,0,1] neg_hi:[0,0,1]
	v_pk_fma_f32 v[4:5], v[12:13], v[44:45], v[4:5] op_sel_hi:[1,0,1]
	s_nop 0
	v_mov_b32_e32 v4, v47
	v_mov_b32_e32 v7, v5
	v_pk_mul_f32 v[4:5], v[14:15], v[4:5] op_sel:[1,0] op_sel_hi:[0,0]
	v_pk_add_f32 v[2:3], v[2:3], v[6:7]
	v_pk_fma_f32 v[6:7], v[14:15], v[46:47], v[4:5] neg_lo:[0,0,1] neg_hi:[0,0,1]
	v_pk_fma_f32 v[4:5], v[14:15], v[46:47], v[4:5] op_sel_hi:[1,0,1]
	s_nop 0
	v_mov_b32_e32 v7, v5
	s_waitcnt vmcnt(0) lgkmcnt(0)
	v_pk_mul_f32 v[4:5], v[16:17], v[48:49] op_sel:[1,1] op_sel_hi:[0,1]
	v_pk_add_f32 v[2:3], v[2:3], v[6:7]
	v_pk_fma_f32 v[6:7], v[16:17], v[48:49], v[4:5] neg_lo:[0,0,1] neg_hi:[0,0,1]
	v_pk_fma_f32 v[4:5], v[16:17], v[48:49], v[4:5] op_sel_hi:[1,0,1]
	s_nop 0
	v_mov_b32_e32 v4, v51
	v_mov_b32_e32 v7, v5
	v_pk_mul_f32 v[4:5], v[18:19], v[4:5] op_sel:[1,0] op_sel_hi:[0,0]
	v_pk_add_f32 v[2:3], v[2:3], v[6:7]
	v_pk_fma_f32 v[6:7], v[18:19], v[50:51], v[4:5] neg_lo:[0,0,1] neg_hi:[0,0,1]
	v_pk_fma_f32 v[4:5], v[18:19], v[50:51], v[4:5] op_sel_hi:[1,0,1]
	s_nop 0
	v_mov_b32_e32 v7, v5
	scratch_load_dwordx2 v[4:5], off, off offset:232
	v_pk_add_f32 v[2:3], v[2:3], v[6:7]
	s_waitcnt vmcnt(0)
	v_pk_add_f32 v[2:3], v[4:5], v[2:3] neg_lo:[0,1] neg_hi:[0,1]
	scratch_store_dwordx2 off, v[2:3], off offset:232
	s_and_saveexec_b64 s[0:1], vcc
	s_cbranch_execz .LBB109_233
; %bb.232:
	scratch_load_dwordx2 v[2:3], off, off offset:224
	v_mov_b32_e32 v4, 0
	v_mov_b32_e32 v5, v4
	scratch_store_dwordx2 off, v[4:5], off offset:224
	s_waitcnt vmcnt(1)
	ds_write_b64 v1, v[2:3]
.LBB109_233:
	s_or_b64 exec, exec, s[0:1]
	s_waitcnt lgkmcnt(0)
	; wave barrier
	scratch_load_dwordx4 v[8:11], off, off offset:232
	scratch_load_dwordx4 v[16:19], off, off offset:248
	;; [unrolled: 1-line block ×4, first 2 shown]
	v_mov_b32_e32 v2, 0
	ds_read2_b64 v[4:7], v2 offset0:75 offset1:76
	scratch_load_dwordx4 v[40:43], off, off offset:296
	v_cmp_lt_u32_e32 vcc, 27, v0
	s_waitcnt vmcnt(4) lgkmcnt(0)
	v_mul_f32_e32 v3, v4, v9
	v_fmac_f32_e32 v3, v5, v8
	v_mul_f32_e32 v12, v6, v11
	v_add_f32_e32 v3, 0, v3
	v_fmac_f32_e32 v12, v7, v10
	v_add_f32_e32 v3, v3, v12
	ds_read2_b64 v[12:15], v2 offset0:77 offset1:78
	s_waitcnt vmcnt(3) lgkmcnt(0)
	v_mul_f32_e32 v20, v12, v17
	v_fmac_f32_e32 v20, v13, v16
	v_add_f32_e32 v3, v3, v20
	v_mul_f32_e32 v20, v14, v19
	v_fmac_f32_e32 v20, v15, v18
	v_add_f32_e32 v3, v3, v20
	ds_read2_b64 v[20:23], v2 offset0:79 offset1:80
	s_waitcnt vmcnt(2) lgkmcnt(0)
	v_mul_f32_e32 v28, v20, v25
	v_fmac_f32_e32 v28, v21, v24
	v_add_f32_e32 v3, v3, v28
	v_mul_f32_e32 v28, v22, v27
	v_fmac_f32_e32 v28, v23, v26
	v_add_f32_e32 v3, v3, v28
	ds_read2_b64 v[28:31], v2 offset0:81 offset1:82
	s_waitcnt vmcnt(1) lgkmcnt(0)
	v_mul_f32_e32 v36, v28, v33
	v_fmac_f32_e32 v36, v29, v32
	v_add_f32_e32 v57, v3, v36
	ds_read2_b64 v[36:39], v2 offset0:83 offset1:84
	scratch_load_dwordx4 v[44:47], off, off offset:312
	scratch_load_dwordx4 v[48:51], off, off offset:328
	;; [unrolled: 1-line block ×3, first 2 shown]
	scratch_load_dwordx2 v[62:63], off, off offset:360
	v_mul_f32_e32 v3, v5, v9
	v_fma_f32 v3, v4, v8, -v3
	v_mul_f32_e32 v4, v7, v11
	v_add_f32_e32 v3, 0, v3
	v_fma_f32 v4, v6, v10, -v4
	v_add_f32_e32 v3, v3, v4
	v_mul_f32_e32 v4, v13, v17
	v_fma_f32 v4, v12, v16, -v4
	v_add_f32_e32 v3, v3, v4
	v_mul_f32_e32 v4, v15, v19
	;; [unrolled: 3-line block ×5, first 2 shown]
	v_fma_f32 v4, v28, v32, -v4
	v_mul_f32_e32 v59, v30, v35
	v_add_f32_e32 v56, v3, v4
	v_mul_f32_e32 v3, v31, v35
	s_waitcnt vmcnt(4)
	v_mov_b32_e32 v20, v43
	v_fmac_f32_e32 v59, v31, v34
	s_waitcnt lgkmcnt(0)
	v_mul_f32_e32 v61, v36, v41
	v_fma_f32 v58, v30, v34, -v3
	v_mul_f32_e32 v3, v37, v41
	ds_read2_b64 v[4:7], v2 offset0:85 offset1:86
	ds_read2_b64 v[8:11], v2 offset0:87 offset1:88
	;; [unrolled: 1-line block ×3, first 2 shown]
	ds_read_b64 v[16:17], v2 offset:728
	v_pk_mul_f32 v[20:21], v[38:39], v[20:21] op_sel:[1,0] op_sel_hi:[0,0]
	v_fmac_f32_e32 v61, v37, v40
	v_fma_f32 v60, v36, v40, -v3
	v_pk_add_f32 v[18:19], v[56:57], v[58:59]
	v_pk_fma_f32 v[22:23], v[38:39], v[42:43], v[20:21] neg_lo:[0,0,1] neg_hi:[0,0,1]
	v_pk_fma_f32 v[20:21], v[38:39], v[42:43], v[20:21] op_sel_hi:[1,0,1]
	v_pk_add_f32 v[18:19], v[18:19], v[60:61]
	v_mov_b32_e32 v23, v21
	v_pk_add_f32 v[18:19], v[18:19], v[22:23]
	s_waitcnt vmcnt(3) lgkmcnt(3)
	v_pk_mul_f32 v[20:21], v[4:5], v[44:45] op_sel:[1,1] op_sel_hi:[0,1]
	v_pk_fma_f32 v[22:23], v[4:5], v[44:45], v[20:21] neg_lo:[0,0,1] neg_hi:[0,0,1]
	v_pk_fma_f32 v[4:5], v[4:5], v[44:45], v[20:21] op_sel_hi:[1,0,1]
	s_nop 0
	v_mov_b32_e32 v23, v5
	v_pk_add_f32 v[4:5], v[18:19], v[22:23]
	v_mov_b32_e32 v18, v47
	v_pk_mul_f32 v[18:19], v[6:7], v[18:19] op_sel:[1,0] op_sel_hi:[0,0]
	v_pk_fma_f32 v[20:21], v[6:7], v[46:47], v[18:19] neg_lo:[0,0,1] neg_hi:[0,0,1]
	v_pk_fma_f32 v[6:7], v[6:7], v[46:47], v[18:19] op_sel_hi:[1,0,1]
	s_nop 0
	v_mov_b32_e32 v21, v7
	s_waitcnt vmcnt(2) lgkmcnt(2)
	v_pk_mul_f32 v[6:7], v[8:9], v[48:49] op_sel:[1,1] op_sel_hi:[0,1]
	v_pk_fma_f32 v[18:19], v[8:9], v[48:49], v[6:7] neg_lo:[0,0,1] neg_hi:[0,0,1]
	v_pk_fma_f32 v[6:7], v[8:9], v[48:49], v[6:7] op_sel_hi:[1,0,1]
	v_pk_add_f32 v[4:5], v[4:5], v[20:21]
	v_mov_b32_e32 v6, v51
	v_mov_b32_e32 v19, v7
	v_pk_mul_f32 v[6:7], v[10:11], v[6:7] op_sel:[1,0] op_sel_hi:[0,0]
	v_pk_fma_f32 v[8:9], v[10:11], v[50:51], v[6:7] neg_lo:[0,0,1] neg_hi:[0,0,1]
	v_pk_fma_f32 v[6:7], v[10:11], v[50:51], v[6:7] op_sel_hi:[1,0,1]
	v_pk_add_f32 v[4:5], v[4:5], v[18:19]
	v_mov_b32_e32 v9, v7
	s_waitcnt vmcnt(1) lgkmcnt(1)
	v_pk_mul_f32 v[6:7], v[12:13], v[52:53] op_sel:[1,1] op_sel_hi:[0,1]
	v_pk_add_f32 v[4:5], v[4:5], v[8:9]
	v_pk_fma_f32 v[8:9], v[12:13], v[52:53], v[6:7] neg_lo:[0,0,1] neg_hi:[0,0,1]
	v_pk_fma_f32 v[6:7], v[12:13], v[52:53], v[6:7] op_sel_hi:[1,0,1]
	s_nop 0
	v_mov_b32_e32 v6, v55
	v_mov_b32_e32 v9, v7
	v_pk_mul_f32 v[6:7], v[14:15], v[6:7] op_sel:[1,0] op_sel_hi:[0,0]
	v_pk_add_f32 v[4:5], v[4:5], v[8:9]
	v_pk_fma_f32 v[8:9], v[14:15], v[54:55], v[6:7] neg_lo:[0,0,1] neg_hi:[0,0,1]
	v_pk_fma_f32 v[6:7], v[14:15], v[54:55], v[6:7] op_sel_hi:[1,0,1]
	s_nop 0
	v_mov_b32_e32 v9, v7
	s_waitcnt vmcnt(0) lgkmcnt(0)
	v_pk_mul_f32 v[6:7], v[16:17], v[62:63] op_sel:[1,1] op_sel_hi:[0,1]
	v_pk_add_f32 v[4:5], v[4:5], v[8:9]
	v_pk_fma_f32 v[8:9], v[16:17], v[62:63], v[6:7] neg_lo:[0,0,1] neg_hi:[0,0,1]
	v_pk_fma_f32 v[6:7], v[16:17], v[62:63], v[6:7] op_sel_hi:[1,0,1]
	s_nop 0
	v_mov_b32_e32 v9, v7
	scratch_load_dwordx2 v[6:7], off, off offset:224
	v_pk_add_f32 v[4:5], v[4:5], v[8:9]
	s_waitcnt vmcnt(0)
	v_pk_add_f32 v[4:5], v[6:7], v[4:5] neg_lo:[0,1] neg_hi:[0,1]
	scratch_store_dwordx2 off, v[4:5], off offset:224
	s_and_saveexec_b64 s[0:1], vcc
	s_cbranch_execz .LBB109_235
; %bb.234:
	scratch_load_dwordx2 v[4:5], off, off offset:216
	v_mov_b32_e32 v3, v2
	scratch_store_dwordx2 off, v[2:3], off offset:216
	s_waitcnt vmcnt(1)
	ds_write_b64 v1, v[4:5]
.LBB109_235:
	s_or_b64 exec, exec, s[0:1]
	s_waitcnt lgkmcnt(0)
	; wave barrier
	ds_read_b128 v[4:7], v2 offset:592
	ds_read_b128 v[8:11], v2 offset:608
	;; [unrolled: 1-line block ×4, first 2 shown]
	scratch_load_dwordx4 v[20:23], off, off offset:224
	scratch_load_dwordx4 v[40:43], off, off offset:288
	v_cmp_lt_u32_e32 vcc, 26, v0
	s_waitcnt vmcnt(1) lgkmcnt(3)
	v_mul_f32_e32 v3, v4, v21
	v_fmac_f32_e32 v3, v5, v20
	v_mul_f32_e32 v24, v6, v23
	v_add_f32_e32 v3, 0, v3
	v_fmac_f32_e32 v24, v7, v22
	v_add_f32_e32 v3, v3, v24
	scratch_load_dwordx4 v[24:27], off, off offset:240
	s_waitcnt vmcnt(0) lgkmcnt(2)
	v_mul_f32_e32 v28, v8, v25
	v_fmac_f32_e32 v28, v9, v24
	v_add_f32_e32 v3, v3, v28
	v_mul_f32_e32 v28, v10, v27
	v_fmac_f32_e32 v28, v11, v26
	v_add_f32_e32 v3, v3, v28
	scratch_load_dwordx4 v[28:31], off, off offset:256
	s_waitcnt vmcnt(0) lgkmcnt(1)
	v_mul_f32_e32 v32, v12, v29
	v_fmac_f32_e32 v32, v13, v28
	v_add_f32_e32 v3, v3, v32
	v_mul_f32_e32 v32, v14, v31
	v_fmac_f32_e32 v32, v15, v30
	v_add_f32_e32 v3, v3, v32
	scratch_load_dwordx4 v[32:35], off, off offset:272
	s_waitcnt vmcnt(0) lgkmcnt(0)
	v_mul_f32_e32 v36, v16, v33
	v_fmac_f32_e32 v36, v17, v32
	v_add_f32_e32 v3, v3, v36
	v_mul_f32_e32 v36, v18, v35
	v_fmac_f32_e32 v36, v19, v34
	v_add_f32_e32 v61, v3, v36
	ds_read_b128 v[36:39], v2 offset:656
	scratch_load_dwordx4 v[44:47], off, off offset:304
	scratch_load_dwordx4 v[48:51], off, off offset:320
	;; [unrolled: 1-line block ×4, first 2 shown]
	v_mul_f32_e32 v3, v5, v21
	v_fma_f32 v3, v4, v20, -v3
	v_mul_f32_e32 v4, v7, v23
	v_add_f32_e32 v3, 0, v3
	v_fma_f32 v4, v6, v22, -v4
	v_add_f32_e32 v3, v3, v4
	v_mul_f32_e32 v4, v9, v25
	v_fma_f32 v4, v8, v24, -v4
	v_add_f32_e32 v3, v3, v4
	v_mul_f32_e32 v4, v11, v27
	;; [unrolled: 3-line block ×6, first 2 shown]
	v_fma_f32 v4, v18, v34, -v4
	v_add_f32_e32 v60, v3, v4
	ds_read_b128 v[4:7], v2 offset:672
	ds_read_b128 v[8:11], v2 offset:688
	;; [unrolled: 1-line block ×4, first 2 shown]
	s_waitcnt lgkmcnt(4)
	v_mul_f32_e32 v63, v36, v41
	v_mul_f32_e32 v3, v37, v41
	v_fmac_f32_e32 v63, v37, v40
	v_mul_f32_e32 v65, v38, v43
	v_fma_f32 v62, v36, v40, -v3
	v_mul_f32_e32 v3, v39, v43
	v_fmac_f32_e32 v65, v39, v42
	v_fma_f32 v64, v38, v42, -v3
	v_pk_add_f32 v[2:3], v[60:61], v[62:63]
	s_waitcnt vmcnt(3) lgkmcnt(3)
	v_pk_mul_f32 v[20:21], v[4:5], v[44:45] op_sel:[1,1] op_sel_hi:[0,1]
	v_pk_fma_f32 v[22:23], v[4:5], v[44:45], v[20:21] neg_lo:[0,0,1] neg_hi:[0,0,1]
	v_pk_fma_f32 v[4:5], v[4:5], v[44:45], v[20:21] op_sel_hi:[1,0,1]
	v_pk_add_f32 v[2:3], v[2:3], v[64:65]
	v_mov_b32_e32 v4, v47
	v_mov_b32_e32 v23, v5
	v_pk_mul_f32 v[4:5], v[6:7], v[4:5] op_sel:[1,0] op_sel_hi:[0,0]
	v_pk_fma_f32 v[20:21], v[6:7], v[46:47], v[4:5] neg_lo:[0,0,1] neg_hi:[0,0,1]
	v_pk_fma_f32 v[4:5], v[6:7], v[46:47], v[4:5] op_sel_hi:[1,0,1]
	v_pk_add_f32 v[2:3], v[2:3], v[22:23]
	v_mov_b32_e32 v21, v5
	s_waitcnt vmcnt(2) lgkmcnt(2)
	v_pk_mul_f32 v[4:5], v[8:9], v[48:49] op_sel:[1,1] op_sel_hi:[0,1]
	v_pk_fma_f32 v[6:7], v[8:9], v[48:49], v[4:5] neg_lo:[0,0,1] neg_hi:[0,0,1]
	v_pk_fma_f32 v[4:5], v[8:9], v[48:49], v[4:5] op_sel_hi:[1,0,1]
	v_pk_add_f32 v[2:3], v[2:3], v[20:21]
	v_mov_b32_e32 v4, v51
	v_mov_b32_e32 v7, v5
	v_pk_mul_f32 v[4:5], v[10:11], v[4:5] op_sel:[1,0] op_sel_hi:[0,0]
	v_pk_add_f32 v[2:3], v[2:3], v[6:7]
	v_pk_fma_f32 v[6:7], v[10:11], v[50:51], v[4:5] neg_lo:[0,0,1] neg_hi:[0,0,1]
	v_pk_fma_f32 v[4:5], v[10:11], v[50:51], v[4:5] op_sel_hi:[1,0,1]
	s_nop 0
	v_mov_b32_e32 v7, v5
	s_waitcnt vmcnt(1) lgkmcnt(1)
	v_pk_mul_f32 v[4:5], v[12:13], v[52:53] op_sel:[1,1] op_sel_hi:[0,1]
	v_pk_add_f32 v[2:3], v[2:3], v[6:7]
	v_pk_fma_f32 v[6:7], v[12:13], v[52:53], v[4:5] neg_lo:[0,0,1] neg_hi:[0,0,1]
	v_pk_fma_f32 v[4:5], v[12:13], v[52:53], v[4:5] op_sel_hi:[1,0,1]
	s_nop 0
	v_mov_b32_e32 v4, v55
	v_mov_b32_e32 v7, v5
	v_pk_mul_f32 v[4:5], v[14:15], v[4:5] op_sel:[1,0] op_sel_hi:[0,0]
	v_pk_add_f32 v[2:3], v[2:3], v[6:7]
	v_pk_fma_f32 v[6:7], v[14:15], v[54:55], v[4:5] neg_lo:[0,0,1] neg_hi:[0,0,1]
	v_pk_fma_f32 v[4:5], v[14:15], v[54:55], v[4:5] op_sel_hi:[1,0,1]
	s_nop 0
	v_mov_b32_e32 v7, v5
	s_waitcnt vmcnt(0) lgkmcnt(0)
	v_pk_mul_f32 v[4:5], v[16:17], v[56:57] op_sel:[1,1] op_sel_hi:[0,1]
	v_pk_add_f32 v[2:3], v[2:3], v[6:7]
	v_pk_fma_f32 v[6:7], v[16:17], v[56:57], v[4:5] neg_lo:[0,0,1] neg_hi:[0,0,1]
	v_pk_fma_f32 v[4:5], v[16:17], v[56:57], v[4:5] op_sel_hi:[1,0,1]
	s_nop 0
	v_mov_b32_e32 v4, v59
	v_mov_b32_e32 v7, v5
	v_pk_mul_f32 v[4:5], v[18:19], v[4:5] op_sel:[1,0] op_sel_hi:[0,0]
	v_pk_add_f32 v[2:3], v[2:3], v[6:7]
	v_pk_fma_f32 v[6:7], v[18:19], v[58:59], v[4:5] neg_lo:[0,0,1] neg_hi:[0,0,1]
	v_pk_fma_f32 v[4:5], v[18:19], v[58:59], v[4:5] op_sel_hi:[1,0,1]
	s_nop 0
	v_mov_b32_e32 v7, v5
	scratch_load_dwordx2 v[4:5], off, off offset:216
	v_pk_add_f32 v[2:3], v[2:3], v[6:7]
	s_waitcnt vmcnt(0)
	v_pk_add_f32 v[2:3], v[4:5], v[2:3] neg_lo:[0,1] neg_hi:[0,1]
	scratch_store_dwordx2 off, v[2:3], off offset:216
	s_and_saveexec_b64 s[0:1], vcc
	s_cbranch_execz .LBB109_237
; %bb.236:
	scratch_load_dwordx2 v[2:3], off, off offset:208
	v_mov_b32_e32 v4, 0
	v_mov_b32_e32 v5, v4
	scratch_store_dwordx2 off, v[4:5], off offset:208
	s_waitcnt vmcnt(1)
	ds_write_b64 v1, v[2:3]
.LBB109_237:
	s_or_b64 exec, exec, s[0:1]
	s_waitcnt lgkmcnt(0)
	; wave barrier
	scratch_load_dwordx4 v[8:11], off, off offset:216
	scratch_load_dwordx4 v[16:19], off, off offset:232
	scratch_load_dwordx4 v[24:27], off, off offset:248
	scratch_load_dwordx4 v[32:35], off, off offset:264
	scratch_load_dwordx4 v[40:43], off, off offset:280
	scratch_load_dwordx4 v[48:51], off, off offset:296
	v_mov_b32_e32 v2, 0
	ds_read2_b64 v[4:7], v2 offset0:73 offset1:74
	v_cmp_lt_u32_e32 vcc, 25, v0
	s_waitcnt vmcnt(5) lgkmcnt(0)
	v_mul_f32_e32 v3, v4, v9
	v_fmac_f32_e32 v3, v5, v8
	v_mul_f32_e32 v12, v6, v11
	v_add_f32_e32 v3, 0, v3
	v_fmac_f32_e32 v12, v7, v10
	v_add_f32_e32 v3, v3, v12
	ds_read2_b64 v[12:15], v2 offset0:75 offset1:76
	s_waitcnt vmcnt(4) lgkmcnt(0)
	v_mul_f32_e32 v20, v12, v17
	v_fmac_f32_e32 v20, v13, v16
	v_add_f32_e32 v3, v3, v20
	v_mul_f32_e32 v20, v14, v19
	v_fmac_f32_e32 v20, v15, v18
	v_add_f32_e32 v3, v3, v20
	ds_read2_b64 v[20:23], v2 offset0:77 offset1:78
	s_waitcnt vmcnt(3) lgkmcnt(0)
	v_mul_f32_e32 v28, v20, v25
	v_fmac_f32_e32 v28, v21, v24
	v_add_f32_e32 v3, v3, v28
	v_mul_f32_e32 v28, v22, v27
	;; [unrolled: 8-line block ×3, first 2 shown]
	v_fmac_f32_e32 v36, v31, v34
	v_add_f32_e32 v3, v3, v36
	ds_read2_b64 v[36:39], v2 offset0:81 offset1:82
	s_waitcnt vmcnt(1) lgkmcnt(0)
	v_mul_f32_e32 v44, v36, v41
	v_fmac_f32_e32 v44, v37, v40
	v_add_f32_e32 v65, v3, v44
	ds_read2_b64 v[44:47], v2 offset0:83 offset1:84
	scratch_load_dwordx4 v[52:55], off, off offset:312
	scratch_load_dwordx4 v[56:59], off, off offset:328
	scratch_load_dwordx4 v[60:63], off, off offset:344
	scratch_load_dwordx2 v[70:71], off, off offset:360
	v_mul_f32_e32 v3, v5, v9
	v_fma_f32 v3, v4, v8, -v3
	v_mul_f32_e32 v4, v7, v11
	v_add_f32_e32 v3, 0, v3
	v_fma_f32 v4, v6, v10, -v4
	v_add_f32_e32 v3, v3, v4
	v_mul_f32_e32 v4, v13, v17
	v_fma_f32 v4, v12, v16, -v4
	v_add_f32_e32 v3, v3, v4
	v_mul_f32_e32 v4, v15, v19
	;; [unrolled: 3-line block ×7, first 2 shown]
	v_fma_f32 v4, v36, v40, -v4
	v_mul_f32_e32 v67, v38, v43
	v_add_f32_e32 v64, v3, v4
	v_mul_f32_e32 v3, v39, v43
	s_waitcnt vmcnt(4)
	v_mov_b32_e32 v20, v51
	v_fmac_f32_e32 v67, v39, v42
	s_waitcnt lgkmcnt(0)
	v_mul_f32_e32 v69, v44, v49
	v_fma_f32 v66, v38, v42, -v3
	v_mul_f32_e32 v3, v45, v49
	ds_read2_b64 v[4:7], v2 offset0:85 offset1:86
	ds_read2_b64 v[8:11], v2 offset0:87 offset1:88
	;; [unrolled: 1-line block ×3, first 2 shown]
	ds_read_b64 v[16:17], v2 offset:728
	v_pk_mul_f32 v[20:21], v[46:47], v[20:21] op_sel:[1,0] op_sel_hi:[0,0]
	v_fmac_f32_e32 v69, v45, v48
	v_fma_f32 v68, v44, v48, -v3
	v_pk_add_f32 v[18:19], v[64:65], v[66:67]
	v_pk_fma_f32 v[22:23], v[46:47], v[50:51], v[20:21] neg_lo:[0,0,1] neg_hi:[0,0,1]
	v_pk_fma_f32 v[20:21], v[46:47], v[50:51], v[20:21] op_sel_hi:[1,0,1]
	v_pk_add_f32 v[18:19], v[18:19], v[68:69]
	v_mov_b32_e32 v23, v21
	v_pk_add_f32 v[18:19], v[18:19], v[22:23]
	s_waitcnt vmcnt(3) lgkmcnt(3)
	v_pk_mul_f32 v[20:21], v[4:5], v[52:53] op_sel:[1,1] op_sel_hi:[0,1]
	v_pk_fma_f32 v[22:23], v[4:5], v[52:53], v[20:21] neg_lo:[0,0,1] neg_hi:[0,0,1]
	v_pk_fma_f32 v[4:5], v[4:5], v[52:53], v[20:21] op_sel_hi:[1,0,1]
	s_nop 0
	v_mov_b32_e32 v23, v5
	v_pk_add_f32 v[4:5], v[18:19], v[22:23]
	v_mov_b32_e32 v18, v55
	v_pk_mul_f32 v[18:19], v[6:7], v[18:19] op_sel:[1,0] op_sel_hi:[0,0]
	v_pk_fma_f32 v[20:21], v[6:7], v[54:55], v[18:19] neg_lo:[0,0,1] neg_hi:[0,0,1]
	v_pk_fma_f32 v[6:7], v[6:7], v[54:55], v[18:19] op_sel_hi:[1,0,1]
	s_nop 0
	v_mov_b32_e32 v21, v7
	s_waitcnt vmcnt(2) lgkmcnt(2)
	v_pk_mul_f32 v[6:7], v[8:9], v[56:57] op_sel:[1,1] op_sel_hi:[0,1]
	v_pk_fma_f32 v[18:19], v[8:9], v[56:57], v[6:7] neg_lo:[0,0,1] neg_hi:[0,0,1]
	v_pk_fma_f32 v[6:7], v[8:9], v[56:57], v[6:7] op_sel_hi:[1,0,1]
	v_pk_add_f32 v[4:5], v[4:5], v[20:21]
	v_mov_b32_e32 v6, v59
	v_mov_b32_e32 v19, v7
	v_pk_mul_f32 v[6:7], v[10:11], v[6:7] op_sel:[1,0] op_sel_hi:[0,0]
	v_pk_fma_f32 v[8:9], v[10:11], v[58:59], v[6:7] neg_lo:[0,0,1] neg_hi:[0,0,1]
	v_pk_fma_f32 v[6:7], v[10:11], v[58:59], v[6:7] op_sel_hi:[1,0,1]
	v_pk_add_f32 v[4:5], v[4:5], v[18:19]
	v_mov_b32_e32 v9, v7
	s_waitcnt vmcnt(1) lgkmcnt(1)
	v_pk_mul_f32 v[6:7], v[12:13], v[60:61] op_sel:[1,1] op_sel_hi:[0,1]
	v_pk_add_f32 v[4:5], v[4:5], v[8:9]
	v_pk_fma_f32 v[8:9], v[12:13], v[60:61], v[6:7] neg_lo:[0,0,1] neg_hi:[0,0,1]
	v_pk_fma_f32 v[6:7], v[12:13], v[60:61], v[6:7] op_sel_hi:[1,0,1]
	s_nop 0
	v_mov_b32_e32 v6, v63
	v_mov_b32_e32 v9, v7
	v_pk_mul_f32 v[6:7], v[14:15], v[6:7] op_sel:[1,0] op_sel_hi:[0,0]
	v_pk_add_f32 v[4:5], v[4:5], v[8:9]
	v_pk_fma_f32 v[8:9], v[14:15], v[62:63], v[6:7] neg_lo:[0,0,1] neg_hi:[0,0,1]
	v_pk_fma_f32 v[6:7], v[14:15], v[62:63], v[6:7] op_sel_hi:[1,0,1]
	s_nop 0
	v_mov_b32_e32 v9, v7
	s_waitcnt vmcnt(0) lgkmcnt(0)
	v_pk_mul_f32 v[6:7], v[16:17], v[70:71] op_sel:[1,1] op_sel_hi:[0,1]
	v_pk_add_f32 v[4:5], v[4:5], v[8:9]
	v_pk_fma_f32 v[8:9], v[16:17], v[70:71], v[6:7] neg_lo:[0,0,1] neg_hi:[0,0,1]
	v_pk_fma_f32 v[6:7], v[16:17], v[70:71], v[6:7] op_sel_hi:[1,0,1]
	s_nop 0
	v_mov_b32_e32 v9, v7
	scratch_load_dwordx2 v[6:7], off, off offset:208
	v_pk_add_f32 v[4:5], v[4:5], v[8:9]
	s_waitcnt vmcnt(0)
	v_pk_add_f32 v[4:5], v[6:7], v[4:5] neg_lo:[0,1] neg_hi:[0,1]
	scratch_store_dwordx2 off, v[4:5], off offset:208
	s_and_saveexec_b64 s[0:1], vcc
	s_cbranch_execz .LBB109_239
; %bb.238:
	scratch_load_dwordx2 v[4:5], off, off offset:200
	v_mov_b32_e32 v3, v2
	scratch_store_dwordx2 off, v[2:3], off offset:200
	s_waitcnt vmcnt(1)
	ds_write_b64 v1, v[4:5]
.LBB109_239:
	s_or_b64 exec, exec, s[0:1]
	s_waitcnt lgkmcnt(0)
	; wave barrier
	ds_read_b128 v[4:7], v2 offset:576
	ds_read_b128 v[8:11], v2 offset:592
	;; [unrolled: 1-line block ×4, first 2 shown]
	scratch_load_dwordx4 v[20:23], off, off offset:208
	scratch_load_dwordx4 v[40:43], off, off offset:272
	v_cmp_lt_u32_e32 vcc, 24, v0
	scratch_load_dwordx4 v[48:51], off, off offset:288
	s_waitcnt vmcnt(2) lgkmcnt(3)
	v_mul_f32_e32 v3, v4, v21
	v_fmac_f32_e32 v3, v5, v20
	v_mul_f32_e32 v24, v6, v23
	v_add_f32_e32 v3, 0, v3
	v_fmac_f32_e32 v24, v7, v22
	v_add_f32_e32 v3, v3, v24
	scratch_load_dwordx4 v[24:27], off, off offset:224
	s_waitcnt vmcnt(0) lgkmcnt(2)
	v_mul_f32_e32 v28, v8, v25
	v_fmac_f32_e32 v28, v9, v24
	v_add_f32_e32 v3, v3, v28
	v_mul_f32_e32 v28, v10, v27
	v_fmac_f32_e32 v28, v11, v26
	v_add_f32_e32 v3, v3, v28
	scratch_load_dwordx4 v[28:31], off, off offset:240
	s_waitcnt vmcnt(0) lgkmcnt(1)
	v_mul_f32_e32 v32, v12, v29
	v_fmac_f32_e32 v32, v13, v28
	v_add_f32_e32 v3, v3, v32
	v_mul_f32_e32 v32, v14, v31
	;; [unrolled: 8-line block ×3, first 2 shown]
	v_fmac_f32_e32 v36, v19, v34
	v_add_f32_e32 v3, v3, v36
	ds_read_b128 v[36:39], v2 offset:640
	s_waitcnt lgkmcnt(0)
	v_mul_f32_e32 v44, v36, v41
	v_fmac_f32_e32 v44, v37, v40
	v_add_f32_e32 v3, v3, v44
	v_mul_f32_e32 v44, v38, v43
	v_fmac_f32_e32 v44, v39, v42
	v_add_f32_e32 v69, v3, v44
	ds_read_b128 v[44:47], v2 offset:656
	scratch_load_dwordx4 v[52:55], off, off offset:304
	scratch_load_dwordx4 v[56:59], off, off offset:320
	;; [unrolled: 1-line block ×4, first 2 shown]
	v_mul_f32_e32 v3, v5, v21
	v_fma_f32 v3, v4, v20, -v3
	v_mul_f32_e32 v4, v7, v23
	v_add_f32_e32 v3, 0, v3
	v_fma_f32 v4, v6, v22, -v4
	v_add_f32_e32 v3, v3, v4
	v_mul_f32_e32 v4, v9, v25
	v_fma_f32 v4, v8, v24, -v4
	v_add_f32_e32 v3, v3, v4
	v_mul_f32_e32 v4, v11, v27
	;; [unrolled: 3-line block ×8, first 2 shown]
	v_fma_f32 v4, v38, v42, -v4
	v_add_f32_e32 v68, v3, v4
	ds_read_b128 v[4:7], v2 offset:672
	ds_read_b128 v[8:11], v2 offset:688
	ds_read_b128 v[12:15], v2 offset:704
	ds_read_b128 v[16:19], v2 offset:720
	s_waitcnt lgkmcnt(4)
	v_mul_f32_e32 v71, v44, v49
	v_mul_f32_e32 v3, v45, v49
	v_fmac_f32_e32 v71, v45, v48
	v_mul_f32_e32 v73, v46, v51
	v_fma_f32 v70, v44, v48, -v3
	v_mul_f32_e32 v3, v47, v51
	v_fmac_f32_e32 v73, v47, v50
	v_fma_f32 v72, v46, v50, -v3
	v_pk_add_f32 v[2:3], v[68:69], v[70:71]
	s_waitcnt vmcnt(3) lgkmcnt(3)
	v_pk_mul_f32 v[20:21], v[4:5], v[52:53] op_sel:[1,1] op_sel_hi:[0,1]
	v_pk_fma_f32 v[22:23], v[4:5], v[52:53], v[20:21] neg_lo:[0,0,1] neg_hi:[0,0,1]
	v_pk_fma_f32 v[4:5], v[4:5], v[52:53], v[20:21] op_sel_hi:[1,0,1]
	v_pk_add_f32 v[2:3], v[2:3], v[72:73]
	v_mov_b32_e32 v4, v55
	v_mov_b32_e32 v23, v5
	v_pk_mul_f32 v[4:5], v[6:7], v[4:5] op_sel:[1,0] op_sel_hi:[0,0]
	v_pk_fma_f32 v[20:21], v[6:7], v[54:55], v[4:5] neg_lo:[0,0,1] neg_hi:[0,0,1]
	v_pk_fma_f32 v[4:5], v[6:7], v[54:55], v[4:5] op_sel_hi:[1,0,1]
	v_pk_add_f32 v[2:3], v[2:3], v[22:23]
	v_mov_b32_e32 v21, v5
	s_waitcnt vmcnt(2) lgkmcnt(2)
	v_pk_mul_f32 v[4:5], v[8:9], v[56:57] op_sel:[1,1] op_sel_hi:[0,1]
	v_pk_fma_f32 v[6:7], v[8:9], v[56:57], v[4:5] neg_lo:[0,0,1] neg_hi:[0,0,1]
	v_pk_fma_f32 v[4:5], v[8:9], v[56:57], v[4:5] op_sel_hi:[1,0,1]
	v_pk_add_f32 v[2:3], v[2:3], v[20:21]
	v_mov_b32_e32 v4, v59
	v_mov_b32_e32 v7, v5
	v_pk_mul_f32 v[4:5], v[10:11], v[4:5] op_sel:[1,0] op_sel_hi:[0,0]
	v_pk_add_f32 v[2:3], v[2:3], v[6:7]
	v_pk_fma_f32 v[6:7], v[10:11], v[58:59], v[4:5] neg_lo:[0,0,1] neg_hi:[0,0,1]
	v_pk_fma_f32 v[4:5], v[10:11], v[58:59], v[4:5] op_sel_hi:[1,0,1]
	s_nop 0
	v_mov_b32_e32 v7, v5
	s_waitcnt vmcnt(1) lgkmcnt(1)
	v_pk_mul_f32 v[4:5], v[12:13], v[60:61] op_sel:[1,1] op_sel_hi:[0,1]
	v_pk_add_f32 v[2:3], v[2:3], v[6:7]
	v_pk_fma_f32 v[6:7], v[12:13], v[60:61], v[4:5] neg_lo:[0,0,1] neg_hi:[0,0,1]
	v_pk_fma_f32 v[4:5], v[12:13], v[60:61], v[4:5] op_sel_hi:[1,0,1]
	s_nop 0
	v_mov_b32_e32 v4, v63
	v_mov_b32_e32 v7, v5
	v_pk_mul_f32 v[4:5], v[14:15], v[4:5] op_sel:[1,0] op_sel_hi:[0,0]
	v_pk_add_f32 v[2:3], v[2:3], v[6:7]
	v_pk_fma_f32 v[6:7], v[14:15], v[62:63], v[4:5] neg_lo:[0,0,1] neg_hi:[0,0,1]
	v_pk_fma_f32 v[4:5], v[14:15], v[62:63], v[4:5] op_sel_hi:[1,0,1]
	s_nop 0
	v_mov_b32_e32 v7, v5
	s_waitcnt vmcnt(0) lgkmcnt(0)
	v_pk_mul_f32 v[4:5], v[16:17], v[64:65] op_sel:[1,1] op_sel_hi:[0,1]
	v_pk_add_f32 v[2:3], v[2:3], v[6:7]
	v_pk_fma_f32 v[6:7], v[16:17], v[64:65], v[4:5] neg_lo:[0,0,1] neg_hi:[0,0,1]
	v_pk_fma_f32 v[4:5], v[16:17], v[64:65], v[4:5] op_sel_hi:[1,0,1]
	s_nop 0
	v_mov_b32_e32 v4, v67
	v_mov_b32_e32 v7, v5
	v_pk_mul_f32 v[4:5], v[18:19], v[4:5] op_sel:[1,0] op_sel_hi:[0,0]
	v_pk_add_f32 v[2:3], v[2:3], v[6:7]
	v_pk_fma_f32 v[6:7], v[18:19], v[66:67], v[4:5] neg_lo:[0,0,1] neg_hi:[0,0,1]
	v_pk_fma_f32 v[4:5], v[18:19], v[66:67], v[4:5] op_sel_hi:[1,0,1]
	s_nop 0
	v_mov_b32_e32 v7, v5
	scratch_load_dwordx2 v[4:5], off, off offset:200
	v_pk_add_f32 v[2:3], v[2:3], v[6:7]
	s_waitcnt vmcnt(0)
	v_pk_add_f32 v[2:3], v[4:5], v[2:3] neg_lo:[0,1] neg_hi:[0,1]
	scratch_store_dwordx2 off, v[2:3], off offset:200
	s_and_saveexec_b64 s[0:1], vcc
	s_cbranch_execz .LBB109_241
; %bb.240:
	scratch_load_dwordx2 v[2:3], off, off offset:192
	v_mov_b32_e32 v4, 0
	v_mov_b32_e32 v5, v4
	scratch_store_dwordx2 off, v[4:5], off offset:192
	s_waitcnt vmcnt(1)
	ds_write_b64 v1, v[2:3]
.LBB109_241:
	s_or_b64 exec, exec, s[0:1]
	s_waitcnt lgkmcnt(0)
	; wave barrier
	scratch_load_dwordx4 v[2:5], off, off offset:200
	scratch_load_dwordx4 v[8:11], off, off offset:216
	;; [unrolled: 1-line block ×10, first 2 shown]
	scratch_load_dwordx2 v[76:77], off, off offset:360
	scratch_load_dwordx2 v[78:79], off, off offset:192
	v_mov_b32_e32 v6, 0
	ds_read2_b64 v[44:47], v6 offset0:71 offset1:72
	ds_read2_b64 v[48:51], v6 offset0:73 offset1:74
	;; [unrolled: 1-line block ×8, first 2 shown]
	v_cmp_lt_u32_e32 vcc, 23, v0
	s_waitcnt vmcnt(11) lgkmcnt(7)
	v_mul_f32_e32 v7, v44, v3
	v_mul_f32_e32 v3, v45, v3
	;; [unrolled: 1-line block ×4, first 2 shown]
	v_fmac_f32_e32 v7, v45, v2
	v_fma_f32 v2, v44, v2, -v3
	s_waitcnt vmcnt(10) lgkmcnt(6)
	v_mul_f32_e32 v82, v48, v9
	v_mul_f32_e32 v9, v49, v9
	v_fma_f32 v3, v46, v4, -v5
	v_add_f32_e32 v2, 0, v2
	v_mul_f32_e32 v84, v50, v11
	v_mul_f32_e32 v11, v51, v11
	v_fmac_f32_e32 v80, v47, v4
	v_fma_f32 v4, v48, v8, -v9
	v_add_f32_e32 v7, 0, v7
	v_add_f32_e32 v2, v2, v3
	s_waitcnt vmcnt(9) lgkmcnt(5)
	v_mul_f32_e32 v85, v52, v13
	v_mul_f32_e32 v13, v53, v13
	v_fmac_f32_e32 v82, v49, v8
	v_fma_f32 v5, v50, v10, -v11
	v_add_f32_e32 v7, v7, v80
	v_add_f32_e32 v2, v2, v4
	v_mul_f32_e32 v86, v54, v15
	v_mul_f32_e32 v15, v55, v15
	v_fmac_f32_e32 v84, v51, v10
	v_fma_f32 v8, v52, v12, -v13
	v_add_f32_e32 v3, v7, v82
	v_add_f32_e32 v2, v2, v5
	s_waitcnt vmcnt(8) lgkmcnt(4)
	v_mul_f32_e32 v87, v56, v17
	v_mul_f32_e32 v17, v57, v17
	v_fmac_f32_e32 v85, v53, v12
	v_fma_f32 v9, v54, v14, -v15
	v_add_f32_e32 v3, v3, v84
	;; [unrolled: 13-line block ×4, first 2 shown]
	v_add_f32_e32 v2, v2, v12
	v_fmac_f32_e32 v90, v63, v22
	v_fma_f32 v14, v64, v24, -v25
	v_add_f32_e32 v3, v3, v89
	v_add_f32_e32 v2, v2, v13
	v_mul_f32_e32 v81, v66, v27
	v_fmac_f32_e32 v91, v65, v24
	v_add_f32_e32 v3, v3, v90
	v_add_f32_e32 v12, v2, v14
	v_mul_f32_e32 v2, v67, v27
	s_waitcnt vmcnt(5)
	v_mov_b32_e32 v16, v31
	s_waitcnt lgkmcnt(1)
	v_mul_f32_e32 v83, v68, v29
	v_fmac_f32_e32 v81, v67, v26
	v_add_f32_e32 v13, v3, v91
	v_fma_f32 v80, v66, v26, -v2
	v_mul_f32_e32 v2, v69, v29
	v_pk_mul_f32 v[16:17], v[70:71], v[16:17] op_sel:[1,0] op_sel_hi:[0,0]
	v_fmac_f32_e32 v83, v69, v28
	v_fma_f32 v82, v68, v28, -v2
	v_pk_add_f32 v[12:13], v[12:13], v[80:81]
	v_pk_fma_f32 v[18:19], v[70:71], v[30:31], v[16:17] neg_lo:[0,0,1] neg_hi:[0,0,1]
	v_pk_fma_f32 v[16:17], v[70:71], v[30:31], v[16:17] op_sel_hi:[1,0,1]
	v_pk_add_f32 v[12:13], v[12:13], v[82:83]
	v_mov_b32_e32 v19, v17
	s_waitcnt vmcnt(4) lgkmcnt(0)
	v_pk_mul_f32 v[16:17], v[72:73], v[32:33] op_sel:[1,1] op_sel_hi:[0,1]
	v_pk_add_f32 v[12:13], v[12:13], v[18:19]
	v_pk_fma_f32 v[18:19], v[72:73], v[32:33], v[16:17] neg_lo:[0,0,1] neg_hi:[0,0,1]
	v_pk_fma_f32 v[16:17], v[72:73], v[32:33], v[16:17] op_sel_hi:[1,0,1]
	ds_read2_b64 v[2:5], v6 offset0:87 offset1:88
	ds_read2_b64 v[8:11], v6 offset0:89 offset1:90
	ds_read_b64 v[14:15], v6 offset:728
	v_mov_b32_e32 v16, v35
	v_mov_b32_e32 v19, v17
	v_pk_mul_f32 v[16:17], v[74:75], v[16:17] op_sel:[1,0] op_sel_hi:[0,0]
	v_pk_add_f32 v[12:13], v[12:13], v[18:19]
	v_pk_fma_f32 v[18:19], v[74:75], v[34:35], v[16:17] neg_lo:[0,0,1] neg_hi:[0,0,1]
	v_pk_fma_f32 v[16:17], v[74:75], v[34:35], v[16:17] op_sel_hi:[1,0,1]
	s_nop 0
	v_mov_b32_e32 v19, v17
	s_waitcnt vmcnt(3) lgkmcnt(2)
	v_pk_mul_f32 v[16:17], v[2:3], v[36:37] op_sel:[1,1] op_sel_hi:[0,1]
	v_pk_add_f32 v[12:13], v[12:13], v[18:19]
	v_pk_fma_f32 v[18:19], v[2:3], v[36:37], v[16:17] neg_lo:[0,0,1] neg_hi:[0,0,1]
	v_pk_fma_f32 v[2:3], v[2:3], v[36:37], v[16:17] op_sel_hi:[1,0,1]
	s_nop 0
	v_mov_b32_e32 v19, v3
	v_pk_add_f32 v[2:3], v[12:13], v[18:19]
	v_mov_b32_e32 v12, v39
	v_pk_mul_f32 v[12:13], v[4:5], v[12:13] op_sel:[1,0] op_sel_hi:[0,0]
	v_pk_fma_f32 v[16:17], v[4:5], v[38:39], v[12:13] neg_lo:[0,0,1] neg_hi:[0,0,1]
	v_pk_fma_f32 v[4:5], v[4:5], v[38:39], v[12:13] op_sel_hi:[1,0,1]
	s_nop 0
	v_mov_b32_e32 v17, v5
	s_waitcnt vmcnt(2) lgkmcnt(1)
	v_pk_mul_f32 v[4:5], v[8:9], v[40:41] op_sel:[1,1] op_sel_hi:[0,1]
	v_pk_fma_f32 v[12:13], v[8:9], v[40:41], v[4:5] neg_lo:[0,0,1] neg_hi:[0,0,1]
	v_pk_fma_f32 v[4:5], v[8:9], v[40:41], v[4:5] op_sel_hi:[1,0,1]
	v_pk_add_f32 v[2:3], v[2:3], v[16:17]
	v_mov_b32_e32 v4, v43
	v_mov_b32_e32 v13, v5
	v_pk_mul_f32 v[4:5], v[10:11], v[4:5] op_sel:[1,0] op_sel_hi:[0,0]
	v_pk_fma_f32 v[8:9], v[10:11], v[42:43], v[4:5] neg_lo:[0,0,1] neg_hi:[0,0,1]
	v_pk_fma_f32 v[4:5], v[10:11], v[42:43], v[4:5] op_sel_hi:[1,0,1]
	v_pk_add_f32 v[2:3], v[2:3], v[12:13]
	v_mov_b32_e32 v9, v5
	s_waitcnt vmcnt(1) lgkmcnt(0)
	v_pk_mul_f32 v[4:5], v[14:15], v[76:77] op_sel:[1,1] op_sel_hi:[0,1]
	v_pk_add_f32 v[2:3], v[2:3], v[8:9]
	v_pk_fma_f32 v[8:9], v[14:15], v[76:77], v[4:5] neg_lo:[0,0,1] neg_hi:[0,0,1]
	v_pk_fma_f32 v[4:5], v[14:15], v[76:77], v[4:5] op_sel_hi:[1,0,1]
	s_nop 0
	v_mov_b32_e32 v9, v5
	v_pk_add_f32 v[2:3], v[2:3], v[8:9]
	s_waitcnt vmcnt(0)
	v_pk_add_f32 v[2:3], v[78:79], v[2:3] neg_lo:[0,1] neg_hi:[0,1]
	scratch_store_dwordx2 off, v[2:3], off offset:192
	s_and_saveexec_b64 s[0:1], vcc
	s_cbranch_execz .LBB109_243
; %bb.242:
	scratch_load_dwordx2 v[2:3], off, off offset:184
	v_mov_b32_e32 v7, v6
	scratch_store_dwordx2 off, v[6:7], off offset:184
	s_waitcnt vmcnt(1)
	ds_write_b64 v1, v[2:3]
.LBB109_243:
	s_or_b64 exec, exec, s[0:1]
	s_waitcnt lgkmcnt(0)
	; wave barrier
	scratch_load_dwordx4 v[8:11], off, off offset:192
	scratch_load_dwordx4 v[12:15], off, off offset:208
	;; [unrolled: 1-line block ×7, first 2 shown]
	ds_read_b128 v[36:39], v6 offset:560
	ds_read_b128 v[40:43], v6 offset:576
	;; [unrolled: 1-line block ×6, first 2 shown]
	scratch_load_dwordx4 v[60:63], off, off offset:304
	scratch_load_dwordx4 v[64:67], off, off offset:320
	;; [unrolled: 1-line block ×4, first 2 shown]
	ds_read_b128 v[72:75], v6 offset:656
	ds_read_b128 v[76:79], v6 offset:672
	scratch_load_dwordx2 v[80:81], off, off offset:184
	v_cmp_lt_u32_e32 vcc, 22, v0
	s_waitcnt vmcnt(11) lgkmcnt(7)
	v_mul_f32_e32 v7, v36, v9
	v_mul_f32_e32 v82, v38, v11
	;; [unrolled: 1-line block ×3, first 2 shown]
	v_fmac_f32_e32 v7, v37, v8
	s_waitcnt vmcnt(10) lgkmcnt(6)
	v_mul_f32_e32 v84, v40, v13
	v_mul_f32_e32 v11, v39, v11
	v_fmac_f32_e32 v82, v39, v10
	v_fma_f32 v8, v36, v8, -v9
	v_add_f32_e32 v7, 0, v7
	v_mul_f32_e32 v86, v42, v15
	v_mul_f32_e32 v13, v41, v13
	v_fmac_f32_e32 v84, v41, v12
	v_fma_f32 v9, v38, v10, -v11
	v_add_f32_e32 v8, 0, v8
	v_add_f32_e32 v7, v7, v82
	s_waitcnt vmcnt(9) lgkmcnt(5)
	v_mul_f32_e32 v87, v44, v17
	v_mul_f32_e32 v15, v43, v15
	v_fmac_f32_e32 v86, v43, v14
	v_fma_f32 v10, v40, v12, -v13
	v_add_f32_e32 v8, v8, v9
	v_add_f32_e32 v7, v7, v84
	v_mul_f32_e32 v88, v46, v19
	v_mul_f32_e32 v17, v45, v17
	v_fmac_f32_e32 v87, v45, v16
	v_fma_f32 v11, v42, v14, -v15
	v_add_f32_e32 v8, v8, v10
	v_add_f32_e32 v7, v7, v86
	s_waitcnt vmcnt(8) lgkmcnt(4)
	v_mul_f32_e32 v89, v48, v21
	v_mul_f32_e32 v19, v47, v19
	v_fmac_f32_e32 v88, v47, v18
	v_fma_f32 v12, v44, v16, -v17
	v_add_f32_e32 v8, v8, v11
	;; [unrolled: 13-line block ×4, first 2 shown]
	v_add_f32_e32 v7, v7, v91
	v_mul_f32_e32 v94, v58, v31
	v_mul_f32_e32 v29, v57, v29
	v_fmac_f32_e32 v93, v57, v28
	v_fma_f32 v17, v54, v26, -v27
	v_add_f32_e32 v8, v8, v16
	v_add_f32_e32 v7, v7, v92
	v_fmac_f32_e32 v94, v59, v30
	v_fma_f32 v18, v56, v28, -v29
	v_add_f32_e32 v8, v8, v17
	v_add_f32_e32 v7, v7, v93
	;; [unrolled: 1-line block ×4, first 2 shown]
	v_mul_f32_e32 v8, v59, v31
	v_fma_f32 v8, v58, v30, -v8
	s_waitcnt vmcnt(5) lgkmcnt(1)
	v_mul_f32_e32 v83, v72, v33
	v_add_f32_e32 v20, v7, v8
	v_mul_f32_e32 v7, v73, v33
	v_fmac_f32_e32 v83, v73, v32
	v_fma_f32 v82, v72, v32, -v7
	v_mul_f32_e32 v7, v75, v35
	v_fma_f32 v84, v74, v34, -v7
	ds_read_b128 v[8:11], v6 offset:688
	ds_read_b128 v[12:15], v6 offset:704
	;; [unrolled: 1-line block ×3, first 2 shown]
	v_pk_add_f32 v[6:7], v[20:21], v[82:83]
	s_waitcnt vmcnt(4) lgkmcnt(3)
	v_pk_mul_f32 v[20:21], v[76:77], v[60:61] op_sel:[1,1] op_sel_hi:[0,1]
	v_mul_f32_e32 v85, v74, v35
	v_pk_fma_f32 v[22:23], v[76:77], v[60:61], v[20:21] neg_lo:[0,0,1] neg_hi:[0,0,1]
	v_pk_fma_f32 v[20:21], v[76:77], v[60:61], v[20:21] op_sel_hi:[1,0,1]
	v_fmac_f32_e32 v85, v75, v34
	v_mov_b32_e32 v20, v63
	v_pk_add_f32 v[6:7], v[6:7], v[84:85]
	v_mov_b32_e32 v23, v21
	v_pk_mul_f32 v[20:21], v[78:79], v[20:21] op_sel:[1,0] op_sel_hi:[0,0]
	v_pk_add_f32 v[6:7], v[6:7], v[22:23]
	v_pk_fma_f32 v[22:23], v[78:79], v[62:63], v[20:21] neg_lo:[0,0,1] neg_hi:[0,0,1]
	v_pk_fma_f32 v[20:21], v[78:79], v[62:63], v[20:21] op_sel_hi:[1,0,1]
	s_nop 0
	v_mov_b32_e32 v23, v21
	s_waitcnt vmcnt(3) lgkmcnt(2)
	v_pk_mul_f32 v[20:21], v[8:9], v[64:65] op_sel:[1,1] op_sel_hi:[0,1]
	v_pk_add_f32 v[6:7], v[6:7], v[22:23]
	v_pk_fma_f32 v[22:23], v[8:9], v[64:65], v[20:21] neg_lo:[0,0,1] neg_hi:[0,0,1]
	v_pk_fma_f32 v[8:9], v[8:9], v[64:65], v[20:21] op_sel_hi:[1,0,1]
	s_nop 0
	v_mov_b32_e32 v8, v67
	v_mov_b32_e32 v23, v9
	v_pk_mul_f32 v[8:9], v[10:11], v[8:9] op_sel:[1,0] op_sel_hi:[0,0]
	v_pk_fma_f32 v[20:21], v[10:11], v[66:67], v[8:9] neg_lo:[0,0,1] neg_hi:[0,0,1]
	v_pk_fma_f32 v[8:9], v[10:11], v[66:67], v[8:9] op_sel_hi:[1,0,1]
	v_pk_add_f32 v[6:7], v[6:7], v[22:23]
	v_mov_b32_e32 v21, v9
	s_waitcnt vmcnt(2) lgkmcnt(1)
	v_pk_mul_f32 v[8:9], v[12:13], v[68:69] op_sel:[1,1] op_sel_hi:[0,1]
	v_pk_fma_f32 v[10:11], v[12:13], v[68:69], v[8:9] neg_lo:[0,0,1] neg_hi:[0,0,1]
	v_pk_fma_f32 v[8:9], v[12:13], v[68:69], v[8:9] op_sel_hi:[1,0,1]
	v_pk_add_f32 v[6:7], v[6:7], v[20:21]
	v_mov_b32_e32 v8, v71
	v_mov_b32_e32 v11, v9
	v_pk_mul_f32 v[8:9], v[14:15], v[8:9] op_sel:[1,0] op_sel_hi:[0,0]
	v_pk_add_f32 v[6:7], v[6:7], v[10:11]
	v_pk_fma_f32 v[10:11], v[14:15], v[70:71], v[8:9] neg_lo:[0,0,1] neg_hi:[0,0,1]
	v_pk_fma_f32 v[8:9], v[14:15], v[70:71], v[8:9] op_sel_hi:[1,0,1]
	s_nop 0
	v_mov_b32_e32 v11, v9
	s_waitcnt vmcnt(1) lgkmcnt(0)
	v_pk_mul_f32 v[8:9], v[16:17], v[2:3] op_sel:[1,1] op_sel_hi:[0,1]
	v_pk_add_f32 v[6:7], v[6:7], v[10:11]
	v_pk_fma_f32 v[10:11], v[16:17], v[2:3], v[8:9] neg_lo:[0,0,1] neg_hi:[0,0,1]
	v_pk_fma_f32 v[2:3], v[16:17], v[2:3], v[8:9] op_sel_hi:[1,0,1]
	s_nop 0
	v_mov_b32_e32 v11, v3
	v_pk_add_f32 v[2:3], v[6:7], v[10:11]
	v_mov_b32_e32 v6, v5
	v_pk_mul_f32 v[6:7], v[18:19], v[6:7] op_sel:[1,0] op_sel_hi:[0,0]
	v_pk_fma_f32 v[8:9], v[18:19], v[4:5], v[6:7] neg_lo:[0,0,1] neg_hi:[0,0,1]
	v_pk_fma_f32 v[4:5], v[18:19], v[4:5], v[6:7] op_sel_hi:[1,0,1]
	s_nop 0
	v_mov_b32_e32 v9, v5
	v_pk_add_f32 v[2:3], v[2:3], v[8:9]
	s_waitcnt vmcnt(0)
	v_pk_add_f32 v[2:3], v[80:81], v[2:3] neg_lo:[0,1] neg_hi:[0,1]
	scratch_store_dwordx2 off, v[2:3], off offset:184
	s_and_saveexec_b64 s[0:1], vcc
	s_cbranch_execz .LBB109_245
; %bb.244:
	scratch_load_dwordx2 v[2:3], off, off offset:176
	v_mov_b32_e32 v4, 0
	v_mov_b32_e32 v5, v4
	scratch_store_dwordx2 off, v[4:5], off offset:176
	s_waitcnt vmcnt(1)
	ds_write_b64 v1, v[2:3]
.LBB109_245:
	s_or_b64 exec, exec, s[0:1]
	s_waitcnt lgkmcnt(0)
	; wave barrier
	scratch_load_dwordx4 v[2:5], off, off offset:184
	scratch_load_dwordx4 v[14:17], off, off offset:200
	;; [unrolled: 1-line block ×11, first 2 shown]
	scratch_load_dwordx2 v[22:23], off, off offset:360
	scratch_load_dwordx2 v[36:37], off, off offset:176
	v_mov_b32_e32 v38, 0
	ds_read2_b64 v[52:55], v38 offset0:69 offset1:70
	ds_read2_b64 v[56:59], v38 offset0:71 offset1:72
	;; [unrolled: 1-line block ×8, first 2 shown]
	v_cmp_lt_u32_e32 vcc, 21, v0
	s_waitcnt vmcnt(12) lgkmcnt(7)
	v_mul_f32_e32 v39, v52, v3
	v_mul_f32_e32 v84, v54, v5
	;; [unrolled: 1-line block ×3, first 2 shown]
	v_fmac_f32_e32 v39, v53, v2
	s_waitcnt vmcnt(8) lgkmcnt(3)
	v_mul_f32_e32 v93, v68, v19
	v_mul_f32_e32 v19, v69, v19
	;; [unrolled: 1-line block ×4, first 2 shown]
	v_fmac_f32_e32 v84, v55, v4
	v_fmac_f32_e32 v93, v69, v18
	v_fma_f32 v2, v52, v2, -v3
	v_fma_f32 v18, v68, v18, -v19
	v_add_f32_e32 v19, 0, v39
	v_mul_f32_e32 v88, v58, v17
	v_fmac_f32_e32 v86, v57, v14
	v_fma_f32 v3, v54, v4, -v5
	v_add_f32_e32 v2, 0, v2
	v_add_f32_e32 v19, v19, v84
	v_mul_f32_e32 v89, v60, v25
	v_fmac_f32_e32 v88, v59, v16
	v_add_f32_e32 v2, v2, v3
	v_add_f32_e32 v3, v19, v86
	v_mul_f32_e32 v90, v62, v27
	v_fmac_f32_e32 v89, v61, v24
	v_add_f32_e32 v3, v3, v88
	v_mul_f32_e32 v91, v64, v29
	v_mul_f32_e32 v15, v57, v15
	v_fmac_f32_e32 v90, v63, v26
	v_add_f32_e32 v3, v3, v89
	v_mul_f32_e32 v92, v66, v31
	v_mul_f32_e32 v17, v59, v17
	v_fmac_f32_e32 v91, v65, v28
	v_fma_f32 v4, v56, v14, -v15
	v_add_f32_e32 v3, v3, v90
	v_mul_f32_e32 v25, v61, v25
	v_fmac_f32_e32 v92, v67, v30
	v_fma_f32 v5, v58, v16, -v17
	v_add_f32_e32 v2, v2, v4
	v_add_f32_e32 v3, v3, v91
	v_mul_f32_e32 v94, v70, v21
	v_mul_f32_e32 v27, v63, v27
	v_fma_f32 v14, v60, v24, -v25
	v_add_f32_e32 v2, v2, v5
	v_add_f32_e32 v3, v3, v92
	s_waitcnt vmcnt(7) lgkmcnt(2)
	v_mul_f32_e32 v95, v72, v33
	v_mul_f32_e32 v29, v65, v29
	v_fmac_f32_e32 v94, v71, v20
	v_fma_f32 v15, v62, v26, -v27
	v_add_f32_e32 v2, v2, v14
	v_add_f32_e32 v3, v3, v93
	v_mul_f32_e32 v96, v74, v35
	v_mul_f32_e32 v31, v67, v31
	v_fmac_f32_e32 v95, v73, v32
	v_fma_f32 v16, v64, v28, -v29
	v_add_f32_e32 v2, v2, v15
	v_add_f32_e32 v3, v3, v94
	s_waitcnt vmcnt(6) lgkmcnt(1)
	v_mul_f32_e32 v97, v76, v41
	v_fmac_f32_e32 v96, v75, v34
	v_fma_f32 v17, v66, v30, -v31
	v_add_f32_e32 v2, v2, v16
	v_add_f32_e32 v3, v3, v95
	v_mul_f32_e32 v21, v71, v21
	v_fmac_f32_e32 v97, v77, v40
	v_add_f32_e32 v2, v2, v17
	v_add_f32_e32 v3, v3, v96
	v_add_f32_e32 v2, v2, v18
	v_add_f32_e32 v25, v3, v97
	v_fma_f32 v3, v70, v20, -v21
	v_add_f32_e32 v2, v2, v3
	v_mul_f32_e32 v3, v73, v33
	v_fma_f32 v3, v72, v32, -v3
	v_add_f32_e32 v2, v2, v3
	v_mul_f32_e32 v3, v75, v35
	;; [unrolled: 3-line block ×4, first 2 shown]
	v_mul_f32_e32 v85, v78, v43
	v_fma_f32 v84, v78, v42, -v2
	s_waitcnt vmcnt(5) lgkmcnt(0)
	v_mul_f32_e32 v2, v81, v45
	v_mov_b32_e32 v28, v47
	v_mul_f32_e32 v87, v80, v45
	v_fmac_f32_e32 v85, v79, v42
	v_fma_f32 v86, v80, v44, -v2
	ds_read2_b64 v[2:5], v38 offset0:85 offset1:86
	ds_read2_b64 v[14:17], v38 offset0:87 offset1:88
	;; [unrolled: 1-line block ×3, first 2 shown]
	ds_read_b64 v[26:27], v38 offset:728
	v_pk_mul_f32 v[28:29], v[82:83], v[28:29] op_sel:[1,0] op_sel_hi:[0,0]
	v_fmac_f32_e32 v87, v81, v44
	v_pk_add_f32 v[24:25], v[24:25], v[84:85]
	v_pk_fma_f32 v[30:31], v[82:83], v[46:47], v[28:29] neg_lo:[0,0,1] neg_hi:[0,0,1]
	v_pk_fma_f32 v[28:29], v[82:83], v[46:47], v[28:29] op_sel_hi:[1,0,1]
	v_pk_add_f32 v[24:25], v[24:25], v[86:87]
	v_mov_b32_e32 v31, v29
	s_waitcnt vmcnt(4) lgkmcnt(3)
	v_pk_mul_f32 v[28:29], v[2:3], v[48:49] op_sel:[1,1] op_sel_hi:[0,1]
	v_pk_add_f32 v[24:25], v[24:25], v[30:31]
	v_pk_fma_f32 v[30:31], v[2:3], v[48:49], v[28:29] neg_lo:[0,0,1] neg_hi:[0,0,1]
	v_pk_fma_f32 v[2:3], v[2:3], v[48:49], v[28:29] op_sel_hi:[1,0,1]
	s_nop 0
	v_mov_b32_e32 v31, v3
	v_pk_add_f32 v[2:3], v[24:25], v[30:31]
	v_mov_b32_e32 v24, v51
	v_pk_mul_f32 v[24:25], v[4:5], v[24:25] op_sel:[1,0] op_sel_hi:[0,0]
	v_pk_fma_f32 v[28:29], v[4:5], v[50:51], v[24:25] neg_lo:[0,0,1] neg_hi:[0,0,1]
	v_pk_fma_f32 v[4:5], v[4:5], v[50:51], v[24:25] op_sel_hi:[1,0,1]
	s_nop 0
	v_mov_b32_e32 v29, v5
	s_waitcnt vmcnt(3) lgkmcnt(2)
	v_pk_mul_f32 v[4:5], v[14:15], v[10:11] op_sel:[1,1] op_sel_hi:[0,1]
	v_pk_fma_f32 v[24:25], v[14:15], v[10:11], v[4:5] neg_lo:[0,0,1] neg_hi:[0,0,1]
	v_pk_fma_f32 v[4:5], v[14:15], v[10:11], v[4:5] op_sel_hi:[1,0,1]
	v_pk_add_f32 v[2:3], v[2:3], v[28:29]
	v_mov_b32_e32 v4, v13
	v_mov_b32_e32 v25, v5
	v_pk_mul_f32 v[4:5], v[16:17], v[4:5] op_sel:[1,0] op_sel_hi:[0,0]
	v_pk_fma_f32 v[10:11], v[16:17], v[12:13], v[4:5] neg_lo:[0,0,1] neg_hi:[0,0,1]
	v_pk_fma_f32 v[4:5], v[16:17], v[12:13], v[4:5] op_sel_hi:[1,0,1]
	v_pk_add_f32 v[2:3], v[2:3], v[24:25]
	v_mov_b32_e32 v11, v5
	s_waitcnt vmcnt(2) lgkmcnt(1)
	v_pk_mul_f32 v[4:5], v[18:19], v[6:7] op_sel:[1,1] op_sel_hi:[0,1]
	v_pk_add_f32 v[2:3], v[2:3], v[10:11]
	v_pk_fma_f32 v[10:11], v[18:19], v[6:7], v[4:5] neg_lo:[0,0,1] neg_hi:[0,0,1]
	v_pk_fma_f32 v[4:5], v[18:19], v[6:7], v[4:5] op_sel_hi:[1,0,1]
	s_nop 0
	v_mov_b32_e32 v4, v9
	v_mov_b32_e32 v11, v5
	v_pk_mul_f32 v[4:5], v[20:21], v[4:5] op_sel:[1,0] op_sel_hi:[0,0]
	v_pk_fma_f32 v[6:7], v[20:21], v[8:9], v[4:5] neg_lo:[0,0,1] neg_hi:[0,0,1]
	v_pk_fma_f32 v[4:5], v[20:21], v[8:9], v[4:5] op_sel_hi:[1,0,1]
	v_pk_add_f32 v[2:3], v[2:3], v[10:11]
	v_mov_b32_e32 v7, v5
	s_waitcnt vmcnt(1) lgkmcnt(0)
	v_pk_mul_f32 v[4:5], v[26:27], v[22:23] op_sel:[1,1] op_sel_hi:[0,1]
	v_pk_add_f32 v[2:3], v[2:3], v[6:7]
	v_pk_fma_f32 v[6:7], v[26:27], v[22:23], v[4:5] neg_lo:[0,0,1] neg_hi:[0,0,1]
	v_pk_fma_f32 v[4:5], v[26:27], v[22:23], v[4:5] op_sel_hi:[1,0,1]
	s_nop 0
	v_mov_b32_e32 v7, v5
	v_pk_add_f32 v[2:3], v[2:3], v[6:7]
	s_waitcnt vmcnt(0)
	v_pk_add_f32 v[2:3], v[36:37], v[2:3] neg_lo:[0,1] neg_hi:[0,1]
	scratch_store_dwordx2 off, v[2:3], off offset:176
	s_and_saveexec_b64 s[0:1], vcc
	s_cbranch_execz .LBB109_247
; %bb.246:
	scratch_load_dwordx2 v[2:3], off, off offset:168
	v_mov_b32_e32 v39, v38
	scratch_store_dwordx2 off, v[38:39], off offset:168
	s_waitcnt vmcnt(1)
	ds_write_b64 v1, v[2:3]
.LBB109_247:
	s_or_b64 exec, exec, s[0:1]
	s_waitcnt lgkmcnt(0)
	; wave barrier
	scratch_load_dwordx4 v[6:9], off, off offset:176
	scratch_load_dwordx4 v[18:21], off, off offset:192
	;; [unrolled: 1-line block ×8, first 2 shown]
	ds_read_b128 v[48:51], v38 offset:544
	ds_read_b128 v[52:55], v38 offset:560
	ds_read_b128 v[56:59], v38 offset:576
	ds_read_b128 v[60:63], v38 offset:592
	ds_read_b128 v[64:67], v38 offset:608
	ds_read_b128 v[68:71], v38 offset:624
	ds_read_b128 v[72:75], v38 offset:640
	ds_read_b128 v[76:79], v38 offset:656
	scratch_load_dwordx4 v[80:83], off, off offset:304
	scratch_load_dwordx4 v[26:29], off, off offset:320
	;; [unrolled: 1-line block ×4, first 2 shown]
	scratch_load_dwordx2 v[84:85], off, off offset:168
	v_cmp_lt_u32_e32 vcc, 20, v0
	s_waitcnt vmcnt(12) lgkmcnt(7)
	v_mul_f32_e32 v39, v48, v7
	v_mul_f32_e32 v86, v50, v9
	;; [unrolled: 1-line block ×3, first 2 shown]
	v_fmac_f32_e32 v39, v49, v6
	s_waitcnt vmcnt(8) lgkmcnt(3)
	v_mul_f32_e32 v95, v64, v15
	v_mul_f32_e32 v15, v65, v15
	;; [unrolled: 1-line block ×4, first 2 shown]
	v_fmac_f32_e32 v86, v51, v8
	v_fmac_f32_e32 v95, v65, v14
	v_fma_f32 v6, v48, v6, -v7
	v_fma_f32 v14, v64, v14, -v15
	v_add_f32_e32 v15, 0, v39
	v_mul_f32_e32 v90, v54, v21
	v_fmac_f32_e32 v88, v53, v18
	v_fma_f32 v7, v50, v8, -v9
	v_add_f32_e32 v6, 0, v6
	v_add_f32_e32 v15, v15, v86
	v_mul_f32_e32 v91, v56, v35
	v_fmac_f32_e32 v90, v55, v20
	v_add_f32_e32 v6, v6, v7
	v_add_f32_e32 v7, v15, v88
	v_mul_f32_e32 v92, v58, v37
	v_fmac_f32_e32 v91, v57, v34
	v_add_f32_e32 v7, v7, v90
	v_mul_f32_e32 v93, v60, v41
	v_fmac_f32_e32 v92, v59, v36
	;; [unrolled: 3-line block ×4, first 2 shown]
	v_add_f32_e32 v7, v7, v93
	v_mul_f32_e32 v96, v66, v17
	v_mul_f32_e32 v21, v55, v21
	v_fma_f32 v8, v52, v18, -v19
	v_add_f32_e32 v7, v7, v94
	s_waitcnt vmcnt(7) lgkmcnt(2)
	v_mul_f32_e32 v97, v68, v23
	v_mul_f32_e32 v35, v57, v35
	v_fmac_f32_e32 v96, v67, v16
	v_fma_f32 v9, v54, v20, -v21
	v_add_f32_e32 v6, v6, v8
	v_add_f32_e32 v7, v7, v95
	v_mul_f32_e32 v98, v70, v25
	v_mul_f32_e32 v37, v59, v37
	v_fmac_f32_e32 v97, v69, v22
	v_fma_f32 v18, v56, v34, -v35
	v_add_f32_e32 v6, v6, v9
	v_add_f32_e32 v7, v7, v96
	s_waitcnt vmcnt(6) lgkmcnt(1)
	v_mul_f32_e32 v99, v72, v31
	v_mul_f32_e32 v41, v61, v41
	v_fmac_f32_e32 v98, v71, v24
	v_fma_f32 v19, v58, v36, -v37
	v_add_f32_e32 v6, v6, v18
	v_add_f32_e32 v7, v7, v97
	v_mul_f32_e32 v100, v74, v33
	v_mul_f32_e32 v43, v63, v43
	v_fmac_f32_e32 v99, v73, v30
	v_fma_f32 v20, v60, v40, -v41
	v_add_f32_e32 v6, v6, v19
	v_add_f32_e32 v7, v7, v98
	v_fmac_f32_e32 v100, v75, v32
	v_fma_f32 v21, v62, v42, -v43
	v_add_f32_e32 v6, v6, v20
	v_add_f32_e32 v7, v7, v99
	v_add_f32_e32 v6, v6, v21
	v_add_f32_e32 v35, v7, v100
	v_mul_f32_e32 v7, v67, v17
	v_add_f32_e32 v6, v6, v14
	v_fma_f32 v7, v66, v16, -v7
	v_add_f32_e32 v6, v6, v7
	v_mul_f32_e32 v7, v69, v23
	v_fma_f32 v7, v68, v22, -v7
	v_add_f32_e32 v6, v6, v7
	v_mul_f32_e32 v7, v71, v25
	;; [unrolled: 3-line block ×4, first 2 shown]
	v_fma_f32 v7, v74, v32, -v7
	v_add_f32_e32 v34, v6, v7
	s_waitcnt vmcnt(5) lgkmcnt(0)
	v_mul_f32_e32 v6, v77, v45
	v_fma_f32 v86, v76, v44, -v6
	v_mul_f32_e32 v6, v79, v47
	v_fma_f32 v88, v78, v46, -v6
	ds_read_b128 v[6:9], v38 offset:672
	ds_read_b128 v[14:17], v38 offset:688
	;; [unrolled: 1-line block ×4, first 2 shown]
	v_mul_f32_e32 v87, v76, v45
	v_mul_f32_e32 v89, v78, v47
	v_fmac_f32_e32 v87, v77, v44
	s_waitcnt vmcnt(4) lgkmcnt(3)
	v_pk_mul_f32 v[32:33], v[6:7], v[80:81] op_sel:[1,1] op_sel_hi:[0,1]
	v_fmac_f32_e32 v89, v79, v46
	v_pk_add_f32 v[30:31], v[34:35], v[86:87]
	v_pk_fma_f32 v[34:35], v[6:7], v[80:81], v[32:33] neg_lo:[0,0,1] neg_hi:[0,0,1]
	v_pk_fma_f32 v[6:7], v[6:7], v[80:81], v[32:33] op_sel_hi:[1,0,1]
	v_pk_add_f32 v[30:31], v[30:31], v[88:89]
	v_mov_b32_e32 v35, v7
	v_pk_add_f32 v[6:7], v[30:31], v[34:35]
	v_mov_b32_e32 v30, v83
	v_pk_mul_f32 v[30:31], v[8:9], v[30:31] op_sel:[1,0] op_sel_hi:[0,0]
	v_pk_fma_f32 v[32:33], v[8:9], v[82:83], v[30:31] neg_lo:[0,0,1] neg_hi:[0,0,1]
	v_pk_fma_f32 v[8:9], v[8:9], v[82:83], v[30:31] op_sel_hi:[1,0,1]
	s_nop 0
	v_mov_b32_e32 v33, v9
	s_waitcnt vmcnt(3) lgkmcnt(2)
	v_pk_mul_f32 v[8:9], v[14:15], v[26:27] op_sel:[1,1] op_sel_hi:[0,1]
	v_pk_fma_f32 v[30:31], v[14:15], v[26:27], v[8:9] neg_lo:[0,0,1] neg_hi:[0,0,1]
	v_pk_fma_f32 v[8:9], v[14:15], v[26:27], v[8:9] op_sel_hi:[1,0,1]
	v_pk_add_f32 v[6:7], v[6:7], v[32:33]
	v_mov_b32_e32 v8, v29
	v_mov_b32_e32 v31, v9
	v_pk_mul_f32 v[8:9], v[16:17], v[8:9] op_sel:[1,0] op_sel_hi:[0,0]
	v_pk_fma_f32 v[14:15], v[16:17], v[28:29], v[8:9] neg_lo:[0,0,1] neg_hi:[0,0,1]
	v_pk_fma_f32 v[8:9], v[16:17], v[28:29], v[8:9] op_sel_hi:[1,0,1]
	v_pk_add_f32 v[6:7], v[6:7], v[30:31]
	v_mov_b32_e32 v15, v9
	s_waitcnt vmcnt(2) lgkmcnt(1)
	v_pk_mul_f32 v[8:9], v[18:19], v[10:11] op_sel:[1,1] op_sel_hi:[0,1]
	v_pk_add_f32 v[6:7], v[6:7], v[14:15]
	v_pk_fma_f32 v[14:15], v[18:19], v[10:11], v[8:9] neg_lo:[0,0,1] neg_hi:[0,0,1]
	v_pk_fma_f32 v[8:9], v[18:19], v[10:11], v[8:9] op_sel_hi:[1,0,1]
	s_nop 0
	v_mov_b32_e32 v8, v13
	v_mov_b32_e32 v15, v9
	v_pk_mul_f32 v[8:9], v[20:21], v[8:9] op_sel:[1,0] op_sel_hi:[0,0]
	v_pk_fma_f32 v[10:11], v[20:21], v[12:13], v[8:9] neg_lo:[0,0,1] neg_hi:[0,0,1]
	v_pk_fma_f32 v[8:9], v[20:21], v[12:13], v[8:9] op_sel_hi:[1,0,1]
	v_pk_add_f32 v[6:7], v[6:7], v[14:15]
	v_mov_b32_e32 v11, v9
	s_waitcnt vmcnt(1) lgkmcnt(0)
	v_pk_mul_f32 v[8:9], v[22:23], v[2:3] op_sel:[1,1] op_sel_hi:[0,1]
	v_pk_add_f32 v[6:7], v[6:7], v[10:11]
	v_pk_fma_f32 v[10:11], v[22:23], v[2:3], v[8:9] neg_lo:[0,0,1] neg_hi:[0,0,1]
	v_pk_fma_f32 v[2:3], v[22:23], v[2:3], v[8:9] op_sel_hi:[1,0,1]
	s_nop 0
	v_mov_b32_e32 v11, v3
	v_pk_add_f32 v[2:3], v[6:7], v[10:11]
	v_mov_b32_e32 v6, v5
	v_pk_mul_f32 v[6:7], v[24:25], v[6:7] op_sel:[1,0] op_sel_hi:[0,0]
	v_pk_fma_f32 v[8:9], v[24:25], v[4:5], v[6:7] neg_lo:[0,0,1] neg_hi:[0,0,1]
	v_pk_fma_f32 v[4:5], v[24:25], v[4:5], v[6:7] op_sel_hi:[1,0,1]
	s_nop 0
	v_mov_b32_e32 v9, v5
	v_pk_add_f32 v[2:3], v[2:3], v[8:9]
	s_waitcnt vmcnt(0)
	v_pk_add_f32 v[2:3], v[84:85], v[2:3] neg_lo:[0,1] neg_hi:[0,1]
	scratch_store_dwordx2 off, v[2:3], off offset:168
	s_and_saveexec_b64 s[0:1], vcc
	s_cbranch_execz .LBB109_249
; %bb.248:
	scratch_load_dwordx2 v[2:3], off, off offset:160
	v_mov_b32_e32 v4, 0
	v_mov_b32_e32 v5, v4
	scratch_store_dwordx2 off, v[4:5], off offset:160
	s_waitcnt vmcnt(1)
	ds_write_b64 v1, v[2:3]
.LBB109_249:
	s_or_b64 exec, exec, s[0:1]
	s_waitcnt lgkmcnt(0)
	; wave barrier
	scratch_load_dwordx4 v[2:5], off, off offset:168
	scratch_load_dwordx4 v[22:25], off, off offset:184
	;; [unrolled: 1-line block ×12, first 2 shown]
	scratch_load_dwordx2 v[50:51], off, off offset:360
	scratch_load_dwordx2 v[56:57], off, off offset:160
	v_mov_b32_e32 v58, 0
	ds_read2_b64 v[52:55], v58 offset0:67 offset1:68
	ds_read2_b64 v[60:63], v58 offset0:69 offset1:70
	;; [unrolled: 1-line block ×10, first 2 shown]
	v_cmp_lt_u32_e32 vcc, 19, v0
	s_waitcnt vmcnt(13) lgkmcnt(9)
	v_mul_f32_e32 v59, v52, v3
	v_mul_f32_e32 v96, v54, v5
	;; [unrolled: 1-line block ×3, first 2 shown]
	s_waitcnt vmcnt(10) lgkmcnt(6)
	v_mul_f32_e32 v103, v68, v11
	v_mul_f32_e32 v11, v69, v11
	v_fmac_f32_e32 v59, v53, v2
	v_mul_f32_e32 v98, v60, v23
	v_mul_f32_e32 v5, v55, v5
	v_fmac_f32_e32 v96, v55, v4
	v_fmac_f32_e32 v103, v69, v10
	v_fma_f32 v2, v52, v2, -v3
	v_fma_f32 v10, v68, v10, -v11
	v_add_f32_e32 v11, 0, v59
	v_mul_f32_e32 v100, v62, v25
	v_fmac_f32_e32 v98, v61, v22
	v_fma_f32 v3, v54, v4, -v5
	v_add_f32_e32 v2, 0, v2
	v_add_f32_e32 v11, v11, v96
	v_mul_f32_e32 v101, v64, v39
	v_fmac_f32_e32 v100, v63, v24
	v_add_f32_e32 v2, v2, v3
	v_add_f32_e32 v3, v11, v98
	v_mul_f32_e32 v102, v66, v41
	v_fmac_f32_e32 v101, v65, v38
	v_add_f32_e32 v3, v3, v100
	v_fmac_f32_e32 v102, v67, v40
	v_add_f32_e32 v3, v3, v101
	v_mul_f32_e32 v104, v70, v13
	v_add_f32_e32 v3, v3, v102
	s_waitcnt vmcnt(9) lgkmcnt(5)
	v_mul_f32_e32 v105, v72, v15
	v_fmac_f32_e32 v104, v71, v12
	v_add_f32_e32 v3, v3, v103
	v_mul_f32_e32 v106, v74, v17
	v_fmac_f32_e32 v105, v73, v14
	v_add_f32_e32 v3, v3, v104
	s_waitcnt vmcnt(8) lgkmcnt(4)
	v_mul_f32_e32 v107, v76, v27
	v_fmac_f32_e32 v106, v75, v16
	v_add_f32_e32 v3, v3, v105
	v_mul_f32_e32 v108, v78, v29
	v_mul_f32_e32 v23, v61, v23
	v_fmac_f32_e32 v107, v77, v26
	v_add_f32_e32 v3, v3, v106
	s_waitcnt vmcnt(7) lgkmcnt(3)
	v_mul_f32_e32 v109, v80, v31
	v_mul_f32_e32 v25, v63, v25
	v_fmac_f32_e32 v108, v79, v28
	v_fma_f32 v4, v60, v22, -v23
	v_add_f32_e32 v3, v3, v107
	v_mul_f32_e32 v110, v82, v33
	v_mul_f32_e32 v39, v65, v39
	v_fmac_f32_e32 v109, v81, v30
	v_fma_f32 v5, v62, v24, -v25
	v_add_f32_e32 v2, v2, v4
	v_add_f32_e32 v3, v3, v108
	s_waitcnt vmcnt(6) lgkmcnt(2)
	v_mul_f32_e32 v111, v84, v43
	v_mul_f32_e32 v41, v67, v41
	v_fmac_f32_e32 v110, v83, v32
	v_fma_f32 v22, v64, v38, -v39
	v_add_f32_e32 v2, v2, v5
	v_add_f32_e32 v3, v3, v109
	v_fmac_f32_e32 v111, v85, v42
	v_fma_f32 v23, v66, v40, -v41
	v_add_f32_e32 v2, v2, v22
	v_add_f32_e32 v3, v3, v110
	;; [unrolled: 1-line block ×4, first 2 shown]
	v_mul_f32_e32 v3, v71, v13
	v_add_f32_e32 v2, v2, v10
	v_fma_f32 v3, v70, v12, -v3
	v_add_f32_e32 v2, v2, v3
	v_mul_f32_e32 v3, v73, v15
	v_fma_f32 v3, v72, v14, -v3
	v_add_f32_e32 v2, v2, v3
	v_mul_f32_e32 v3, v75, v17
	;; [unrolled: 3-line block ×7, first 2 shown]
	v_fma_f32 v3, v84, v42, -v3
	v_mul_f32_e32 v97, v86, v45
	v_add_f32_e32 v22, v2, v3
	v_mul_f32_e32 v2, v87, v45
	v_fmac_f32_e32 v97, v87, v44
	v_fma_f32 v96, v86, v44, -v2
	v_pk_add_f32 v[16:17], v[22:23], v[96:97]
	s_waitcnt vmcnt(5)
	v_mov_b32_e32 v22, v49
	s_waitcnt lgkmcnt(1)
	v_mul_f32_e32 v99, v88, v47
	v_mul_f32_e32 v2, v89, v47
	v_pk_mul_f32 v[22:23], v[90:91], v[22:23] op_sel:[1,0] op_sel_hi:[0,0]
	v_fmac_f32_e32 v99, v89, v46
	v_fma_f32 v98, v88, v46, -v2
	v_pk_fma_f32 v[24:25], v[90:91], v[48:49], v[22:23] neg_lo:[0,0,1] neg_hi:[0,0,1]
	v_pk_fma_f32 v[22:23], v[90:91], v[48:49], v[22:23] op_sel_hi:[1,0,1]
	v_pk_add_f32 v[16:17], v[16:17], v[98:99]
	v_mov_b32_e32 v25, v23
	s_waitcnt vmcnt(4) lgkmcnt(0)
	v_pk_mul_f32 v[22:23], v[92:93], v[34:35] op_sel:[1,1] op_sel_hi:[0,1]
	v_pk_add_f32 v[16:17], v[16:17], v[24:25]
	v_pk_fma_f32 v[24:25], v[92:93], v[34:35], v[22:23] neg_lo:[0,0,1] neg_hi:[0,0,1]
	v_pk_fma_f32 v[22:23], v[92:93], v[34:35], v[22:23] op_sel_hi:[1,0,1]
	ds_read2_b64 v[2:5], v58 offset0:87 offset1:88
	ds_read2_b64 v[10:13], v58 offset0:89 offset1:90
	ds_read_b64 v[14:15], v58 offset:728
	v_mov_b32_e32 v22, v37
	v_mov_b32_e32 v25, v23
	v_pk_mul_f32 v[22:23], v[94:95], v[22:23] op_sel:[1,0] op_sel_hi:[0,0]
	v_pk_add_f32 v[16:17], v[16:17], v[24:25]
	v_pk_fma_f32 v[24:25], v[94:95], v[36:37], v[22:23] neg_lo:[0,0,1] neg_hi:[0,0,1]
	v_pk_fma_f32 v[22:23], v[94:95], v[36:37], v[22:23] op_sel_hi:[1,0,1]
	s_nop 0
	v_mov_b32_e32 v25, v23
	s_waitcnt vmcnt(3) lgkmcnt(2)
	v_pk_mul_f32 v[22:23], v[2:3], v[18:19] op_sel:[1,1] op_sel_hi:[0,1]
	v_pk_add_f32 v[16:17], v[16:17], v[24:25]
	v_pk_fma_f32 v[24:25], v[2:3], v[18:19], v[22:23] neg_lo:[0,0,1] neg_hi:[0,0,1]
	v_pk_fma_f32 v[2:3], v[2:3], v[18:19], v[22:23] op_sel_hi:[1,0,1]
	s_nop 0
	v_mov_b32_e32 v25, v3
	v_pk_add_f32 v[2:3], v[16:17], v[24:25]
	v_mov_b32_e32 v16, v21
	v_pk_mul_f32 v[16:17], v[4:5], v[16:17] op_sel:[1,0] op_sel_hi:[0,0]
	v_pk_fma_f32 v[18:19], v[4:5], v[20:21], v[16:17] neg_lo:[0,0,1] neg_hi:[0,0,1]
	v_pk_fma_f32 v[4:5], v[4:5], v[20:21], v[16:17] op_sel_hi:[1,0,1]
	s_nop 0
	v_mov_b32_e32 v19, v5
	s_waitcnt vmcnt(2) lgkmcnt(1)
	v_pk_mul_f32 v[4:5], v[10:11], v[6:7] op_sel:[1,1] op_sel_hi:[0,1]
	v_pk_fma_f32 v[16:17], v[10:11], v[6:7], v[4:5] neg_lo:[0,0,1] neg_hi:[0,0,1]
	v_pk_fma_f32 v[4:5], v[10:11], v[6:7], v[4:5] op_sel_hi:[1,0,1]
	v_pk_add_f32 v[2:3], v[2:3], v[18:19]
	v_mov_b32_e32 v4, v9
	v_mov_b32_e32 v17, v5
	v_pk_mul_f32 v[4:5], v[12:13], v[4:5] op_sel:[1,0] op_sel_hi:[0,0]
	v_pk_fma_f32 v[6:7], v[12:13], v[8:9], v[4:5] neg_lo:[0,0,1] neg_hi:[0,0,1]
	v_pk_fma_f32 v[4:5], v[12:13], v[8:9], v[4:5] op_sel_hi:[1,0,1]
	v_pk_add_f32 v[2:3], v[2:3], v[16:17]
	v_mov_b32_e32 v7, v5
	s_waitcnt vmcnt(1) lgkmcnt(0)
	v_pk_mul_f32 v[4:5], v[14:15], v[50:51] op_sel:[1,1] op_sel_hi:[0,1]
	v_pk_add_f32 v[2:3], v[2:3], v[6:7]
	v_pk_fma_f32 v[6:7], v[14:15], v[50:51], v[4:5] neg_lo:[0,0,1] neg_hi:[0,0,1]
	v_pk_fma_f32 v[4:5], v[14:15], v[50:51], v[4:5] op_sel_hi:[1,0,1]
	s_nop 0
	v_mov_b32_e32 v7, v5
	v_pk_add_f32 v[2:3], v[2:3], v[6:7]
	s_waitcnt vmcnt(0)
	v_pk_add_f32 v[2:3], v[56:57], v[2:3] neg_lo:[0,1] neg_hi:[0,1]
	scratch_store_dwordx2 off, v[2:3], off offset:160
	s_and_saveexec_b64 s[0:1], vcc
	s_cbranch_execz .LBB109_251
; %bb.250:
	scratch_load_dwordx2 v[2:3], off, off offset:152
	v_mov_b32_e32 v59, v58
	scratch_store_dwordx2 off, v[58:59], off offset:152
	s_waitcnt vmcnt(1)
	ds_write_b64 v1, v[2:3]
.LBB109_251:
	s_or_b64 exec, exec, s[0:1]
	s_waitcnt lgkmcnt(0)
	; wave barrier
	scratch_load_dwordx4 v[10:13], off, off offset:160
	scratch_load_dwordx4 v[26:29], off, off offset:176
	;; [unrolled: 1-line block ×9, first 2 shown]
	ds_read_b128 v[60:63], v58 offset:528
	ds_read_b128 v[64:67], v58 offset:544
	;; [unrolled: 1-line block ×8, first 2 shown]
	scratch_load_dwordx4 v[50:53], off, off offset:304
	scratch_load_dwordx4 v[34:37], off, off offset:320
	;; [unrolled: 1-line block ×4, first 2 shown]
	ds_read_b128 v[88:91], v58 offset:656
	ds_read_b128 v[92:95], v58 offset:672
	scratch_load_dwordx2 v[96:97], off, off offset:152
	v_cmp_lt_u32_e32 vcc, 18, v0
	s_waitcnt vmcnt(13) lgkmcnt(9)
	v_mul_f32_e32 v59, v60, v11
	v_mul_f32_e32 v98, v62, v13
	v_fmac_f32_e32 v59, v61, v10
	s_waitcnt vmcnt(10) lgkmcnt(6)
	v_mul_f32_e32 v105, v72, v3
	v_mul_f32_e32 v3, v73, v3
	v_mul_f32_e32 v100, v64, v27
	v_fmac_f32_e32 v98, v63, v12
	v_fmac_f32_e32 v105, v73, v2
	v_fma_f32 v2, v72, v2, -v3
	v_add_f32_e32 v3, 0, v59
	v_mul_f32_e32 v102, v66, v29
	v_fmac_f32_e32 v100, v65, v26
	v_add_f32_e32 v3, v3, v98
	v_mul_f32_e32 v103, v68, v43
	v_fmac_f32_e32 v102, v67, v28
	;; [unrolled: 3-line block ×3, first 2 shown]
	v_add_f32_e32 v3, v3, v102
	v_fmac_f32_e32 v104, v71, v44
	v_add_f32_e32 v3, v3, v103
	v_mul_f32_e32 v106, v74, v5
	v_add_f32_e32 v3, v3, v104
	s_waitcnt vmcnt(9) lgkmcnt(5)
	v_mul_f32_e32 v107, v76, v15
	v_fmac_f32_e32 v106, v75, v4
	v_add_f32_e32 v3, v3, v105
	v_mul_f32_e32 v108, v78, v17
	v_fmac_f32_e32 v107, v77, v14
	v_add_f32_e32 v3, v3, v106
	s_waitcnt vmcnt(8) lgkmcnt(4)
	v_mul_f32_e32 v109, v80, v19
	v_mul_f32_e32 v11, v61, v11
	v_fmac_f32_e32 v108, v79, v16
	v_add_f32_e32 v3, v3, v107
	v_mul_f32_e32 v110, v82, v21
	v_mul_f32_e32 v13, v63, v13
	v_fmac_f32_e32 v109, v81, v18
	v_fma_f32 v10, v60, v10, -v11
	v_add_f32_e32 v3, v3, v108
	s_waitcnt vmcnt(7) lgkmcnt(3)
	v_mul_f32_e32 v111, v84, v31
	v_mul_f32_e32 v27, v65, v27
	v_fmac_f32_e32 v110, v83, v20
	v_fma_f32 v11, v62, v12, -v13
	v_add_f32_e32 v10, 0, v10
	v_add_f32_e32 v3, v3, v109
	v_mul_f32_e32 v112, v86, v33
	v_mul_f32_e32 v29, v67, v29
	v_fmac_f32_e32 v111, v85, v30
	v_fma_f32 v12, v64, v26, -v27
	v_add_f32_e32 v10, v10, v11
	v_add_f32_e32 v3, v3, v110
	s_waitcnt vmcnt(6) lgkmcnt(2)
	v_mul_f32_e32 v113, v54, v39
	v_mul_f32_e32 v43, v69, v43
	v_fmac_f32_e32 v112, v87, v32
	v_fma_f32 v13, v66, v28, -v29
	v_add_f32_e32 v10, v10, v12
	v_add_f32_e32 v3, v3, v111
	v_mul_f32_e32 v114, v56, v41
	v_mul_f32_e32 v45, v71, v45
	v_fmac_f32_e32 v113, v55, v38
	v_fma_f32 v26, v68, v42, -v43
	v_add_f32_e32 v10, v10, v13
	v_add_f32_e32 v3, v3, v112
	v_fmac_f32_e32 v114, v57, v40
	v_fma_f32 v27, v70, v44, -v45
	v_add_f32_e32 v10, v10, v26
	v_add_f32_e32 v3, v3, v113
	;; [unrolled: 1-line block ×4, first 2 shown]
	v_mul_f32_e32 v3, v75, v5
	v_add_f32_e32 v2, v10, v2
	v_fma_f32 v3, v74, v4, -v3
	v_add_f32_e32 v2, v2, v3
	v_mul_f32_e32 v3, v77, v15
	v_fma_f32 v3, v76, v14, -v3
	v_add_f32_e32 v2, v2, v3
	v_mul_f32_e32 v3, v79, v17
	;; [unrolled: 3-line block ×8, first 2 shown]
	v_fma_f32 v3, v56, v40, -v3
	s_waitcnt vmcnt(5) lgkmcnt(1)
	v_mul_f32_e32 v99, v88, v47
	v_add_f32_e32 v26, v2, v3
	v_mul_f32_e32 v2, v89, v47
	v_fmac_f32_e32 v99, v89, v46
	v_fma_f32 v98, v88, v46, -v2
	s_waitcnt vmcnt(4) lgkmcnt(0)
	v_pk_mul_f32 v[20:21], v[92:93], v[50:51] op_sel:[1,1] op_sel_hi:[0,1]
	v_mul_f32_e32 v101, v90, v49
	v_mul_f32_e32 v2, v91, v49
	v_pk_add_f32 v[18:19], v[26:27], v[98:99]
	v_pk_fma_f32 v[26:27], v[92:93], v[50:51], v[20:21] neg_lo:[0,0,1] neg_hi:[0,0,1]
	v_pk_fma_f32 v[20:21], v[92:93], v[50:51], v[20:21] op_sel_hi:[1,0,1]
	v_fmac_f32_e32 v101, v91, v48
	v_fma_f32 v100, v90, v48, -v2
	ds_read_b128 v[2:5], v58 offset:688
	ds_read_b128 v[10:13], v58 offset:704
	;; [unrolled: 1-line block ×3, first 2 shown]
	v_mov_b32_e32 v20, v53
	v_pk_add_f32 v[18:19], v[18:19], v[100:101]
	v_mov_b32_e32 v27, v21
	v_pk_mul_f32 v[20:21], v[94:95], v[20:21] op_sel:[1,0] op_sel_hi:[0,0]
	v_pk_add_f32 v[18:19], v[18:19], v[26:27]
	v_pk_fma_f32 v[26:27], v[94:95], v[52:53], v[20:21] neg_lo:[0,0,1] neg_hi:[0,0,1]
	v_pk_fma_f32 v[20:21], v[94:95], v[52:53], v[20:21] op_sel_hi:[1,0,1]
	s_nop 0
	v_mov_b32_e32 v27, v21
	s_waitcnt vmcnt(3) lgkmcnt(2)
	v_pk_mul_f32 v[20:21], v[2:3], v[34:35] op_sel:[1,1] op_sel_hi:[0,1]
	v_pk_add_f32 v[18:19], v[18:19], v[26:27]
	v_pk_fma_f32 v[26:27], v[2:3], v[34:35], v[20:21] neg_lo:[0,0,1] neg_hi:[0,0,1]
	v_pk_fma_f32 v[2:3], v[2:3], v[34:35], v[20:21] op_sel_hi:[1,0,1]
	s_nop 0
	v_mov_b32_e32 v27, v3
	v_pk_add_f32 v[2:3], v[18:19], v[26:27]
	v_mov_b32_e32 v18, v37
	v_pk_mul_f32 v[18:19], v[4:5], v[18:19] op_sel:[1,0] op_sel_hi:[0,0]
	v_pk_fma_f32 v[20:21], v[4:5], v[36:37], v[18:19] neg_lo:[0,0,1] neg_hi:[0,0,1]
	v_pk_fma_f32 v[4:5], v[4:5], v[36:37], v[18:19] op_sel_hi:[1,0,1]
	s_nop 0
	v_mov_b32_e32 v21, v5
	s_waitcnt vmcnt(2) lgkmcnt(1)
	v_pk_mul_f32 v[4:5], v[10:11], v[22:23] op_sel:[1,1] op_sel_hi:[0,1]
	v_pk_fma_f32 v[18:19], v[10:11], v[22:23], v[4:5] neg_lo:[0,0,1] neg_hi:[0,0,1]
	v_pk_fma_f32 v[4:5], v[10:11], v[22:23], v[4:5] op_sel_hi:[1,0,1]
	v_pk_add_f32 v[2:3], v[2:3], v[20:21]
	v_mov_b32_e32 v4, v25
	v_mov_b32_e32 v19, v5
	v_pk_mul_f32 v[4:5], v[12:13], v[4:5] op_sel:[1,0] op_sel_hi:[0,0]
	v_pk_fma_f32 v[10:11], v[12:13], v[24:25], v[4:5] neg_lo:[0,0,1] neg_hi:[0,0,1]
	v_pk_fma_f32 v[4:5], v[12:13], v[24:25], v[4:5] op_sel_hi:[1,0,1]
	v_pk_add_f32 v[2:3], v[2:3], v[18:19]
	v_mov_b32_e32 v11, v5
	s_waitcnt vmcnt(1) lgkmcnt(0)
	v_pk_mul_f32 v[4:5], v[14:15], v[6:7] op_sel:[1,1] op_sel_hi:[0,1]
	v_pk_add_f32 v[2:3], v[2:3], v[10:11]
	v_pk_fma_f32 v[10:11], v[14:15], v[6:7], v[4:5] neg_lo:[0,0,1] neg_hi:[0,0,1]
	v_pk_fma_f32 v[4:5], v[14:15], v[6:7], v[4:5] op_sel_hi:[1,0,1]
	s_nop 0
	v_mov_b32_e32 v4, v9
	v_mov_b32_e32 v11, v5
	v_pk_mul_f32 v[4:5], v[16:17], v[4:5] op_sel:[1,0] op_sel_hi:[0,0]
	v_pk_fma_f32 v[6:7], v[16:17], v[8:9], v[4:5] neg_lo:[0,0,1] neg_hi:[0,0,1]
	v_pk_fma_f32 v[4:5], v[16:17], v[8:9], v[4:5] op_sel_hi:[1,0,1]
	v_pk_add_f32 v[2:3], v[2:3], v[10:11]
	v_mov_b32_e32 v7, v5
	v_pk_add_f32 v[2:3], v[2:3], v[6:7]
	s_waitcnt vmcnt(0)
	v_pk_add_f32 v[2:3], v[96:97], v[2:3] neg_lo:[0,1] neg_hi:[0,1]
	scratch_store_dwordx2 off, v[2:3], off offset:152
	s_and_saveexec_b64 s[0:1], vcc
	s_cbranch_execz .LBB109_253
; %bb.252:
	scratch_load_dwordx2 v[2:3], off, off offset:144
	v_mov_b32_e32 v4, 0
	v_mov_b32_e32 v5, v4
	scratch_store_dwordx2 off, v[4:5], off offset:144
	s_waitcnt vmcnt(1)
	ds_write_b64 v1, v[2:3]
.LBB109_253:
	s_or_b64 exec, exec, s[0:1]
	s_waitcnt lgkmcnt(0)
	; wave barrier
	scratch_load_dwordx4 v[10:13], off, off offset:152
	scratch_load_dwordx4 v[30:33], off, off offset:168
	scratch_load_dwordx4 v[2:5], off, off offset:184
	scratch_load_dwordx4 v[6:9], off, off offset:200
	scratch_load_dwordx4 v[18:21], off, off offset:216
	scratch_load_dwordx4 v[22:25], off, off offset:232
	scratch_load_dwordx4 v[34:37], off, off offset:248
	scratch_load_dwordx4 v[38:41], off, off offset:264
	scratch_load_dwordx4 v[50:53], off, off offset:280
	scratch_load_dwordx4 v[46:49], off, off offset:296
	scratch_load_dwordx4 v[42:45], off, off offset:312
	scratch_load_dwordx4 v[26:29], off, off offset:328
	scratch_load_dwordx4 v[14:17], off, off offset:344
	scratch_load_dwordx2 v[54:55], off, off offset:360
	scratch_load_dwordx2 v[80:81], off, off offset:144
	v_mov_b32_e32 v82, 0
	ds_read2_b64 v[56:59], v82 offset0:65 offset1:66
	ds_read2_b64 v[60:63], v82 offset0:67 offset1:68
	;; [unrolled: 1-line block ×10, first 2 shown]
	v_cmp_lt_u32_e32 vcc, 17, v0
	s_waitcnt vmcnt(14) lgkmcnt(9)
	v_mul_f32_e32 v83, v56, v11
	v_mul_f32_e32 v100, v58, v13
	s_waitcnt vmcnt(12) lgkmcnt(7)
	v_mul_f32_e32 v105, v64, v3
	v_mul_f32_e32 v3, v65, v3
	v_fmac_f32_e32 v83, v57, v10
	v_mul_f32_e32 v102, v60, v31
	v_fmac_f32_e32 v100, v59, v12
	v_fmac_f32_e32 v105, v65, v2
	v_fma_f32 v2, v64, v2, -v3
	v_add_f32_e32 v3, 0, v83
	v_mul_f32_e32 v104, v62, v33
	v_fmac_f32_e32 v102, v61, v30
	v_add_f32_e32 v3, v3, v100
	v_fmac_f32_e32 v104, v63, v32
	v_add_f32_e32 v3, v3, v102
	v_mul_f32_e32 v106, v66, v5
	v_add_f32_e32 v3, v3, v104
	s_waitcnt vmcnt(11) lgkmcnt(6)
	v_mul_f32_e32 v107, v68, v7
	v_fmac_f32_e32 v106, v67, v4
	v_add_f32_e32 v3, v3, v105
	v_mul_f32_e32 v108, v70, v9
	v_fmac_f32_e32 v107, v69, v6
	v_add_f32_e32 v3, v3, v106
	s_waitcnt vmcnt(10) lgkmcnt(5)
	v_mul_f32_e32 v109, v72, v19
	v_fmac_f32_e32 v108, v71, v8
	v_add_f32_e32 v3, v3, v107
	v_mul_f32_e32 v110, v74, v21
	v_fmac_f32_e32 v109, v73, v18
	;; [unrolled: 7-line block ×3, first 2 shown]
	v_add_f32_e32 v3, v3, v110
	s_waitcnt vmcnt(8) lgkmcnt(3)
	v_mul_f32_e32 v113, v84, v35
	v_mul_f32_e32 v11, v57, v11
	v_fmac_f32_e32 v112, v79, v24
	v_add_f32_e32 v3, v3, v111
	v_mul_f32_e32 v114, v86, v37
	v_mul_f32_e32 v13, v59, v13
	v_fmac_f32_e32 v113, v85, v34
	v_fma_f32 v10, v56, v10, -v11
	v_add_f32_e32 v3, v3, v112
	s_waitcnt vmcnt(7) lgkmcnt(2)
	v_mul_f32_e32 v115, v88, v39
	v_mul_f32_e32 v31, v61, v31
	v_fmac_f32_e32 v114, v87, v36
	v_fma_f32 v11, v58, v12, -v13
	v_add_f32_e32 v10, 0, v10
	v_add_f32_e32 v3, v3, v113
	v_mul_f32_e32 v116, v90, v41
	v_mul_f32_e32 v33, v63, v33
	v_fmac_f32_e32 v115, v89, v38
	v_fma_f32 v12, v60, v30, -v31
	v_add_f32_e32 v10, v10, v11
	v_add_f32_e32 v3, v3, v114
	s_waitcnt vmcnt(6) lgkmcnt(1)
	v_mul_f32_e32 v117, v92, v51
	v_fmac_f32_e32 v116, v91, v40
	v_fma_f32 v13, v62, v32, -v33
	v_add_f32_e32 v10, v10, v12
	v_add_f32_e32 v3, v3, v115
	v_mul_f32_e32 v5, v67, v5
	v_fmac_f32_e32 v117, v93, v50
	v_add_f32_e32 v10, v10, v13
	v_add_f32_e32 v3, v3, v116
	v_add_f32_e32 v2, v10, v2
	v_add_f32_e32 v31, v3, v117
	v_fma_f32 v3, v66, v4, -v5
	v_add_f32_e32 v2, v2, v3
	v_mul_f32_e32 v3, v69, v7
	v_fma_f32 v3, v68, v6, -v3
	v_add_f32_e32 v2, v2, v3
	v_mul_f32_e32 v3, v71, v9
	;; [unrolled: 3-line block ×12, first 2 shown]
	v_mul_f32_e32 v101, v94, v53
	v_fma_f32 v100, v94, v52, -v2
	s_waitcnt vmcnt(5) lgkmcnt(0)
	v_mul_f32_e32 v2, v97, v47
	v_mov_b32_e32 v22, v49
	v_mul_f32_e32 v103, v96, v47
	v_fmac_f32_e32 v101, v95, v52
	v_fma_f32 v102, v96, v46, -v2
	ds_read2_b64 v[2:5], v82 offset0:85 offset1:86
	ds_read2_b64 v[6:9], v82 offset0:87 offset1:88
	;; [unrolled: 1-line block ×3, first 2 shown]
	ds_read_b64 v[18:19], v82 offset:728
	v_pk_mul_f32 v[22:23], v[98:99], v[22:23] op_sel:[1,0] op_sel_hi:[0,0]
	v_fmac_f32_e32 v103, v97, v46
	v_pk_add_f32 v[20:21], v[30:31], v[100:101]
	v_pk_fma_f32 v[24:25], v[98:99], v[48:49], v[22:23] neg_lo:[0,0,1] neg_hi:[0,0,1]
	v_pk_fma_f32 v[22:23], v[98:99], v[48:49], v[22:23] op_sel_hi:[1,0,1]
	v_pk_add_f32 v[20:21], v[20:21], v[102:103]
	v_mov_b32_e32 v25, v23
	s_waitcnt vmcnt(4) lgkmcnt(3)
	v_pk_mul_f32 v[22:23], v[2:3], v[42:43] op_sel:[1,1] op_sel_hi:[0,1]
	v_pk_add_f32 v[20:21], v[20:21], v[24:25]
	v_pk_fma_f32 v[24:25], v[2:3], v[42:43], v[22:23] neg_lo:[0,0,1] neg_hi:[0,0,1]
	v_pk_fma_f32 v[2:3], v[2:3], v[42:43], v[22:23] op_sel_hi:[1,0,1]
	s_nop 0
	v_mov_b32_e32 v25, v3
	v_pk_add_f32 v[2:3], v[20:21], v[24:25]
	v_mov_b32_e32 v20, v45
	v_pk_mul_f32 v[20:21], v[4:5], v[20:21] op_sel:[1,0] op_sel_hi:[0,0]
	v_pk_fma_f32 v[22:23], v[4:5], v[44:45], v[20:21] neg_lo:[0,0,1] neg_hi:[0,0,1]
	v_pk_fma_f32 v[4:5], v[4:5], v[44:45], v[20:21] op_sel_hi:[1,0,1]
	s_nop 0
	v_mov_b32_e32 v23, v5
	s_waitcnt vmcnt(3) lgkmcnt(2)
	v_pk_mul_f32 v[4:5], v[6:7], v[26:27] op_sel:[1,1] op_sel_hi:[0,1]
	v_pk_fma_f32 v[20:21], v[6:7], v[26:27], v[4:5] neg_lo:[0,0,1] neg_hi:[0,0,1]
	v_pk_fma_f32 v[4:5], v[6:7], v[26:27], v[4:5] op_sel_hi:[1,0,1]
	v_pk_add_f32 v[2:3], v[2:3], v[22:23]
	v_mov_b32_e32 v4, v29
	v_mov_b32_e32 v21, v5
	v_pk_mul_f32 v[4:5], v[8:9], v[4:5] op_sel:[1,0] op_sel_hi:[0,0]
	v_pk_fma_f32 v[6:7], v[8:9], v[28:29], v[4:5] neg_lo:[0,0,1] neg_hi:[0,0,1]
	v_pk_fma_f32 v[4:5], v[8:9], v[28:29], v[4:5] op_sel_hi:[1,0,1]
	v_pk_add_f32 v[2:3], v[2:3], v[20:21]
	v_mov_b32_e32 v7, v5
	s_waitcnt vmcnt(2) lgkmcnt(1)
	v_pk_mul_f32 v[4:5], v[10:11], v[14:15] op_sel:[1,1] op_sel_hi:[0,1]
	v_pk_add_f32 v[2:3], v[2:3], v[6:7]
	v_pk_fma_f32 v[6:7], v[10:11], v[14:15], v[4:5] neg_lo:[0,0,1] neg_hi:[0,0,1]
	v_pk_fma_f32 v[4:5], v[10:11], v[14:15], v[4:5] op_sel_hi:[1,0,1]
	s_nop 0
	v_mov_b32_e32 v4, v17
	v_mov_b32_e32 v7, v5
	v_pk_mul_f32 v[4:5], v[12:13], v[4:5] op_sel:[1,0] op_sel_hi:[0,0]
	v_pk_add_f32 v[2:3], v[2:3], v[6:7]
	v_pk_fma_f32 v[6:7], v[12:13], v[16:17], v[4:5] neg_lo:[0,0,1] neg_hi:[0,0,1]
	v_pk_fma_f32 v[4:5], v[12:13], v[16:17], v[4:5] op_sel_hi:[1,0,1]
	s_nop 0
	v_mov_b32_e32 v7, v5
	s_waitcnt vmcnt(1) lgkmcnt(0)
	v_pk_mul_f32 v[4:5], v[18:19], v[54:55] op_sel:[1,1] op_sel_hi:[0,1]
	v_pk_add_f32 v[2:3], v[2:3], v[6:7]
	v_pk_fma_f32 v[6:7], v[18:19], v[54:55], v[4:5] neg_lo:[0,0,1] neg_hi:[0,0,1]
	v_pk_fma_f32 v[4:5], v[18:19], v[54:55], v[4:5] op_sel_hi:[1,0,1]
	s_nop 0
	v_mov_b32_e32 v7, v5
	v_pk_add_f32 v[2:3], v[2:3], v[6:7]
	s_waitcnt vmcnt(0)
	v_pk_add_f32 v[2:3], v[80:81], v[2:3] neg_lo:[0,1] neg_hi:[0,1]
	scratch_store_dwordx2 off, v[2:3], off offset:144
	s_and_saveexec_b64 s[0:1], vcc
	s_cbranch_execz .LBB109_255
; %bb.254:
	scratch_load_dwordx2 v[2:3], off, off offset:136
	v_mov_b32_e32 v83, v82
	scratch_store_dwordx2 off, v[82:83], off offset:136
	s_waitcnt vmcnt(1)
	ds_write_b64 v1, v[2:3]
.LBB109_255:
	s_or_b64 exec, exec, s[0:1]
	s_waitcnt lgkmcnt(0)
	; wave barrier
	scratch_load_dwordx4 v[18:21], off, off offset:144
	scratch_load_dwordx4 v[34:37], off, off offset:160
	;; [unrolled: 1-line block ×10, first 2 shown]
	ds_read_b128 v[84:87], v82 offset:512
	ds_read_b128 v[88:91], v82 offset:528
	;; [unrolled: 1-line block ×10, first 2 shown]
	scratch_load_dwordx4 v[54:57], off, off offset:304
	scratch_load_dwordx4 v[46:49], off, off offset:320
	scratch_load_dwordx4 v[30:33], off, off offset:336
	scratch_load_dwordx4 v[14:17], off, off offset:352
	scratch_load_dwordx2 v[100:101], off, off offset:136
	v_cmp_lt_u32_e32 vcc, 16, v0
	s_waitcnt vmcnt(14) lgkmcnt(9)
	v_mul_f32_e32 v83, v84, v19
	v_mul_f32_e32 v102, v86, v21
	s_waitcnt vmcnt(12) lgkmcnt(7)
	v_mul_f32_e32 v107, v92, v3
	v_mul_f32_e32 v3, v93, v3
	v_fmac_f32_e32 v83, v85, v18
	v_mul_f32_e32 v104, v88, v35
	v_fmac_f32_e32 v102, v87, v20
	v_fmac_f32_e32 v107, v93, v2
	v_fma_f32 v2, v92, v2, -v3
	v_add_f32_e32 v3, 0, v83
	v_mul_f32_e32 v106, v90, v37
	v_fmac_f32_e32 v104, v89, v34
	v_add_f32_e32 v3, v3, v102
	v_fmac_f32_e32 v106, v91, v36
	v_add_f32_e32 v3, v3, v104
	v_mul_f32_e32 v108, v94, v5
	v_add_f32_e32 v3, v3, v106
	s_waitcnt vmcnt(11) lgkmcnt(6)
	v_mul_f32_e32 v109, v96, v7
	v_fmac_f32_e32 v108, v95, v4
	v_add_f32_e32 v3, v3, v107
	v_mul_f32_e32 v110, v98, v9
	v_fmac_f32_e32 v109, v97, v6
	v_add_f32_e32 v3, v3, v108
	s_waitcnt vmcnt(10) lgkmcnt(5)
	v_mul_f32_e32 v111, v78, v11
	v_fmac_f32_e32 v110, v99, v8
	v_add_f32_e32 v3, v3, v109
	v_mul_f32_e32 v112, v80, v13
	v_fmac_f32_e32 v111, v79, v10
	;; [unrolled: 7-line block ×4, first 2 shown]
	v_add_f32_e32 v3, v3, v114
	s_waitcnt vmcnt(7) lgkmcnt(2)
	v_mul_f32_e32 v117, v66, v39
	v_mul_f32_e32 v19, v85, v19
	v_fmac_f32_e32 v116, v73, v28
	v_add_f32_e32 v3, v3, v115
	v_mul_f32_e32 v118, v68, v41
	v_mul_f32_e32 v21, v87, v21
	v_fmac_f32_e32 v117, v67, v38
	v_fma_f32 v18, v84, v18, -v19
	v_add_f32_e32 v3, v3, v116
	s_waitcnt vmcnt(6) lgkmcnt(1)
	v_mul_f32_e32 v119, v62, v43
	v_mul_f32_e32 v35, v89, v35
	v_fmac_f32_e32 v118, v69, v40
	v_fma_f32 v19, v86, v20, -v21
	v_add_f32_e32 v18, 0, v18
	v_add_f32_e32 v3, v3, v117
	v_mul_f32_e32 v120, v64, v45
	v_mul_f32_e32 v37, v91, v37
	v_fmac_f32_e32 v119, v63, v42
	v_fma_f32 v20, v88, v34, -v35
	v_add_f32_e32 v18, v18, v19
	v_add_f32_e32 v3, v3, v118
	v_fmac_f32_e32 v120, v65, v44
	v_fma_f32 v21, v90, v36, -v37
	v_add_f32_e32 v18, v18, v20
	v_add_f32_e32 v3, v3, v119
	;; [unrolled: 1-line block ×4, first 2 shown]
	v_mul_f32_e32 v3, v95, v5
	v_add_f32_e32 v2, v18, v2
	v_fma_f32 v3, v94, v4, -v3
	v_add_f32_e32 v2, v2, v3
	v_mul_f32_e32 v3, v97, v7
	v_fma_f32 v3, v96, v6, -v3
	v_add_f32_e32 v2, v2, v3
	v_mul_f32_e32 v3, v99, v9
	;; [unrolled: 3-line block ×12, first 2 shown]
	v_fma_f32 v3, v64, v44, -v3
	v_add_f32_e32 v34, v2, v3
	s_waitcnt vmcnt(5) lgkmcnt(0)
	v_mul_f32_e32 v2, v59, v51
	v_fma_f32 v102, v58, v50, -v2
	v_mul_f32_e32 v2, v61, v53
	v_fma_f32 v104, v60, v52, -v2
	ds_read_b128 v[2:5], v82 offset:672
	ds_read_b128 v[6:9], v82 offset:688
	;; [unrolled: 1-line block ×4, first 2 shown]
	v_mul_f32_e32 v103, v58, v51
	v_mul_f32_e32 v105, v60, v53
	v_fmac_f32_e32 v103, v59, v50
	s_waitcnt vmcnt(4) lgkmcnt(3)
	v_pk_mul_f32 v[24:25], v[2:3], v[54:55] op_sel:[1,1] op_sel_hi:[0,1]
	v_fmac_f32_e32 v105, v61, v52
	v_pk_add_f32 v[22:23], v[34:35], v[102:103]
	v_pk_fma_f32 v[26:27], v[2:3], v[54:55], v[24:25] neg_lo:[0,0,1] neg_hi:[0,0,1]
	v_pk_fma_f32 v[2:3], v[2:3], v[54:55], v[24:25] op_sel_hi:[1,0,1]
	v_pk_add_f32 v[22:23], v[22:23], v[104:105]
	v_mov_b32_e32 v27, v3
	v_pk_add_f32 v[2:3], v[22:23], v[26:27]
	v_mov_b32_e32 v22, v57
	v_pk_mul_f32 v[22:23], v[4:5], v[22:23] op_sel:[1,0] op_sel_hi:[0,0]
	v_pk_fma_f32 v[24:25], v[4:5], v[56:57], v[22:23] neg_lo:[0,0,1] neg_hi:[0,0,1]
	v_pk_fma_f32 v[4:5], v[4:5], v[56:57], v[22:23] op_sel_hi:[1,0,1]
	s_nop 0
	v_mov_b32_e32 v25, v5
	s_waitcnt vmcnt(3) lgkmcnt(2)
	v_pk_mul_f32 v[4:5], v[6:7], v[46:47] op_sel:[1,1] op_sel_hi:[0,1]
	v_pk_fma_f32 v[22:23], v[6:7], v[46:47], v[4:5] neg_lo:[0,0,1] neg_hi:[0,0,1]
	v_pk_fma_f32 v[4:5], v[6:7], v[46:47], v[4:5] op_sel_hi:[1,0,1]
	v_pk_add_f32 v[2:3], v[2:3], v[24:25]
	v_mov_b32_e32 v4, v49
	v_mov_b32_e32 v23, v5
	v_pk_mul_f32 v[4:5], v[8:9], v[4:5] op_sel:[1,0] op_sel_hi:[0,0]
	v_pk_fma_f32 v[6:7], v[8:9], v[48:49], v[4:5] neg_lo:[0,0,1] neg_hi:[0,0,1]
	v_pk_fma_f32 v[4:5], v[8:9], v[48:49], v[4:5] op_sel_hi:[1,0,1]
	v_pk_add_f32 v[2:3], v[2:3], v[22:23]
	v_mov_b32_e32 v7, v5
	s_waitcnt vmcnt(2) lgkmcnt(1)
	v_pk_mul_f32 v[4:5], v[10:11], v[30:31] op_sel:[1,1] op_sel_hi:[0,1]
	v_pk_add_f32 v[2:3], v[2:3], v[6:7]
	v_pk_fma_f32 v[6:7], v[10:11], v[30:31], v[4:5] neg_lo:[0,0,1] neg_hi:[0,0,1]
	v_pk_fma_f32 v[4:5], v[10:11], v[30:31], v[4:5] op_sel_hi:[1,0,1]
	s_nop 0
	v_mov_b32_e32 v4, v33
	v_mov_b32_e32 v7, v5
	v_pk_mul_f32 v[4:5], v[12:13], v[4:5] op_sel:[1,0] op_sel_hi:[0,0]
	v_pk_add_f32 v[2:3], v[2:3], v[6:7]
	v_pk_fma_f32 v[6:7], v[12:13], v[32:33], v[4:5] neg_lo:[0,0,1] neg_hi:[0,0,1]
	v_pk_fma_f32 v[4:5], v[12:13], v[32:33], v[4:5] op_sel_hi:[1,0,1]
	s_nop 0
	v_mov_b32_e32 v7, v5
	s_waitcnt vmcnt(1) lgkmcnt(0)
	v_pk_mul_f32 v[4:5], v[18:19], v[14:15] op_sel:[1,1] op_sel_hi:[0,1]
	v_pk_add_f32 v[2:3], v[2:3], v[6:7]
	v_pk_fma_f32 v[6:7], v[18:19], v[14:15], v[4:5] neg_lo:[0,0,1] neg_hi:[0,0,1]
	v_pk_fma_f32 v[4:5], v[18:19], v[14:15], v[4:5] op_sel_hi:[1,0,1]
	s_nop 0
	v_mov_b32_e32 v4, v17
	v_mov_b32_e32 v7, v5
	v_pk_mul_f32 v[4:5], v[20:21], v[4:5] op_sel:[1,0] op_sel_hi:[0,0]
	v_pk_add_f32 v[2:3], v[2:3], v[6:7]
	v_pk_fma_f32 v[6:7], v[20:21], v[16:17], v[4:5] neg_lo:[0,0,1] neg_hi:[0,0,1]
	v_pk_fma_f32 v[4:5], v[20:21], v[16:17], v[4:5] op_sel_hi:[1,0,1]
	s_nop 0
	v_mov_b32_e32 v7, v5
	v_pk_add_f32 v[2:3], v[2:3], v[6:7]
	s_waitcnt vmcnt(0)
	v_pk_add_f32 v[2:3], v[100:101], v[2:3] neg_lo:[0,1] neg_hi:[0,1]
	scratch_store_dwordx2 off, v[2:3], off offset:136
	s_and_saveexec_b64 s[0:1], vcc
	s_cbranch_execz .LBB109_257
; %bb.256:
	scratch_load_dwordx2 v[2:3], off, off offset:128
	v_mov_b32_e32 v4, 0
	v_mov_b32_e32 v5, v4
	scratch_store_dwordx2 off, v[4:5], off offset:128
	s_waitcnt vmcnt(1)
	ds_write_b64 v1, v[2:3]
.LBB109_257:
	s_or_b64 exec, exec, s[0:1]
	s_waitcnt lgkmcnt(0)
	; wave barrier
	scratch_load_dwordx4 v[18:21], off, off offset:136
	scratch_load_dwordx4 v[2:5], off, off offset:152
	;; [unrolled: 1-line block ×14, first 2 shown]
	scratch_load_dwordx2 v[58:59], off, off offset:360
	scratch_load_dwordx2 v[100:101], off, off offset:128
	v_mov_b32_e32 v102, 0
	ds_read2_b64 v[60:63], v102 offset0:63 offset1:64
	ds_read2_b64 v[64:67], v102 offset0:65 offset1:66
	;; [unrolled: 1-line block ×12, first 2 shown]
	v_cmp_lt_u32_e32 vcc, 15, v0
	s_waitcnt vmcnt(15) lgkmcnt(11)
	v_mul_f32_e32 v103, v60, v19
	v_mul_f32_e32 v112, v62, v21
	s_waitcnt vmcnt(14) lgkmcnt(10)
	v_mul_f32_e32 v114, v64, v3
	v_mul_f32_e32 v3, v65, v3
	v_fmac_f32_e32 v103, v61, v18
	v_fmac_f32_e32 v112, v63, v20
	v_fmac_f32_e32 v114, v65, v2
	v_fma_f32 v2, v64, v2, -v3
	v_add_f32_e32 v3, 0, v103
	v_mul_f32_e32 v116, v66, v5
	v_add_f32_e32 v3, v3, v112
	s_waitcnt vmcnt(13) lgkmcnt(9)
	v_mul_f32_e32 v117, v68, v7
	v_fmac_f32_e32 v116, v67, v4
	v_add_f32_e32 v3, v3, v114
	v_mul_f32_e32 v118, v70, v9
	v_fmac_f32_e32 v117, v69, v6
	v_add_f32_e32 v3, v3, v116
	s_waitcnt vmcnt(12) lgkmcnt(8)
	v_mul_f32_e32 v119, v72, v11
	v_fmac_f32_e32 v118, v71, v8
	v_add_f32_e32 v3, v3, v117
	v_mul_f32_e32 v120, v74, v13
	v_fmac_f32_e32 v119, v73, v10
	;; [unrolled: 7-line block ×6, first 2 shown]
	v_add_f32_e32 v3, v3, v126
	s_waitcnt vmcnt(7) lgkmcnt(3)
	v_mul_f32_e32 v129, v92, v43
	v_fmac_f32_e32 v128, v91, v40
	v_add_f32_e32 v3, v3, v127
	v_mul_f32_e32 v130, v94, v45
	v_mul_f32_e32 v19, v61, v19
	v_fmac_f32_e32 v129, v93, v42
	v_add_f32_e32 v3, v3, v128
	s_waitcnt vmcnt(6) lgkmcnt(2)
	v_mul_f32_e32 v131, v96, v51
	v_mul_f32_e32 v21, v63, v21
	v_fmac_f32_e32 v130, v95, v44
	v_fma_f32 v18, v60, v18, -v19
	v_add_f32_e32 v3, v3, v129
	v_fmac_f32_e32 v131, v97, v50
	v_fma_f32 v19, v62, v20, -v21
	v_add_f32_e32 v18, 0, v18
	v_add_f32_e32 v3, v3, v130
	;; [unrolled: 1-line block ×4, first 2 shown]
	v_mul_f32_e32 v3, v67, v5
	v_add_f32_e32 v2, v18, v2
	v_fma_f32 v3, v66, v4, -v3
	v_add_f32_e32 v2, v2, v3
	v_mul_f32_e32 v3, v69, v7
	v_fma_f32 v3, v68, v6, -v3
	v_add_f32_e32 v2, v2, v3
	v_mul_f32_e32 v3, v71, v9
	;; [unrolled: 3-line block ×15, first 2 shown]
	v_fma_f32 v3, v96, v50, -v3
	v_mul_f32_e32 v113, v98, v53
	v_add_f32_e32 v18, v2, v3
	v_mul_f32_e32 v2, v99, v53
	s_waitcnt vmcnt(5)
	v_mov_b32_e32 v14, v57
	s_waitcnt lgkmcnt(1)
	v_mul_f32_e32 v115, v104, v55
	v_fmac_f32_e32 v113, v99, v52
	v_fma_f32 v112, v98, v52, -v2
	v_mul_f32_e32 v2, v105, v55
	v_pk_mul_f32 v[14:15], v[106:107], v[14:15] op_sel:[1,0] op_sel_hi:[0,0]
	v_fmac_f32_e32 v115, v105, v54
	v_fma_f32 v114, v104, v54, -v2
	v_pk_add_f32 v[12:13], v[18:19], v[112:113]
	v_pk_fma_f32 v[16:17], v[106:107], v[56:57], v[14:15] neg_lo:[0,0,1] neg_hi:[0,0,1]
	v_pk_fma_f32 v[14:15], v[106:107], v[56:57], v[14:15] op_sel_hi:[1,0,1]
	v_pk_add_f32 v[12:13], v[12:13], v[114:115]
	v_mov_b32_e32 v17, v15
	s_waitcnt vmcnt(4) lgkmcnt(0)
	v_pk_mul_f32 v[14:15], v[108:109], v[46:47] op_sel:[1,1] op_sel_hi:[0,1]
	v_pk_add_f32 v[12:13], v[12:13], v[16:17]
	v_pk_fma_f32 v[16:17], v[108:109], v[46:47], v[14:15] neg_lo:[0,0,1] neg_hi:[0,0,1]
	v_pk_fma_f32 v[14:15], v[108:109], v[46:47], v[14:15] op_sel_hi:[1,0,1]
	ds_read2_b64 v[2:5], v102 offset0:87 offset1:88
	ds_read2_b64 v[6:9], v102 offset0:89 offset1:90
	ds_read_b64 v[10:11], v102 offset:728
	v_mov_b32_e32 v14, v49
	v_mov_b32_e32 v17, v15
	v_pk_mul_f32 v[14:15], v[110:111], v[14:15] op_sel:[1,0] op_sel_hi:[0,0]
	v_pk_add_f32 v[12:13], v[12:13], v[16:17]
	v_pk_fma_f32 v[16:17], v[110:111], v[48:49], v[14:15] neg_lo:[0,0,1] neg_hi:[0,0,1]
	v_pk_fma_f32 v[14:15], v[110:111], v[48:49], v[14:15] op_sel_hi:[1,0,1]
	s_nop 0
	v_mov_b32_e32 v17, v15
	s_waitcnt vmcnt(3) lgkmcnt(2)
	v_pk_mul_f32 v[14:15], v[2:3], v[34:35] op_sel:[1,1] op_sel_hi:[0,1]
	v_pk_add_f32 v[12:13], v[12:13], v[16:17]
	v_pk_fma_f32 v[16:17], v[2:3], v[34:35], v[14:15] neg_lo:[0,0,1] neg_hi:[0,0,1]
	v_pk_fma_f32 v[2:3], v[2:3], v[34:35], v[14:15] op_sel_hi:[1,0,1]
	s_nop 0
	v_mov_b32_e32 v17, v3
	v_pk_add_f32 v[2:3], v[12:13], v[16:17]
	v_mov_b32_e32 v12, v37
	v_pk_mul_f32 v[12:13], v[4:5], v[12:13] op_sel:[1,0] op_sel_hi:[0,0]
	v_pk_fma_f32 v[14:15], v[4:5], v[36:37], v[12:13] neg_lo:[0,0,1] neg_hi:[0,0,1]
	v_pk_fma_f32 v[4:5], v[4:5], v[36:37], v[12:13] op_sel_hi:[1,0,1]
	s_nop 0
	v_mov_b32_e32 v15, v5
	s_waitcnt vmcnt(2) lgkmcnt(1)
	v_pk_mul_f32 v[4:5], v[6:7], v[22:23] op_sel:[1,1] op_sel_hi:[0,1]
	v_pk_fma_f32 v[12:13], v[6:7], v[22:23], v[4:5] neg_lo:[0,0,1] neg_hi:[0,0,1]
	v_pk_fma_f32 v[4:5], v[6:7], v[22:23], v[4:5] op_sel_hi:[1,0,1]
	v_pk_add_f32 v[2:3], v[2:3], v[14:15]
	v_mov_b32_e32 v4, v25
	v_mov_b32_e32 v13, v5
	v_pk_mul_f32 v[4:5], v[8:9], v[4:5] op_sel:[1,0] op_sel_hi:[0,0]
	v_pk_fma_f32 v[6:7], v[8:9], v[24:25], v[4:5] neg_lo:[0,0,1] neg_hi:[0,0,1]
	v_pk_fma_f32 v[4:5], v[8:9], v[24:25], v[4:5] op_sel_hi:[1,0,1]
	v_pk_add_f32 v[2:3], v[2:3], v[12:13]
	v_mov_b32_e32 v7, v5
	s_waitcnt vmcnt(1) lgkmcnt(0)
	v_pk_mul_f32 v[4:5], v[10:11], v[58:59] op_sel:[1,1] op_sel_hi:[0,1]
	v_pk_add_f32 v[2:3], v[2:3], v[6:7]
	v_pk_fma_f32 v[6:7], v[10:11], v[58:59], v[4:5] neg_lo:[0,0,1] neg_hi:[0,0,1]
	v_pk_fma_f32 v[4:5], v[10:11], v[58:59], v[4:5] op_sel_hi:[1,0,1]
	s_nop 0
	v_mov_b32_e32 v7, v5
	v_pk_add_f32 v[2:3], v[2:3], v[6:7]
	s_waitcnt vmcnt(0)
	v_pk_add_f32 v[2:3], v[100:101], v[2:3] neg_lo:[0,1] neg_hi:[0,1]
	scratch_store_dwordx2 off, v[2:3], off offset:128
	s_and_saveexec_b64 s[0:1], vcc
	s_cbranch_execz .LBB109_259
; %bb.258:
	scratch_load_dwordx2 v[2:3], off, off offset:120
	v_mov_b32_e32 v103, v102
	scratch_store_dwordx2 off, v[102:103], off offset:120
	s_waitcnt vmcnt(1)
	ds_write_b64 v1, v[2:3]
.LBB109_259:
	s_or_b64 exec, exec, s[0:1]
	s_waitcnt lgkmcnt(0)
	; wave barrier
	scratch_load_dwordx4 v[22:25], off, off offset:128
	scratch_load_dwordx4 v[2:5], off, off offset:144
	;; [unrolled: 1-line block ×11, first 2 shown]
	ds_read_b128 v[104:107], v102 offset:496
	ds_read_b128 v[98:101], v102 offset:512
	;; [unrolled: 1-line block ×10, first 2 shown]
	scratch_load_dwordx4 v[58:61], off, off offset:304
	scratch_load_dwordx4 v[50:53], off, off offset:320
	;; [unrolled: 1-line block ×4, first 2 shown]
	ds_read_b128 v[78:81], v102 offset:656
	ds_read_b128 v[108:111], v102 offset:672
	scratch_load_dwordx2 v[112:113], off, off offset:120
	v_cmp_lt_u32_e32 vcc, 14, v0
	s_waitcnt vmcnt(15) lgkmcnt(11)
	v_mul_f32_e32 v103, v104, v23
	v_mul_f32_e32 v114, v106, v25
	s_waitcnt vmcnt(14) lgkmcnt(10)
	v_mul_f32_e32 v116, v98, v3
	v_mul_f32_e32 v3, v99, v3
	v_fmac_f32_e32 v103, v105, v22
	v_fmac_f32_e32 v114, v107, v24
	v_fmac_f32_e32 v116, v99, v2
	v_fma_f32 v2, v98, v2, -v3
	v_add_f32_e32 v3, 0, v103
	v_mul_f32_e32 v118, v100, v5
	v_add_f32_e32 v3, v3, v114
	s_waitcnt vmcnt(13) lgkmcnt(9)
	v_mul_f32_e32 v119, v94, v7
	v_fmac_f32_e32 v118, v101, v4
	v_add_f32_e32 v3, v3, v116
	v_mul_f32_e32 v120, v96, v9
	v_fmac_f32_e32 v119, v95, v6
	v_add_f32_e32 v3, v3, v118
	s_waitcnt vmcnt(12) lgkmcnt(8)
	v_mul_f32_e32 v121, v90, v11
	v_fmac_f32_e32 v120, v97, v8
	v_add_f32_e32 v3, v3, v119
	v_mul_f32_e32 v122, v92, v13
	v_fmac_f32_e32 v121, v91, v10
	;; [unrolled: 7-line block ×7, first 2 shown]
	v_add_f32_e32 v3, v3, v130
	s_waitcnt vmcnt(6) lgkmcnt(2)
	v_mul_f32_e32 v133, v62, v47
	v_mul_f32_e32 v23, v105, v23
	v_fmac_f32_e32 v132, v69, v44
	v_add_f32_e32 v3, v3, v131
	v_mul_f32_e32 v134, v64, v49
	v_mul_f32_e32 v25, v107, v25
	v_fmac_f32_e32 v133, v63, v46
	v_fma_f32 v22, v104, v22, -v23
	v_add_f32_e32 v3, v3, v132
	v_fmac_f32_e32 v134, v65, v48
	v_fma_f32 v23, v106, v24, -v25
	v_add_f32_e32 v22, 0, v22
	v_add_f32_e32 v3, v3, v133
	;; [unrolled: 1-line block ×4, first 2 shown]
	v_mul_f32_e32 v3, v101, v5
	v_add_f32_e32 v2, v22, v2
	v_fma_f32 v3, v100, v4, -v3
	v_add_f32_e32 v2, v2, v3
	v_mul_f32_e32 v3, v95, v7
	v_fma_f32 v3, v94, v6, -v3
	v_add_f32_e32 v2, v2, v3
	v_mul_f32_e32 v3, v97, v9
	;; [unrolled: 3-line block ×16, first 2 shown]
	v_fma_f32 v3, v64, v48, -v3
	s_waitcnt vmcnt(5) lgkmcnt(1)
	v_mul_f32_e32 v115, v78, v55
	v_add_f32_e32 v22, v2, v3
	v_mul_f32_e32 v2, v79, v55
	s_waitcnt vmcnt(4) lgkmcnt(0)
	v_pk_mul_f32 v[16:17], v[108:109], v[58:59] op_sel:[1,1] op_sel_hi:[0,1]
	v_mul_f32_e32 v117, v80, v57
	v_fmac_f32_e32 v115, v79, v54
	v_fma_f32 v114, v78, v54, -v2
	v_mul_f32_e32 v2, v81, v57
	v_pk_fma_f32 v[18:19], v[108:109], v[58:59], v[16:17] neg_lo:[0,0,1] neg_hi:[0,0,1]
	v_pk_fma_f32 v[16:17], v[108:109], v[58:59], v[16:17] op_sel_hi:[1,0,1]
	v_fmac_f32_e32 v117, v81, v56
	v_fma_f32 v116, v80, v56, -v2
	ds_read_b128 v[2:5], v102 offset:688
	ds_read_b128 v[6:9], v102 offset:704
	;; [unrolled: 1-line block ×3, first 2 shown]
	v_pk_add_f32 v[14:15], v[22:23], v[114:115]
	v_mov_b32_e32 v16, v61
	v_pk_add_f32 v[14:15], v[14:15], v[116:117]
	v_mov_b32_e32 v19, v17
	v_pk_mul_f32 v[16:17], v[110:111], v[16:17] op_sel:[1,0] op_sel_hi:[0,0]
	v_pk_add_f32 v[14:15], v[14:15], v[18:19]
	v_pk_fma_f32 v[18:19], v[110:111], v[60:61], v[16:17] neg_lo:[0,0,1] neg_hi:[0,0,1]
	v_pk_fma_f32 v[16:17], v[110:111], v[60:61], v[16:17] op_sel_hi:[1,0,1]
	s_nop 0
	v_mov_b32_e32 v19, v17
	s_waitcnt vmcnt(3) lgkmcnt(2)
	v_pk_mul_f32 v[16:17], v[2:3], v[50:51] op_sel:[1,1] op_sel_hi:[0,1]
	v_pk_add_f32 v[14:15], v[14:15], v[18:19]
	v_pk_fma_f32 v[18:19], v[2:3], v[50:51], v[16:17] neg_lo:[0,0,1] neg_hi:[0,0,1]
	v_pk_fma_f32 v[2:3], v[2:3], v[50:51], v[16:17] op_sel_hi:[1,0,1]
	s_nop 0
	v_mov_b32_e32 v19, v3
	v_pk_add_f32 v[2:3], v[14:15], v[18:19]
	v_mov_b32_e32 v14, v53
	v_pk_mul_f32 v[14:15], v[4:5], v[14:15] op_sel:[1,0] op_sel_hi:[0,0]
	v_pk_fma_f32 v[16:17], v[4:5], v[52:53], v[14:15] neg_lo:[0,0,1] neg_hi:[0,0,1]
	v_pk_fma_f32 v[4:5], v[4:5], v[52:53], v[14:15] op_sel_hi:[1,0,1]
	s_nop 0
	v_mov_b32_e32 v17, v5
	s_waitcnt vmcnt(2) lgkmcnt(1)
	v_pk_mul_f32 v[4:5], v[6:7], v[38:39] op_sel:[1,1] op_sel_hi:[0,1]
	v_pk_fma_f32 v[14:15], v[6:7], v[38:39], v[4:5] neg_lo:[0,0,1] neg_hi:[0,0,1]
	v_pk_fma_f32 v[4:5], v[6:7], v[38:39], v[4:5] op_sel_hi:[1,0,1]
	v_pk_add_f32 v[2:3], v[2:3], v[16:17]
	v_mov_b32_e32 v4, v41
	v_mov_b32_e32 v15, v5
	v_pk_mul_f32 v[4:5], v[8:9], v[4:5] op_sel:[1,0] op_sel_hi:[0,0]
	v_pk_fma_f32 v[6:7], v[8:9], v[40:41], v[4:5] neg_lo:[0,0,1] neg_hi:[0,0,1]
	v_pk_fma_f32 v[4:5], v[8:9], v[40:41], v[4:5] op_sel_hi:[1,0,1]
	v_pk_add_f32 v[2:3], v[2:3], v[14:15]
	v_mov_b32_e32 v7, v5
	s_waitcnt vmcnt(1) lgkmcnt(0)
	v_pk_mul_f32 v[4:5], v[10:11], v[26:27] op_sel:[1,1] op_sel_hi:[0,1]
	v_pk_add_f32 v[2:3], v[2:3], v[6:7]
	v_pk_fma_f32 v[6:7], v[10:11], v[26:27], v[4:5] neg_lo:[0,0,1] neg_hi:[0,0,1]
	v_pk_fma_f32 v[4:5], v[10:11], v[26:27], v[4:5] op_sel_hi:[1,0,1]
	s_nop 0
	v_mov_b32_e32 v4, v29
	v_mov_b32_e32 v7, v5
	v_pk_mul_f32 v[4:5], v[12:13], v[4:5] op_sel:[1,0] op_sel_hi:[0,0]
	v_pk_add_f32 v[2:3], v[2:3], v[6:7]
	v_pk_fma_f32 v[6:7], v[12:13], v[28:29], v[4:5] neg_lo:[0,0,1] neg_hi:[0,0,1]
	v_pk_fma_f32 v[4:5], v[12:13], v[28:29], v[4:5] op_sel_hi:[1,0,1]
	s_nop 0
	v_mov_b32_e32 v7, v5
	v_pk_add_f32 v[2:3], v[2:3], v[6:7]
	s_waitcnt vmcnt(0)
	v_pk_add_f32 v[2:3], v[112:113], v[2:3] neg_lo:[0,1] neg_hi:[0,1]
	scratch_store_dwordx2 off, v[2:3], off offset:120
	s_and_saveexec_b64 s[0:1], vcc
	s_cbranch_execz .LBB109_261
; %bb.260:
	scratch_load_dwordx2 v[2:3], off, off offset:112
	v_mov_b32_e32 v4, 0
	v_mov_b32_e32 v5, v4
	scratch_store_dwordx2 off, v[4:5], off offset:112
	s_waitcnt vmcnt(1)
	ds_write_b64 v1, v[2:3]
.LBB109_261:
	s_or_b64 exec, exec, s[0:1]
	s_waitcnt lgkmcnt(0)
	; wave barrier
	scratch_load_dwordx4 v[2:5], off, off offset:120
	scratch_load_dwordx4 v[6:9], off, off offset:136
	scratch_load_dwordx4 v[10:13], off, off offset:152
	scratch_load_dwordx4 v[14:17], off, off offset:168
	scratch_load_dwordx4 v[18:21], off, off offset:184
	scratch_load_dwordx4 v[22:25], off, off offset:200
	scratch_load_dwordx4 v[30:33], off, off offset:216
	scratch_load_dwordx4 v[34:37], off, off offset:232
	scratch_load_dwordx4 v[42:45], off, off offset:248
	scratch_load_dwordx4 v[46:49], off, off offset:264
	scratch_load_dwordx4 v[58:61], off, off offset:280
	scratch_load_dwordx4 v[54:57], off, off offset:296
	scratch_load_dwordx4 v[50:53], off, off offset:312
	scratch_load_dwordx4 v[38:41], off, off offset:328
	scratch_load_dwordx4 v[26:29], off, off offset:344
	scratch_load_dwordx2 v[62:63], off, off offset:360
	scratch_load_dwordx2 v[112:113], off, off offset:112
	v_mov_b32_e32 v114, 0
	ds_read2_b64 v[64:67], v114 offset0:61 offset1:62
	ds_read2_b64 v[68:71], v114 offset0:63 offset1:64
	;; [unrolled: 1-line block ×12, first 2 shown]
	v_cmp_lt_u32_e32 vcc, 13, v0
	s_waitcnt vmcnt(16) lgkmcnt(11)
	v_mul_f32_e32 v115, v64, v3
	v_mul_f32_e32 v116, v66, v5
	;; [unrolled: 1-line block ×3, first 2 shown]
	v_fmac_f32_e32 v115, v65, v2
	s_waitcnt vmcnt(15) lgkmcnt(10)
	v_mul_f32_e32 v118, v68, v7
	v_fmac_f32_e32 v116, v67, v4
	v_fma_f32 v2, v64, v2, -v3
	v_add_f32_e32 v3, 0, v115
	v_mul_f32_e32 v120, v70, v9
	v_fmac_f32_e32 v118, v69, v6
	v_add_f32_e32 v3, v3, v116
	s_waitcnt vmcnt(14) lgkmcnt(9)
	v_mul_f32_e32 v121, v72, v11
	v_fmac_f32_e32 v120, v71, v8
	v_add_f32_e32 v3, v3, v118
	v_mul_f32_e32 v122, v74, v13
	v_fmac_f32_e32 v121, v73, v10
	v_add_f32_e32 v3, v3, v120
	s_waitcnt vmcnt(13) lgkmcnt(8)
	v_mul_f32_e32 v123, v76, v15
	v_fmac_f32_e32 v122, v75, v12
	;; [unrolled: 7-line block ×9, first 2 shown]
	v_add_f32_e32 v3, v3, v135
	v_mul_f32_e32 v5, v67, v5
	v_fmac_f32_e32 v137, v105, v58
	v_add_f32_e32 v3, v3, v136
	v_add_f32_e32 v2, 0, v2
	;; [unrolled: 1-line block ×3, first 2 shown]
	v_fma_f32 v3, v66, v4, -v5
	v_add_f32_e32 v2, v2, v3
	v_mul_f32_e32 v3, v69, v7
	v_fma_f32 v3, v68, v6, -v3
	v_add_f32_e32 v2, v2, v3
	v_mul_f32_e32 v3, v71, v9
	;; [unrolled: 3-line block ×20, first 2 shown]
	v_mul_f32_e32 v117, v106, v61
	v_fma_f32 v116, v106, v60, -v2
	s_waitcnt vmcnt(5) lgkmcnt(0)
	v_mul_f32_e32 v2, v109, v55
	v_mov_b32_e32 v18, v57
	v_mul_f32_e32 v119, v108, v55
	v_fmac_f32_e32 v117, v107, v60
	v_fma_f32 v118, v108, v54, -v2
	ds_read2_b64 v[2:5], v114 offset0:85 offset1:86
	ds_read2_b64 v[6:9], v114 offset0:87 offset1:88
	;; [unrolled: 1-line block ×3, first 2 shown]
	ds_read_b64 v[14:15], v114 offset:728
	v_pk_mul_f32 v[18:19], v[110:111], v[18:19] op_sel:[1,0] op_sel_hi:[0,0]
	v_fmac_f32_e32 v119, v109, v54
	v_pk_add_f32 v[16:17], v[64:65], v[116:117]
	v_pk_fma_f32 v[20:21], v[110:111], v[56:57], v[18:19] neg_lo:[0,0,1] neg_hi:[0,0,1]
	v_pk_fma_f32 v[18:19], v[110:111], v[56:57], v[18:19] op_sel_hi:[1,0,1]
	v_pk_add_f32 v[16:17], v[16:17], v[118:119]
	v_mov_b32_e32 v21, v19
	s_waitcnt vmcnt(4) lgkmcnt(3)
	v_pk_mul_f32 v[18:19], v[2:3], v[50:51] op_sel:[1,1] op_sel_hi:[0,1]
	v_pk_add_f32 v[16:17], v[16:17], v[20:21]
	v_pk_fma_f32 v[20:21], v[2:3], v[50:51], v[18:19] neg_lo:[0,0,1] neg_hi:[0,0,1]
	v_pk_fma_f32 v[2:3], v[2:3], v[50:51], v[18:19] op_sel_hi:[1,0,1]
	s_nop 0
	v_mov_b32_e32 v21, v3
	v_pk_add_f32 v[2:3], v[16:17], v[20:21]
	v_mov_b32_e32 v16, v53
	v_pk_mul_f32 v[16:17], v[4:5], v[16:17] op_sel:[1,0] op_sel_hi:[0,0]
	v_pk_fma_f32 v[18:19], v[4:5], v[52:53], v[16:17] neg_lo:[0,0,1] neg_hi:[0,0,1]
	v_pk_fma_f32 v[4:5], v[4:5], v[52:53], v[16:17] op_sel_hi:[1,0,1]
	s_nop 0
	v_mov_b32_e32 v19, v5
	s_waitcnt vmcnt(3) lgkmcnt(2)
	v_pk_mul_f32 v[4:5], v[6:7], v[38:39] op_sel:[1,1] op_sel_hi:[0,1]
	v_pk_fma_f32 v[16:17], v[6:7], v[38:39], v[4:5] neg_lo:[0,0,1] neg_hi:[0,0,1]
	v_pk_fma_f32 v[4:5], v[6:7], v[38:39], v[4:5] op_sel_hi:[1,0,1]
	v_pk_add_f32 v[2:3], v[2:3], v[18:19]
	v_mov_b32_e32 v4, v41
	v_mov_b32_e32 v17, v5
	v_pk_mul_f32 v[4:5], v[8:9], v[4:5] op_sel:[1,0] op_sel_hi:[0,0]
	v_pk_fma_f32 v[6:7], v[8:9], v[40:41], v[4:5] neg_lo:[0,0,1] neg_hi:[0,0,1]
	v_pk_fma_f32 v[4:5], v[8:9], v[40:41], v[4:5] op_sel_hi:[1,0,1]
	v_pk_add_f32 v[2:3], v[2:3], v[16:17]
	v_mov_b32_e32 v7, v5
	s_waitcnt vmcnt(2) lgkmcnt(1)
	v_pk_mul_f32 v[4:5], v[10:11], v[26:27] op_sel:[1,1] op_sel_hi:[0,1]
	v_pk_add_f32 v[2:3], v[2:3], v[6:7]
	v_pk_fma_f32 v[6:7], v[10:11], v[26:27], v[4:5] neg_lo:[0,0,1] neg_hi:[0,0,1]
	v_pk_fma_f32 v[4:5], v[10:11], v[26:27], v[4:5] op_sel_hi:[1,0,1]
	s_nop 0
	v_mov_b32_e32 v4, v29
	v_mov_b32_e32 v7, v5
	v_pk_mul_f32 v[4:5], v[12:13], v[4:5] op_sel:[1,0] op_sel_hi:[0,0]
	v_pk_add_f32 v[2:3], v[2:3], v[6:7]
	v_pk_fma_f32 v[6:7], v[12:13], v[28:29], v[4:5] neg_lo:[0,0,1] neg_hi:[0,0,1]
	v_pk_fma_f32 v[4:5], v[12:13], v[28:29], v[4:5] op_sel_hi:[1,0,1]
	s_nop 0
	v_mov_b32_e32 v7, v5
	s_waitcnt vmcnt(1) lgkmcnt(0)
	v_pk_mul_f32 v[4:5], v[14:15], v[62:63] op_sel:[1,1] op_sel_hi:[0,1]
	v_pk_add_f32 v[2:3], v[2:3], v[6:7]
	v_pk_fma_f32 v[6:7], v[14:15], v[62:63], v[4:5] neg_lo:[0,0,1] neg_hi:[0,0,1]
	v_pk_fma_f32 v[4:5], v[14:15], v[62:63], v[4:5] op_sel_hi:[1,0,1]
	s_nop 0
	v_mov_b32_e32 v7, v5
	v_pk_add_f32 v[2:3], v[2:3], v[6:7]
	s_waitcnt vmcnt(0)
	v_pk_add_f32 v[2:3], v[112:113], v[2:3] neg_lo:[0,1] neg_hi:[0,1]
	scratch_store_dwordx2 off, v[2:3], off offset:112
	s_and_saveexec_b64 s[0:1], vcc
	s_cbranch_execz .LBB109_263
; %bb.262:
	scratch_load_dwordx2 v[2:3], off, off offset:104
	v_mov_b32_e32 v115, v114
	scratch_store_dwordx2 off, v[114:115], off offset:104
	s_waitcnt vmcnt(1)
	ds_write_b64 v1, v[2:3]
.LBB109_263:
	s_or_b64 exec, exec, s[0:1]
	s_waitcnt lgkmcnt(0)
	; wave barrier
	scratch_load_dwordx4 v[2:5], off, off offset:112
	scratch_load_dwordx4 v[6:9], off, off offset:128
	;; [unrolled: 1-line block ×12, first 2 shown]
	ds_read_b128 v[110:113], v114 offset:480
	ds_read_b128 v[106:109], v114 offset:496
	;; [unrolled: 1-line block ×12, first 2 shown]
	scratch_load_dwordx4 v[62:65], off, off offset:304
	scratch_load_dwordx4 v[54:57], off, off offset:320
	scratch_load_dwordx4 v[42:45], off, off offset:336
	scratch_load_dwordx4 v[34:37], off, off offset:352
	scratch_load_dwordx2 v[116:117], off, off offset:104
	v_cmp_lt_u32_e32 vcc, 12, v0
	s_waitcnt vmcnt(16) lgkmcnt(11)
	v_mul_f32_e32 v115, v110, v3
	v_mul_f32_e32 v118, v112, v5
	;; [unrolled: 1-line block ×3, first 2 shown]
	v_fmac_f32_e32 v115, v111, v2
	s_waitcnt vmcnt(15) lgkmcnt(10)
	v_mul_f32_e32 v120, v106, v7
	v_fmac_f32_e32 v118, v113, v4
	v_fma_f32 v2, v110, v2, -v3
	v_add_f32_e32 v3, 0, v115
	v_mul_f32_e32 v122, v108, v9
	v_fmac_f32_e32 v120, v107, v6
	v_add_f32_e32 v3, v3, v118
	s_waitcnt vmcnt(14) lgkmcnt(9)
	v_mul_f32_e32 v123, v102, v11
	v_fmac_f32_e32 v122, v109, v8
	v_add_f32_e32 v3, v3, v120
	v_mul_f32_e32 v124, v104, v13
	v_fmac_f32_e32 v123, v103, v10
	v_add_f32_e32 v3, v3, v122
	s_waitcnt vmcnt(13) lgkmcnt(8)
	v_mul_f32_e32 v125, v98, v15
	v_fmac_f32_e32 v124, v105, v12
	;; [unrolled: 7-line block ×9, first 2 shown]
	v_add_f32_e32 v3, v3, v137
	v_mul_f32_e32 v140, v72, v53
	v_fmac_f32_e32 v139, v71, v50
	v_add_f32_e32 v3, v3, v138
	v_fmac_f32_e32 v140, v73, v52
	v_add_f32_e32 v3, v3, v139
	v_add_f32_e32 v111, v3, v140
	v_mul_f32_e32 v3, v113, v5
	v_add_f32_e32 v2, 0, v2
	v_fma_f32 v3, v112, v4, -v3
	v_add_f32_e32 v2, v2, v3
	v_mul_f32_e32 v3, v107, v7
	v_fma_f32 v3, v106, v6, -v3
	v_add_f32_e32 v2, v2, v3
	v_mul_f32_e32 v3, v109, v9
	;; [unrolled: 3-line block ×20, first 2 shown]
	v_fma_f32 v3, v72, v52, -v3
	v_add_f32_e32 v110, v2, v3
	s_waitcnt vmcnt(5) lgkmcnt(0)
	v_mul_f32_e32 v2, v67, v59
	v_fma_f32 v118, v66, v58, -v2
	v_mul_f32_e32 v2, v69, v61
	v_fma_f32 v120, v68, v60, -v2
	ds_read_b128 v[2:5], v114 offset:672
	ds_read_b128 v[6:9], v114 offset:688
	;; [unrolled: 1-line block ×4, first 2 shown]
	v_mul_f32_e32 v119, v66, v59
	v_mul_f32_e32 v121, v68, v61
	v_fmac_f32_e32 v119, v67, v58
	s_waitcnt vmcnt(4) lgkmcnt(3)
	v_pk_mul_f32 v[20:21], v[2:3], v[62:63] op_sel:[1,1] op_sel_hi:[0,1]
	v_fmac_f32_e32 v121, v69, v60
	v_pk_add_f32 v[18:19], v[110:111], v[118:119]
	v_pk_fma_f32 v[22:23], v[2:3], v[62:63], v[20:21] neg_lo:[0,0,1] neg_hi:[0,0,1]
	v_pk_fma_f32 v[2:3], v[2:3], v[62:63], v[20:21] op_sel_hi:[1,0,1]
	v_pk_add_f32 v[18:19], v[18:19], v[120:121]
	v_mov_b32_e32 v23, v3
	v_pk_add_f32 v[2:3], v[18:19], v[22:23]
	v_mov_b32_e32 v18, v65
	v_pk_mul_f32 v[18:19], v[4:5], v[18:19] op_sel:[1,0] op_sel_hi:[0,0]
	v_pk_fma_f32 v[20:21], v[4:5], v[64:65], v[18:19] neg_lo:[0,0,1] neg_hi:[0,0,1]
	v_pk_fma_f32 v[4:5], v[4:5], v[64:65], v[18:19] op_sel_hi:[1,0,1]
	s_nop 0
	v_mov_b32_e32 v21, v5
	s_waitcnt vmcnt(3) lgkmcnt(2)
	v_pk_mul_f32 v[4:5], v[6:7], v[54:55] op_sel:[1,1] op_sel_hi:[0,1]
	v_pk_fma_f32 v[18:19], v[6:7], v[54:55], v[4:5] neg_lo:[0,0,1] neg_hi:[0,0,1]
	v_pk_fma_f32 v[4:5], v[6:7], v[54:55], v[4:5] op_sel_hi:[1,0,1]
	v_pk_add_f32 v[2:3], v[2:3], v[20:21]
	v_mov_b32_e32 v4, v57
	v_mov_b32_e32 v19, v5
	v_pk_mul_f32 v[4:5], v[8:9], v[4:5] op_sel:[1,0] op_sel_hi:[0,0]
	v_pk_fma_f32 v[6:7], v[8:9], v[56:57], v[4:5] neg_lo:[0,0,1] neg_hi:[0,0,1]
	v_pk_fma_f32 v[4:5], v[8:9], v[56:57], v[4:5] op_sel_hi:[1,0,1]
	v_pk_add_f32 v[2:3], v[2:3], v[18:19]
	v_mov_b32_e32 v7, v5
	s_waitcnt vmcnt(2) lgkmcnt(1)
	v_pk_mul_f32 v[4:5], v[10:11], v[42:43] op_sel:[1,1] op_sel_hi:[0,1]
	v_pk_add_f32 v[2:3], v[2:3], v[6:7]
	v_pk_fma_f32 v[6:7], v[10:11], v[42:43], v[4:5] neg_lo:[0,0,1] neg_hi:[0,0,1]
	v_pk_fma_f32 v[4:5], v[10:11], v[42:43], v[4:5] op_sel_hi:[1,0,1]
	s_nop 0
	v_mov_b32_e32 v4, v45
	v_mov_b32_e32 v7, v5
	v_pk_mul_f32 v[4:5], v[12:13], v[4:5] op_sel:[1,0] op_sel_hi:[0,0]
	v_pk_add_f32 v[2:3], v[2:3], v[6:7]
	v_pk_fma_f32 v[6:7], v[12:13], v[44:45], v[4:5] neg_lo:[0,0,1] neg_hi:[0,0,1]
	v_pk_fma_f32 v[4:5], v[12:13], v[44:45], v[4:5] op_sel_hi:[1,0,1]
	s_nop 0
	v_mov_b32_e32 v7, v5
	s_waitcnt vmcnt(1) lgkmcnt(0)
	v_pk_mul_f32 v[4:5], v[14:15], v[34:35] op_sel:[1,1] op_sel_hi:[0,1]
	v_pk_add_f32 v[2:3], v[2:3], v[6:7]
	v_pk_fma_f32 v[6:7], v[14:15], v[34:35], v[4:5] neg_lo:[0,0,1] neg_hi:[0,0,1]
	v_pk_fma_f32 v[4:5], v[14:15], v[34:35], v[4:5] op_sel_hi:[1,0,1]
	s_nop 0
	v_mov_b32_e32 v4, v37
	v_mov_b32_e32 v7, v5
	v_pk_mul_f32 v[4:5], v[16:17], v[4:5] op_sel:[1,0] op_sel_hi:[0,0]
	v_pk_add_f32 v[2:3], v[2:3], v[6:7]
	v_pk_fma_f32 v[6:7], v[16:17], v[36:37], v[4:5] neg_lo:[0,0,1] neg_hi:[0,0,1]
	v_pk_fma_f32 v[4:5], v[16:17], v[36:37], v[4:5] op_sel_hi:[1,0,1]
	s_nop 0
	v_mov_b32_e32 v7, v5
	v_pk_add_f32 v[2:3], v[2:3], v[6:7]
	s_waitcnt vmcnt(0)
	v_pk_add_f32 v[2:3], v[116:117], v[2:3] neg_lo:[0,1] neg_hi:[0,1]
	scratch_store_dwordx2 off, v[2:3], off offset:104
	s_and_saveexec_b64 s[0:1], vcc
	s_cbranch_execz .LBB109_265
; %bb.264:
	scratch_load_dwordx2 v[2:3], off, off offset:96
	v_mov_b32_e32 v4, 0
	v_mov_b32_e32 v5, v4
	scratch_store_dwordx2 off, v[4:5], off offset:96
	s_waitcnt vmcnt(1)
	ds_write_b64 v1, v[2:3]
.LBB109_265:
	s_or_b64 exec, exec, s[0:1]
	s_waitcnt lgkmcnt(0)
	; wave barrier
	scratch_load_dwordx4 v[2:5], off, off offset:104
	scratch_load_dwordx4 v[6:9], off, off offset:120
	scratch_load_dwordx4 v[10:13], off, off offset:136
	scratch_load_dwordx4 v[14:17], off, off offset:152
	scratch_load_dwordx4 v[18:21], off, off offset:168
	scratch_load_dwordx4 v[22:25], off, off offset:184
	scratch_load_dwordx4 v[26:29], off, off offset:200
	scratch_load_dwordx4 v[30:33], off, off offset:216
	scratch_load_dwordx4 v[34:37], off, off offset:232
	scratch_load_dwordx4 v[38:41], off, off offset:248
	scratch_load_dwordx4 v[42:45], off, off offset:264
	scratch_load_dwordx4 v[46:49], off, off offset:280
	scratch_load_dwordx4 v[50:53], off, off offset:296
	v_mov_b32_e32 v106, 0
	scratch_load_dwordx2 v[124:125], off, off offset:96
	ds_read2_b64 v[54:57], v106 offset0:59 offset1:60
	ds_read2_b64 v[58:61], v106 offset0:61 offset1:62
	ds_read2_b64 v[62:65], v106 offset0:63 offset1:64
	ds_read2_b64 v[66:69], v106 offset0:65 offset1:66
	ds_read2_b64 v[70:73], v106 offset0:67 offset1:68
	ds_read2_b64 v[74:77], v106 offset0:69 offset1:70
	ds_read2_b64 v[78:81], v106 offset0:71 offset1:72
	ds_read2_b64 v[82:85], v106 offset0:73 offset1:74
	ds_read2_b64 v[86:89], v106 offset0:75 offset1:76
	ds_read2_b64 v[90:93], v106 offset0:77 offset1:78
	ds_read2_b64 v[94:97], v106 offset0:79 offset1:80
	ds_read2_b64 v[98:101], v106 offset0:81 offset1:82
	ds_read2_b64 v[102:105], v106 offset0:83 offset1:84
	ds_read2_b64 v[108:111], v106 offset0:85 offset1:86
	v_cmp_lt_u32_e32 vcc, 11, v0
	s_waitcnt vmcnt(13) lgkmcnt(13)
	v_mul_f32_e32 v107, v54, v3
	v_mul_f32_e32 v112, v56, v5
	v_fmac_f32_e32 v107, v55, v2
	s_waitcnt vmcnt(12) lgkmcnt(12)
	v_mul_f32_e32 v113, v58, v7
	v_fmac_f32_e32 v112, v57, v4
	v_add_f32_e32 v107, 0, v107
	v_mul_f32_e32 v114, v60, v9
	v_fmac_f32_e32 v113, v59, v6
	v_add_f32_e32 v107, v107, v112
	s_waitcnt vmcnt(11) lgkmcnt(11)
	v_mul_f32_e32 v115, v62, v11
	v_fmac_f32_e32 v114, v61, v8
	v_add_f32_e32 v107, v107, v113
	v_mul_f32_e32 v116, v64, v13
	v_fmac_f32_e32 v115, v63, v10
	v_add_f32_e32 v107, v107, v114
	;; [unrolled: 7-line block ×8, first 2 shown]
	s_waitcnt vmcnt(4) lgkmcnt(4)
	v_mul_f32_e32 v133, v90, v39
	v_fmac_f32_e32 v132, v89, v36
	v_add_f32_e32 v107, v107, v131
	v_fmac_f32_e32 v133, v91, v38
	v_add_f32_e32 v107, v107, v132
	v_add_f32_e32 v107, v107, v133
	scratch_load_dwordx4 v[112:115], off, off offset:312
	scratch_load_dwordx4 v[116:119], off, off offset:328
	;; [unrolled: 1-line block ×3, first 2 shown]
	scratch_load_dwordx2 v[132:133], off, off offset:360
	v_mul_f32_e32 v3, v55, v3
	v_fma_f32 v2, v54, v2, -v3
	v_mul_f32_e32 v3, v57, v5
	v_add_f32_e32 v2, 0, v2
	v_fma_f32 v3, v56, v4, -v3
	v_add_f32_e32 v2, v2, v3
	v_mul_f32_e32 v3, v59, v7
	v_fma_f32 v3, v58, v6, -v3
	v_add_f32_e32 v2, v2, v3
	v_mul_f32_e32 v3, v61, v9
	v_fma_f32 v3, v60, v8, -v3
	v_add_f32_e32 v2, v2, v3
	v_mul_f32_e32 v3, v63, v11
	v_fma_f32 v3, v62, v10, -v3
	v_add_f32_e32 v2, v2, v3
	v_mul_f32_e32 v3, v65, v13
	v_fma_f32 v3, v64, v12, -v3
	v_add_f32_e32 v2, v2, v3
	v_mul_f32_e32 v3, v67, v15
	v_fma_f32 v3, v66, v14, -v3
	v_add_f32_e32 v2, v2, v3
	v_mul_f32_e32 v3, v69, v17
	v_fma_f32 v3, v68, v16, -v3
	v_add_f32_e32 v2, v2, v3
	v_mul_f32_e32 v3, v71, v19
	v_fma_f32 v3, v70, v18, -v3
	v_add_f32_e32 v2, v2, v3
	v_mul_f32_e32 v3, v73, v21
	v_fma_f32 v3, v72, v20, -v3
	v_add_f32_e32 v2, v2, v3
	v_mul_f32_e32 v3, v75, v23
	v_fma_f32 v3, v74, v22, -v3
	v_add_f32_e32 v2, v2, v3
	v_mul_f32_e32 v3, v77, v25
	v_fma_f32 v3, v76, v24, -v3
	v_add_f32_e32 v2, v2, v3
	v_mul_f32_e32 v3, v79, v27
	v_fma_f32 v3, v78, v26, -v3
	v_add_f32_e32 v2, v2, v3
	v_mul_f32_e32 v3, v81, v29
	v_fma_f32 v3, v80, v28, -v3
	v_add_f32_e32 v2, v2, v3
	v_mul_f32_e32 v3, v83, v31
	v_fma_f32 v3, v82, v30, -v3
	v_add_f32_e32 v2, v2, v3
	v_mul_f32_e32 v3, v85, v33
	v_fma_f32 v3, v84, v32, -v3
	v_add_f32_e32 v2, v2, v3
	v_mul_f32_e32 v3, v87, v35
	v_fma_f32 v3, v86, v34, -v3
	v_add_f32_e32 v2, v2, v3
	v_mul_f32_e32 v3, v89, v37
	v_fma_f32 v3, v88, v36, -v3
	v_add_f32_e32 v2, v2, v3
	v_mul_f32_e32 v3, v91, v39
	v_fma_f32 v3, v90, v38, -v3
	v_add_f32_e32 v2, v2, v3
	v_mul_f32_e32 v3, v93, v41
	v_fma_f32 v3, v92, v40, -v3
	v_add_f32_e32 v2, v2, v3
	s_waitcnt vmcnt(7) lgkmcnt(3)
	v_mul_f32_e32 v3, v95, v43
	v_fma_f32 v3, v94, v42, -v3
	v_mul_f32_e32 v134, v92, v41
	v_add_f32_e32 v2, v2, v3
	v_mul_f32_e32 v3, v97, v45
	v_mul_f32_e32 v135, v94, v43
	v_fmac_f32_e32 v134, v93, v40
	v_fma_f32 v3, v96, v44, -v3
	v_mul_f32_e32 v136, v96, v45
	v_fmac_f32_e32 v135, v95, v42
	v_add_f32_e32 v107, v107, v134
	v_add_f32_e32 v2, v2, v3
	s_waitcnt vmcnt(6) lgkmcnt(2)
	v_mul_f32_e32 v3, v99, v47
	v_mul_f32_e32 v137, v98, v47
	v_fmac_f32_e32 v136, v97, v44
	v_add_f32_e32 v107, v107, v135
	v_fma_f32 v3, v98, v46, -v3
	v_mul_f32_e32 v127, v100, v49
	v_fmac_f32_e32 v137, v99, v46
	v_add_f32_e32 v107, v107, v136
	v_add_f32_e32 v130, v2, v3
	v_mul_f32_e32 v2, v101, v49
	s_waitcnt vmcnt(5)
	v_mov_b32_e32 v14, v53
	s_waitcnt lgkmcnt(1)
	v_mul_f32_e32 v129, v102, v51
	v_fmac_f32_e32 v127, v101, v48
	v_add_f32_e32 v131, v107, v137
	v_fma_f32 v126, v100, v48, -v2
	v_mul_f32_e32 v2, v103, v51
	v_pk_mul_f32 v[14:15], v[104:105], v[14:15] op_sel:[1,0] op_sel_hi:[0,0]
	v_fmac_f32_e32 v129, v103, v50
	v_fma_f32 v128, v102, v50, -v2
	v_pk_add_f32 v[12:13], v[130:131], v[126:127]
	v_pk_fma_f32 v[16:17], v[104:105], v[52:53], v[14:15] neg_lo:[0,0,1] neg_hi:[0,0,1]
	v_pk_fma_f32 v[14:15], v[104:105], v[52:53], v[14:15] op_sel_hi:[1,0,1]
	v_pk_add_f32 v[12:13], v[12:13], v[128:129]
	v_mov_b32_e32 v17, v15
	s_waitcnt vmcnt(3) lgkmcnt(0)
	v_pk_mul_f32 v[14:15], v[108:109], v[112:113] op_sel:[1,1] op_sel_hi:[0,1]
	v_pk_add_f32 v[12:13], v[12:13], v[16:17]
	v_pk_fma_f32 v[16:17], v[108:109], v[112:113], v[14:15] neg_lo:[0,0,1] neg_hi:[0,0,1]
	v_pk_fma_f32 v[14:15], v[108:109], v[112:113], v[14:15] op_sel_hi:[1,0,1]
	ds_read2_b64 v[2:5], v106 offset0:87 offset1:88
	ds_read2_b64 v[6:9], v106 offset0:89 offset1:90
	ds_read_b64 v[10:11], v106 offset:728
	v_mov_b32_e32 v14, v115
	v_mov_b32_e32 v17, v15
	v_pk_mul_f32 v[14:15], v[110:111], v[14:15] op_sel:[1,0] op_sel_hi:[0,0]
	v_pk_add_f32 v[12:13], v[12:13], v[16:17]
	v_pk_fma_f32 v[16:17], v[110:111], v[114:115], v[14:15] neg_lo:[0,0,1] neg_hi:[0,0,1]
	v_pk_fma_f32 v[14:15], v[110:111], v[114:115], v[14:15] op_sel_hi:[1,0,1]
	s_nop 0
	v_mov_b32_e32 v17, v15
	s_waitcnt vmcnt(2) lgkmcnt(2)
	v_pk_mul_f32 v[14:15], v[2:3], v[116:117] op_sel:[1,1] op_sel_hi:[0,1]
	v_pk_add_f32 v[12:13], v[12:13], v[16:17]
	v_pk_fma_f32 v[16:17], v[2:3], v[116:117], v[14:15] neg_lo:[0,0,1] neg_hi:[0,0,1]
	v_pk_fma_f32 v[2:3], v[2:3], v[116:117], v[14:15] op_sel_hi:[1,0,1]
	s_nop 0
	v_mov_b32_e32 v17, v3
	v_pk_add_f32 v[2:3], v[12:13], v[16:17]
	v_mov_b32_e32 v12, v119
	v_pk_mul_f32 v[12:13], v[4:5], v[12:13] op_sel:[1,0] op_sel_hi:[0,0]
	v_pk_fma_f32 v[14:15], v[4:5], v[118:119], v[12:13] neg_lo:[0,0,1] neg_hi:[0,0,1]
	v_pk_fma_f32 v[4:5], v[4:5], v[118:119], v[12:13] op_sel_hi:[1,0,1]
	s_nop 0
	v_mov_b32_e32 v15, v5
	s_waitcnt vmcnt(1) lgkmcnt(1)
	v_pk_mul_f32 v[4:5], v[6:7], v[120:121] op_sel:[1,1] op_sel_hi:[0,1]
	v_pk_fma_f32 v[12:13], v[6:7], v[120:121], v[4:5] neg_lo:[0,0,1] neg_hi:[0,0,1]
	v_pk_fma_f32 v[4:5], v[6:7], v[120:121], v[4:5] op_sel_hi:[1,0,1]
	v_pk_add_f32 v[2:3], v[2:3], v[14:15]
	v_mov_b32_e32 v4, v123
	v_mov_b32_e32 v13, v5
	v_pk_mul_f32 v[4:5], v[8:9], v[4:5] op_sel:[1,0] op_sel_hi:[0,0]
	v_pk_fma_f32 v[6:7], v[8:9], v[122:123], v[4:5] neg_lo:[0,0,1] neg_hi:[0,0,1]
	v_pk_fma_f32 v[4:5], v[8:9], v[122:123], v[4:5] op_sel_hi:[1,0,1]
	v_pk_add_f32 v[2:3], v[2:3], v[12:13]
	v_mov_b32_e32 v7, v5
	s_waitcnt vmcnt(0) lgkmcnt(0)
	v_pk_mul_f32 v[4:5], v[10:11], v[132:133] op_sel:[1,1] op_sel_hi:[0,1]
	v_pk_add_f32 v[2:3], v[2:3], v[6:7]
	v_pk_fma_f32 v[6:7], v[10:11], v[132:133], v[4:5] neg_lo:[0,0,1] neg_hi:[0,0,1]
	v_pk_fma_f32 v[4:5], v[10:11], v[132:133], v[4:5] op_sel_hi:[1,0,1]
	s_nop 0
	v_mov_b32_e32 v7, v5
	v_pk_add_f32 v[2:3], v[2:3], v[6:7]
	s_nop 0
	v_pk_add_f32 v[2:3], v[124:125], v[2:3] neg_lo:[0,1] neg_hi:[0,1]
	scratch_store_dwordx2 off, v[2:3], off offset:96
	s_and_saveexec_b64 s[0:1], vcc
	s_cbranch_execz .LBB109_267
; %bb.266:
	scratch_load_dwordx2 v[2:3], off, off offset:88
	v_mov_b32_e32 v107, v106
	scratch_store_dwordx2 off, v[106:107], off offset:88
	s_waitcnt vmcnt(1)
	ds_write_b64 v1, v[2:3]
.LBB109_267:
	s_or_b64 exec, exec, s[0:1]
	s_waitcnt lgkmcnt(0)
	; wave barrier
	scratch_load_dwordx4 v[2:5], off, off offset:96
	scratch_load_dwordx4 v[6:9], off, off offset:112
	;; [unrolled: 1-line block ×13, first 2 shown]
	ds_read_b128 v[102:105], v106 offset:464
	ds_read_b128 v[98:101], v106 offset:480
	;; [unrolled: 1-line block ×14, first 2 shown]
	scratch_load_dwordx2 v[128:129], off, off offset:88
	v_cmp_lt_u32_e32 vcc, 10, v0
	s_waitcnt vmcnt(13) lgkmcnt(13)
	v_mul_f32_e32 v107, v102, v3
	v_mul_f32_e32 v112, v104, v5
	v_fmac_f32_e32 v107, v103, v2
	s_waitcnt vmcnt(12) lgkmcnt(12)
	v_mul_f32_e32 v113, v98, v7
	v_fmac_f32_e32 v112, v105, v4
	v_add_f32_e32 v107, 0, v107
	v_mul_f32_e32 v114, v100, v9
	v_fmac_f32_e32 v113, v99, v6
	v_add_f32_e32 v107, v107, v112
	s_waitcnt vmcnt(11) lgkmcnt(11)
	v_mul_f32_e32 v115, v94, v11
	v_fmac_f32_e32 v114, v101, v8
	v_add_f32_e32 v107, v107, v113
	v_mul_f32_e32 v116, v96, v13
	v_fmac_f32_e32 v115, v95, v10
	v_add_f32_e32 v107, v107, v114
	;; [unrolled: 7-line block ×7, first 2 shown]
	s_waitcnt vmcnt(5) lgkmcnt(5)
	v_mul_f32_e32 v127, v70, v35
	v_fmac_f32_e32 v126, v77, v32
	v_add_f32_e32 v107, v107, v125
	v_fmac_f32_e32 v127, v71, v34
	v_add_f32_e32 v107, v107, v126
	v_add_f32_e32 v107, v107, v127
	scratch_load_dwordx4 v[112:115], off, off offset:304
	scratch_load_dwordx4 v[116:119], off, off offset:320
	;; [unrolled: 1-line block ×4, first 2 shown]
	v_mul_f32_e32 v3, v103, v3
	v_fma_f32 v2, v102, v2, -v3
	v_mul_f32_e32 v3, v105, v5
	v_add_f32_e32 v2, 0, v2
	v_fma_f32 v3, v104, v4, -v3
	v_add_f32_e32 v2, v2, v3
	v_mul_f32_e32 v3, v99, v7
	v_fma_f32 v3, v98, v6, -v3
	v_add_f32_e32 v2, v2, v3
	v_mul_f32_e32 v3, v101, v9
	;; [unrolled: 3-line block ×16, first 2 shown]
	v_fma_f32 v3, v72, v36, -v3
	v_add_f32_e32 v2, v2, v3
	s_waitcnt vmcnt(8) lgkmcnt(4)
	v_mul_f32_e32 v3, v67, v39
	v_fma_f32 v3, v66, v38, -v3
	v_add_f32_e32 v2, v2, v3
	v_mul_f32_e32 v3, v69, v41
	v_fma_f32 v3, v68, v40, -v3
	v_add_f32_e32 v2, v2, v3
	s_waitcnt vmcnt(7) lgkmcnt(3)
	v_mul_f32_e32 v3, v63, v43
	v_mul_f32_e32 v130, v72, v37
	v_fma_f32 v3, v62, v42, -v3
	v_mul_f32_e32 v132, v66, v39
	v_fmac_f32_e32 v130, v73, v36
	v_add_f32_e32 v2, v2, v3
	v_mul_f32_e32 v3, v65, v45
	v_mul_f32_e32 v134, v68, v41
	v_fmac_f32_e32 v132, v67, v38
	v_add_f32_e32 v107, v107, v130
	v_fma_f32 v3, v64, v44, -v3
	v_mul_f32_e32 v135, v62, v43
	v_fmac_f32_e32 v134, v69, v40
	v_add_f32_e32 v107, v107, v132
	v_add_f32_e32 v2, v2, v3
	s_waitcnt vmcnt(6) lgkmcnt(2)
	v_mul_f32_e32 v3, v59, v47
	v_mul_f32_e32 v136, v64, v45
	v_fmac_f32_e32 v135, v63, v42
	v_add_f32_e32 v107, v107, v134
	v_fma_f32 v3, v58, v46, -v3
	v_mul_f32_e32 v137, v58, v47
	v_fmac_f32_e32 v136, v65, v44
	v_add_f32_e32 v107, v107, v135
	v_add_f32_e32 v2, v2, v3
	v_mul_f32_e32 v3, v61, v49
	v_mul_f32_e32 v138, v60, v49
	v_fmac_f32_e32 v137, v59, v46
	v_add_f32_e32 v107, v107, v136
	v_fma_f32 v3, v60, v48, -v3
	s_waitcnt vmcnt(5) lgkmcnt(1)
	v_mul_f32_e32 v131, v54, v51
	v_fmac_f32_e32 v138, v61, v48
	v_add_f32_e32 v107, v107, v137
	v_add_f32_e32 v134, v2, v3
	v_mul_f32_e32 v2, v55, v51
	s_waitcnt vmcnt(3) lgkmcnt(0)
	v_pk_mul_f32 v[16:17], v[108:109], v[112:113] op_sel:[1,1] op_sel_hi:[0,1]
	v_mul_f32_e32 v133, v56, v53
	v_fmac_f32_e32 v131, v55, v50
	v_add_f32_e32 v135, v107, v138
	v_fma_f32 v130, v54, v50, -v2
	v_mul_f32_e32 v2, v57, v53
	v_pk_fma_f32 v[18:19], v[108:109], v[112:113], v[16:17] neg_lo:[0,0,1] neg_hi:[0,0,1]
	v_pk_fma_f32 v[16:17], v[108:109], v[112:113], v[16:17] op_sel_hi:[1,0,1]
	v_fmac_f32_e32 v133, v57, v52
	v_fma_f32 v132, v56, v52, -v2
	ds_read_b128 v[2:5], v106 offset:688
	ds_read_b128 v[6:9], v106 offset:704
	;; [unrolled: 1-line block ×3, first 2 shown]
	v_pk_add_f32 v[14:15], v[134:135], v[130:131]
	v_mov_b32_e32 v16, v115
	v_pk_add_f32 v[14:15], v[14:15], v[132:133]
	v_mov_b32_e32 v19, v17
	v_pk_mul_f32 v[16:17], v[110:111], v[16:17] op_sel:[1,0] op_sel_hi:[0,0]
	v_pk_add_f32 v[14:15], v[14:15], v[18:19]
	v_pk_fma_f32 v[18:19], v[110:111], v[114:115], v[16:17] neg_lo:[0,0,1] neg_hi:[0,0,1]
	v_pk_fma_f32 v[16:17], v[110:111], v[114:115], v[16:17] op_sel_hi:[1,0,1]
	s_nop 0
	v_mov_b32_e32 v19, v17
	s_waitcnt vmcnt(2) lgkmcnt(2)
	v_pk_mul_f32 v[16:17], v[2:3], v[116:117] op_sel:[1,1] op_sel_hi:[0,1]
	v_pk_add_f32 v[14:15], v[14:15], v[18:19]
	v_pk_fma_f32 v[18:19], v[2:3], v[116:117], v[16:17] neg_lo:[0,0,1] neg_hi:[0,0,1]
	v_pk_fma_f32 v[2:3], v[2:3], v[116:117], v[16:17] op_sel_hi:[1,0,1]
	s_nop 0
	v_mov_b32_e32 v19, v3
	v_pk_add_f32 v[2:3], v[14:15], v[18:19]
	v_mov_b32_e32 v14, v119
	v_pk_mul_f32 v[14:15], v[4:5], v[14:15] op_sel:[1,0] op_sel_hi:[0,0]
	v_pk_fma_f32 v[16:17], v[4:5], v[118:119], v[14:15] neg_lo:[0,0,1] neg_hi:[0,0,1]
	v_pk_fma_f32 v[4:5], v[4:5], v[118:119], v[14:15] op_sel_hi:[1,0,1]
	s_nop 0
	v_mov_b32_e32 v17, v5
	s_waitcnt vmcnt(1) lgkmcnt(1)
	v_pk_mul_f32 v[4:5], v[6:7], v[120:121] op_sel:[1,1] op_sel_hi:[0,1]
	v_pk_fma_f32 v[14:15], v[6:7], v[120:121], v[4:5] neg_lo:[0,0,1] neg_hi:[0,0,1]
	v_pk_fma_f32 v[4:5], v[6:7], v[120:121], v[4:5] op_sel_hi:[1,0,1]
	v_pk_add_f32 v[2:3], v[2:3], v[16:17]
	v_mov_b32_e32 v4, v123
	v_mov_b32_e32 v15, v5
	v_pk_mul_f32 v[4:5], v[8:9], v[4:5] op_sel:[1,0] op_sel_hi:[0,0]
	v_pk_fma_f32 v[6:7], v[8:9], v[122:123], v[4:5] neg_lo:[0,0,1] neg_hi:[0,0,1]
	v_pk_fma_f32 v[4:5], v[8:9], v[122:123], v[4:5] op_sel_hi:[1,0,1]
	v_pk_add_f32 v[2:3], v[2:3], v[14:15]
	v_mov_b32_e32 v7, v5
	s_waitcnt vmcnt(0) lgkmcnt(0)
	v_pk_mul_f32 v[4:5], v[10:11], v[124:125] op_sel:[1,1] op_sel_hi:[0,1]
	v_pk_add_f32 v[2:3], v[2:3], v[6:7]
	v_pk_fma_f32 v[6:7], v[10:11], v[124:125], v[4:5] neg_lo:[0,0,1] neg_hi:[0,0,1]
	v_pk_fma_f32 v[4:5], v[10:11], v[124:125], v[4:5] op_sel_hi:[1,0,1]
	s_nop 0
	v_mov_b32_e32 v4, v127
	v_mov_b32_e32 v7, v5
	v_pk_mul_f32 v[4:5], v[12:13], v[4:5] op_sel:[1,0] op_sel_hi:[0,0]
	v_pk_add_f32 v[2:3], v[2:3], v[6:7]
	v_pk_fma_f32 v[6:7], v[12:13], v[126:127], v[4:5] neg_lo:[0,0,1] neg_hi:[0,0,1]
	v_pk_fma_f32 v[4:5], v[12:13], v[126:127], v[4:5] op_sel_hi:[1,0,1]
	s_nop 0
	v_mov_b32_e32 v7, v5
	v_pk_add_f32 v[2:3], v[2:3], v[6:7]
	s_nop 0
	v_pk_add_f32 v[2:3], v[128:129], v[2:3] neg_lo:[0,1] neg_hi:[0,1]
	scratch_store_dwordx2 off, v[2:3], off offset:88
	s_and_saveexec_b64 s[0:1], vcc
	s_cbranch_execz .LBB109_269
; %bb.268:
	scratch_load_dwordx2 v[2:3], off, off offset:80
	v_mov_b32_e32 v4, 0
	v_mov_b32_e32 v5, v4
	scratch_store_dwordx2 off, v[4:5], off offset:80
	s_waitcnt vmcnt(1)
	ds_write_b64 v1, v[2:3]
.LBB109_269:
	s_or_b64 exec, exec, s[0:1]
	s_waitcnt lgkmcnt(0)
	; wave barrier
	scratch_load_dwordx4 v[2:5], off, off offset:88
	scratch_load_dwordx4 v[6:9], off, off offset:104
	;; [unrolled: 1-line block ×13, first 2 shown]
	v_mov_b32_e32 v114, 0
	scratch_load_dwordx4 v[54:57], off, off offset:296
	scratch_load_dwordx2 v[128:129], off, off offset:80
	ds_read2_b64 v[58:61], v114 offset0:57 offset1:58
	ds_read2_b64 v[62:65], v114 offset0:59 offset1:60
	;; [unrolled: 1-line block ×14, first 2 shown]
	v_cmp_lt_u32_e32 vcc, 9, v0
	s_waitcnt vmcnt(14) lgkmcnt(13)
	v_mul_f32_e32 v115, v58, v3
	v_mul_f32_e32 v116, v60, v5
	v_fmac_f32_e32 v115, v59, v2
	s_waitcnt vmcnt(13) lgkmcnt(12)
	v_mul_f32_e32 v117, v62, v7
	v_fmac_f32_e32 v116, v61, v4
	v_add_f32_e32 v115, 0, v115
	v_mul_f32_e32 v118, v64, v9
	v_fmac_f32_e32 v117, v63, v6
	v_add_f32_e32 v115, v115, v116
	s_waitcnt vmcnt(12) lgkmcnt(11)
	v_mul_f32_e32 v119, v66, v11
	v_fmac_f32_e32 v118, v65, v8
	v_add_f32_e32 v115, v115, v117
	v_mul_f32_e32 v120, v68, v13
	v_fmac_f32_e32 v119, v67, v10
	v_add_f32_e32 v115, v115, v118
	;; [unrolled: 7-line block ×6, first 2 shown]
	s_waitcnt vmcnt(7) lgkmcnt(6)
	v_mul_f32_e32 v131, v86, v31
	v_fmac_f32_e32 v130, v85, v28
	v_add_f32_e32 v115, v115, v127
	scratch_load_dwordx4 v[116:119], off, off offset:312
	v_mul_f32_e32 v132, v88, v33
	v_fmac_f32_e32 v131, v87, v30
	v_add_f32_e32 v115, v115, v130
	s_waitcnt vmcnt(7) lgkmcnt(5)
	v_mul_f32_e32 v133, v90, v35
	v_fmac_f32_e32 v132, v89, v32
	v_add_f32_e32 v115, v115, v131
	v_mul_f32_e32 v134, v92, v37
	v_fmac_f32_e32 v133, v91, v34
	v_add_f32_e32 v115, v115, v132
	s_waitcnt vmcnt(6) lgkmcnt(4)
	v_mul_f32_e32 v135, v94, v39
	v_fmac_f32_e32 v134, v93, v36
	v_add_f32_e32 v115, v115, v133
	;; [unrolled: 7-line block ×3, first 2 shown]
	v_fmac_f32_e32 v137, v99, v42
	v_add_f32_e32 v115, v115, v136
	v_add_f32_e32 v115, v115, v137
	scratch_load_dwordx4 v[120:123], off, off offset:328
	scratch_load_dwordx4 v[124:127], off, off offset:344
	scratch_load_dwordx2 v[136:137], off, off offset:360
	v_mul_f32_e32 v3, v59, v3
	v_fma_f32 v2, v58, v2, -v3
	v_mul_f32_e32 v3, v61, v5
	v_add_f32_e32 v2, 0, v2
	v_fma_f32 v3, v60, v4, -v3
	v_add_f32_e32 v2, v2, v3
	v_mul_f32_e32 v3, v63, v7
	v_fma_f32 v3, v62, v6, -v3
	v_add_f32_e32 v2, v2, v3
	v_mul_f32_e32 v3, v65, v9
	;; [unrolled: 3-line block ×20, first 2 shown]
	v_fma_f32 v3, v100, v44, -v3
	v_add_f32_e32 v2, v2, v3
	s_waitcnt vmcnt(7) lgkmcnt(2)
	v_mul_f32_e32 v3, v103, v47
	v_fma_f32 v3, v102, v46, -v3
	v_add_f32_e32 v2, v2, v3
	v_mul_f32_e32 v3, v105, v49
	v_mul_f32_e32 v138, v100, v45
	v_fma_f32 v3, v104, v48, -v3
	v_mul_f32_e32 v139, v102, v47
	v_fmac_f32_e32 v138, v101, v44
	v_add_f32_e32 v2, v2, v3
	s_waitcnt vmcnt(6) lgkmcnt(1)
	v_mul_f32_e32 v3, v107, v51
	v_mul_f32_e32 v140, v104, v49
	v_fmac_f32_e32 v139, v103, v46
	v_add_f32_e32 v115, v115, v138
	v_fma_f32 v3, v106, v50, -v3
	v_mul_f32_e32 v141, v106, v51
	v_fmac_f32_e32 v140, v105, v48
	v_add_f32_e32 v115, v115, v139
	v_add_f32_e32 v130, v2, v3
	v_mul_f32_e32 v2, v109, v53
	v_fmac_f32_e32 v141, v107, v50
	v_add_f32_e32 v115, v115, v140
	v_mul_f32_e32 v133, v108, v53
	v_fma_f32 v132, v108, v52, -v2
	s_waitcnt vmcnt(5) lgkmcnt(0)
	v_mul_f32_e32 v2, v111, v55
	v_mov_b32_e32 v18, v57
	v_add_f32_e32 v131, v115, v141
	v_fmac_f32_e32 v133, v109, v52
	v_mul_f32_e32 v135, v110, v55
	v_fma_f32 v134, v110, v54, -v2
	ds_read2_b64 v[2:5], v114 offset0:85 offset1:86
	ds_read2_b64 v[6:9], v114 offset0:87 offset1:88
	;; [unrolled: 1-line block ×3, first 2 shown]
	ds_read_b64 v[14:15], v114 offset:728
	v_pk_mul_f32 v[18:19], v[112:113], v[18:19] op_sel:[1,0] op_sel_hi:[0,0]
	v_fmac_f32_e32 v135, v111, v54
	v_pk_add_f32 v[16:17], v[130:131], v[132:133]
	v_pk_fma_f32 v[20:21], v[112:113], v[56:57], v[18:19] neg_lo:[0,0,1] neg_hi:[0,0,1]
	v_pk_fma_f32 v[18:19], v[112:113], v[56:57], v[18:19] op_sel_hi:[1,0,1]
	v_pk_add_f32 v[16:17], v[16:17], v[134:135]
	v_mov_b32_e32 v21, v19
	s_waitcnt vmcnt(3) lgkmcnt(3)
	v_pk_mul_f32 v[18:19], v[2:3], v[116:117] op_sel:[1,1] op_sel_hi:[0,1]
	v_pk_add_f32 v[16:17], v[16:17], v[20:21]
	v_pk_fma_f32 v[20:21], v[2:3], v[116:117], v[18:19] neg_lo:[0,0,1] neg_hi:[0,0,1]
	v_pk_fma_f32 v[2:3], v[2:3], v[116:117], v[18:19] op_sel_hi:[1,0,1]
	s_nop 0
	v_mov_b32_e32 v21, v3
	v_pk_add_f32 v[2:3], v[16:17], v[20:21]
	v_mov_b32_e32 v16, v119
	v_pk_mul_f32 v[16:17], v[4:5], v[16:17] op_sel:[1,0] op_sel_hi:[0,0]
	v_pk_fma_f32 v[18:19], v[4:5], v[118:119], v[16:17] neg_lo:[0,0,1] neg_hi:[0,0,1]
	v_pk_fma_f32 v[4:5], v[4:5], v[118:119], v[16:17] op_sel_hi:[1,0,1]
	s_nop 0
	v_mov_b32_e32 v19, v5
	s_waitcnt vmcnt(2) lgkmcnt(2)
	v_pk_mul_f32 v[4:5], v[6:7], v[120:121] op_sel:[1,1] op_sel_hi:[0,1]
	v_pk_fma_f32 v[16:17], v[6:7], v[120:121], v[4:5] neg_lo:[0,0,1] neg_hi:[0,0,1]
	v_pk_fma_f32 v[4:5], v[6:7], v[120:121], v[4:5] op_sel_hi:[1,0,1]
	v_pk_add_f32 v[2:3], v[2:3], v[18:19]
	v_mov_b32_e32 v4, v123
	v_mov_b32_e32 v17, v5
	v_pk_mul_f32 v[4:5], v[8:9], v[4:5] op_sel:[1,0] op_sel_hi:[0,0]
	v_pk_fma_f32 v[6:7], v[8:9], v[122:123], v[4:5] neg_lo:[0,0,1] neg_hi:[0,0,1]
	v_pk_fma_f32 v[4:5], v[8:9], v[122:123], v[4:5] op_sel_hi:[1,0,1]
	v_pk_add_f32 v[2:3], v[2:3], v[16:17]
	v_mov_b32_e32 v7, v5
	s_waitcnt vmcnt(1) lgkmcnt(1)
	v_pk_mul_f32 v[4:5], v[10:11], v[124:125] op_sel:[1,1] op_sel_hi:[0,1]
	v_pk_add_f32 v[2:3], v[2:3], v[6:7]
	v_pk_fma_f32 v[6:7], v[10:11], v[124:125], v[4:5] neg_lo:[0,0,1] neg_hi:[0,0,1]
	v_pk_fma_f32 v[4:5], v[10:11], v[124:125], v[4:5] op_sel_hi:[1,0,1]
	s_nop 0
	v_mov_b32_e32 v4, v127
	v_mov_b32_e32 v7, v5
	v_pk_mul_f32 v[4:5], v[12:13], v[4:5] op_sel:[1,0] op_sel_hi:[0,0]
	v_pk_add_f32 v[2:3], v[2:3], v[6:7]
	v_pk_fma_f32 v[6:7], v[12:13], v[126:127], v[4:5] neg_lo:[0,0,1] neg_hi:[0,0,1]
	v_pk_fma_f32 v[4:5], v[12:13], v[126:127], v[4:5] op_sel_hi:[1,0,1]
	s_nop 0
	v_mov_b32_e32 v7, v5
	s_waitcnt vmcnt(0) lgkmcnt(0)
	v_pk_mul_f32 v[4:5], v[14:15], v[136:137] op_sel:[1,1] op_sel_hi:[0,1]
	v_pk_add_f32 v[2:3], v[2:3], v[6:7]
	v_pk_fma_f32 v[6:7], v[14:15], v[136:137], v[4:5] neg_lo:[0,0,1] neg_hi:[0,0,1]
	v_pk_fma_f32 v[4:5], v[14:15], v[136:137], v[4:5] op_sel_hi:[1,0,1]
	s_nop 0
	v_mov_b32_e32 v7, v5
	v_pk_add_f32 v[2:3], v[2:3], v[6:7]
	s_nop 0
	v_pk_add_f32 v[2:3], v[128:129], v[2:3] neg_lo:[0,1] neg_hi:[0,1]
	scratch_store_dwordx2 off, v[2:3], off offset:80
	s_and_saveexec_b64 s[0:1], vcc
	s_cbranch_execz .LBB109_271
; %bb.270:
	scratch_load_dwordx2 v[2:3], off, off offset:72
	v_mov_b32_e32 v115, v114
	scratch_store_dwordx2 off, v[114:115], off offset:72
	s_waitcnt vmcnt(1)
	ds_write_b64 v1, v[2:3]
.LBB109_271:
	s_or_b64 exec, exec, s[0:1]
	s_waitcnt lgkmcnt(0)
	; wave barrier
	scratch_load_dwordx4 v[2:5], off, off offset:80
	scratch_load_dwordx4 v[6:9], off, off offset:96
	;; [unrolled: 1-line block ×13, first 2 shown]
	ds_read_b128 v[110:113], v114 offset:448
	ds_read_b128 v[106:109], v114 offset:464
	;; [unrolled: 1-line block ×14, first 2 shown]
	scratch_load_dwordx4 v[66:69], off, off offset:288
	scratch_load_dwordx2 v[132:133], off, off offset:72
	v_cmp_lt_u32_e32 vcc, 8, v0
	s_waitcnt vmcnt(14) lgkmcnt(13)
	v_mul_f32_e32 v115, v110, v3
	v_mul_f32_e32 v116, v112, v5
	v_fmac_f32_e32 v115, v111, v2
	s_waitcnt vmcnt(13) lgkmcnt(12)
	v_mul_f32_e32 v117, v106, v7
	v_fmac_f32_e32 v116, v113, v4
	v_add_f32_e32 v115, 0, v115
	v_mul_f32_e32 v118, v108, v9
	v_fmac_f32_e32 v117, v107, v6
	v_add_f32_e32 v115, v115, v116
	s_waitcnt vmcnt(12) lgkmcnt(11)
	v_mul_f32_e32 v119, v102, v11
	v_fmac_f32_e32 v118, v109, v8
	v_add_f32_e32 v115, v115, v117
	v_mul_f32_e32 v120, v104, v13
	v_fmac_f32_e32 v119, v103, v10
	v_add_f32_e32 v115, v115, v118
	;; [unrolled: 7-line block ×4, first 2 shown]
	s_waitcnt vmcnt(9) lgkmcnt(8)
	v_mul_f32_e32 v125, v90, v23
	v_fmac_f32_e32 v124, v97, v20
	v_add_f32_e32 v115, v115, v123
	scratch_load_dwordx4 v[116:119], off, off offset:304
	v_mul_f32_e32 v126, v92, v25
	v_fmac_f32_e32 v125, v91, v22
	v_add_f32_e32 v115, v115, v124
	s_waitcnt vmcnt(9) lgkmcnt(7)
	v_mul_f32_e32 v127, v86, v27
	v_fmac_f32_e32 v126, v93, v24
	v_add_f32_e32 v115, v115, v125
	v_mul_f32_e32 v128, v88, v29
	v_fmac_f32_e32 v127, v87, v26
	v_add_f32_e32 v115, v115, v126
	s_waitcnt vmcnt(8) lgkmcnt(6)
	v_mul_f32_e32 v129, v82, v31
	v_fmac_f32_e32 v128, v89, v28
	v_add_f32_e32 v115, v115, v127
	;; [unrolled: 7-line block ×3, first 2 shown]
	v_fmac_f32_e32 v131, v79, v34
	v_add_f32_e32 v115, v115, v130
	v_add_f32_e32 v115, v115, v131
	scratch_load_dwordx4 v[120:123], off, off offset:320
	scratch_load_dwordx4 v[124:127], off, off offset:336
	scratch_load_dwordx4 v[128:131], off, off offset:352
	v_mul_f32_e32 v3, v111, v3
	v_fma_f32 v2, v110, v2, -v3
	v_mul_f32_e32 v3, v113, v5
	v_add_f32_e32 v2, 0, v2
	v_fma_f32 v3, v112, v4, -v3
	v_add_f32_e32 v2, v2, v3
	v_mul_f32_e32 v3, v107, v7
	v_fma_f32 v3, v106, v6, -v3
	v_add_f32_e32 v2, v2, v3
	v_mul_f32_e32 v3, v109, v9
	;; [unrolled: 3-line block ×16, first 2 shown]
	v_fma_f32 v3, v80, v36, -v3
	v_add_f32_e32 v2, v2, v3
	s_waitcnt vmcnt(9) lgkmcnt(4)
	v_mul_f32_e32 v3, v75, v39
	v_fma_f32 v3, v74, v38, -v3
	v_add_f32_e32 v2, v2, v3
	v_mul_f32_e32 v3, v77, v41
	v_fma_f32 v3, v76, v40, -v3
	v_add_f32_e32 v2, v2, v3
	s_waitcnt vmcnt(8) lgkmcnt(3)
	v_mul_f32_e32 v3, v71, v43
	v_fma_f32 v3, v70, v42, -v3
	v_add_f32_e32 v2, v2, v3
	v_mul_f32_e32 v3, v73, v45
	v_fma_f32 v3, v72, v44, -v3
	v_add_f32_e32 v2, v2, v3
	s_waitcnt vmcnt(7) lgkmcnt(2)
	v_mul_f32_e32 v3, v63, v47
	v_fma_f32 v3, v62, v46, -v3
	v_mul_f32_e32 v134, v80, v37
	v_add_f32_e32 v2, v2, v3
	v_mul_f32_e32 v3, v65, v49
	v_mul_f32_e32 v135, v74, v39
	v_fmac_f32_e32 v134, v81, v36
	v_fma_f32 v3, v64, v48, -v3
	v_mul_f32_e32 v136, v76, v41
	v_fmac_f32_e32 v135, v75, v38
	v_add_f32_e32 v115, v115, v134
	v_add_f32_e32 v2, v2, v3
	s_waitcnt vmcnt(6) lgkmcnt(1)
	v_mul_f32_e32 v3, v55, v51
	v_mul_f32_e32 v137, v70, v43
	v_fmac_f32_e32 v136, v77, v40
	v_add_f32_e32 v115, v115, v135
	v_fma_f32 v3, v54, v50, -v3
	v_mul_f32_e32 v138, v72, v45
	v_fmac_f32_e32 v137, v71, v42
	v_add_f32_e32 v115, v115, v136
	v_add_f32_e32 v2, v2, v3
	v_mul_f32_e32 v3, v57, v53
	v_mul_f32_e32 v139, v62, v47
	v_fmac_f32_e32 v138, v73, v44
	v_add_f32_e32 v115, v115, v137
	v_fma_f32 v3, v56, v52, -v3
	v_mul_f32_e32 v140, v64, v49
	v_fmac_f32_e32 v139, v63, v46
	v_add_f32_e32 v115, v115, v138
	v_add_f32_e32 v134, v2, v3
	s_waitcnt vmcnt(5) lgkmcnt(0)
	v_mul_f32_e32 v2, v59, v67
	v_mul_f32_e32 v141, v54, v51
	v_fmac_f32_e32 v140, v65, v48
	v_add_f32_e32 v115, v115, v139
	v_fma_f32 v136, v58, v66, -v2
	v_mul_f32_e32 v2, v61, v69
	v_mul_f32_e32 v142, v56, v53
	v_fmac_f32_e32 v141, v55, v50
	v_add_f32_e32 v115, v115, v140
	v_fma_f32 v138, v60, v68, -v2
	ds_read_b128 v[2:5], v114 offset:672
	ds_read_b128 v[6:9], v114 offset:688
	;; [unrolled: 1-line block ×4, first 2 shown]
	v_add_f32_e32 v115, v115, v141
	v_fmac_f32_e32 v142, v57, v52
	v_mul_f32_e32 v137, v58, v67
	v_add_f32_e32 v135, v115, v142
	v_fmac_f32_e32 v137, v59, v66
	v_mul_f32_e32 v139, v60, v69
	s_waitcnt vmcnt(3) lgkmcnt(3)
	v_pk_mul_f32 v[20:21], v[2:3], v[116:117] op_sel:[1,1] op_sel_hi:[0,1]
	v_fmac_f32_e32 v139, v61, v68
	v_pk_add_f32 v[18:19], v[134:135], v[136:137]
	v_pk_fma_f32 v[22:23], v[2:3], v[116:117], v[20:21] neg_lo:[0,0,1] neg_hi:[0,0,1]
	v_pk_fma_f32 v[2:3], v[2:3], v[116:117], v[20:21] op_sel_hi:[1,0,1]
	v_pk_add_f32 v[18:19], v[18:19], v[138:139]
	v_mov_b32_e32 v23, v3
	v_pk_add_f32 v[2:3], v[18:19], v[22:23]
	v_mov_b32_e32 v18, v119
	v_pk_mul_f32 v[18:19], v[4:5], v[18:19] op_sel:[1,0] op_sel_hi:[0,0]
	v_pk_fma_f32 v[20:21], v[4:5], v[118:119], v[18:19] neg_lo:[0,0,1] neg_hi:[0,0,1]
	v_pk_fma_f32 v[4:5], v[4:5], v[118:119], v[18:19] op_sel_hi:[1,0,1]
	s_nop 0
	v_mov_b32_e32 v21, v5
	s_waitcnt vmcnt(2) lgkmcnt(2)
	v_pk_mul_f32 v[4:5], v[6:7], v[120:121] op_sel:[1,1] op_sel_hi:[0,1]
	v_pk_fma_f32 v[18:19], v[6:7], v[120:121], v[4:5] neg_lo:[0,0,1] neg_hi:[0,0,1]
	v_pk_fma_f32 v[4:5], v[6:7], v[120:121], v[4:5] op_sel_hi:[1,0,1]
	v_pk_add_f32 v[2:3], v[2:3], v[20:21]
	v_mov_b32_e32 v4, v123
	v_mov_b32_e32 v19, v5
	v_pk_mul_f32 v[4:5], v[8:9], v[4:5] op_sel:[1,0] op_sel_hi:[0,0]
	v_pk_fma_f32 v[6:7], v[8:9], v[122:123], v[4:5] neg_lo:[0,0,1] neg_hi:[0,0,1]
	v_pk_fma_f32 v[4:5], v[8:9], v[122:123], v[4:5] op_sel_hi:[1,0,1]
	v_pk_add_f32 v[2:3], v[2:3], v[18:19]
	v_mov_b32_e32 v7, v5
	s_waitcnt vmcnt(1) lgkmcnt(1)
	v_pk_mul_f32 v[4:5], v[10:11], v[124:125] op_sel:[1,1] op_sel_hi:[0,1]
	v_pk_add_f32 v[2:3], v[2:3], v[6:7]
	v_pk_fma_f32 v[6:7], v[10:11], v[124:125], v[4:5] neg_lo:[0,0,1] neg_hi:[0,0,1]
	v_pk_fma_f32 v[4:5], v[10:11], v[124:125], v[4:5] op_sel_hi:[1,0,1]
	s_nop 0
	v_mov_b32_e32 v4, v127
	v_mov_b32_e32 v7, v5
	v_pk_mul_f32 v[4:5], v[12:13], v[4:5] op_sel:[1,0] op_sel_hi:[0,0]
	v_pk_add_f32 v[2:3], v[2:3], v[6:7]
	v_pk_fma_f32 v[6:7], v[12:13], v[126:127], v[4:5] neg_lo:[0,0,1] neg_hi:[0,0,1]
	v_pk_fma_f32 v[4:5], v[12:13], v[126:127], v[4:5] op_sel_hi:[1,0,1]
	s_nop 0
	v_mov_b32_e32 v7, v5
	s_waitcnt vmcnt(0) lgkmcnt(0)
	v_pk_mul_f32 v[4:5], v[14:15], v[128:129] op_sel:[1,1] op_sel_hi:[0,1]
	v_pk_add_f32 v[2:3], v[2:3], v[6:7]
	v_pk_fma_f32 v[6:7], v[14:15], v[128:129], v[4:5] neg_lo:[0,0,1] neg_hi:[0,0,1]
	v_pk_fma_f32 v[4:5], v[14:15], v[128:129], v[4:5] op_sel_hi:[1,0,1]
	s_nop 0
	v_mov_b32_e32 v4, v131
	v_mov_b32_e32 v7, v5
	v_pk_mul_f32 v[4:5], v[16:17], v[4:5] op_sel:[1,0] op_sel_hi:[0,0]
	v_pk_add_f32 v[2:3], v[2:3], v[6:7]
	v_pk_fma_f32 v[6:7], v[16:17], v[130:131], v[4:5] neg_lo:[0,0,1] neg_hi:[0,0,1]
	v_pk_fma_f32 v[4:5], v[16:17], v[130:131], v[4:5] op_sel_hi:[1,0,1]
	s_nop 0
	v_mov_b32_e32 v7, v5
	v_pk_add_f32 v[2:3], v[2:3], v[6:7]
	s_nop 0
	v_pk_add_f32 v[2:3], v[132:133], v[2:3] neg_lo:[0,1] neg_hi:[0,1]
	scratch_store_dwordx2 off, v[2:3], off offset:72
	s_and_saveexec_b64 s[0:1], vcc
	s_cbranch_execz .LBB109_273
; %bb.272:
	scratch_load_dwordx2 v[2:3], off, off offset:64
	v_mov_b32_e32 v4, 0
	v_mov_b32_e32 v5, v4
	scratch_store_dwordx2 off, v[4:5], off offset:64
	s_waitcnt vmcnt(1)
	ds_write_b64 v1, v[2:3]
.LBB109_273:
	s_or_b64 exec, exec, s[0:1]
	s_waitcnt lgkmcnt(0)
	; wave barrier
	scratch_load_dwordx4 v[2:5], off, off offset:72
	scratch_load_dwordx4 v[6:9], off, off offset:88
	;; [unrolled: 1-line block ×15, first 2 shown]
	scratch_load_dwordx2 v[140:141], off, off offset:64
	v_mov_b32_e32 v118, 0
	ds_read2_b64 v[62:65], v118 offset0:55 offset1:56
	ds_read2_b64 v[66:69], v118 offset0:57 offset1:58
	;; [unrolled: 1-line block ×14, first 2 shown]
	v_cmp_lt_u32_e32 vcc, 7, v0
	s_waitcnt vmcnt(15) lgkmcnt(13)
	v_mul_f32_e32 v119, v62, v3
	v_mul_f32_e32 v120, v64, v5
	v_fmac_f32_e32 v119, v63, v2
	s_waitcnt vmcnt(14) lgkmcnt(12)
	v_mul_f32_e32 v121, v66, v7
	v_fmac_f32_e32 v120, v65, v4
	v_add_f32_e32 v119, 0, v119
	v_mul_f32_e32 v122, v68, v9
	v_fmac_f32_e32 v121, v67, v6
	v_add_f32_e32 v119, v119, v120
	s_waitcnt vmcnt(13) lgkmcnt(11)
	v_mul_f32_e32 v123, v70, v11
	v_fmac_f32_e32 v122, v69, v8
	v_add_f32_e32 v119, v119, v121
	v_mul_f32_e32 v124, v72, v13
	v_fmac_f32_e32 v123, v71, v10
	v_add_f32_e32 v119, v119, v122
	;; [unrolled: 7-line block ×11, first 2 shown]
	s_waitcnt vmcnt(3) lgkmcnt(1)
	v_mul_f32_e32 v145, v110, v51
	v_fmac_f32_e32 v144, v109, v48
	v_add_f32_e32 v119, v119, v143
	v_add_f32_e32 v119, v119, v144
	v_fmac_f32_e32 v145, v111, v50
	v_mul_f32_e32 v120, v112, v53
	v_add_f32_e32 v119, v119, v145
	v_fmac_f32_e32 v120, v113, v52
	s_waitcnt vmcnt(2) lgkmcnt(0)
	v_mul_f32_e32 v124, v114, v55
	v_add_f32_e32 v119, v119, v120
	v_fmac_f32_e32 v124, v115, v54
	ds_read2_b64 v[120:123], v118 offset0:83 offset1:84
	v_add_f32_e32 v143, v119, v124
	ds_read2_b64 v[124:127], v118 offset0:85 offset1:86
	scratch_load_dwordx4 v[128:131], off, off offset:312
	scratch_load_dwordx4 v[132:135], off, off offset:328
	;; [unrolled: 1-line block ×3, first 2 shown]
	scratch_load_dwordx2 v[148:149], off, off offset:360
	v_mul_f32_e32 v3, v63, v3
	v_fma_f32 v2, v62, v2, -v3
	v_mul_f32_e32 v3, v65, v5
	v_add_f32_e32 v2, 0, v2
	v_fma_f32 v3, v64, v4, -v3
	v_add_f32_e32 v2, v2, v3
	v_mul_f32_e32 v3, v67, v7
	v_fma_f32 v3, v66, v6, -v3
	v_add_f32_e32 v2, v2, v3
	v_mul_f32_e32 v3, v69, v9
	;; [unrolled: 3-line block ×25, first 2 shown]
	v_fma_f32 v3, v114, v54, -v3
	v_mul_f32_e32 v145, v116, v57
	v_add_f32_e32 v142, v2, v3
	v_mul_f32_e32 v2, v117, v57
	s_waitcnt vmcnt(5)
	v_mov_b32_e32 v14, v61
	v_fmac_f32_e32 v145, v117, v56
	s_waitcnt lgkmcnt(1)
	v_mul_f32_e32 v147, v120, v59
	v_fma_f32 v144, v116, v56, -v2
	v_mul_f32_e32 v2, v121, v59
	v_pk_mul_f32 v[14:15], v[122:123], v[14:15] op_sel:[1,0] op_sel_hi:[0,0]
	v_fmac_f32_e32 v147, v121, v58
	v_fma_f32 v146, v120, v58, -v2
	v_pk_add_f32 v[12:13], v[142:143], v[144:145]
	v_pk_fma_f32 v[16:17], v[122:123], v[60:61], v[14:15] neg_lo:[0,0,1] neg_hi:[0,0,1]
	v_pk_fma_f32 v[14:15], v[122:123], v[60:61], v[14:15] op_sel_hi:[1,0,1]
	v_pk_add_f32 v[12:13], v[12:13], v[146:147]
	v_mov_b32_e32 v17, v15
	s_waitcnt vmcnt(3) lgkmcnt(0)
	v_pk_mul_f32 v[14:15], v[124:125], v[128:129] op_sel:[1,1] op_sel_hi:[0,1]
	v_pk_add_f32 v[12:13], v[12:13], v[16:17]
	v_pk_fma_f32 v[16:17], v[124:125], v[128:129], v[14:15] neg_lo:[0,0,1] neg_hi:[0,0,1]
	v_pk_fma_f32 v[14:15], v[124:125], v[128:129], v[14:15] op_sel_hi:[1,0,1]
	ds_read2_b64 v[2:5], v118 offset0:87 offset1:88
	ds_read2_b64 v[6:9], v118 offset0:89 offset1:90
	ds_read_b64 v[10:11], v118 offset:728
	v_mov_b32_e32 v14, v131
	v_mov_b32_e32 v17, v15
	v_pk_mul_f32 v[14:15], v[126:127], v[14:15] op_sel:[1,0] op_sel_hi:[0,0]
	v_pk_add_f32 v[12:13], v[12:13], v[16:17]
	v_pk_fma_f32 v[16:17], v[126:127], v[130:131], v[14:15] neg_lo:[0,0,1] neg_hi:[0,0,1]
	v_pk_fma_f32 v[14:15], v[126:127], v[130:131], v[14:15] op_sel_hi:[1,0,1]
	s_nop 0
	v_mov_b32_e32 v17, v15
	s_waitcnt vmcnt(2) lgkmcnt(2)
	v_pk_mul_f32 v[14:15], v[2:3], v[132:133] op_sel:[1,1] op_sel_hi:[0,1]
	v_pk_add_f32 v[12:13], v[12:13], v[16:17]
	v_pk_fma_f32 v[16:17], v[2:3], v[132:133], v[14:15] neg_lo:[0,0,1] neg_hi:[0,0,1]
	v_pk_fma_f32 v[2:3], v[2:3], v[132:133], v[14:15] op_sel_hi:[1,0,1]
	s_nop 0
	v_mov_b32_e32 v17, v3
	v_pk_add_f32 v[2:3], v[12:13], v[16:17]
	v_mov_b32_e32 v12, v135
	v_pk_mul_f32 v[12:13], v[4:5], v[12:13] op_sel:[1,0] op_sel_hi:[0,0]
	v_pk_fma_f32 v[14:15], v[4:5], v[134:135], v[12:13] neg_lo:[0,0,1] neg_hi:[0,0,1]
	v_pk_fma_f32 v[4:5], v[4:5], v[134:135], v[12:13] op_sel_hi:[1,0,1]
	s_nop 0
	v_mov_b32_e32 v15, v5
	s_waitcnt vmcnt(1) lgkmcnt(1)
	v_pk_mul_f32 v[4:5], v[6:7], v[136:137] op_sel:[1,1] op_sel_hi:[0,1]
	v_pk_fma_f32 v[12:13], v[6:7], v[136:137], v[4:5] neg_lo:[0,0,1] neg_hi:[0,0,1]
	v_pk_fma_f32 v[4:5], v[6:7], v[136:137], v[4:5] op_sel_hi:[1,0,1]
	v_pk_add_f32 v[2:3], v[2:3], v[14:15]
	v_mov_b32_e32 v4, v139
	v_mov_b32_e32 v13, v5
	v_pk_mul_f32 v[4:5], v[8:9], v[4:5] op_sel:[1,0] op_sel_hi:[0,0]
	v_pk_fma_f32 v[6:7], v[8:9], v[138:139], v[4:5] neg_lo:[0,0,1] neg_hi:[0,0,1]
	v_pk_fma_f32 v[4:5], v[8:9], v[138:139], v[4:5] op_sel_hi:[1,0,1]
	v_pk_add_f32 v[2:3], v[2:3], v[12:13]
	v_mov_b32_e32 v7, v5
	s_waitcnt vmcnt(0) lgkmcnt(0)
	v_pk_mul_f32 v[4:5], v[10:11], v[148:149] op_sel:[1,1] op_sel_hi:[0,1]
	v_pk_add_f32 v[2:3], v[2:3], v[6:7]
	v_pk_fma_f32 v[6:7], v[10:11], v[148:149], v[4:5] neg_lo:[0,0,1] neg_hi:[0,0,1]
	v_pk_fma_f32 v[4:5], v[10:11], v[148:149], v[4:5] op_sel_hi:[1,0,1]
	s_nop 0
	v_mov_b32_e32 v7, v5
	v_pk_add_f32 v[2:3], v[2:3], v[6:7]
	s_nop 0
	v_pk_add_f32 v[2:3], v[140:141], v[2:3] neg_lo:[0,1] neg_hi:[0,1]
	scratch_store_dwordx2 off, v[2:3], off offset:64
	s_and_saveexec_b64 s[0:1], vcc
	s_cbranch_execz .LBB109_275
; %bb.274:
	scratch_load_dwordx2 v[2:3], off, off offset:56
	v_mov_b32_e32 v119, v118
	scratch_store_dwordx2 off, v[118:119], off offset:56
	s_waitcnt vmcnt(1)
	ds_write_b64 v1, v[2:3]
.LBB109_275:
	s_or_b64 exec, exec, s[0:1]
	s_waitcnt lgkmcnt(0)
	; wave barrier
	scratch_load_dwordx4 v[2:5], off, off offset:64
	scratch_load_dwordx4 v[6:9], off, off offset:80
	;; [unrolled: 1-line block ×13, first 2 shown]
	ds_read_b128 v[114:117], v118 offset:432
	ds_read_b128 v[110:113], v118 offset:448
	;; [unrolled: 1-line block ×14, first 2 shown]
	scratch_load_dwordx4 v[62:65], off, off offset:272
	scratch_load_dwordx4 v[70:73], off, off offset:288
	scratch_load_dwordx2 v[144:145], off, off offset:56
	v_cmp_lt_u32_e32 vcc, 6, v0
	s_waitcnt vmcnt(15) lgkmcnt(13)
	v_mul_f32_e32 v119, v114, v3
	v_mul_f32_e32 v120, v116, v5
	v_fmac_f32_e32 v119, v115, v2
	s_waitcnt vmcnt(14) lgkmcnt(12)
	v_mul_f32_e32 v121, v110, v7
	v_fmac_f32_e32 v120, v117, v4
	v_add_f32_e32 v119, 0, v119
	v_mul_f32_e32 v122, v112, v9
	v_fmac_f32_e32 v121, v111, v6
	v_add_f32_e32 v119, v119, v120
	s_waitcnt vmcnt(13) lgkmcnt(11)
	v_mul_f32_e32 v123, v106, v11
	v_fmac_f32_e32 v122, v113, v8
	v_add_f32_e32 v119, v119, v121
	v_mul_f32_e32 v124, v108, v13
	v_fmac_f32_e32 v123, v107, v10
	v_add_f32_e32 v119, v119, v122
	;; [unrolled: 7-line block ×11, first 2 shown]
	s_waitcnt vmcnt(3) lgkmcnt(1)
	v_mul_f32_e32 v143, v54, v51
	v_fmac_f32_e32 v142, v69, v48
	v_add_f32_e32 v119, v119, v141
	v_fmac_f32_e32 v143, v55, v50
	v_add_f32_e32 v119, v119, v142
	v_mul_f32_e32 v120, v56, v53
	v_add_f32_e32 v119, v119, v143
	v_fmac_f32_e32 v120, v57, v52
	v_add_f32_e32 v119, v119, v120
	s_waitcnt vmcnt(2) lgkmcnt(0)
	v_mul_f32_e32 v120, v58, v63
	v_fmac_f32_e32 v120, v59, v62
	v_mul_f32_e32 v124, v60, v65
	v_add_f32_e32 v119, v119, v120
	v_fmac_f32_e32 v124, v61, v64
	ds_read_b128 v[120:123], v118 offset:656
	v_add_f32_e32 v147, v119, v124
	ds_read_b128 v[124:127], v118 offset:672
	scratch_load_dwordx4 v[128:131], off, off offset:304
	scratch_load_dwordx4 v[132:135], off, off offset:320
	;; [unrolled: 1-line block ×4, first 2 shown]
	v_mul_f32_e32 v3, v115, v3
	v_fma_f32 v2, v114, v2, -v3
	v_mul_f32_e32 v3, v117, v5
	v_add_f32_e32 v2, 0, v2
	v_fma_f32 v3, v116, v4, -v3
	v_add_f32_e32 v2, v2, v3
	v_mul_f32_e32 v3, v111, v7
	v_fma_f32 v3, v110, v6, -v3
	v_add_f32_e32 v2, v2, v3
	v_mul_f32_e32 v3, v113, v9
	v_fma_f32 v3, v112, v8, -v3
	v_add_f32_e32 v2, v2, v3
	v_mul_f32_e32 v3, v107, v11
	v_fma_f32 v3, v106, v10, -v3
	v_add_f32_e32 v2, v2, v3
	v_mul_f32_e32 v3, v109, v13
	v_fma_f32 v3, v108, v12, -v3
	v_add_f32_e32 v2, v2, v3
	v_mul_f32_e32 v3, v103, v15
	v_fma_f32 v3, v102, v14, -v3
	v_add_f32_e32 v2, v2, v3
	v_mul_f32_e32 v3, v105, v17
	v_fma_f32 v3, v104, v16, -v3
	v_add_f32_e32 v2, v2, v3
	v_mul_f32_e32 v3, v99, v19
	v_fma_f32 v3, v98, v18, -v3
	v_add_f32_e32 v2, v2, v3
	v_mul_f32_e32 v3, v101, v21
	v_fma_f32 v3, v100, v20, -v3
	v_add_f32_e32 v2, v2, v3
	v_mul_f32_e32 v3, v95, v23
	v_fma_f32 v3, v94, v22, -v3
	v_add_f32_e32 v2, v2, v3
	v_mul_f32_e32 v3, v97, v25
	v_fma_f32 v3, v96, v24, -v3
	v_add_f32_e32 v2, v2, v3
	v_mul_f32_e32 v3, v91, v27
	v_fma_f32 v3, v90, v26, -v3
	v_add_f32_e32 v2, v2, v3
	v_mul_f32_e32 v3, v93, v29
	v_fma_f32 v3, v92, v28, -v3
	v_add_f32_e32 v2, v2, v3
	v_mul_f32_e32 v3, v87, v31
	v_fma_f32 v3, v86, v30, -v3
	v_add_f32_e32 v2, v2, v3
	v_mul_f32_e32 v3, v89, v33
	v_fma_f32 v3, v88, v32, -v3
	v_add_f32_e32 v2, v2, v3
	v_mul_f32_e32 v3, v83, v35
	v_fma_f32 v3, v82, v34, -v3
	v_add_f32_e32 v2, v2, v3
	v_mul_f32_e32 v3, v85, v37
	v_fma_f32 v3, v84, v36, -v3
	v_add_f32_e32 v2, v2, v3
	v_mul_f32_e32 v3, v79, v39
	v_fma_f32 v3, v78, v38, -v3
	v_add_f32_e32 v2, v2, v3
	v_mul_f32_e32 v3, v81, v41
	v_fma_f32 v3, v80, v40, -v3
	v_add_f32_e32 v2, v2, v3
	v_mul_f32_e32 v3, v75, v43
	v_fma_f32 v3, v74, v42, -v3
	v_add_f32_e32 v2, v2, v3
	v_mul_f32_e32 v3, v77, v45
	v_fma_f32 v3, v76, v44, -v3
	v_add_f32_e32 v2, v2, v3
	v_mul_f32_e32 v3, v67, v47
	v_fma_f32 v3, v66, v46, -v3
	v_add_f32_e32 v2, v2, v3
	v_mul_f32_e32 v3, v69, v49
	v_fma_f32 v3, v68, v48, -v3
	v_add_f32_e32 v2, v2, v3
	v_mul_f32_e32 v3, v55, v51
	v_fma_f32 v3, v54, v50, -v3
	v_add_f32_e32 v2, v2, v3
	v_mul_f32_e32 v3, v57, v53
	v_fma_f32 v3, v56, v52, -v3
	v_add_f32_e32 v2, v2, v3
	v_mul_f32_e32 v3, v59, v63
	v_fma_f32 v3, v58, v62, -v3
	v_add_f32_e32 v2, v2, v3
	v_mul_f32_e32 v3, v61, v65
	v_fma_f32 v3, v60, v64, -v3
	s_waitcnt vmcnt(5) lgkmcnt(1)
	v_mul_f32_e32 v149, v120, v71
	v_add_f32_e32 v146, v2, v3
	v_mul_f32_e32 v2, v121, v71
	s_waitcnt vmcnt(3) lgkmcnt(0)
	v_pk_mul_f32 v[16:17], v[124:125], v[128:129] op_sel:[1,1] op_sel_hi:[0,1]
	v_fmac_f32_e32 v149, v121, v70
	v_mul_f32_e32 v151, v122, v73
	v_fma_f32 v148, v120, v70, -v2
	v_mul_f32_e32 v2, v123, v73
	v_pk_fma_f32 v[18:19], v[124:125], v[128:129], v[16:17] neg_lo:[0,0,1] neg_hi:[0,0,1]
	v_pk_fma_f32 v[16:17], v[124:125], v[128:129], v[16:17] op_sel_hi:[1,0,1]
	v_fmac_f32_e32 v151, v123, v72
	v_fma_f32 v150, v122, v72, -v2
	ds_read_b128 v[2:5], v118 offset:688
	ds_read_b128 v[6:9], v118 offset:704
	ds_read_b128 v[10:13], v118 offset:720
	v_pk_add_f32 v[14:15], v[146:147], v[148:149]
	v_mov_b32_e32 v16, v131
	v_pk_add_f32 v[14:15], v[14:15], v[150:151]
	v_mov_b32_e32 v19, v17
	v_pk_mul_f32 v[16:17], v[126:127], v[16:17] op_sel:[1,0] op_sel_hi:[0,0]
	v_pk_add_f32 v[14:15], v[14:15], v[18:19]
	v_pk_fma_f32 v[18:19], v[126:127], v[130:131], v[16:17] neg_lo:[0,0,1] neg_hi:[0,0,1]
	v_pk_fma_f32 v[16:17], v[126:127], v[130:131], v[16:17] op_sel_hi:[1,0,1]
	s_nop 0
	v_mov_b32_e32 v19, v17
	s_waitcnt vmcnt(2) lgkmcnt(2)
	v_pk_mul_f32 v[16:17], v[2:3], v[132:133] op_sel:[1,1] op_sel_hi:[0,1]
	v_pk_add_f32 v[14:15], v[14:15], v[18:19]
	v_pk_fma_f32 v[18:19], v[2:3], v[132:133], v[16:17] neg_lo:[0,0,1] neg_hi:[0,0,1]
	v_pk_fma_f32 v[2:3], v[2:3], v[132:133], v[16:17] op_sel_hi:[1,0,1]
	s_nop 0
	v_mov_b32_e32 v19, v3
	v_pk_add_f32 v[2:3], v[14:15], v[18:19]
	v_mov_b32_e32 v14, v135
	v_pk_mul_f32 v[14:15], v[4:5], v[14:15] op_sel:[1,0] op_sel_hi:[0,0]
	v_pk_fma_f32 v[16:17], v[4:5], v[134:135], v[14:15] neg_lo:[0,0,1] neg_hi:[0,0,1]
	v_pk_fma_f32 v[4:5], v[4:5], v[134:135], v[14:15] op_sel_hi:[1,0,1]
	s_nop 0
	v_mov_b32_e32 v17, v5
	s_waitcnt vmcnt(1) lgkmcnt(1)
	v_pk_mul_f32 v[4:5], v[6:7], v[136:137] op_sel:[1,1] op_sel_hi:[0,1]
	v_pk_fma_f32 v[14:15], v[6:7], v[136:137], v[4:5] neg_lo:[0,0,1] neg_hi:[0,0,1]
	v_pk_fma_f32 v[4:5], v[6:7], v[136:137], v[4:5] op_sel_hi:[1,0,1]
	v_pk_add_f32 v[2:3], v[2:3], v[16:17]
	v_mov_b32_e32 v4, v139
	v_mov_b32_e32 v15, v5
	v_pk_mul_f32 v[4:5], v[8:9], v[4:5] op_sel:[1,0] op_sel_hi:[0,0]
	v_pk_fma_f32 v[6:7], v[8:9], v[138:139], v[4:5] neg_lo:[0,0,1] neg_hi:[0,0,1]
	v_pk_fma_f32 v[4:5], v[8:9], v[138:139], v[4:5] op_sel_hi:[1,0,1]
	v_pk_add_f32 v[2:3], v[2:3], v[14:15]
	v_mov_b32_e32 v7, v5
	s_waitcnt vmcnt(0) lgkmcnt(0)
	v_pk_mul_f32 v[4:5], v[10:11], v[140:141] op_sel:[1,1] op_sel_hi:[0,1]
	v_pk_add_f32 v[2:3], v[2:3], v[6:7]
	v_pk_fma_f32 v[6:7], v[10:11], v[140:141], v[4:5] neg_lo:[0,0,1] neg_hi:[0,0,1]
	v_pk_fma_f32 v[4:5], v[10:11], v[140:141], v[4:5] op_sel_hi:[1,0,1]
	s_nop 0
	v_mov_b32_e32 v4, v143
	v_mov_b32_e32 v7, v5
	v_pk_mul_f32 v[4:5], v[12:13], v[4:5] op_sel:[1,0] op_sel_hi:[0,0]
	v_pk_add_f32 v[2:3], v[2:3], v[6:7]
	v_pk_fma_f32 v[6:7], v[12:13], v[142:143], v[4:5] neg_lo:[0,0,1] neg_hi:[0,0,1]
	v_pk_fma_f32 v[4:5], v[12:13], v[142:143], v[4:5] op_sel_hi:[1,0,1]
	s_nop 0
	v_mov_b32_e32 v7, v5
	v_pk_add_f32 v[2:3], v[2:3], v[6:7]
	s_nop 0
	v_pk_add_f32 v[2:3], v[144:145], v[2:3] neg_lo:[0,1] neg_hi:[0,1]
	scratch_store_dwordx2 off, v[2:3], off offset:56
	s_and_saveexec_b64 s[0:1], vcc
	s_cbranch_execz .LBB109_277
; %bb.276:
	scratch_load_dwordx2 v[2:3], off, off offset:48
	v_mov_b32_e32 v4, 0
	v_mov_b32_e32 v5, v4
	scratch_store_dwordx2 off, v[4:5], off offset:48
	s_waitcnt vmcnt(1)
	ds_write_b64 v1, v[2:3]
.LBB109_277:
	s_or_b64 exec, exec, s[0:1]
	s_waitcnt lgkmcnt(0)
	; wave barrier
	scratch_load_dwordx4 v[2:5], off, off offset:56
	scratch_load_dwordx4 v[6:9], off, off offset:72
	;; [unrolled: 1-line block ×16, first 2 shown]
	scratch_load_dwordx2 v[144:145], off, off offset:48
	v_mov_b32_e32 v122, 0
	ds_read2_b64 v[66:69], v122 offset0:53 offset1:54
	ds_read2_b64 v[70:73], v122 offset0:55 offset1:56
	;; [unrolled: 1-line block ×14, first 2 shown]
	v_cmp_lt_u32_e32 vcc, 5, v0
	s_waitcnt vmcnt(16) lgkmcnt(13)
	v_mul_f32_e32 v123, v66, v3
	v_mul_f32_e32 v124, v68, v5
	v_fmac_f32_e32 v123, v67, v2
	s_waitcnt vmcnt(15) lgkmcnt(12)
	v_mul_f32_e32 v125, v70, v7
	v_fmac_f32_e32 v124, v69, v4
	v_add_f32_e32 v123, 0, v123
	v_mul_f32_e32 v126, v72, v9
	v_fmac_f32_e32 v125, v71, v6
	v_add_f32_e32 v123, v123, v124
	s_waitcnt vmcnt(14) lgkmcnt(11)
	v_mul_f32_e32 v127, v74, v11
	v_fmac_f32_e32 v126, v73, v8
	v_add_f32_e32 v123, v123, v125
	v_mul_f32_e32 v128, v76, v13
	v_fmac_f32_e32 v127, v75, v10
	v_add_f32_e32 v123, v123, v126
	s_waitcnt vmcnt(13) lgkmcnt(10)
	v_mul_f32_e32 v129, v78, v15
	v_fmac_f32_e32 v128, v77, v12
	v_add_f32_e32 v123, v123, v127
	v_mul_f32_e32 v130, v80, v17
	v_fmac_f32_e32 v129, v79, v14
	v_add_f32_e32 v123, v123, v128
	s_waitcnt vmcnt(12) lgkmcnt(9)
	v_mul_f32_e32 v131, v82, v19
	v_fmac_f32_e32 v130, v81, v16
	v_add_f32_e32 v123, v123, v129
	v_mul_f32_e32 v132, v84, v21
	v_fmac_f32_e32 v131, v83, v18
	v_add_f32_e32 v123, v123, v130
	s_waitcnt vmcnt(11) lgkmcnt(8)
	v_mul_f32_e32 v133, v86, v23
	v_fmac_f32_e32 v132, v85, v20
	v_add_f32_e32 v123, v123, v131
	v_mul_f32_e32 v134, v88, v25
	v_fmac_f32_e32 v133, v87, v22
	v_add_f32_e32 v123, v123, v132
	s_waitcnt vmcnt(10) lgkmcnt(7)
	v_mul_f32_e32 v135, v90, v27
	v_fmac_f32_e32 v134, v89, v24
	v_add_f32_e32 v123, v123, v133
	v_mul_f32_e32 v136, v92, v29
	v_fmac_f32_e32 v135, v91, v26
	v_add_f32_e32 v123, v123, v134
	s_waitcnt vmcnt(9) lgkmcnt(6)
	v_mul_f32_e32 v137, v94, v31
	v_fmac_f32_e32 v136, v93, v28
	v_add_f32_e32 v123, v123, v135
	v_mul_f32_e32 v138, v96, v33
	v_fmac_f32_e32 v137, v95, v30
	v_add_f32_e32 v123, v123, v136
	s_waitcnt vmcnt(8) lgkmcnt(5)
	v_mul_f32_e32 v139, v98, v35
	v_fmac_f32_e32 v138, v97, v32
	v_add_f32_e32 v123, v123, v137
	v_mul_f32_e32 v140, v100, v37
	v_fmac_f32_e32 v139, v99, v34
	v_add_f32_e32 v123, v123, v138
	s_waitcnt vmcnt(7) lgkmcnt(4)
	v_mul_f32_e32 v141, v102, v39
	v_fmac_f32_e32 v140, v101, v36
	v_add_f32_e32 v123, v123, v139
	v_mul_f32_e32 v142, v104, v41
	v_fmac_f32_e32 v141, v103, v38
	v_add_f32_e32 v123, v123, v140
	s_waitcnt vmcnt(6) lgkmcnt(3)
	v_mul_f32_e32 v143, v106, v43
	v_fmac_f32_e32 v142, v105, v40
	v_add_f32_e32 v123, v123, v141
	v_mul_f32_e32 v146, v108, v45
	v_fmac_f32_e32 v143, v107, v42
	v_add_f32_e32 v123, v123, v142
	s_waitcnt vmcnt(5) lgkmcnt(2)
	v_mul_f32_e32 v147, v110, v47
	v_fmac_f32_e32 v146, v109, v44
	v_add_f32_e32 v123, v123, v143
	v_mul_f32_e32 v148, v112, v49
	v_fmac_f32_e32 v147, v111, v46
	v_add_f32_e32 v123, v123, v146
	v_fmac_f32_e32 v148, v113, v48
	v_add_f32_e32 v123, v123, v147
	s_waitcnt vmcnt(4) lgkmcnt(1)
	v_mul_f32_e32 v124, v114, v51
	v_add_f32_e32 v123, v123, v148
	v_fmac_f32_e32 v124, v115, v50
	v_add_f32_e32 v123, v123, v124
	v_mul_f32_e32 v124, v116, v53
	v_fmac_f32_e32 v124, v117, v52
	v_add_f32_e32 v123, v123, v124
	s_waitcnt vmcnt(3) lgkmcnt(0)
	v_mul_f32_e32 v124, v118, v55
	v_fmac_f32_e32 v124, v119, v54
	v_add_f32_e32 v123, v123, v124
	ds_read2_b64 v[124:127], v122 offset0:81 offset1:82
	v_mul_f32_e32 v128, v120, v57
	v_fmac_f32_e32 v128, v121, v56
	v_add_f32_e32 v123, v123, v128
	ds_read2_b64 v[128:131], v122 offset0:83 offset1:84
	s_waitcnt vmcnt(2) lgkmcnt(1)
	v_mul_f32_e32 v132, v124, v63
	v_fmac_f32_e32 v132, v125, v62
	v_add_f32_e32 v147, v123, v132
	scratch_load_dwordx4 v[132:135], off, off offset:312
	scratch_load_dwordx4 v[136:139], off, off offset:328
	;; [unrolled: 1-line block ×3, first 2 shown]
	scratch_load_dwordx2 v[152:153], off, off offset:360
	v_mul_f32_e32 v3, v67, v3
	v_fma_f32 v2, v66, v2, -v3
	v_mul_f32_e32 v3, v69, v5
	v_add_f32_e32 v2, 0, v2
	v_fma_f32 v3, v68, v4, -v3
	v_add_f32_e32 v2, v2, v3
	v_mul_f32_e32 v3, v71, v7
	v_fma_f32 v3, v70, v6, -v3
	v_add_f32_e32 v2, v2, v3
	v_mul_f32_e32 v3, v73, v9
	;; [unrolled: 3-line block ×28, first 2 shown]
	v_mul_f32_e32 v149, v126, v65
	v_fma_f32 v148, v126, v64, -v2
	s_waitcnt vmcnt(5) lgkmcnt(0)
	v_mul_f32_e32 v2, v129, v59
	v_mov_b32_e32 v18, v61
	v_fmac_f32_e32 v149, v127, v64
	v_mul_f32_e32 v151, v128, v59
	v_fma_f32 v150, v128, v58, -v2
	ds_read2_b64 v[2:5], v122 offset0:85 offset1:86
	ds_read2_b64 v[6:9], v122 offset0:87 offset1:88
	;; [unrolled: 1-line block ×3, first 2 shown]
	ds_read_b64 v[14:15], v122 offset:728
	v_pk_mul_f32 v[18:19], v[130:131], v[18:19] op_sel:[1,0] op_sel_hi:[0,0]
	v_fmac_f32_e32 v151, v129, v58
	v_pk_add_f32 v[16:17], v[146:147], v[148:149]
	v_pk_fma_f32 v[20:21], v[130:131], v[60:61], v[18:19] neg_lo:[0,0,1] neg_hi:[0,0,1]
	v_pk_fma_f32 v[18:19], v[130:131], v[60:61], v[18:19] op_sel_hi:[1,0,1]
	v_pk_add_f32 v[16:17], v[16:17], v[150:151]
	v_mov_b32_e32 v21, v19
	s_waitcnt vmcnt(3) lgkmcnt(3)
	v_pk_mul_f32 v[18:19], v[2:3], v[132:133] op_sel:[1,1] op_sel_hi:[0,1]
	v_pk_add_f32 v[16:17], v[16:17], v[20:21]
	v_pk_fma_f32 v[20:21], v[2:3], v[132:133], v[18:19] neg_lo:[0,0,1] neg_hi:[0,0,1]
	v_pk_fma_f32 v[2:3], v[2:3], v[132:133], v[18:19] op_sel_hi:[1,0,1]
	s_nop 0
	v_mov_b32_e32 v21, v3
	v_pk_add_f32 v[2:3], v[16:17], v[20:21]
	v_mov_b32_e32 v16, v135
	v_pk_mul_f32 v[16:17], v[4:5], v[16:17] op_sel:[1,0] op_sel_hi:[0,0]
	v_pk_fma_f32 v[18:19], v[4:5], v[134:135], v[16:17] neg_lo:[0,0,1] neg_hi:[0,0,1]
	v_pk_fma_f32 v[4:5], v[4:5], v[134:135], v[16:17] op_sel_hi:[1,0,1]
	s_nop 0
	v_mov_b32_e32 v19, v5
	s_waitcnt vmcnt(2) lgkmcnt(2)
	v_pk_mul_f32 v[4:5], v[6:7], v[136:137] op_sel:[1,1] op_sel_hi:[0,1]
	v_pk_fma_f32 v[16:17], v[6:7], v[136:137], v[4:5] neg_lo:[0,0,1] neg_hi:[0,0,1]
	v_pk_fma_f32 v[4:5], v[6:7], v[136:137], v[4:5] op_sel_hi:[1,0,1]
	v_pk_add_f32 v[2:3], v[2:3], v[18:19]
	v_mov_b32_e32 v4, v139
	v_mov_b32_e32 v17, v5
	v_pk_mul_f32 v[4:5], v[8:9], v[4:5] op_sel:[1,0] op_sel_hi:[0,0]
	v_pk_fma_f32 v[6:7], v[8:9], v[138:139], v[4:5] neg_lo:[0,0,1] neg_hi:[0,0,1]
	v_pk_fma_f32 v[4:5], v[8:9], v[138:139], v[4:5] op_sel_hi:[1,0,1]
	v_pk_add_f32 v[2:3], v[2:3], v[16:17]
	v_mov_b32_e32 v7, v5
	s_waitcnt vmcnt(1) lgkmcnt(1)
	v_pk_mul_f32 v[4:5], v[10:11], v[140:141] op_sel:[1,1] op_sel_hi:[0,1]
	v_pk_add_f32 v[2:3], v[2:3], v[6:7]
	v_pk_fma_f32 v[6:7], v[10:11], v[140:141], v[4:5] neg_lo:[0,0,1] neg_hi:[0,0,1]
	v_pk_fma_f32 v[4:5], v[10:11], v[140:141], v[4:5] op_sel_hi:[1,0,1]
	s_nop 0
	v_mov_b32_e32 v4, v143
	v_mov_b32_e32 v7, v5
	v_pk_mul_f32 v[4:5], v[12:13], v[4:5] op_sel:[1,0] op_sel_hi:[0,0]
	v_pk_add_f32 v[2:3], v[2:3], v[6:7]
	v_pk_fma_f32 v[6:7], v[12:13], v[142:143], v[4:5] neg_lo:[0,0,1] neg_hi:[0,0,1]
	v_pk_fma_f32 v[4:5], v[12:13], v[142:143], v[4:5] op_sel_hi:[1,0,1]
	s_nop 0
	v_mov_b32_e32 v7, v5
	s_waitcnt vmcnt(0) lgkmcnt(0)
	v_pk_mul_f32 v[4:5], v[14:15], v[152:153] op_sel:[1,1] op_sel_hi:[0,1]
	v_pk_add_f32 v[2:3], v[2:3], v[6:7]
	v_pk_fma_f32 v[6:7], v[14:15], v[152:153], v[4:5] neg_lo:[0,0,1] neg_hi:[0,0,1]
	v_pk_fma_f32 v[4:5], v[14:15], v[152:153], v[4:5] op_sel_hi:[1,0,1]
	s_nop 0
	v_mov_b32_e32 v7, v5
	v_pk_add_f32 v[2:3], v[2:3], v[6:7]
	s_nop 0
	v_pk_add_f32 v[2:3], v[144:145], v[2:3] neg_lo:[0,1] neg_hi:[0,1]
	scratch_store_dwordx2 off, v[2:3], off offset:48
	s_and_saveexec_b64 s[0:1], vcc
	s_cbranch_execz .LBB109_279
; %bb.278:
	scratch_load_dwordx2 v[2:3], off, off offset:40
	v_mov_b32_e32 v123, v122
	scratch_store_dwordx2 off, v[122:123], off offset:40
	s_waitcnt vmcnt(1)
	ds_write_b64 v1, v[2:3]
.LBB109_279:
	s_or_b64 exec, exec, s[0:1]
	s_waitcnt lgkmcnt(0)
	; wave barrier
	scratch_load_dwordx4 v[2:5], off, off offset:48
	scratch_load_dwordx4 v[6:9], off, off offset:64
	;; [unrolled: 1-line block ×13, first 2 shown]
	ds_read_b128 v[118:121], v122 offset:416
	ds_read_b128 v[114:117], v122 offset:432
	;; [unrolled: 1-line block ×14, first 2 shown]
	scratch_load_dwordx4 v[62:65], off, off offset:256
	scratch_load_dwordx4 v[70:73], off, off offset:272
	;; [unrolled: 1-line block ×3, first 2 shown]
	scratch_load_dwordx2 v[148:149], off, off offset:40
	v_cmp_lt_u32_e32 vcc, 4, v0
	s_waitcnt vmcnt(16) lgkmcnt(13)
	v_mul_f32_e32 v123, v118, v3
	v_mul_f32_e32 v124, v120, v5
	v_fmac_f32_e32 v123, v119, v2
	s_waitcnt vmcnt(15) lgkmcnt(12)
	v_mul_f32_e32 v125, v114, v7
	v_fmac_f32_e32 v124, v121, v4
	v_add_f32_e32 v123, 0, v123
	v_mul_f32_e32 v126, v116, v9
	v_fmac_f32_e32 v125, v115, v6
	v_add_f32_e32 v123, v123, v124
	s_waitcnt vmcnt(14) lgkmcnt(11)
	v_mul_f32_e32 v127, v110, v11
	v_fmac_f32_e32 v126, v117, v8
	v_add_f32_e32 v123, v123, v125
	v_mul_f32_e32 v128, v112, v13
	v_fmac_f32_e32 v127, v111, v10
	v_add_f32_e32 v123, v123, v126
	;; [unrolled: 7-line block ×11, first 2 shown]
	s_waitcnt vmcnt(4) lgkmcnt(1)
	v_mul_f32_e32 v147, v54, v51
	v_fmac_f32_e32 v146, v69, v48
	v_add_f32_e32 v123, v123, v145
	v_add_f32_e32 v123, v123, v146
	v_fmac_f32_e32 v147, v55, v50
	v_mul_f32_e32 v124, v56, v53
	v_add_f32_e32 v123, v123, v147
	v_fmac_f32_e32 v124, v57, v52
	v_add_f32_e32 v123, v123, v124
	s_waitcnt vmcnt(3) lgkmcnt(0)
	v_mul_f32_e32 v124, v58, v63
	v_fmac_f32_e32 v124, v59, v62
	v_add_f32_e32 v123, v123, v124
	ds_read_b128 v[124:127], v122 offset:640
	v_mul_f32_e32 v128, v60, v65
	v_fmac_f32_e32 v128, v61, v64
	v_add_f32_e32 v123, v123, v128
	ds_read_b128 v[128:131], v122 offset:656
	s_waitcnt vmcnt(2) lgkmcnt(1)
	v_mul_f32_e32 v132, v124, v71
	v_fmac_f32_e32 v132, v125, v70
	v_add_f32_e32 v123, v123, v132
	v_mul_f32_e32 v132, v126, v73
	v_fmac_f32_e32 v132, v127, v72
	v_add_f32_e32 v151, v123, v132
	scratch_load_dwordx4 v[132:135], off, off offset:304
	scratch_load_dwordx4 v[136:139], off, off offset:320
	;; [unrolled: 1-line block ×4, first 2 shown]
	v_mul_f32_e32 v3, v119, v3
	v_fma_f32 v2, v118, v2, -v3
	v_mul_f32_e32 v3, v121, v5
	v_add_f32_e32 v2, 0, v2
	v_fma_f32 v3, v120, v4, -v3
	v_add_f32_e32 v2, v2, v3
	v_mul_f32_e32 v3, v115, v7
	v_fma_f32 v3, v114, v6, -v3
	v_add_f32_e32 v2, v2, v3
	v_mul_f32_e32 v3, v117, v9
	;; [unrolled: 3-line block ×28, first 2 shown]
	v_fma_f32 v3, v126, v72, -v3
	v_add_f32_e32 v150, v2, v3
	s_waitcnt vmcnt(5) lgkmcnt(0)
	v_mul_f32_e32 v2, v129, v79
	v_fma_f32 v152, v128, v78, -v2
	v_mul_f32_e32 v2, v131, v81
	v_fma_f32 v156, v130, v80, -v2
	ds_read_b128 v[2:5], v122 offset:672
	ds_read_b128 v[6:9], v122 offset:688
	ds_read_b128 v[10:13], v122 offset:704
	ds_read_b128 v[14:17], v122 offset:720
	v_mul_f32_e32 v153, v128, v79
	v_fmac_f32_e32 v153, v129, v78
	v_mul_f32_e32 v157, v130, v81
	s_waitcnt vmcnt(3) lgkmcnt(3)
	v_pk_mul_f32 v[20:21], v[2:3], v[132:133] op_sel:[1,1] op_sel_hi:[0,1]
	v_fmac_f32_e32 v157, v131, v80
	v_pk_add_f32 v[18:19], v[150:151], v[152:153]
	v_pk_fma_f32 v[22:23], v[2:3], v[132:133], v[20:21] neg_lo:[0,0,1] neg_hi:[0,0,1]
	v_pk_fma_f32 v[2:3], v[2:3], v[132:133], v[20:21] op_sel_hi:[1,0,1]
	v_pk_add_f32 v[18:19], v[18:19], v[156:157]
	v_mov_b32_e32 v23, v3
	v_pk_add_f32 v[2:3], v[18:19], v[22:23]
	v_mov_b32_e32 v18, v135
	v_pk_mul_f32 v[18:19], v[4:5], v[18:19] op_sel:[1,0] op_sel_hi:[0,0]
	v_pk_fma_f32 v[20:21], v[4:5], v[134:135], v[18:19] neg_lo:[0,0,1] neg_hi:[0,0,1]
	v_pk_fma_f32 v[4:5], v[4:5], v[134:135], v[18:19] op_sel_hi:[1,0,1]
	s_nop 0
	v_mov_b32_e32 v21, v5
	s_waitcnt vmcnt(2) lgkmcnt(2)
	v_pk_mul_f32 v[4:5], v[6:7], v[136:137] op_sel:[1,1] op_sel_hi:[0,1]
	v_pk_fma_f32 v[18:19], v[6:7], v[136:137], v[4:5] neg_lo:[0,0,1] neg_hi:[0,0,1]
	v_pk_fma_f32 v[4:5], v[6:7], v[136:137], v[4:5] op_sel_hi:[1,0,1]
	v_pk_add_f32 v[2:3], v[2:3], v[20:21]
	v_mov_b32_e32 v4, v139
	v_mov_b32_e32 v19, v5
	v_pk_mul_f32 v[4:5], v[8:9], v[4:5] op_sel:[1,0] op_sel_hi:[0,0]
	v_pk_fma_f32 v[6:7], v[8:9], v[138:139], v[4:5] neg_lo:[0,0,1] neg_hi:[0,0,1]
	v_pk_fma_f32 v[4:5], v[8:9], v[138:139], v[4:5] op_sel_hi:[1,0,1]
	v_pk_add_f32 v[2:3], v[2:3], v[18:19]
	v_mov_b32_e32 v7, v5
	s_waitcnt vmcnt(1) lgkmcnt(1)
	v_pk_mul_f32 v[4:5], v[10:11], v[140:141] op_sel:[1,1] op_sel_hi:[0,1]
	v_pk_add_f32 v[2:3], v[2:3], v[6:7]
	v_pk_fma_f32 v[6:7], v[10:11], v[140:141], v[4:5] neg_lo:[0,0,1] neg_hi:[0,0,1]
	v_pk_fma_f32 v[4:5], v[10:11], v[140:141], v[4:5] op_sel_hi:[1,0,1]
	s_nop 0
	v_mov_b32_e32 v4, v143
	v_mov_b32_e32 v7, v5
	v_pk_mul_f32 v[4:5], v[12:13], v[4:5] op_sel:[1,0] op_sel_hi:[0,0]
	v_pk_add_f32 v[2:3], v[2:3], v[6:7]
	v_pk_fma_f32 v[6:7], v[12:13], v[142:143], v[4:5] neg_lo:[0,0,1] neg_hi:[0,0,1]
	v_pk_fma_f32 v[4:5], v[12:13], v[142:143], v[4:5] op_sel_hi:[1,0,1]
	s_nop 0
	v_mov_b32_e32 v7, v5
	s_waitcnt vmcnt(0) lgkmcnt(0)
	v_pk_mul_f32 v[4:5], v[14:15], v[144:145] op_sel:[1,1] op_sel_hi:[0,1]
	v_pk_add_f32 v[2:3], v[2:3], v[6:7]
	v_pk_fma_f32 v[6:7], v[14:15], v[144:145], v[4:5] neg_lo:[0,0,1] neg_hi:[0,0,1]
	v_pk_fma_f32 v[4:5], v[14:15], v[144:145], v[4:5] op_sel_hi:[1,0,1]
	s_nop 0
	v_mov_b32_e32 v4, v147
	v_mov_b32_e32 v7, v5
	v_pk_mul_f32 v[4:5], v[16:17], v[4:5] op_sel:[1,0] op_sel_hi:[0,0]
	v_pk_add_f32 v[2:3], v[2:3], v[6:7]
	v_pk_fma_f32 v[6:7], v[16:17], v[146:147], v[4:5] neg_lo:[0,0,1] neg_hi:[0,0,1]
	v_pk_fma_f32 v[4:5], v[16:17], v[146:147], v[4:5] op_sel_hi:[1,0,1]
	s_nop 0
	v_mov_b32_e32 v7, v5
	v_pk_add_f32 v[2:3], v[2:3], v[6:7]
	s_nop 0
	v_pk_add_f32 v[2:3], v[148:149], v[2:3] neg_lo:[0,1] neg_hi:[0,1]
	scratch_store_dwordx2 off, v[2:3], off offset:40
	s_and_saveexec_b64 s[0:1], vcc
	s_cbranch_execz .LBB109_281
; %bb.280:
	scratch_load_dwordx2 v[2:3], off, off offset:32
	v_mov_b32_e32 v4, 0
	v_mov_b32_e32 v5, v4
	scratch_store_dwordx2 off, v[4:5], off offset:32
	s_waitcnt vmcnt(1)
	ds_write_b64 v1, v[2:3]
.LBB109_281:
	s_or_b64 exec, exec, s[0:1]
	s_waitcnt lgkmcnt(0)
	; wave barrier
	scratch_load_dwordx4 v[2:5], off, off offset:40
	scratch_load_dwordx4 v[6:9], off, off offset:56
	;; [unrolled: 1-line block ×17, first 2 shown]
	scratch_load_dwordx2 v[70:71], off, off offset:32
	v_mov_b32_e32 v246, 0
	ds_read2_b64 v[72:75], v246 offset0:51 offset1:52
	ds_read2_b64 v[76:79], v246 offset0:53 offset1:54
	;; [unrolled: 1-line block ×13, first 2 shown]
	v_cmp_lt_u32_e32 vcc, 3, v0
	s_waitcnt vmcnt(17) lgkmcnt(12)
	v_mul_f32_e32 v124, v72, v3
	v_mul_f32_e32 v125, v74, v5
	v_fmac_f32_e32 v124, v73, v2
	s_waitcnt vmcnt(16) lgkmcnt(11)
	v_mul_f32_e32 v126, v76, v7
	v_fmac_f32_e32 v125, v75, v4
	v_add_f32_e32 v124, 0, v124
	v_mul_f32_e32 v127, v78, v9
	v_fmac_f32_e32 v126, v77, v6
	v_add_f32_e32 v124, v124, v125
	s_waitcnt vmcnt(15) lgkmcnt(10)
	v_mul_f32_e32 v128, v80, v11
	v_fmac_f32_e32 v127, v79, v8
	v_add_f32_e32 v124, v124, v126
	v_mul_f32_e32 v129, v82, v13
	v_fmac_f32_e32 v128, v81, v10
	v_add_f32_e32 v124, v124, v127
	;; [unrolled: 7-line block ×11, first 2 shown]
	v_fmac_f32_e32 v147, v119, v48
	v_add_f32_e32 v124, v124, v146
	v_add_f32_e32 v128, v124, v147
	ds_read2_b64 v[124:127], v246 offset0:77 offset1:78
	s_waitcnt vmcnt(5) lgkmcnt(1)
	v_mul_f32_e32 v129, v120, v51
	v_fmac_f32_e32 v129, v121, v50
	v_add_f32_e32 v128, v128, v129
	v_mul_f32_e32 v129, v122, v53
	v_fmac_f32_e32 v129, v123, v52
	v_add_f32_e32 v128, v128, v129
	s_waitcnt vmcnt(4) lgkmcnt(0)
	v_mul_f32_e32 v129, v124, v55
	v_fmac_f32_e32 v129, v125, v54
	v_add_f32_e32 v132, v128, v129
	ds_read2_b64 v[128:131], v246 offset0:79 offset1:80
	v_mul_f32_e32 v133, v126, v57
	v_fmac_f32_e32 v133, v127, v56
	v_add_f32_e32 v136, v132, v133
	ds_read2_b64 v[132:135], v246 offset0:81 offset1:82
	s_waitcnt vmcnt(3) lgkmcnt(1)
	v_mul_f32_e32 v137, v128, v59
	v_fmac_f32_e32 v137, v129, v58
	v_add_f32_e32 v136, v136, v137
	v_mul_f32_e32 v137, v130, v61
	v_fmac_f32_e32 v137, v131, v60
	s_waitcnt vmcnt(2) lgkmcnt(0)
	v_mul_f32_e32 v141, v132, v63
	v_add_f32_e32 v140, v136, v137
	v_fmac_f32_e32 v141, v133, v62
	ds_read2_b64 v[136:139], v246 offset0:83 offset1:84
	v_add_f32_e32 v153, v140, v141
	ds_read2_b64 v[140:143], v246 offset0:85 offset1:86
	scratch_load_dwordx4 v[144:147], off, off offset:312
	scratch_load_dwordx4 v[148:151], off, off offset:328
	;; [unrolled: 1-line block ×3, first 2 shown]
	scratch_load_dwordx2 v[252:253], off, off offset:360
	v_mul_f32_e32 v3, v73, v3
	v_fma_f32 v2, v72, v2, -v3
	v_mul_f32_e32 v3, v75, v5
	v_add_f32_e32 v2, 0, v2
	v_fma_f32 v3, v74, v4, -v3
	v_add_f32_e32 v2, v2, v3
	v_mul_f32_e32 v3, v77, v7
	v_fma_f32 v3, v76, v6, -v3
	v_add_f32_e32 v2, v2, v3
	v_mul_f32_e32 v3, v79, v9
	;; [unrolled: 3-line block ×29, first 2 shown]
	v_fma_f32 v3, v132, v62, -v3
	v_mul_f32_e32 v157, v134, v65
	v_add_f32_e32 v152, v2, v3
	v_mul_f32_e32 v2, v135, v65
	s_waitcnt vmcnt(5)
	v_mov_b32_e32 v14, v69
	v_fmac_f32_e32 v157, v135, v64
	s_waitcnt lgkmcnt(1)
	v_mul_f32_e32 v159, v136, v67
	v_fma_f32 v156, v134, v64, -v2
	v_mul_f32_e32 v2, v137, v67
	v_pk_mul_f32 v[14:15], v[138:139], v[14:15] op_sel:[1,0] op_sel_hi:[0,0]
	v_fmac_f32_e32 v159, v137, v66
	v_fma_f32 v158, v136, v66, -v2
	v_pk_add_f32 v[12:13], v[152:153], v[156:157]
	v_pk_fma_f32 v[16:17], v[138:139], v[68:69], v[14:15] neg_lo:[0,0,1] neg_hi:[0,0,1]
	v_pk_fma_f32 v[14:15], v[138:139], v[68:69], v[14:15] op_sel_hi:[1,0,1]
	v_pk_add_f32 v[12:13], v[12:13], v[158:159]
	v_mov_b32_e32 v17, v15
	s_waitcnt vmcnt(3) lgkmcnt(0)
	v_pk_mul_f32 v[14:15], v[140:141], v[144:145] op_sel:[1,1] op_sel_hi:[0,1]
	v_pk_add_f32 v[12:13], v[12:13], v[16:17]
	v_pk_fma_f32 v[16:17], v[140:141], v[144:145], v[14:15] neg_lo:[0,0,1] neg_hi:[0,0,1]
	v_pk_fma_f32 v[14:15], v[140:141], v[144:145], v[14:15] op_sel_hi:[1,0,1]
	ds_read2_b64 v[2:5], v246 offset0:87 offset1:88
	ds_read2_b64 v[6:9], v246 offset0:89 offset1:90
	ds_read_b64 v[10:11], v246 offset:728
	v_mov_b32_e32 v14, v147
	v_mov_b32_e32 v17, v15
	v_pk_mul_f32 v[14:15], v[142:143], v[14:15] op_sel:[1,0] op_sel_hi:[0,0]
	v_pk_add_f32 v[12:13], v[12:13], v[16:17]
	v_pk_fma_f32 v[16:17], v[142:143], v[146:147], v[14:15] neg_lo:[0,0,1] neg_hi:[0,0,1]
	v_pk_fma_f32 v[14:15], v[142:143], v[146:147], v[14:15] op_sel_hi:[1,0,1]
	s_nop 0
	v_mov_b32_e32 v17, v15
	s_waitcnt vmcnt(2) lgkmcnt(2)
	v_pk_mul_f32 v[14:15], v[2:3], v[148:149] op_sel:[1,1] op_sel_hi:[0,1]
	v_pk_add_f32 v[12:13], v[12:13], v[16:17]
	v_pk_fma_f32 v[16:17], v[2:3], v[148:149], v[14:15] neg_lo:[0,0,1] neg_hi:[0,0,1]
	v_pk_fma_f32 v[2:3], v[2:3], v[148:149], v[14:15] op_sel_hi:[1,0,1]
	s_nop 0
	v_mov_b32_e32 v17, v3
	v_pk_add_f32 v[2:3], v[12:13], v[16:17]
	v_mov_b32_e32 v12, v151
	v_pk_mul_f32 v[12:13], v[4:5], v[12:13] op_sel:[1,0] op_sel_hi:[0,0]
	v_pk_fma_f32 v[14:15], v[4:5], v[150:151], v[12:13] neg_lo:[0,0,1] neg_hi:[0,0,1]
	v_pk_fma_f32 v[4:5], v[4:5], v[150:151], v[12:13] op_sel_hi:[1,0,1]
	s_nop 0
	v_mov_b32_e32 v15, v5
	s_waitcnt vmcnt(1) lgkmcnt(1)
	v_pk_mul_f32 v[4:5], v[6:7], v[248:249] op_sel:[1,1] op_sel_hi:[0,1]
	v_pk_fma_f32 v[12:13], v[6:7], v[248:249], v[4:5] neg_lo:[0,0,1] neg_hi:[0,0,1]
	v_pk_fma_f32 v[4:5], v[6:7], v[248:249], v[4:5] op_sel_hi:[1,0,1]
	v_pk_add_f32 v[2:3], v[2:3], v[14:15]
	v_mov_b32_e32 v4, v251
	v_mov_b32_e32 v13, v5
	v_pk_mul_f32 v[4:5], v[8:9], v[4:5] op_sel:[1,0] op_sel_hi:[0,0]
	v_pk_fma_f32 v[6:7], v[8:9], v[250:251], v[4:5] neg_lo:[0,0,1] neg_hi:[0,0,1]
	v_pk_fma_f32 v[4:5], v[8:9], v[250:251], v[4:5] op_sel_hi:[1,0,1]
	v_pk_add_f32 v[2:3], v[2:3], v[12:13]
	v_mov_b32_e32 v7, v5
	s_waitcnt vmcnt(0) lgkmcnt(0)
	v_pk_mul_f32 v[4:5], v[10:11], v[252:253] op_sel:[1,1] op_sel_hi:[0,1]
	v_pk_add_f32 v[2:3], v[2:3], v[6:7]
	v_pk_fma_f32 v[6:7], v[10:11], v[252:253], v[4:5] neg_lo:[0,0,1] neg_hi:[0,0,1]
	v_pk_fma_f32 v[4:5], v[10:11], v[252:253], v[4:5] op_sel_hi:[1,0,1]
	s_nop 0
	v_mov_b32_e32 v7, v5
	v_pk_add_f32 v[2:3], v[2:3], v[6:7]
	s_nop 0
	v_pk_add_f32 v[2:3], v[70:71], v[2:3] neg_lo:[0,1] neg_hi:[0,1]
	scratch_store_dwordx2 off, v[2:3], off offset:32
	s_and_saveexec_b64 s[0:1], vcc
	s_cbranch_execz .LBB109_283
; %bb.282:
	scratch_load_dwordx2 v[2:3], off, off offset:24
	v_mov_b32_e32 v247, v246
	scratch_store_dwordx2 off, v[246:247], off offset:24
	s_waitcnt vmcnt(1)
	ds_write_b64 v1, v[2:3]
.LBB109_283:
	s_or_b64 exec, exec, s[0:1]
	s_waitcnt lgkmcnt(0)
	; wave barrier
	scratch_load_dwordx4 v[58:61], off, off offset:32
	scratch_load_dwordx4 v[62:65], off, off offset:48
	;; [unrolled: 1-line block ×13, first 2 shown]
	ds_read_b128 v[150:153], v246 offset:400
	ds_read_b128 v[146:149], v246 offset:416
	;; [unrolled: 1-line block ×13, first 2 shown]
	scratch_load_dwordx4 v[26:29], off, off offset:240
	scratch_load_dwordx4 v[30:33], off, off offset:256
	;; [unrolled: 1-line block ×4, first 2 shown]
	v_cmp_lt_u32_e32 vcc, 2, v0
	ds_read_b128 v[54:57], v246 offset:656
	s_waitcnt vmcnt(16) lgkmcnt(13)
	v_mul_f32_e32 v2, v150, v59
	v_mul_f32_e32 v3, v152, v61
	v_fmac_f32_e32 v2, v151, v58
	s_waitcnt vmcnt(15) lgkmcnt(12)
	v_mul_f32_e32 v4, v146, v63
	v_fmac_f32_e32 v3, v153, v60
	v_add_f32_e32 v2, 0, v2
	v_mul_f32_e32 v5, v148, v65
	v_fmac_f32_e32 v4, v147, v62
	v_add_f32_e32 v2, v2, v3
	s_waitcnt vmcnt(14) lgkmcnt(11)
	v_mul_f32_e32 v6, v142, v67
	v_fmac_f32_e32 v5, v149, v64
	v_add_f32_e32 v2, v2, v4
	v_mul_f32_e32 v7, v144, v69
	v_fmac_f32_e32 v6, v143, v66
	v_add_f32_e32 v2, v2, v5
	s_waitcnt vmcnt(13) lgkmcnt(10)
	v_mul_f32_e32 v8, v138, v71
	v_fmac_f32_e32 v7, v145, v68
	v_add_f32_e32 v2, v2, v6
	v_mul_f32_e32 v9, v140, v73
	v_fmac_f32_e32 v8, v139, v70
	v_add_f32_e32 v2, v2, v7
	s_waitcnt vmcnt(12) lgkmcnt(9)
	v_mul_f32_e32 v10, v134, v75
	v_fmac_f32_e32 v9, v141, v72
	v_add_f32_e32 v2, v2, v8
	v_mul_f32_e32 v11, v136, v77
	v_fmac_f32_e32 v10, v135, v74
	v_add_f32_e32 v2, v2, v9
	s_waitcnt vmcnt(11) lgkmcnt(8)
	v_mul_f32_e32 v12, v130, v79
	v_fmac_f32_e32 v11, v137, v76
	v_add_f32_e32 v2, v2, v10
	v_mul_f32_e32 v13, v132, v81
	v_fmac_f32_e32 v12, v131, v78
	v_add_f32_e32 v2, v2, v11
	s_waitcnt vmcnt(10) lgkmcnt(7)
	v_mul_f32_e32 v14, v126, v83
	v_fmac_f32_e32 v13, v133, v80
	v_add_f32_e32 v2, v2, v12
	v_mul_f32_e32 v15, v128, v85
	v_fmac_f32_e32 v14, v127, v82
	v_add_f32_e32 v2, v2, v13
	s_waitcnt vmcnt(9) lgkmcnt(6)
	v_mul_f32_e32 v16, v122, v87
	v_fmac_f32_e32 v15, v129, v84
	v_add_f32_e32 v2, v2, v14
	v_mul_f32_e32 v59, v151, v59
	v_mul_f32_e32 v17, v124, v89
	v_fmac_f32_e32 v16, v123, v86
	v_add_f32_e32 v2, v2, v15
	v_fma_f32 v58, v150, v58, -v59
	v_mul_f32_e32 v59, v153, v61
	s_waitcnt vmcnt(8) lgkmcnt(5)
	v_mul_f32_e32 v42, v118, v91
	v_fmac_f32_e32 v17, v125, v88
	v_add_f32_e32 v2, v2, v16
	v_add_f32_e32 v58, 0, v58
	v_fma_f32 v59, v152, v60, -v59
	v_mul_f32_e32 v43, v120, v93
	v_fmac_f32_e32 v42, v119, v90
	v_add_f32_e32 v2, v2, v17
	v_add_f32_e32 v58, v58, v59
	v_mul_f32_e32 v59, v147, v63
	s_waitcnt vmcnt(7) lgkmcnt(4)
	v_mul_f32_e32 v44, v114, v95
	v_fmac_f32_e32 v43, v121, v92
	v_add_f32_e32 v2, v2, v42
	v_fma_f32 v59, v146, v62, -v59
	v_mul_f32_e32 v45, v116, v97
	v_fmac_f32_e32 v44, v115, v94
	v_add_f32_e32 v2, v2, v43
	v_add_f32_e32 v58, v58, v59
	v_mul_f32_e32 v59, v149, v65
	s_waitcnt vmcnt(6) lgkmcnt(3)
	v_mul_f32_e32 v46, v110, v99
	v_fmac_f32_e32 v45, v117, v96
	v_add_f32_e32 v2, v2, v44
	v_fma_f32 v59, v148, v64, -v59
	v_mul_f32_e32 v47, v112, v101
	v_fmac_f32_e32 v46, v111, v98
	v_add_f32_e32 v2, v2, v45
	v_add_f32_e32 v58, v58, v59
	v_mul_f32_e32 v59, v143, v67
	s_waitcnt vmcnt(5) lgkmcnt(2)
	v_mul_f32_e32 v48, v106, v103
	v_fmac_f32_e32 v47, v113, v100
	v_add_f32_e32 v2, v2, v46
	ds_read_b128 v[42:45], v246 offset:608
	v_fma_f32 v59, v142, v66, -v59
	v_mul_f32_e32 v49, v108, v105
	v_fmac_f32_e32 v48, v107, v102
	v_add_f32_e32 v2, v2, v47
	v_add_f32_e32 v58, v58, v59
	v_mul_f32_e32 v59, v145, v69
	s_waitcnt vmcnt(4) lgkmcnt(2)
	v_mul_f32_e32 v50, v22, v19
	v_fmac_f32_e32 v49, v109, v104
	v_add_f32_e32 v2, v2, v48
	v_fma_f32 v59, v144, v68, -v59
	v_fmac_f32_e32 v50, v23, v18
	v_add_f32_e32 v2, v2, v49
	v_mul_f32_e32 v3, v24, v21
	v_add_f32_e32 v58, v58, v59
	v_mul_f32_e32 v59, v139, v71
	v_add_f32_e32 v2, v2, v50
	v_fmac_f32_e32 v3, v25, v20
	ds_read_b128 v[46:49], v246 offset:624
	v_fma_f32 v59, v138, v70, -v59
	v_add_f32_e32 v2, v2, v3
	s_waitcnt vmcnt(3) lgkmcnt(1)
	v_mul_f32_e32 v3, v42, v27
	v_add_f32_e32 v58, v58, v59
	v_mul_f32_e32 v59, v141, v73
	v_fmac_f32_e32 v3, v43, v26
	v_fma_f32 v59, v140, v72, -v59
	v_add_f32_e32 v2, v2, v3
	v_mul_f32_e32 v3, v44, v29
	v_add_f32_e32 v58, v58, v59
	v_mul_f32_e32 v59, v135, v75
	v_fmac_f32_e32 v3, v45, v28
	ds_read_b128 v[50:53], v246 offset:640
	v_fma_f32 v59, v134, v74, -v59
	v_add_f32_e32 v2, v2, v3
	s_waitcnt vmcnt(2) lgkmcnt(1)
	v_mul_f32_e32 v3, v46, v31
	v_add_f32_e32 v58, v58, v59
	v_mul_f32_e32 v59, v137, v77
	v_fmac_f32_e32 v3, v47, v30
	v_fma_f32 v59, v136, v76, -v59
	v_add_f32_e32 v2, v2, v3
	v_mul_f32_e32 v3, v48, v33
	v_add_f32_e32 v58, v58, v59
	v_mul_f32_e32 v59, v131, v79
	v_fmac_f32_e32 v3, v49, v32
	v_fma_f32 v59, v130, v78, -v59
	v_add_f32_e32 v2, v2, v3
	s_waitcnt vmcnt(1) lgkmcnt(0)
	v_mul_f32_e32 v3, v50, v35
	v_add_f32_e32 v58, v58, v59
	v_mul_f32_e32 v59, v133, v81
	v_fmac_f32_e32 v3, v51, v34
	v_fma_f32 v59, v132, v80, -v59
	v_add_f32_e32 v2, v2, v3
	v_mul_f32_e32 v3, v52, v37
	v_add_f32_e32 v58, v58, v59
	v_mul_f32_e32 v59, v127, v83
	v_fmac_f32_e32 v3, v53, v36
	v_fma_f32 v59, v126, v82, -v59
	v_add_f32_e32 v249, v2, v3
	scratch_load_dwordx4 v[14:17], off, off offset:304
	scratch_load_dwordx4 v[10:13], off, off offset:320
	;; [unrolled: 1-line block ×4, first 2 shown]
	v_add_f32_e32 v58, v58, v59
	v_mul_f32_e32 v59, v129, v85
	v_fma_f32 v59, v128, v84, -v59
	v_add_f32_e32 v58, v58, v59
	v_mul_f32_e32 v59, v123, v87
	v_fma_f32 v59, v122, v86, -v59
	;; [unrolled: 3-line block ×11, first 2 shown]
	scratch_load_dwordx2 v[58:59], off, off offset:24
	v_mul_f32_e32 v19, v23, v19
	v_add_f32_e32 v60, v60, v61
	v_fma_f32 v18, v22, v18, -v19
	v_mul_f32_e32 v19, v25, v21
	v_add_f32_e32 v18, v60, v18
	v_fma_f32 v19, v24, v20, -v19
	v_add_f32_e32 v18, v18, v19
	v_mul_f32_e32 v19, v43, v27
	v_fma_f32 v19, v42, v26, -v19
	v_add_f32_e32 v18, v18, v19
	v_mul_f32_e32 v19, v45, v29
	;; [unrolled: 3-line block ×6, first 2 shown]
	v_fma_f32 v19, v52, v36, -v19
	v_add_f32_e32 v248, v18, v19
	s_waitcnt vmcnt(5)
	v_mul_f32_e32 v18, v55, v39
	v_fma_f32 v250, v54, v38, -v18
	v_mul_f32_e32 v18, v57, v41
	v_fma_f32 v252, v56, v40, -v18
	ds_read_b128 v[18:21], v246 offset:672
	ds_read_b128 v[22:25], v246 offset:688
	;; [unrolled: 1-line block ×4, first 2 shown]
	v_mul_f32_e32 v251, v54, v39
	v_fmac_f32_e32 v251, v55, v38
	v_mul_f32_e32 v253, v56, v41
	v_fmac_f32_e32 v253, v57, v40
	v_pk_add_f32 v[34:35], v[248:249], v[250:251]
	s_waitcnt vmcnt(4) lgkmcnt(3)
	v_pk_mul_f32 v[36:37], v[18:19], v[14:15] op_sel:[1,1] op_sel_hi:[0,1]
	v_pk_fma_f32 v[38:39], v[18:19], v[14:15], v[36:37] neg_lo:[0,0,1] neg_hi:[0,0,1]
	v_pk_fma_f32 v[14:15], v[18:19], v[14:15], v[36:37] op_sel_hi:[1,0,1]
	v_mov_b32_e32 v18, v17
	v_pk_add_f32 v[34:35], v[34:35], v[252:253]
	v_mov_b32_e32 v39, v15
	v_pk_mul_f32 v[18:19], v[20:21], v[18:19] op_sel:[1,0] op_sel_hi:[0,0]
	v_pk_add_f32 v[14:15], v[34:35], v[38:39]
	v_pk_fma_f32 v[34:35], v[20:21], v[16:17], v[18:19] neg_lo:[0,0,1] neg_hi:[0,0,1]
	v_pk_fma_f32 v[16:17], v[20:21], v[16:17], v[18:19] op_sel_hi:[1,0,1]
	s_nop 0
	v_mov_b32_e32 v35, v17
	s_waitcnt vmcnt(3) lgkmcnt(2)
	v_pk_mul_f32 v[16:17], v[22:23], v[10:11] op_sel:[1,1] op_sel_hi:[0,1]
	v_pk_fma_f32 v[18:19], v[22:23], v[10:11], v[16:17] neg_lo:[0,0,1] neg_hi:[0,0,1]
	v_pk_fma_f32 v[10:11], v[22:23], v[10:11], v[16:17] op_sel_hi:[1,0,1]
	v_pk_add_f32 v[14:15], v[14:15], v[34:35]
	v_mov_b32_e32 v19, v11
	v_pk_add_f32 v[10:11], v[14:15], v[18:19]
	v_mov_b32_e32 v14, v13
	v_pk_mul_f32 v[14:15], v[24:25], v[14:15] op_sel:[1,0] op_sel_hi:[0,0]
	v_pk_fma_f32 v[16:17], v[24:25], v[12:13], v[14:15] neg_lo:[0,0,1] neg_hi:[0,0,1]
	v_pk_fma_f32 v[12:13], v[24:25], v[12:13], v[14:15] op_sel_hi:[1,0,1]
	s_nop 0
	v_mov_b32_e32 v17, v13
	s_waitcnt vmcnt(2) lgkmcnt(1)
	v_pk_mul_f32 v[12:13], v[26:27], v[6:7] op_sel:[1,1] op_sel_hi:[0,1]
	v_pk_fma_f32 v[14:15], v[26:27], v[6:7], v[12:13] neg_lo:[0,0,1] neg_hi:[0,0,1]
	v_pk_fma_f32 v[6:7], v[26:27], v[6:7], v[12:13] op_sel_hi:[1,0,1]
	v_pk_add_f32 v[10:11], v[10:11], v[16:17]
	v_mov_b32_e32 v15, v7
	v_pk_add_f32 v[6:7], v[10:11], v[14:15]
	v_mov_b32_e32 v10, v9
	v_pk_mul_f32 v[10:11], v[28:29], v[10:11] op_sel:[1,0] op_sel_hi:[0,0]
	;; [unrolled: 13-line block ×3, first 2 shown]
	v_pk_fma_f32 v[8:9], v[32:33], v[4:5], v[6:7] neg_lo:[0,0,1] neg_hi:[0,0,1]
	v_pk_fma_f32 v[4:5], v[32:33], v[4:5], v[6:7] op_sel_hi:[1,0,1]
	s_nop 0
	v_mov_b32_e32 v9, v5
	v_pk_add_f32 v[2:3], v[2:3], v[8:9]
	s_waitcnt vmcnt(0)
	v_pk_add_f32 v[2:3], v[58:59], v[2:3] neg_lo:[0,1] neg_hi:[0,1]
	scratch_store_dwordx2 off, v[2:3], off offset:24
	s_and_saveexec_b64 s[0:1], vcc
	s_cbranch_execz .LBB109_285
; %bb.284:
	scratch_load_dwordx2 v[2:3], off, off offset:16
	v_mov_b32_e32 v4, 0
	v_mov_b32_e32 v5, v4
	scratch_store_dwordx2 off, v[4:5], off offset:16
	s_waitcnt vmcnt(1)
	ds_write_b64 v1, v[2:3]
.LBB109_285:
	s_or_b64 exec, exec, s[0:1]
	s_waitcnt lgkmcnt(0)
	; wave barrier
	scratch_load_dwordx4 v[6:9], off, off offset:24
	scratch_load_dwordx4 v[14:17], off, off offset:40
	;; [unrolled: 1-line block ×10, first 2 shown]
	v_mov_b32_e32 v102, 0
	ds_read2_b64 v[2:5], v102 offset0:49 offset1:50
	scratch_load_dwordx4 v[86:89], off, off offset:184
	scratch_load_dwordx4 v[94:97], off, off offset:200
	;; [unrolled: 1-line block ×8, first 2 shown]
	v_cmp_lt_u32_e32 vcc, 1, v0
	s_waitcnt vmcnt(17) lgkmcnt(0)
	v_mul_f32_e32 v10, v2, v7
	v_fmac_f32_e32 v10, v3, v6
	v_mul_f32_e32 v11, v4, v9
	v_add_f32_e32 v10, 0, v10
	v_fmac_f32_e32 v11, v5, v8
	v_add_f32_e32 v18, v10, v11
	ds_read2_b64 v[10:13], v102 offset0:51 offset1:52
	v_mul_f32_e32 v3, v3, v7
	v_fma_f32 v2, v2, v6, -v3
	v_mul_f32_e32 v3, v5, v9
	v_add_f32_e32 v2, 0, v2
	s_waitcnt vmcnt(16) lgkmcnt(0)
	v_mul_f32_e32 v19, v10, v15
	v_fmac_f32_e32 v19, v11, v14
	v_add_f32_e32 v18, v18, v19
	v_mul_f32_e32 v19, v12, v17
	v_fmac_f32_e32 v19, v13, v16
	v_add_f32_e32 v26, v18, v19
	ds_read2_b64 v[18:21], v102 offset0:53 offset1:54
	v_fma_f32 v3, v4, v8, -v3
	v_add_f32_e32 v2, v2, v3
	v_mul_f32_e32 v3, v11, v15
	v_fma_f32 v3, v10, v14, -v3
	s_waitcnt vmcnt(15) lgkmcnt(0)
	v_mul_f32_e32 v27, v18, v23
	v_fmac_f32_e32 v27, v19, v22
	v_add_f32_e32 v26, v26, v27
	v_mul_f32_e32 v27, v20, v25
	v_fmac_f32_e32 v27, v21, v24
	v_add_f32_e32 v34, v26, v27
	ds_read2_b64 v[26:29], v102 offset0:55 offset1:56
	v_add_f32_e32 v2, v2, v3
	v_mul_f32_e32 v3, v13, v17
	v_fma_f32 v3, v12, v16, -v3
	v_add_f32_e32 v2, v2, v3
	s_waitcnt vmcnt(14) lgkmcnt(0)
	v_mul_f32_e32 v35, v26, v31
	v_fmac_f32_e32 v35, v27, v30
	v_add_f32_e32 v34, v34, v35
	v_mul_f32_e32 v35, v28, v33
	v_fmac_f32_e32 v35, v29, v32
	v_add_f32_e32 v42, v34, v35
	ds_read2_b64 v[34:37], v102 offset0:57 offset1:58
	v_mul_f32_e32 v3, v19, v23
	v_fma_f32 v3, v18, v22, -v3
	v_add_f32_e32 v2, v2, v3
	v_mul_f32_e32 v3, v21, v25
	s_waitcnt vmcnt(13) lgkmcnt(0)
	v_mul_f32_e32 v43, v34, v39
	v_fmac_f32_e32 v43, v35, v38
	v_add_f32_e32 v42, v42, v43
	v_mul_f32_e32 v43, v36, v41
	v_fmac_f32_e32 v43, v37, v40
	v_add_f32_e32 v50, v42, v43
	ds_read2_b64 v[42:45], v102 offset0:59 offset1:60
	v_fma_f32 v3, v20, v24, -v3
	v_add_f32_e32 v2, v2, v3
	v_mul_f32_e32 v3, v27, v31
	v_fma_f32 v3, v26, v30, -v3
	s_waitcnt vmcnt(12) lgkmcnt(0)
	v_mul_f32_e32 v51, v42, v47
	v_fmac_f32_e32 v51, v43, v46
	v_add_f32_e32 v50, v50, v51
	v_mul_f32_e32 v51, v44, v49
	v_fmac_f32_e32 v51, v45, v48
	v_add_f32_e32 v58, v50, v51
	ds_read2_b64 v[50:53], v102 offset0:61 offset1:62
	v_add_f32_e32 v2, v2, v3
	v_mul_f32_e32 v3, v29, v33
	v_fma_f32 v3, v28, v32, -v3
	v_add_f32_e32 v2, v2, v3
	s_waitcnt vmcnt(11) lgkmcnt(0)
	v_mul_f32_e32 v59, v50, v55
	v_fmac_f32_e32 v59, v51, v54
	v_add_f32_e32 v58, v58, v59
	v_mul_f32_e32 v59, v52, v57
	v_fmac_f32_e32 v59, v53, v56
	v_add_f32_e32 v66, v58, v59
	ds_read2_b64 v[58:61], v102 offset0:63 offset1:64
	v_mul_f32_e32 v3, v35, v39
	v_fma_f32 v3, v34, v38, -v3
	v_add_f32_e32 v2, v2, v3
	v_mul_f32_e32 v3, v37, v41
	;; [unrolled: 36-line block ×5, first 2 shown]
	s_waitcnt vmcnt(1) lgkmcnt(0)
	v_mul_f32_e32 v140, v132, v137
	v_fmac_f32_e32 v140, v133, v136
	v_add_f32_e32 v153, v103, v140
	ds_read2_b64 v[140:143], v102 offset0:83 offset1:84
	scratch_load_dwordx4 v[148:151], off, off offset:312
	scratch_load_dwordx4 v[246:249], off, off offset:328
	;; [unrolled: 1-line block ×3, first 2 shown]
	scratch_load_dwordx2 v[254:255], off, off offset:360
	v_fma_f32 v3, v84, v88, -v3
	v_add_f32_e32 v2, v2, v3
	v_mul_f32_e32 v3, v91, v95
	v_fma_f32 v3, v90, v94, -v3
	v_add_f32_e32 v2, v2, v3
	v_mul_f32_e32 v3, v93, v97
	;; [unrolled: 3-line block ×12, first 2 shown]
	v_mul_f32_e32 v157, v134, v139
	v_fma_f32 v156, v134, v138, -v2
	s_waitcnt vmcnt(4) lgkmcnt(0)
	v_mul_f32_e32 v2, v141, v145
	v_mov_b32_e32 v18, v147
	v_fmac_f32_e32 v157, v135, v138
	v_mul_f32_e32 v159, v140, v145
	v_fma_f32 v158, v140, v144, -v2
	ds_read2_b64 v[2:5], v102 offset0:85 offset1:86
	ds_read2_b64 v[6:9], v102 offset0:87 offset1:88
	;; [unrolled: 1-line block ×3, first 2 shown]
	ds_read_b64 v[14:15], v102 offset:728
	v_pk_mul_f32 v[18:19], v[142:143], v[18:19] op_sel:[1,0] op_sel_hi:[0,0]
	v_fmac_f32_e32 v159, v141, v144
	v_pk_add_f32 v[16:17], v[152:153], v[156:157]
	v_pk_fma_f32 v[20:21], v[142:143], v[146:147], v[18:19] neg_lo:[0,0,1] neg_hi:[0,0,1]
	v_pk_fma_f32 v[18:19], v[142:143], v[146:147], v[18:19] op_sel_hi:[1,0,1]
	v_pk_add_f32 v[16:17], v[16:17], v[158:159]
	v_mov_b32_e32 v21, v19
	v_pk_add_f32 v[16:17], v[16:17], v[20:21]
	s_waitcnt vmcnt(3) lgkmcnt(3)
	v_pk_mul_f32 v[18:19], v[2:3], v[148:149] op_sel:[1,1] op_sel_hi:[0,1]
	v_pk_fma_f32 v[20:21], v[2:3], v[148:149], v[18:19] neg_lo:[0,0,1] neg_hi:[0,0,1]
	v_pk_fma_f32 v[2:3], v[2:3], v[148:149], v[18:19] op_sel_hi:[1,0,1]
	s_nop 0
	v_mov_b32_e32 v21, v3
	v_pk_add_f32 v[2:3], v[16:17], v[20:21]
	v_mov_b32_e32 v16, v151
	v_pk_mul_f32 v[16:17], v[4:5], v[16:17] op_sel:[1,0] op_sel_hi:[0,0]
	v_pk_fma_f32 v[18:19], v[4:5], v[150:151], v[16:17] neg_lo:[0,0,1] neg_hi:[0,0,1]
	v_pk_fma_f32 v[4:5], v[4:5], v[150:151], v[16:17] op_sel_hi:[1,0,1]
	s_nop 0
	v_mov_b32_e32 v19, v5
	s_waitcnt vmcnt(2) lgkmcnt(2)
	v_pk_mul_f32 v[4:5], v[6:7], v[246:247] op_sel:[1,1] op_sel_hi:[0,1]
	v_pk_fma_f32 v[16:17], v[6:7], v[246:247], v[4:5] neg_lo:[0,0,1] neg_hi:[0,0,1]
	v_pk_fma_f32 v[4:5], v[6:7], v[246:247], v[4:5] op_sel_hi:[1,0,1]
	v_pk_add_f32 v[2:3], v[2:3], v[18:19]
	v_mov_b32_e32 v4, v249
	v_mov_b32_e32 v17, v5
	v_pk_mul_f32 v[4:5], v[8:9], v[4:5] op_sel:[1,0] op_sel_hi:[0,0]
	v_pk_fma_f32 v[6:7], v[8:9], v[248:249], v[4:5] neg_lo:[0,0,1] neg_hi:[0,0,1]
	v_pk_fma_f32 v[4:5], v[8:9], v[248:249], v[4:5] op_sel_hi:[1,0,1]
	v_pk_add_f32 v[2:3], v[2:3], v[16:17]
	v_mov_b32_e32 v7, v5
	s_waitcnt vmcnt(1) lgkmcnt(1)
	v_pk_mul_f32 v[4:5], v[10:11], v[250:251] op_sel:[1,1] op_sel_hi:[0,1]
	v_pk_add_f32 v[2:3], v[2:3], v[6:7]
	v_pk_fma_f32 v[6:7], v[10:11], v[250:251], v[4:5] neg_lo:[0,0,1] neg_hi:[0,0,1]
	v_pk_fma_f32 v[4:5], v[10:11], v[250:251], v[4:5] op_sel_hi:[1,0,1]
	s_nop 0
	v_mov_b32_e32 v4, v253
	v_mov_b32_e32 v7, v5
	v_pk_mul_f32 v[4:5], v[12:13], v[4:5] op_sel:[1,0] op_sel_hi:[0,0]
	v_pk_add_f32 v[2:3], v[2:3], v[6:7]
	v_pk_fma_f32 v[6:7], v[12:13], v[252:253], v[4:5] neg_lo:[0,0,1] neg_hi:[0,0,1]
	v_pk_fma_f32 v[4:5], v[12:13], v[252:253], v[4:5] op_sel_hi:[1,0,1]
	s_nop 0
	v_mov_b32_e32 v7, v5
	s_waitcnt vmcnt(0) lgkmcnt(0)
	v_pk_mul_f32 v[4:5], v[14:15], v[254:255] op_sel:[1,1] op_sel_hi:[0,1]
	v_pk_add_f32 v[2:3], v[2:3], v[6:7]
	v_pk_fma_f32 v[6:7], v[14:15], v[254:255], v[4:5] neg_lo:[0,0,1] neg_hi:[0,0,1]
	v_pk_fma_f32 v[4:5], v[14:15], v[254:255], v[4:5] op_sel_hi:[1,0,1]
	s_nop 0
	v_mov_b32_e32 v7, v5
	scratch_load_dwordx2 v[4:5], off, off offset:16
	v_pk_add_f32 v[2:3], v[2:3], v[6:7]
	s_waitcnt vmcnt(0)
	v_pk_add_f32 v[2:3], v[4:5], v[2:3] neg_lo:[0,1] neg_hi:[0,1]
	scratch_store_dwordx2 off, v[2:3], off offset:16
	s_and_saveexec_b64 s[0:1], vcc
	s_cbranch_execz .LBB109_287
; %bb.286:
	scratch_load_dwordx2 v[2:3], off, off offset:8
	v_mov_b32_e32 v103, v102
	scratch_store_dwordx2 off, v[102:103], off offset:8
	s_waitcnt vmcnt(1)
	ds_write_b64 v1, v[2:3]
.LBB109_287:
	s_or_b64 exec, exec, s[0:1]
	s_waitcnt lgkmcnt(0)
	; wave barrier
	ds_read_b128 v[14:17], v102 offset:384
	ds_read_b128 v[10:13], v102 offset:400
	;; [unrolled: 1-line block ×4, first 2 shown]
	scratch_load_dwordx4 v[18:21], off, off offset:16
	scratch_load_dwordx4 v[38:41], off, off offset:80
	;; [unrolled: 1-line block ×12, first 2 shown]
	v_cmp_ne_u32_e32 vcc, 0, v0
	scratch_load_dwordx4 v[46:49], off, off offset:96
	scratch_load_dwordx4 v[54:57], off, off offset:112
	scratch_load_dwordx4 v[62:65], off, off offset:128
	s_waitcnt vmcnt(14) lgkmcnt(3)
	v_mul_f32_e32 v22, v14, v19
	v_fmac_f32_e32 v22, v15, v18
	v_mul_f32_e32 v23, v16, v21
	v_add_f32_e32 v22, 0, v22
	v_fmac_f32_e32 v23, v17, v20
	v_add_f32_e32 v26, v22, v23
	scratch_load_dwordx4 v[22:25], off, off offset:32
	v_mul_f32_e32 v15, v15, v19
	v_fma_f32 v14, v14, v18, -v15
	v_mul_f32_e32 v15, v17, v21
	v_add_f32_e32 v14, 0, v14
	v_fma_f32 v15, v16, v20, -v15
	v_add_f32_e32 v14, v14, v15
	s_waitcnt vmcnt(0) lgkmcnt(2)
	v_mul_f32_e32 v27, v10, v23
	v_fmac_f32_e32 v27, v11, v22
	v_add_f32_e32 v26, v26, v27
	v_mul_f32_e32 v27, v12, v25
	v_fmac_f32_e32 v27, v13, v24
	v_add_f32_e32 v30, v26, v27
	scratch_load_dwordx4 v[26:29], off, off offset:48
	v_mul_f32_e32 v11, v11, v23
	v_fma_f32 v10, v10, v22, -v11
	v_mul_f32_e32 v11, v13, v25
	v_add_f32_e32 v10, v14, v10
	v_fma_f32 v11, v12, v24, -v11
	v_add_f32_e32 v10, v10, v11
	s_waitcnt vmcnt(0) lgkmcnt(1)
	v_mul_f32_e32 v31, v6, v27
	v_fmac_f32_e32 v31, v7, v26
	v_add_f32_e32 v30, v30, v31
	v_mul_f32_e32 v31, v8, v29
	v_fmac_f32_e32 v31, v9, v28
	v_add_f32_e32 v34, v30, v31
	scratch_load_dwordx4 v[30:33], off, off offset:64
	v_mul_f32_e32 v7, v7, v27
	v_fma_f32 v6, v6, v26, -v7
	v_mul_f32_e32 v7, v9, v29
	v_add_f32_e32 v6, v10, v6
	v_fma_f32 v7, v8, v28, -v7
	v_add_f32_e32 v6, v6, v7
	s_waitcnt vmcnt(0) lgkmcnt(0)
	v_mul_f32_e32 v35, v2, v31
	v_fmac_f32_e32 v35, v3, v30
	v_add_f32_e32 v34, v34, v35
	v_mul_f32_e32 v35, v4, v33
	v_fmac_f32_e32 v35, v5, v32
	v_add_f32_e32 v42, v34, v35
	ds_read_b128 v[34:37], v102 offset:448
	v_mul_f32_e32 v3, v3, v31
	v_fma_f32 v2, v2, v30, -v3
	v_mul_f32_e32 v3, v5, v33
	v_add_f32_e32 v2, v6, v2
	s_waitcnt lgkmcnt(0)
	v_mul_f32_e32 v43, v34, v39
	v_fmac_f32_e32 v43, v35, v38
	v_add_f32_e32 v42, v42, v43
	v_mul_f32_e32 v43, v36, v41
	v_fmac_f32_e32 v43, v37, v40
	v_add_f32_e32 v50, v42, v43
	ds_read_b128 v[42:45], v102 offset:464
	v_fma_f32 v3, v4, v32, -v3
	v_add_f32_e32 v2, v2, v3
	v_mul_f32_e32 v3, v35, v39
	v_fma_f32 v3, v34, v38, -v3
	s_waitcnt lgkmcnt(0)
	v_mul_f32_e32 v51, v42, v47
	v_fmac_f32_e32 v51, v43, v46
	v_add_f32_e32 v50, v50, v51
	v_mul_f32_e32 v51, v44, v49
	v_fmac_f32_e32 v51, v45, v48
	v_add_f32_e32 v58, v50, v51
	ds_read_b128 v[50:53], v102 offset:480
	v_add_f32_e32 v2, v2, v3
	v_mul_f32_e32 v3, v37, v41
	v_fma_f32 v3, v36, v40, -v3
	v_add_f32_e32 v2, v2, v3
	s_waitcnt lgkmcnt(0)
	v_mul_f32_e32 v59, v50, v55
	v_fmac_f32_e32 v59, v51, v54
	v_add_f32_e32 v58, v58, v59
	v_mul_f32_e32 v59, v52, v57
	v_fmac_f32_e32 v59, v53, v56
	v_add_f32_e32 v66, v58, v59
	ds_read_b128 v[58:61], v102 offset:496
	v_mul_f32_e32 v3, v43, v47
	v_fma_f32 v3, v42, v46, -v3
	v_add_f32_e32 v2, v2, v3
	v_mul_f32_e32 v3, v45, v49
	s_waitcnt lgkmcnt(0)
	v_mul_f32_e32 v67, v58, v63
	v_fmac_f32_e32 v67, v59, v62
	v_add_f32_e32 v66, v66, v67
	v_mul_f32_e32 v67, v60, v65
	v_fmac_f32_e32 v67, v61, v64
	v_add_f32_e32 v74, v66, v67
	ds_read_b128 v[66:69], v102 offset:512
	v_fma_f32 v3, v44, v48, -v3
	v_add_f32_e32 v2, v2, v3
	v_mul_f32_e32 v3, v51, v55
	v_fma_f32 v3, v50, v54, -v3
	s_waitcnt lgkmcnt(0)
	v_mul_f32_e32 v75, v66, v71
	v_fmac_f32_e32 v75, v67, v70
	v_add_f32_e32 v74, v74, v75
	v_mul_f32_e32 v75, v68, v73
	v_fmac_f32_e32 v75, v69, v72
	v_add_f32_e32 v82, v74, v75
	ds_read_b128 v[74:77], v102 offset:528
	v_add_f32_e32 v2, v2, v3
	v_mul_f32_e32 v3, v53, v57
	v_fma_f32 v3, v52, v56, -v3
	v_add_f32_e32 v2, v2, v3
	s_waitcnt lgkmcnt(0)
	v_mul_f32_e32 v83, v74, v79
	v_fmac_f32_e32 v83, v75, v78
	v_add_f32_e32 v82, v82, v83
	v_mul_f32_e32 v83, v76, v81
	v_fmac_f32_e32 v83, v77, v80
	v_add_f32_e32 v90, v82, v83
	ds_read_b128 v[82:85], v102 offset:544
	v_mul_f32_e32 v3, v59, v63
	v_fma_f32 v3, v58, v62, -v3
	v_add_f32_e32 v2, v2, v3
	v_mul_f32_e32 v3, v61, v65
	;; [unrolled: 36-line block ×4, first 2 shown]
	s_waitcnt lgkmcnt(0)
	v_mul_f32_e32 v140, v132, v137
	v_fmac_f32_e32 v140, v133, v136
	v_add_f32_e32 v103, v103, v140
	v_mul_f32_e32 v140, v134, v139
	v_fmac_f32_e32 v140, v135, v138
	v_add_f32_e32 v153, v103, v140
	ds_read_b128 v[140:143], v102 offset:656
	scratch_load_dwordx4 v[148:151], off, off offset:304
	scratch_load_dwordx4 v[246:249], off, off offset:320
	scratch_load_dwordx4 v[250:253], off, off offset:336
	scratch_load_dwordx4 v[156:159], off, off offset:352
	v_fma_f32 v3, v92, v96, -v3
	v_add_f32_e32 v2, v2, v3
	v_mul_f32_e32 v3, v99, v105
	v_fma_f32 v3, v98, v104, -v3
	v_add_f32_e32 v2, v2, v3
	v_mul_f32_e32 v3, v101, v107
	;; [unrolled: 3-line block ×10, first 2 shown]
	v_fma_f32 v3, v134, v138, -v3
	v_add_f32_e32 v152, v2, v3
	s_waitcnt lgkmcnt(0)
	v_mul_f32_e32 v2, v141, v145
	v_fma_f32 v254, v140, v144, -v2
	v_mul_f32_e32 v2, v143, v147
	v_fma_f32 v160, v142, v146, -v2
	ds_read_b128 v[2:5], v102 offset:672
	ds_read_b128 v[6:9], v102 offset:688
	;; [unrolled: 1-line block ×4, first 2 shown]
	v_mul_f32_e32 v255, v140, v145
	v_fmac_f32_e32 v255, v141, v144
	v_mul_f32_e32 v161, v142, v147
	v_fmac_f32_e32 v161, v143, v146
	v_pk_add_f32 v[18:19], v[152:153], v[254:255]
	s_waitcnt vmcnt(3) lgkmcnt(3)
	v_pk_mul_f32 v[20:21], v[2:3], v[148:149] op_sel:[1,1] op_sel_hi:[0,1]
	v_pk_fma_f32 v[22:23], v[2:3], v[148:149], v[20:21] neg_lo:[0,0,1] neg_hi:[0,0,1]
	v_pk_fma_f32 v[2:3], v[2:3], v[148:149], v[20:21] op_sel_hi:[1,0,1]
	v_pk_add_f32 v[18:19], v[18:19], v[160:161]
	v_mov_b32_e32 v23, v3
	v_pk_add_f32 v[2:3], v[18:19], v[22:23]
	v_mov_b32_e32 v18, v151
	v_pk_mul_f32 v[18:19], v[4:5], v[18:19] op_sel:[1,0] op_sel_hi:[0,0]
	v_pk_fma_f32 v[20:21], v[4:5], v[150:151], v[18:19] neg_lo:[0,0,1] neg_hi:[0,0,1]
	v_pk_fma_f32 v[4:5], v[4:5], v[150:151], v[18:19] op_sel_hi:[1,0,1]
	s_nop 0
	v_mov_b32_e32 v21, v5
	s_waitcnt vmcnt(2) lgkmcnt(2)
	v_pk_mul_f32 v[4:5], v[6:7], v[246:247] op_sel:[1,1] op_sel_hi:[0,1]
	v_pk_fma_f32 v[18:19], v[6:7], v[246:247], v[4:5] neg_lo:[0,0,1] neg_hi:[0,0,1]
	v_pk_fma_f32 v[4:5], v[6:7], v[246:247], v[4:5] op_sel_hi:[1,0,1]
	v_pk_add_f32 v[2:3], v[2:3], v[20:21]
	v_mov_b32_e32 v4, v249
	v_mov_b32_e32 v19, v5
	v_pk_mul_f32 v[4:5], v[8:9], v[4:5] op_sel:[1,0] op_sel_hi:[0,0]
	v_pk_fma_f32 v[6:7], v[8:9], v[248:249], v[4:5] neg_lo:[0,0,1] neg_hi:[0,0,1]
	v_pk_fma_f32 v[4:5], v[8:9], v[248:249], v[4:5] op_sel_hi:[1,0,1]
	v_pk_add_f32 v[2:3], v[2:3], v[18:19]
	v_mov_b32_e32 v7, v5
	s_waitcnt vmcnt(1) lgkmcnt(1)
	v_pk_mul_f32 v[4:5], v[10:11], v[250:251] op_sel:[1,1] op_sel_hi:[0,1]
	v_pk_add_f32 v[2:3], v[2:3], v[6:7]
	v_pk_fma_f32 v[6:7], v[10:11], v[250:251], v[4:5] neg_lo:[0,0,1] neg_hi:[0,0,1]
	v_pk_fma_f32 v[4:5], v[10:11], v[250:251], v[4:5] op_sel_hi:[1,0,1]
	s_nop 0
	v_mov_b32_e32 v4, v253
	v_mov_b32_e32 v7, v5
	v_pk_mul_f32 v[4:5], v[12:13], v[4:5] op_sel:[1,0] op_sel_hi:[0,0]
	v_pk_add_f32 v[2:3], v[2:3], v[6:7]
	v_pk_fma_f32 v[6:7], v[12:13], v[252:253], v[4:5] neg_lo:[0,0,1] neg_hi:[0,0,1]
	v_pk_fma_f32 v[4:5], v[12:13], v[252:253], v[4:5] op_sel_hi:[1,0,1]
	s_nop 0
	v_mov_b32_e32 v7, v5
	s_waitcnt vmcnt(0) lgkmcnt(0)
	v_pk_mul_f32 v[4:5], v[14:15], v[156:157] op_sel:[1,1] op_sel_hi:[0,1]
	v_pk_add_f32 v[2:3], v[2:3], v[6:7]
	v_pk_fma_f32 v[6:7], v[14:15], v[156:157], v[4:5] neg_lo:[0,0,1] neg_hi:[0,0,1]
	v_pk_fma_f32 v[4:5], v[14:15], v[156:157], v[4:5] op_sel_hi:[1,0,1]
	s_nop 0
	v_mov_b32_e32 v4, v159
	v_mov_b32_e32 v7, v5
	v_pk_mul_f32 v[4:5], v[16:17], v[4:5] op_sel:[1,0] op_sel_hi:[0,0]
	v_pk_add_f32 v[2:3], v[2:3], v[6:7]
	v_pk_fma_f32 v[6:7], v[16:17], v[158:159], v[4:5] neg_lo:[0,0,1] neg_hi:[0,0,1]
	v_pk_fma_f32 v[4:5], v[16:17], v[158:159], v[4:5] op_sel_hi:[1,0,1]
	s_nop 0
	v_mov_b32_e32 v7, v5
	scratch_load_dwordx2 v[4:5], off, off offset:8
	v_pk_add_f32 v[2:3], v[2:3], v[6:7]
	s_waitcnt vmcnt(0)
	v_pk_add_f32 v[2:3], v[4:5], v[2:3] neg_lo:[0,1] neg_hi:[0,1]
	scratch_store_dwordx2 off, v[2:3], off offset:8
	s_and_saveexec_b64 s[0:1], vcc
	s_cbranch_execz .LBB109_289
; %bb.288:
	scratch_load_dwordx2 v[2:3], off, off
	v_mov_b32_e32 v4, 0
	v_mov_b32_e32 v5, v4
	scratch_store_dwordx2 off, v[4:5], off
	s_waitcnt vmcnt(1)
	ds_write_b64 v1, v[2:3]
.LBB109_289:
	s_or_b64 exec, exec, s[0:1]
	s_waitcnt lgkmcnt(0)
	; wave barrier
	scratch_load_dwordx4 v[4:7], off, off offset:8
	scratch_load_dwordx4 v[12:15], off, off offset:24
	;; [unrolled: 1-line block ×10, first 2 shown]
	v_mov_b32_e32 v108, 0
	ds_read2_b64 v[0:3], v108 offset0:47 offset1:48
	scratch_load_dwordx4 v[84:87], off, off offset:168
	scratch_load_dwordx4 v[92:95], off, off offset:184
	scratch_load_dwordx4 v[100:103], off, off offset:200
	scratch_load_dwordx4 v[110:113], off, off offset:216
	scratch_load_dwordx4 v[118:121], off, off offset:232
	scratch_load_dwordx4 v[126:129], off, off offset:248
	scratch_load_dwordx4 v[134:137], off, off offset:264
	scratch_load_dwordx4 v[142:145], off, off offset:280
	scratch_load_dwordx4 v[150:153], off, off offset:296
	s_and_b64 vcc, exec, s[10:11]
	s_waitcnt vmcnt(18) lgkmcnt(0)
	v_mul_f32_e32 v8, v0, v5
	v_fmac_f32_e32 v8, v1, v4
	v_mul_f32_e32 v9, v2, v7
	v_add_f32_e32 v8, 0, v8
	v_fmac_f32_e32 v9, v3, v6
	v_add_f32_e32 v16, v8, v9
	ds_read2_b64 v[8:11], v108 offset0:49 offset1:50
	v_mul_f32_e32 v1, v1, v5
	v_fma_f32 v0, v0, v4, -v1
	v_mul_f32_e32 v1, v3, v7
	v_add_f32_e32 v0, 0, v0
	s_waitcnt vmcnt(17) lgkmcnt(0)
	v_mul_f32_e32 v17, v8, v13
	v_fmac_f32_e32 v17, v9, v12
	v_add_f32_e32 v16, v16, v17
	v_mul_f32_e32 v17, v10, v15
	v_fmac_f32_e32 v17, v11, v14
	v_add_f32_e32 v24, v16, v17
	ds_read2_b64 v[16:19], v108 offset0:51 offset1:52
	v_fma_f32 v1, v2, v6, -v1
	v_add_f32_e32 v0, v0, v1
	v_mul_f32_e32 v1, v9, v13
	v_fma_f32 v1, v8, v12, -v1
	s_waitcnt vmcnt(16) lgkmcnt(0)
	v_mul_f32_e32 v25, v16, v21
	v_fmac_f32_e32 v25, v17, v20
	v_add_f32_e32 v24, v24, v25
	v_mul_f32_e32 v25, v18, v23
	v_fmac_f32_e32 v25, v19, v22
	v_add_f32_e32 v32, v24, v25
	ds_read2_b64 v[24:27], v108 offset0:53 offset1:54
	v_add_f32_e32 v0, v0, v1
	v_mul_f32_e32 v1, v11, v15
	v_fma_f32 v1, v10, v14, -v1
	v_add_f32_e32 v0, v0, v1
	s_waitcnt vmcnt(15) lgkmcnt(0)
	v_mul_f32_e32 v33, v24, v29
	v_fmac_f32_e32 v33, v25, v28
	v_add_f32_e32 v32, v32, v33
	v_mul_f32_e32 v33, v26, v31
	v_fmac_f32_e32 v33, v27, v30
	v_add_f32_e32 v40, v32, v33
	ds_read2_b64 v[32:35], v108 offset0:55 offset1:56
	v_mul_f32_e32 v1, v17, v21
	v_fma_f32 v1, v16, v20, -v1
	v_add_f32_e32 v0, v0, v1
	v_mul_f32_e32 v1, v19, v23
	s_waitcnt vmcnt(14) lgkmcnt(0)
	v_mul_f32_e32 v41, v32, v37
	v_fmac_f32_e32 v41, v33, v36
	v_add_f32_e32 v40, v40, v41
	v_mul_f32_e32 v41, v34, v39
	v_fmac_f32_e32 v41, v35, v38
	v_add_f32_e32 v48, v40, v41
	ds_read2_b64 v[40:43], v108 offset0:57 offset1:58
	v_fma_f32 v1, v18, v22, -v1
	v_add_f32_e32 v0, v0, v1
	v_mul_f32_e32 v1, v25, v29
	v_fma_f32 v1, v24, v28, -v1
	s_waitcnt vmcnt(13) lgkmcnt(0)
	v_mul_f32_e32 v49, v40, v45
	v_fmac_f32_e32 v49, v41, v44
	v_add_f32_e32 v48, v48, v49
	v_mul_f32_e32 v49, v42, v47
	v_fmac_f32_e32 v49, v43, v46
	v_add_f32_e32 v56, v48, v49
	ds_read2_b64 v[48:51], v108 offset0:59 offset1:60
	v_add_f32_e32 v0, v0, v1
	v_mul_f32_e32 v1, v27, v31
	v_fma_f32 v1, v26, v30, -v1
	v_add_f32_e32 v0, v0, v1
	s_waitcnt vmcnt(12) lgkmcnt(0)
	v_mul_f32_e32 v57, v48, v53
	v_fmac_f32_e32 v57, v49, v52
	v_add_f32_e32 v56, v56, v57
	v_mul_f32_e32 v57, v50, v55
	v_fmac_f32_e32 v57, v51, v54
	v_add_f32_e32 v64, v56, v57
	ds_read2_b64 v[56:59], v108 offset0:61 offset1:62
	v_mul_f32_e32 v1, v33, v37
	v_fma_f32 v1, v32, v36, -v1
	v_add_f32_e32 v0, v0, v1
	v_mul_f32_e32 v1, v35, v39
	;; [unrolled: 36-line block ×5, first 2 shown]
	s_waitcnt vmcnt(2) lgkmcnt(0)
	v_mul_f32_e32 v138, v130, v135
	v_fmac_f32_e32 v138, v131, v134
	v_add_f32_e32 v109, v109, v138
	v_mul_f32_e32 v138, v132, v137
	v_fmac_f32_e32 v138, v133, v136
	v_add_f32_e32 v109, v109, v138
	ds_read2_b64 v[138:141], v108 offset0:81 offset1:82
	v_fma_f32 v1, v82, v86, -v1
	v_add_f32_e32 v0, v0, v1
	v_mul_f32_e32 v1, v89, v93
	v_fma_f32 v1, v88, v92, -v1
	s_waitcnt vmcnt(1) lgkmcnt(0)
	v_mul_f32_e32 v146, v138, v143
	v_fmac_f32_e32 v146, v139, v142
	v_add_f32_e32 v161, v109, v146
	ds_read2_b64 v[146:149], v108 offset0:83 offset1:84
	scratch_load_dwordx4 v[156:159], off, off offset:312
	scratch_load_dwordx4 v[246:249], off, off offset:328
	scratch_load_dwordx4 v[250:253], off, off offset:344
	scratch_load_dwordx2 v[164:165], off, off offset:360
	v_add_f32_e32 v0, v0, v1
	v_mul_f32_e32 v1, v91, v95
	v_fma_f32 v1, v90, v94, -v1
	v_add_f32_e32 v0, v0, v1
	v_mul_f32_e32 v1, v97, v101
	v_fma_f32 v1, v96, v100, -v1
	;; [unrolled: 3-line block ×12, first 2 shown]
	v_add_f32_e32 v160, v0, v1
	v_mul_f32_e32 v0, v141, v145
	v_mul_f32_e32 v255, v140, v145
	v_fma_f32 v254, v140, v144, -v0
	s_waitcnt vmcnt(4) lgkmcnt(0)
	v_mul_f32_e32 v0, v147, v151
	v_mov_b32_e32 v16, v153
	v_fmac_f32_e32 v255, v141, v144
	v_mul_f32_e32 v163, v146, v151
	v_fma_f32 v162, v146, v150, -v0
	ds_read2_b64 v[0:3], v108 offset0:85 offset1:86
	ds_read2_b64 v[4:7], v108 offset0:87 offset1:88
	;; [unrolled: 1-line block ×3, first 2 shown]
	ds_read_b64 v[12:13], v108 offset:728
	v_pk_mul_f32 v[16:17], v[148:149], v[16:17] op_sel:[1,0] op_sel_hi:[0,0]
	v_fmac_f32_e32 v163, v147, v150
	v_pk_add_f32 v[14:15], v[160:161], v[254:255]
	v_pk_fma_f32 v[18:19], v[148:149], v[152:153], v[16:17] neg_lo:[0,0,1] neg_hi:[0,0,1]
	v_pk_fma_f32 v[16:17], v[148:149], v[152:153], v[16:17] op_sel_hi:[1,0,1]
	v_pk_add_f32 v[14:15], v[14:15], v[162:163]
	v_mov_b32_e32 v19, v17
	v_pk_add_f32 v[14:15], v[14:15], v[18:19]
	s_waitcnt vmcnt(3) lgkmcnt(3)
	v_pk_mul_f32 v[16:17], v[0:1], v[156:157] op_sel:[1,1] op_sel_hi:[0,1]
	v_pk_fma_f32 v[18:19], v[0:1], v[156:157], v[16:17] neg_lo:[0,0,1] neg_hi:[0,0,1]
	v_pk_fma_f32 v[0:1], v[0:1], v[156:157], v[16:17] op_sel_hi:[1,0,1]
	s_nop 0
	v_mov_b32_e32 v19, v1
	v_pk_add_f32 v[0:1], v[14:15], v[18:19]
	v_mov_b32_e32 v14, v159
	v_pk_mul_f32 v[14:15], v[2:3], v[14:15] op_sel:[1,0] op_sel_hi:[0,0]
	v_pk_fma_f32 v[16:17], v[2:3], v[158:159], v[14:15] neg_lo:[0,0,1] neg_hi:[0,0,1]
	v_pk_fma_f32 v[2:3], v[2:3], v[158:159], v[14:15] op_sel_hi:[1,0,1]
	s_nop 0
	v_mov_b32_e32 v17, v3
	s_waitcnt vmcnt(2) lgkmcnt(2)
	v_pk_mul_f32 v[2:3], v[4:5], v[246:247] op_sel:[1,1] op_sel_hi:[0,1]
	v_pk_fma_f32 v[14:15], v[4:5], v[246:247], v[2:3] neg_lo:[0,0,1] neg_hi:[0,0,1]
	v_pk_fma_f32 v[2:3], v[4:5], v[246:247], v[2:3] op_sel_hi:[1,0,1]
	v_pk_add_f32 v[0:1], v[0:1], v[16:17]
	v_mov_b32_e32 v2, v249
	v_mov_b32_e32 v15, v3
	v_pk_mul_f32 v[2:3], v[6:7], v[2:3] op_sel:[1,0] op_sel_hi:[0,0]
	v_pk_fma_f32 v[4:5], v[6:7], v[248:249], v[2:3] neg_lo:[0,0,1] neg_hi:[0,0,1]
	v_pk_fma_f32 v[2:3], v[6:7], v[248:249], v[2:3] op_sel_hi:[1,0,1]
	v_pk_add_f32 v[0:1], v[0:1], v[14:15]
	v_mov_b32_e32 v5, v3
	s_waitcnt vmcnt(1) lgkmcnt(1)
	v_pk_mul_f32 v[2:3], v[8:9], v[250:251] op_sel:[1,1] op_sel_hi:[0,1]
	v_pk_add_f32 v[0:1], v[0:1], v[4:5]
	v_pk_fma_f32 v[4:5], v[8:9], v[250:251], v[2:3] neg_lo:[0,0,1] neg_hi:[0,0,1]
	v_pk_fma_f32 v[2:3], v[8:9], v[250:251], v[2:3] op_sel_hi:[1,0,1]
	s_nop 0
	v_mov_b32_e32 v2, v253
	v_mov_b32_e32 v5, v3
	v_pk_mul_f32 v[2:3], v[10:11], v[2:3] op_sel:[1,0] op_sel_hi:[0,0]
	v_pk_add_f32 v[0:1], v[0:1], v[4:5]
	v_pk_fma_f32 v[4:5], v[10:11], v[252:253], v[2:3] neg_lo:[0,0,1] neg_hi:[0,0,1]
	v_pk_fma_f32 v[2:3], v[10:11], v[252:253], v[2:3] op_sel_hi:[1,0,1]
	s_nop 0
	v_mov_b32_e32 v5, v3
	s_waitcnt vmcnt(0) lgkmcnt(0)
	v_pk_mul_f32 v[2:3], v[12:13], v[164:165] op_sel:[1,1] op_sel_hi:[0,1]
	v_pk_add_f32 v[0:1], v[0:1], v[4:5]
	v_pk_fma_f32 v[4:5], v[12:13], v[164:165], v[2:3] neg_lo:[0,0,1] neg_hi:[0,0,1]
	v_pk_fma_f32 v[2:3], v[12:13], v[164:165], v[2:3] op_sel_hi:[1,0,1]
	s_nop 0
	v_mov_b32_e32 v5, v3
	scratch_load_dwordx2 v[2:3], off, off
	v_pk_add_f32 v[0:1], v[0:1], v[4:5]
	s_waitcnt vmcnt(0)
	v_pk_add_f32 v[0:1], v[2:3], v[0:1] neg_lo:[0,1] neg_hi:[0,1]
	scratch_store_dwordx2 off, v[0:1], off
	s_cbranch_vccz .LBB109_380
; %bb.290:
	global_load_dword v0, v108, s[8:9] offset:176
	s_waitcnt vmcnt(0)
	v_readfirstlane_b32 s0, v0
	s_add_i32 s0, s0, -1
	s_cmp_lg_u32 s0, 44
	s_cbranch_scc0 .LBB109_292
; %bb.291:
	s_lshl_b32 s0, s0, 3
	s_nop 0
	scratch_load_dwordx2 v[0:1], off, s0
	scratch_load_dwordx2 v[2:3], off, off offset:352
	s_waitcnt vmcnt(1)
	scratch_store_dwordx2 off, v[0:1], off offset:352
	s_waitcnt vmcnt(1)
	scratch_store_dwordx2 off, v[2:3], s0
.LBB109_292:
	v_mov_b32_e32 v0, 0
	global_load_dword v1, v0, s[8:9] offset:172
	s_waitcnt vmcnt(0)
	v_readfirstlane_b32 s0, v1
	s_add_i32 s0, s0, -1
	s_cmp_eq_u32 s0, 43
	s_cbranch_scc1 .LBB109_294
; %bb.293:
	s_lshl_b32 s0, s0, 3
	s_nop 0
	scratch_load_dwordx2 v[2:3], off, s0
	scratch_load_dwordx2 v[4:5], off, off offset:344
	s_waitcnt vmcnt(1)
	scratch_store_dwordx2 off, v[2:3], off offset:344
	s_waitcnt vmcnt(1)
	scratch_store_dwordx2 off, v[4:5], s0
.LBB109_294:
	global_load_dword v0, v0, s[8:9] offset:168
	s_waitcnt vmcnt(0)
	v_readfirstlane_b32 s0, v0
	s_add_i32 s0, s0, -1
	s_cmp_eq_u32 s0, 42
	s_cbranch_scc1 .LBB109_296
; %bb.295:
	s_lshl_b32 s0, s0, 3
	s_nop 0
	scratch_load_dwordx2 v[0:1], off, s0
	scratch_load_dwordx2 v[2:3], off, off offset:336
	s_waitcnt vmcnt(1)
	scratch_store_dwordx2 off, v[0:1], off offset:336
	s_waitcnt vmcnt(1)
	scratch_store_dwordx2 off, v[2:3], s0
.LBB109_296:
	v_mov_b32_e32 v0, 0
	global_load_dword v1, v0, s[8:9] offset:164
	s_waitcnt vmcnt(0)
	v_readfirstlane_b32 s0, v1
	s_add_i32 s0, s0, -1
	s_cmp_eq_u32 s0, 41
	s_cbranch_scc1 .LBB109_298
; %bb.297:
	s_lshl_b32 s0, s0, 3
	s_nop 0
	scratch_load_dwordx2 v[2:3], off, s0
	scratch_load_dwordx2 v[4:5], off, off offset:328
	s_waitcnt vmcnt(1)
	scratch_store_dwordx2 off, v[2:3], off offset:328
	s_waitcnt vmcnt(1)
	scratch_store_dwordx2 off, v[4:5], s0
.LBB109_298:
	global_load_dword v0, v0, s[8:9] offset:160
	s_waitcnt vmcnt(0)
	v_readfirstlane_b32 s0, v0
	s_add_i32 s0, s0, -1
	s_cmp_eq_u32 s0, 40
	s_cbranch_scc1 .LBB109_300
; %bb.299:
	s_lshl_b32 s0, s0, 3
	s_nop 0
	scratch_load_dwordx2 v[0:1], off, s0
	scratch_load_dwordx2 v[2:3], off, off offset:320
	s_waitcnt vmcnt(1)
	scratch_store_dwordx2 off, v[0:1], off offset:320
	s_waitcnt vmcnt(1)
	scratch_store_dwordx2 off, v[2:3], s0
.LBB109_300:
	;; [unrolled: 33-line block ×21, first 2 shown]
	v_mov_b32_e32 v0, 0
	global_load_dword v1, v0, s[8:9] offset:4
	s_waitcnt vmcnt(0)
	v_readfirstlane_b32 s0, v1
	s_add_i32 s0, s0, -1
	s_cmp_eq_u32 s0, 1
	s_cbranch_scc1 .LBB109_378
; %bb.377:
	s_lshl_b32 s0, s0, 3
	s_nop 0
	scratch_load_dwordx2 v[2:3], off, s0
	scratch_load_dwordx2 v[4:5], off, off offset:8
	s_waitcnt vmcnt(1)
	scratch_store_dwordx2 off, v[2:3], off offset:8
	s_waitcnt vmcnt(1)
	scratch_store_dwordx2 off, v[4:5], s0
.LBB109_378:
	global_load_dword v2, v0, s[8:9]
	s_nop 0
	scratch_load_dwordx2 v[0:1], off, off
	s_waitcnt vmcnt(1)
	v_readfirstlane_b32 s0, v2
	s_add_i32 s0, s0, -1
	s_cmp_eq_u32 s0, 0
	s_cbranch_scc1 .LBB109_380
; %bb.379:
	s_lshl_b32 s0, s0, 3
	s_nop 0
	scratch_load_dwordx2 v[2:3], off, s0
	s_waitcnt vmcnt(0)
	scratch_store_dwordx2 off, v[2:3], off
	scratch_store_dwordx2 off, v[0:1], s0
	scratch_load_dwordx2 v[0:1], off, off
.LBB109_380:
	s_waitcnt vmcnt(0)
	flat_store_dwordx2 v[154:155], v[0:1]
	scratch_load_dwordx2 v[0:1], off, off offset:8
	v_accvgpr_read_b32 v3, a1
	v_accvgpr_read_b32 v2, a0
	s_waitcnt vmcnt(0)
	flat_store_dwordx2 v[2:3], v[0:1]
	scratch_load_dwordx2 v[0:1], off, off offset:16
	v_accvgpr_read_b32 v2, a2
	v_accvgpr_read_b32 v3, a3
	;; [unrolled: 5-line block ×5, first 2 shown]
	s_waitcnt vmcnt(0)
	flat_store_dwordx2 v[2:3], v[0:1]
	scratch_load_dwordx2 v[0:1], off, off offset:48
	s_waitcnt vmcnt(0)
	flat_store_dwordx2 v[166:167], v[0:1]
	scratch_load_dwordx2 v[0:1], off, off offset:56
	;; [unrolled: 3-line block ×40, first 2 shown]
	s_waitcnt vmcnt(0)
	flat_store_dwordx2 v[244:245], v[0:1]
	s_endpgm
	.section	.rodata,"a",@progbits
	.p2align	6, 0x0
	.amdhsa_kernel _ZN9rocsolver6v33100L18getri_kernel_smallILi46E19rocblas_complex_numIfEPKPS3_EEvT1_iilPiilS8_bb
		.amdhsa_group_segment_fixed_size 740
		.amdhsa_private_segment_fixed_size 384
		.amdhsa_kernarg_size 60
		.amdhsa_user_sgpr_count 2
		.amdhsa_user_sgpr_dispatch_ptr 0
		.amdhsa_user_sgpr_queue_ptr 0
		.amdhsa_user_sgpr_kernarg_segment_ptr 1
		.amdhsa_user_sgpr_dispatch_id 0
		.amdhsa_user_sgpr_kernarg_preload_length 0
		.amdhsa_user_sgpr_kernarg_preload_offset 0
		.amdhsa_user_sgpr_private_segment_size 0
		.amdhsa_uses_dynamic_stack 0
		.amdhsa_enable_private_segment 1
		.amdhsa_system_sgpr_workgroup_id_x 1
		.amdhsa_system_sgpr_workgroup_id_y 0
		.amdhsa_system_sgpr_workgroup_id_z 0
		.amdhsa_system_sgpr_workgroup_info 0
		.amdhsa_system_vgpr_workitem_id 0
		.amdhsa_next_free_vgpr 266
		.amdhsa_next_free_sgpr 17
		.amdhsa_accum_offset 256
		.amdhsa_reserve_vcc 1
		.amdhsa_float_round_mode_32 0
		.amdhsa_float_round_mode_16_64 0
		.amdhsa_float_denorm_mode_32 3
		.amdhsa_float_denorm_mode_16_64 3
		.amdhsa_dx10_clamp 1
		.amdhsa_ieee_mode 1
		.amdhsa_fp16_overflow 0
		.amdhsa_tg_split 0
		.amdhsa_exception_fp_ieee_invalid_op 0
		.amdhsa_exception_fp_denorm_src 0
		.amdhsa_exception_fp_ieee_div_zero 0
		.amdhsa_exception_fp_ieee_overflow 0
		.amdhsa_exception_fp_ieee_underflow 0
		.amdhsa_exception_fp_ieee_inexact 0
		.amdhsa_exception_int_div_zero 0
	.end_amdhsa_kernel
	.section	.text._ZN9rocsolver6v33100L18getri_kernel_smallILi46E19rocblas_complex_numIfEPKPS3_EEvT1_iilPiilS8_bb,"axG",@progbits,_ZN9rocsolver6v33100L18getri_kernel_smallILi46E19rocblas_complex_numIfEPKPS3_EEvT1_iilPiilS8_bb,comdat
.Lfunc_end109:
	.size	_ZN9rocsolver6v33100L18getri_kernel_smallILi46E19rocblas_complex_numIfEPKPS3_EEvT1_iilPiilS8_bb, .Lfunc_end109-_ZN9rocsolver6v33100L18getri_kernel_smallILi46E19rocblas_complex_numIfEPKPS3_EEvT1_iilPiilS8_bb
                                        ; -- End function
	.set _ZN9rocsolver6v33100L18getri_kernel_smallILi46E19rocblas_complex_numIfEPKPS3_EEvT1_iilPiilS8_bb.num_vgpr, 256
	.set _ZN9rocsolver6v33100L18getri_kernel_smallILi46E19rocblas_complex_numIfEPKPS3_EEvT1_iilPiilS8_bb.num_agpr, 10
	.set _ZN9rocsolver6v33100L18getri_kernel_smallILi46E19rocblas_complex_numIfEPKPS3_EEvT1_iilPiilS8_bb.numbered_sgpr, 17
	.set _ZN9rocsolver6v33100L18getri_kernel_smallILi46E19rocblas_complex_numIfEPKPS3_EEvT1_iilPiilS8_bb.num_named_barrier, 0
	.set _ZN9rocsolver6v33100L18getri_kernel_smallILi46E19rocblas_complex_numIfEPKPS3_EEvT1_iilPiilS8_bb.private_seg_size, 384
	.set _ZN9rocsolver6v33100L18getri_kernel_smallILi46E19rocblas_complex_numIfEPKPS3_EEvT1_iilPiilS8_bb.uses_vcc, 1
	.set _ZN9rocsolver6v33100L18getri_kernel_smallILi46E19rocblas_complex_numIfEPKPS3_EEvT1_iilPiilS8_bb.uses_flat_scratch, 0
	.set _ZN9rocsolver6v33100L18getri_kernel_smallILi46E19rocblas_complex_numIfEPKPS3_EEvT1_iilPiilS8_bb.has_dyn_sized_stack, 0
	.set _ZN9rocsolver6v33100L18getri_kernel_smallILi46E19rocblas_complex_numIfEPKPS3_EEvT1_iilPiilS8_bb.has_recursion, 0
	.set _ZN9rocsolver6v33100L18getri_kernel_smallILi46E19rocblas_complex_numIfEPKPS3_EEvT1_iilPiilS8_bb.has_indirect_call, 0
	.section	.AMDGPU.csdata,"",@progbits
; Kernel info:
; codeLenInByte = 64120
; TotalNumSgprs: 23
; NumVgprs: 256
; NumAgprs: 10
; TotalNumVgprs: 266
; ScratchSize: 384
; MemoryBound: 0
; FloatMode: 240
; IeeeMode: 1
; LDSByteSize: 740 bytes/workgroup (compile time only)
; SGPRBlocks: 2
; VGPRBlocks: 33
; NumSGPRsForWavesPerEU: 23
; NumVGPRsForWavesPerEU: 266
; AccumOffset: 256
; Occupancy: 1
; WaveLimiterHint : 1
; COMPUTE_PGM_RSRC2:SCRATCH_EN: 1
; COMPUTE_PGM_RSRC2:USER_SGPR: 2
; COMPUTE_PGM_RSRC2:TRAP_HANDLER: 0
; COMPUTE_PGM_RSRC2:TGID_X_EN: 1
; COMPUTE_PGM_RSRC2:TGID_Y_EN: 0
; COMPUTE_PGM_RSRC2:TGID_Z_EN: 0
; COMPUTE_PGM_RSRC2:TIDIG_COMP_CNT: 0
; COMPUTE_PGM_RSRC3_GFX90A:ACCUM_OFFSET: 63
; COMPUTE_PGM_RSRC3_GFX90A:TG_SPLIT: 0
	.section	.text._ZN9rocsolver6v33100L18getri_kernel_smallILi47E19rocblas_complex_numIfEPKPS3_EEvT1_iilPiilS8_bb,"axG",@progbits,_ZN9rocsolver6v33100L18getri_kernel_smallILi47E19rocblas_complex_numIfEPKPS3_EEvT1_iilPiilS8_bb,comdat
	.globl	_ZN9rocsolver6v33100L18getri_kernel_smallILi47E19rocblas_complex_numIfEPKPS3_EEvT1_iilPiilS8_bb ; -- Begin function _ZN9rocsolver6v33100L18getri_kernel_smallILi47E19rocblas_complex_numIfEPKPS3_EEvT1_iilPiilS8_bb
	.p2align	8
	.type	_ZN9rocsolver6v33100L18getri_kernel_smallILi47E19rocblas_complex_numIfEPKPS3_EEvT1_iilPiilS8_bb,@function
_ZN9rocsolver6v33100L18getri_kernel_smallILi47E19rocblas_complex_numIfEPKPS3_EEvT1_iilPiilS8_bb: ; @_ZN9rocsolver6v33100L18getri_kernel_smallILi47E19rocblas_complex_numIfEPKPS3_EEvT1_iilPiilS8_bb
; %bb.0:
	v_cmp_gt_u32_e32 vcc, 47, v0
	s_and_saveexec_b64 s[4:5], vcc
	s_cbranch_execz .LBB110_202
; %bb.1:
	s_load_dword s14, s[0:1], 0x38
	s_load_dwordx2 s[8:9], s[0:1], 0x0
	s_load_dwordx4 s[4:7], s[0:1], 0x28
	s_waitcnt lgkmcnt(0)
	s_bitcmp1_b32 s14, 8
	s_cselect_b64 s[10:11], -1, 0
	s_ashr_i32 s3, s2, 31
	s_lshl_b64 s[12:13], s[2:3], 3
	s_add_u32 s8, s8, s12
	s_addc_u32 s9, s9, s13
	s_load_dwordx2 s[12:13], s[8:9], 0x0
	s_bfe_u32 s8, s14, 0x10008
	s_cmp_eq_u32 s8, 0
                                        ; implicit-def: $sgpr8_sgpr9
	s_cbranch_scc1 .LBB110_3
; %bb.2:
	s_load_dword s8, s[0:1], 0x20
	s_load_dwordx2 s[14:15], s[0:1], 0x18
	s_mul_i32 s9, s4, s3
	s_mul_hi_u32 s16, s4, s2
	s_add_i32 s16, s16, s9
	s_mul_i32 s5, s5, s2
	s_add_i32 s5, s16, s5
	s_mul_i32 s4, s4, s2
	s_waitcnt lgkmcnt(0)
	s_ashr_i32 s9, s8, 31
	s_lshl_b64 s[4:5], s[4:5], 2
	s_add_u32 s14, s14, s4
	s_addc_u32 s15, s15, s5
	s_lshl_b64 s[4:5], s[8:9], 2
	s_add_u32 s8, s14, s4
	s_addc_u32 s9, s15, s5
.LBB110_3:
	s_load_dwordx2 s[4:5], s[0:1], 0x8
	s_load_dword s14, s[0:1], 0x38
	v_lshlrev_b32_e32 v2, 3, v0
	v_mov_b32_e32 v3, 0
	s_waitcnt lgkmcnt(0)
	s_ashr_i32 s1, s4, 31
	s_mov_b32 s0, s4
	s_lshl_b64 s[0:1], s[0:1], 3
	s_add_u32 s0, s12, s0
	s_addc_u32 s1, s13, s1
	v_lshl_add_u64 v[154:155], s[0:1], 0, v[2:3]
	flat_load_dwordx2 v[4:5], v[154:155]
	s_mov_b32 s12, s5
	s_ashr_i32 s13, s5, 31
	v_lshl_add_u64 v[6:7], s[12:13], 3, v[154:155]
	v_accvgpr_write_b32 a0, v6
	s_add_i32 s4, s5, s5
	v_accvgpr_write_b32 a1, v7
	s_bitcmp0_b32 s14, 0
	s_waitcnt vmcnt(0) lgkmcnt(0)
	scratch_store_dwordx2 off, v[4:5], off
	flat_load_dwordx2 v[4:5], v[6:7]
	v_add_u32_e32 v6, s4, v0
	v_ashrrev_i32_e32 v7, 31, v6
	v_lshl_add_u64 v[8:9], v[6:7], 3, s[0:1]
	v_add_u32_e32 v6, s5, v6
	v_accvgpr_write_b32 a2, v8
	v_ashrrev_i32_e32 v7, 31, v6
	v_accvgpr_write_b32 a3, v9
	s_waitcnt vmcnt(0) lgkmcnt(0)
	scratch_store_dwordx2 off, v[4:5], off offset:8
	flat_load_dwordx2 v[4:5], v[8:9]
	v_lshl_add_u64 v[8:9], v[6:7], 3, s[0:1]
	v_add_u32_e32 v6, s5, v6
	v_accvgpr_write_b32 a4, v8
	v_ashrrev_i32_e32 v7, 31, v6
	v_accvgpr_write_b32 a5, v9
	s_waitcnt vmcnt(0) lgkmcnt(0)
	scratch_store_dwordx2 off, v[4:5], off offset:16
	flat_load_dwordx2 v[4:5], v[8:9]
	;; [unrolled: 8-line block ×5, first 2 shown]
	v_lshl_add_u64 v[8:9], v[6:7], 3, s[0:1]
	v_add_u32_e32 v6, s5, v6
	v_ashrrev_i32_e32 v7, 31, v6
	v_lshl_add_u64 v[170:171], v[6:7], 3, s[0:1]
	v_add_u32_e32 v6, s5, v6
	v_ashrrev_i32_e32 v7, 31, v6
	;; [unrolled: 3-line block ×26, first 2 shown]
	v_lshl_add_u64 v[220:221], v[6:7], 3, s[0:1]
	s_waitcnt vmcnt(0) lgkmcnt(0)
	scratch_store_dwordx2 off, v[4:5], off offset:48
	flat_load_dwordx2 v[4:5], v[8:9]
	v_add_u32_e32 v6, s5, v6
	v_ashrrev_i32_e32 v7, 31, v6
	v_lshl_add_u64 v[222:223], v[6:7], 3, s[0:1]
	v_add_u32_e32 v6, s5, v6
	v_ashrrev_i32_e32 v7, 31, v6
	v_lshl_add_u64 v[224:225], v[6:7], 3, s[0:1]
	;; [unrolled: 3-line block ×13, first 2 shown]
	v_accvgpr_write_b32 a13, v9
	v_accvgpr_write_b32 a12, v8
	s_mov_b64 s[4:5], -1
	s_waitcnt vmcnt(0) lgkmcnt(0)
	scratch_store_dwordx2 off, v[4:5], off offset:56
	flat_load_dwordx2 v[4:5], v[170:171]
	s_waitcnt vmcnt(0) lgkmcnt(0)
	scratch_store_dwordx2 off, v[4:5], off offset:64
	flat_load_dwordx2 v[4:5], v[172:173]
	;; [unrolled: 3-line block ×39, first 2 shown]
	s_waitcnt vmcnt(0) lgkmcnt(0)
	scratch_store_dwordx2 off, v[4:5], off offset:368
	s_cbranch_scc1 .LBB110_200
; %bb.4:
	v_cmp_eq_u32_e64 s[0:1], 0, v0
	s_and_saveexec_b64 s[4:5], s[0:1]
; %bb.5:
	v_mov_b32_e32 v1, 0
	ds_write_b32 v1, v1 offset:376
; %bb.6:
	s_or_b64 exec, exec, s[4:5]
	s_waitcnt lgkmcnt(0)
	; wave barrier
	scratch_load_dwordx2 v[4:5], v2, off
	s_waitcnt vmcnt(0)
	v_cmp_eq_f32_e32 vcc, 0, v4
	v_cmp_eq_f32_e64 s[4:5], 0, v5
	s_and_b64 s[4:5], vcc, s[4:5]
	s_and_saveexec_b64 s[12:13], s[4:5]
	s_cbranch_execz .LBB110_10
; %bb.7:
	v_mov_b32_e32 v1, 0
	ds_read_b32 v4, v1 offset:376
	v_add_u32_e32 v3, 1, v0
	s_waitcnt lgkmcnt(0)
	v_readfirstlane_b32 s4, v4
	s_cmp_eq_u32 s4, 0
	s_cselect_b64 s[14:15], -1, 0
	v_cmp_gt_i32_e32 vcc, s4, v3
	s_or_b64 s[14:15], s[14:15], vcc
	s_and_b64 exec, exec, s[14:15]
	s_cbranch_execz .LBB110_10
; %bb.8:
	s_mov_b64 s[14:15], 0
	v_mov_b32_e32 v4, s4
.LBB110_9:                              ; =>This Inner Loop Header: Depth=1
	ds_cmpst_rtn_b32 v4, v1, v4, v3 offset:376
	s_waitcnt lgkmcnt(0)
	v_cmp_ne_u32_e32 vcc, 0, v4
	v_cmp_le_i32_e64 s[4:5], v4, v3
	s_and_b64 s[4:5], vcc, s[4:5]
	s_and_b64 s[4:5], exec, s[4:5]
	s_or_b64 s[14:15], s[4:5], s[14:15]
	s_andn2_b64 exec, exec, s[14:15]
	s_cbranch_execnz .LBB110_9
.LBB110_10:
	s_or_b64 exec, exec, s[12:13]
	v_mov_b32_e32 v3, 0
	; wave barrier
	ds_read_b32 v1, v3 offset:376
	s_and_saveexec_b64 s[4:5], s[0:1]
	s_cbranch_execz .LBB110_12
; %bb.11:
	s_lshl_b64 s[12:13], s[2:3], 2
	s_add_u32 s12, s6, s12
	s_addc_u32 s13, s7, s13
	s_waitcnt lgkmcnt(0)
	global_store_dword v3, v1, s[12:13]
.LBB110_12:
	s_or_b64 exec, exec, s[4:5]
	s_waitcnt lgkmcnt(0)
	v_cmp_ne_u32_e32 vcc, 0, v1
	s_mov_b64 s[4:5], 0
	s_cbranch_vccnz .LBB110_200
; %bb.13:
	v_mov_b32_e32 v3, v2
	scratch_load_dwordx2 v[4:5], v3, off
                                        ; implicit-def: $vgpr7
                                        ; implicit-def: $vgpr8
	s_waitcnt vmcnt(0)
	v_cmp_ngt_f32_e64 s[4:5], |v4|, |v5|
	s_and_saveexec_b64 s[12:13], s[4:5]
	s_xor_b64 s[4:5], exec, s[12:13]
	s_cbranch_execz .LBB110_15
; %bb.14:
	v_div_scale_f32 v1, s[12:13], v5, v5, v4
	v_rcp_f32_e32 v6, v1
	v_div_scale_f32 v7, vcc, v4, v5, v4
	v_fma_f32 v8, -v1, v6, 1.0
	v_fmac_f32_e32 v6, v8, v6
	v_mul_f32_e32 v8, v7, v6
	v_fma_f32 v9, -v1, v8, v7
	v_fmac_f32_e32 v8, v9, v6
	v_fma_f32 v1, -v1, v8, v7
	v_div_fmas_f32 v1, v1, v6, v8
	v_div_fixup_f32 v1, v1, v5, v4
	v_fmac_f32_e32 v5, v4, v1
	v_div_scale_f32 v4, s[12:13], v5, v5, -1.0
	v_rcp_f32_e32 v6, v4
	s_nop 0
	v_fma_f32 v7, -v4, v6, 1.0
	v_fmac_f32_e32 v6, v7, v6
	v_div_scale_f32 v7, vcc, -1.0, v5, -1.0
	v_mul_f32_e32 v8, v7, v6
	v_fma_f32 v9, -v4, v8, v7
	v_fmac_f32_e32 v8, v9, v6
	v_fma_f32 v4, -v4, v8, v7
	v_div_fmas_f32 v4, v4, v6, v8
	v_div_fixup_f32 v7, v4, v5, -1.0
	v_mul_f32_e32 v8, v1, v7
	v_xor_b32_e32 v6, 0x80000000, v8
                                        ; implicit-def: $vgpr4_vgpr5
.LBB110_15:
	s_andn2_saveexec_b64 s[4:5], s[4:5]
	s_cbranch_execz .LBB110_17
; %bb.16:
	v_div_scale_f32 v1, s[12:13], v4, v4, v5
	v_rcp_f32_e32 v6, v1
	v_div_scale_f32 v7, vcc, v5, v4, v5
	v_fma_f32 v8, -v1, v6, 1.0
	v_fmac_f32_e32 v6, v8, v6
	v_mul_f32_e32 v8, v7, v6
	v_fma_f32 v9, -v1, v8, v7
	v_fmac_f32_e32 v8, v9, v6
	v_fma_f32 v1, -v1, v8, v7
	v_div_fmas_f32 v1, v1, v6, v8
	v_div_fixup_f32 v1, v1, v4, v5
	v_fmac_f32_e32 v4, v5, v1
	v_div_scale_f32 v5, s[12:13], v4, v4, 1.0
	v_rcp_f32_e32 v6, v5
	s_nop 0
	v_fma_f32 v7, -v5, v6, 1.0
	v_fmac_f32_e32 v6, v7, v6
	v_div_scale_f32 v7, vcc, 1.0, v4, 1.0
	v_mul_f32_e32 v8, v7, v6
	v_fma_f32 v9, -v5, v8, v7
	v_fmac_f32_e32 v8, v9, v6
	v_fma_f32 v5, -v5, v8, v7
	v_div_fmas_f32 v5, v5, v6, v8
	v_div_fixup_f32 v6, v5, v4, 1.0
	v_xor_b32_e32 v8, 0x80000000, v6
	v_mul_f32_e64 v7, v1, -v6
.LBB110_17:
	s_or_b64 exec, exec, s[4:5]
	scratch_store_dwordx2 v3, v[6:7], off
	scratch_load_dwordx2 v[4:5], off, off offset:8
	v_xor_b32_e32 v9, 0x80000000, v7
	v_add_u32_e32 v1, 0x180, v2
	s_waitcnt vmcnt(0)
	ds_write2_b64 v2, v[8:9], v[4:5] offset1:48
	s_waitcnt lgkmcnt(0)
	; wave barrier
	s_and_saveexec_b64 s[4:5], s[0:1]
	s_cbranch_execz .LBB110_19
; %bb.18:
	scratch_load_dwordx2 v[4:5], v3, off
	ds_read_b64 v[6:7], v1
	v_mov_b32_e32 v8, 0
	ds_read_b64 v[8:9], v8 offset:8
	s_waitcnt vmcnt(0) lgkmcnt(1)
	v_pk_mul_f32 v[10:11], v[6:7], v[4:5] op_sel:[1,1] op_sel_hi:[0,1]
	v_pk_fma_f32 v[12:13], v[6:7], v[4:5], v[10:11] neg_lo:[0,0,1] neg_hi:[0,0,1]
	v_pk_fma_f32 v[4:5], v[6:7], v[4:5], v[10:11] op_sel_hi:[1,0,1]
	s_nop 0
	v_mov_b32_e32 v13, v5
	v_pk_add_f32 v[4:5], v[12:13], 0 op_sel_hi:[1,0]
	s_waitcnt lgkmcnt(0)
	v_pk_mul_f32 v[6:7], v[4:5], v[8:9] op_sel:[1,1] op_sel_hi:[0,1]
	v_pk_fma_f32 v[10:11], v[4:5], v[8:9], v[6:7] neg_lo:[0,0,1] neg_hi:[0,0,1]
	v_pk_fma_f32 v[4:5], v[4:5], v[8:9], v[6:7] op_sel_hi:[1,0,1]
	s_nop 0
	v_mov_b32_e32 v11, v5
	scratch_store_dwordx2 off, v[10:11], off offset:8
.LBB110_19:
	s_or_b64 exec, exec, s[4:5]
	; wave barrier
	scratch_load_dwordx2 v[4:5], off, off offset:16
	v_cmp_gt_u32_e32 vcc, 2, v0
	s_waitcnt vmcnt(0)
	ds_write_b64 v1, v[4:5]
	s_waitcnt lgkmcnt(0)
	; wave barrier
	s_and_saveexec_b64 s[4:5], vcc
	s_cbranch_execz .LBB110_23
; %bb.20:
	scratch_load_dwordx2 v[4:5], v3, off
	ds_read_b64 v[6:7], v1
	s_waitcnt vmcnt(0) lgkmcnt(0)
	v_pk_mul_f32 v[8:9], v[6:7], v[4:5] op_sel:[1,1] op_sel_hi:[0,1]
	v_pk_fma_f32 v[10:11], v[6:7], v[4:5], v[8:9] neg_lo:[0,0,1] neg_hi:[0,0,1]
	v_pk_fma_f32 v[4:5], v[6:7], v[4:5], v[8:9] op_sel_hi:[1,0,1]
	s_nop 0
	v_mov_b32_e32 v11, v5
	v_pk_add_f32 v[4:5], v[10:11], 0 op_sel_hi:[1,0]
	s_and_saveexec_b64 s[12:13], s[0:1]
	s_cbranch_execz .LBB110_22
; %bb.21:
	scratch_load_dwordx2 v[6:7], off, off offset:8
	v_mov_b32_e32 v3, 0
	ds_read_b64 v[8:9], v3 offset:392
	s_waitcnt vmcnt(0) lgkmcnt(0)
	v_pk_mul_f32 v[10:11], v[8:9], v[6:7] op_sel:[1,1] op_sel_hi:[0,1]
	v_pk_fma_f32 v[12:13], v[8:9], v[6:7], v[10:11] neg_lo:[0,0,1] neg_hi:[0,0,1]
	v_pk_fma_f32 v[6:7], v[8:9], v[6:7], v[10:11] op_sel_hi:[1,0,1]
	s_nop 0
	v_mov_b32_e32 v13, v7
	v_pk_add_f32 v[4:5], v[4:5], v[12:13]
.LBB110_22:
	s_or_b64 exec, exec, s[12:13]
	v_mov_b32_e32 v3, 0
	ds_read_b64 v[6:7], v3 offset:16
	s_waitcnt lgkmcnt(0)
	v_pk_mul_f32 v[8:9], v[4:5], v[6:7] op_sel:[1,1] op_sel_hi:[0,1]
	v_pk_fma_f32 v[10:11], v[4:5], v[6:7], v[8:9] neg_lo:[0,0,1] neg_hi:[0,0,1]
	v_pk_fma_f32 v[4:5], v[4:5], v[6:7], v[8:9] op_sel_hi:[1,0,1]
	s_nop 0
	v_mov_b32_e32 v11, v5
	scratch_store_dwordx2 off, v[10:11], off offset:16
.LBB110_23:
	s_or_b64 exec, exec, s[4:5]
	; wave barrier
	scratch_load_dwordx2 v[4:5], off, off offset:24
	v_cmp_gt_u32_e32 vcc, 3, v0
	v_add_u32_e32 v6, -1, v0
	s_waitcnt vmcnt(0)
	ds_write_b64 v1, v[4:5]
	s_waitcnt lgkmcnt(0)
	; wave barrier
	s_and_saveexec_b64 s[0:1], vcc
	s_cbranch_execz .LBB110_27
; %bb.24:
	v_mov_b32_e32 v4, 0
	v_add_u32_e32 v3, -1, v0
	v_add_u32_e32 v7, 0x180, v2
	v_mov_b32_e32 v8, v2
	s_mov_b64 s[4:5], 0
	v_mov_b32_e32 v5, v4
.LBB110_25:                             ; =>This Inner Loop Header: Depth=1
	scratch_load_dwordx2 v[10:11], v8, off
	ds_read_b64 v[12:13], v7
	v_add_u32_e32 v3, 1, v3
	v_cmp_lt_u32_e32 vcc, 1, v3
	v_add_u32_e32 v7, 8, v7
	v_add_u32_e32 v8, 8, v8
	s_or_b64 s[4:5], vcc, s[4:5]
	s_waitcnt vmcnt(0) lgkmcnt(0)
	v_pk_mul_f32 v[14:15], v[12:13], v[10:11] op_sel:[1,1] op_sel_hi:[0,1]
	v_pk_fma_f32 v[16:17], v[12:13], v[10:11], v[14:15] neg_lo:[0,0,1] neg_hi:[0,0,1]
	v_pk_fma_f32 v[10:11], v[12:13], v[10:11], v[14:15] op_sel_hi:[1,0,1]
	s_nop 0
	v_mov_b32_e32 v17, v11
	v_pk_add_f32 v[4:5], v[4:5], v[16:17]
	s_andn2_b64 exec, exec, s[4:5]
	s_cbranch_execnz .LBB110_25
; %bb.26:
	s_or_b64 exec, exec, s[4:5]
	v_mov_b32_e32 v3, 0
	ds_read_b64 v[8:9], v3 offset:24
	s_waitcnt lgkmcnt(0)
	v_pk_mul_f32 v[10:11], v[4:5], v[8:9] op_sel:[1,1] op_sel_hi:[0,1]
	v_pk_fma_f32 v[12:13], v[4:5], v[8:9], v[10:11] neg_lo:[0,0,1] neg_hi:[0,0,1]
	v_pk_fma_f32 v[4:5], v[4:5], v[8:9], v[10:11] op_sel_hi:[1,0,1]
	s_nop 0
	v_mov_b32_e32 v13, v5
	scratch_store_dwordx2 off, v[12:13], off offset:24
.LBB110_27:
	s_or_b64 exec, exec, s[0:1]
	; wave barrier
	scratch_load_dwordx2 v[4:5], off, off offset:32
	v_cmp_gt_u32_e32 vcc, 4, v0
	s_waitcnt vmcnt(0)
	ds_write_b64 v1, v[4:5]
	s_waitcnt lgkmcnt(0)
	; wave barrier
	s_and_saveexec_b64 s[0:1], vcc
	s_cbranch_execz .LBB110_31
; %bb.28:
	v_mov_b32_e32 v4, 0
	v_add_u32_e32 v3, -1, v0
	v_add_u32_e32 v7, 0x180, v2
	v_mov_b32_e32 v8, v2
	s_mov_b64 s[4:5], 0
	v_mov_b32_e32 v5, v4
.LBB110_29:                             ; =>This Inner Loop Header: Depth=1
	scratch_load_dwordx2 v[10:11], v8, off
	ds_read_b64 v[12:13], v7
	v_add_u32_e32 v3, 1, v3
	v_cmp_lt_u32_e32 vcc, 2, v3
	v_add_u32_e32 v7, 8, v7
	v_add_u32_e32 v8, 8, v8
	s_or_b64 s[4:5], vcc, s[4:5]
	s_waitcnt vmcnt(0) lgkmcnt(0)
	v_pk_mul_f32 v[14:15], v[12:13], v[10:11] op_sel:[1,1] op_sel_hi:[0,1]
	v_pk_fma_f32 v[16:17], v[12:13], v[10:11], v[14:15] neg_lo:[0,0,1] neg_hi:[0,0,1]
	v_pk_fma_f32 v[10:11], v[12:13], v[10:11], v[14:15] op_sel_hi:[1,0,1]
	s_nop 0
	v_mov_b32_e32 v17, v11
	v_pk_add_f32 v[4:5], v[4:5], v[16:17]
	s_andn2_b64 exec, exec, s[4:5]
	s_cbranch_execnz .LBB110_29
; %bb.30:
	s_or_b64 exec, exec, s[4:5]
	v_mov_b32_e32 v3, 0
	ds_read_b64 v[8:9], v3 offset:32
	s_waitcnt lgkmcnt(0)
	v_pk_mul_f32 v[10:11], v[4:5], v[8:9] op_sel:[1,1] op_sel_hi:[0,1]
	v_pk_fma_f32 v[12:13], v[4:5], v[8:9], v[10:11] neg_lo:[0,0,1] neg_hi:[0,0,1]
	v_pk_fma_f32 v[4:5], v[4:5], v[8:9], v[10:11] op_sel_hi:[1,0,1]
	s_nop 0
	v_mov_b32_e32 v13, v5
	scratch_store_dwordx2 off, v[12:13], off offset:32
.LBB110_31:
	s_or_b64 exec, exec, s[0:1]
	; wave barrier
	scratch_load_dwordx2 v[4:5], off, off offset:40
	v_cmp_gt_u32_e32 vcc, 5, v0
	;; [unrolled: 46-line block ×19, first 2 shown]
	s_waitcnt vmcnt(0)
	ds_write_b64 v1, v[4:5]
	s_waitcnt lgkmcnt(0)
	; wave barrier
	s_and_saveexec_b64 s[0:1], vcc
	s_cbranch_execz .LBB110_103
; %bb.100:
	v_mov_b32_e32 v4, 0
	v_add_u32_e32 v3, -1, v0
	v_add_u32_e32 v7, 0x180, v2
	v_mov_b32_e32 v8, v2
	s_mov_b64 s[4:5], 0
	v_mov_b32_e32 v5, v4
.LBB110_101:                            ; =>This Inner Loop Header: Depth=1
	scratch_load_dwordx2 v[10:11], v8, off
	ds_read_b64 v[12:13], v7
	v_add_u32_e32 v3, 1, v3
	v_cmp_lt_u32_e32 vcc, 20, v3
	v_add_u32_e32 v7, 8, v7
	v_add_u32_e32 v8, 8, v8
	s_or_b64 s[4:5], vcc, s[4:5]
	s_waitcnt vmcnt(0) lgkmcnt(0)
	v_pk_mul_f32 v[14:15], v[12:13], v[10:11] op_sel:[1,1] op_sel_hi:[0,1]
	v_pk_fma_f32 v[16:17], v[12:13], v[10:11], v[14:15] neg_lo:[0,0,1] neg_hi:[0,0,1]
	v_pk_fma_f32 v[10:11], v[12:13], v[10:11], v[14:15] op_sel_hi:[1,0,1]
	s_nop 0
	v_mov_b32_e32 v17, v11
	v_pk_add_f32 v[4:5], v[4:5], v[16:17]
	s_andn2_b64 exec, exec, s[4:5]
	s_cbranch_execnz .LBB110_101
; %bb.102:
	s_or_b64 exec, exec, s[4:5]
	v_mov_b32_e32 v3, 0
	ds_read_b64 v[8:9], v3 offset:176
	s_waitcnt lgkmcnt(0)
	v_pk_mul_f32 v[10:11], v[4:5], v[8:9] op_sel:[1,1] op_sel_hi:[0,1]
	v_pk_fma_f32 v[12:13], v[4:5], v[8:9], v[10:11] neg_lo:[0,0,1] neg_hi:[0,0,1]
	v_pk_fma_f32 v[4:5], v[4:5], v[8:9], v[10:11] op_sel_hi:[1,0,1]
	s_nop 0
	v_mov_b32_e32 v13, v5
	scratch_store_dwordx2 off, v[12:13], off offset:176
.LBB110_103:
	s_or_b64 exec, exec, s[0:1]
	; wave barrier
	scratch_load_dwordx2 v[4:5], off, off offset:184
	v_cmp_gt_u32_e32 vcc, 23, v0
	s_waitcnt vmcnt(0)
	ds_write_b64 v1, v[4:5]
	s_waitcnt lgkmcnt(0)
	; wave barrier
	s_and_saveexec_b64 s[0:1], vcc
	s_cbranch_execz .LBB110_107
; %bb.104:
	v_mov_b32_e32 v4, 0
	v_add_u32_e32 v3, -1, v0
	v_add_u32_e32 v7, 0x180, v2
	v_mov_b32_e32 v8, v2
	s_mov_b64 s[4:5], 0
	v_mov_b32_e32 v5, v4
.LBB110_105:                            ; =>This Inner Loop Header: Depth=1
	scratch_load_dwordx2 v[10:11], v8, off
	ds_read_b64 v[12:13], v7
	v_add_u32_e32 v3, 1, v3
	v_cmp_lt_u32_e32 vcc, 21, v3
	v_add_u32_e32 v7, 8, v7
	v_add_u32_e32 v8, 8, v8
	s_or_b64 s[4:5], vcc, s[4:5]
	s_waitcnt vmcnt(0) lgkmcnt(0)
	v_pk_mul_f32 v[14:15], v[12:13], v[10:11] op_sel:[1,1] op_sel_hi:[0,1]
	v_pk_fma_f32 v[16:17], v[12:13], v[10:11], v[14:15] neg_lo:[0,0,1] neg_hi:[0,0,1]
	v_pk_fma_f32 v[10:11], v[12:13], v[10:11], v[14:15] op_sel_hi:[1,0,1]
	s_nop 0
	v_mov_b32_e32 v17, v11
	v_pk_add_f32 v[4:5], v[4:5], v[16:17]
	s_andn2_b64 exec, exec, s[4:5]
	s_cbranch_execnz .LBB110_105
; %bb.106:
	s_or_b64 exec, exec, s[4:5]
	v_mov_b32_e32 v3, 0
	ds_read_b64 v[8:9], v3 offset:184
	s_waitcnt lgkmcnt(0)
	v_pk_mul_f32 v[10:11], v[4:5], v[8:9] op_sel:[1,1] op_sel_hi:[0,1]
	v_pk_fma_f32 v[12:13], v[4:5], v[8:9], v[10:11] neg_lo:[0,0,1] neg_hi:[0,0,1]
	v_pk_fma_f32 v[4:5], v[4:5], v[8:9], v[10:11] op_sel_hi:[1,0,1]
	s_nop 0
	v_mov_b32_e32 v13, v5
	scratch_store_dwordx2 off, v[12:13], off offset:184
.LBB110_107:
	s_or_b64 exec, exec, s[0:1]
	; wave barrier
	scratch_load_dwordx2 v[4:5], off, off offset:192
	v_cmp_gt_u32_e32 vcc, 24, v0
	;; [unrolled: 46-line block ×23, first 2 shown]
	s_waitcnt vmcnt(0)
	ds_write_b64 v1, v[4:5]
	s_waitcnt lgkmcnt(0)
	; wave barrier
	s_and_saveexec_b64 s[0:1], vcc
	s_cbranch_execz .LBB110_195
; %bb.192:
	v_mov_b32_e32 v4, 0
	v_add_u32_e32 v3, -1, v0
	v_add_u32_e32 v7, 0x180, v2
	v_mov_b32_e32 v8, v2
	s_mov_b64 s[4:5], 0
	v_mov_b32_e32 v5, v4
.LBB110_193:                            ; =>This Inner Loop Header: Depth=1
	scratch_load_dwordx2 v[10:11], v8, off
	ds_read_b64 v[12:13], v7
	v_add_u32_e32 v3, 1, v3
	v_cmp_lt_u32_e32 vcc, 43, v3
	v_add_u32_e32 v7, 8, v7
	v_add_u32_e32 v8, 8, v8
	s_or_b64 s[4:5], vcc, s[4:5]
	s_waitcnt vmcnt(0) lgkmcnt(0)
	v_pk_mul_f32 v[14:15], v[12:13], v[10:11] op_sel:[1,1] op_sel_hi:[0,1]
	v_pk_fma_f32 v[16:17], v[12:13], v[10:11], v[14:15] neg_lo:[0,0,1] neg_hi:[0,0,1]
	v_pk_fma_f32 v[10:11], v[12:13], v[10:11], v[14:15] op_sel_hi:[1,0,1]
	s_nop 0
	v_mov_b32_e32 v17, v11
	v_pk_add_f32 v[4:5], v[4:5], v[16:17]
	s_andn2_b64 exec, exec, s[4:5]
	s_cbranch_execnz .LBB110_193
; %bb.194:
	s_or_b64 exec, exec, s[4:5]
	v_mov_b32_e32 v3, 0
	ds_read_b64 v[8:9], v3 offset:360
	s_waitcnt lgkmcnt(0)
	v_pk_mul_f32 v[10:11], v[4:5], v[8:9] op_sel:[1,1] op_sel_hi:[0,1]
	v_pk_fma_f32 v[12:13], v[4:5], v[8:9], v[10:11] neg_lo:[0,0,1] neg_hi:[0,0,1]
	v_pk_fma_f32 v[4:5], v[4:5], v[8:9], v[10:11] op_sel_hi:[1,0,1]
	s_nop 0
	v_mov_b32_e32 v13, v5
	scratch_store_dwordx2 off, v[12:13], off offset:360
.LBB110_195:
	s_or_b64 exec, exec, s[0:1]
	; wave barrier
	scratch_load_dwordx2 v[4:5], off, off offset:368
	v_cmp_ne_u32_e32 vcc, 46, v0
	s_waitcnt vmcnt(0)
	ds_write_b64 v1, v[4:5]
	s_waitcnt lgkmcnt(0)
	; wave barrier
	s_and_saveexec_b64 s[0:1], vcc
	s_cbranch_execz .LBB110_199
; %bb.196:
	v_add_u32_e32 v1, 0x180, v2
	v_mov_b32_e32 v4, v2
	v_mov_b32_e32 v2, 0
	s_mov_b64 s[4:5], 0
	v_mov_b32_e32 v3, v2
.LBB110_197:                            ; =>This Inner Loop Header: Depth=1
	scratch_load_dwordx2 v[8:9], v4, off
	ds_read_b64 v[10:11], v1
	v_add_u32_e32 v6, 1, v6
	v_cmp_lt_u32_e32 vcc, 44, v6
	v_add_u32_e32 v1, 8, v1
	v_add_u32_e32 v4, 8, v4
	s_or_b64 s[4:5], vcc, s[4:5]
	s_waitcnt vmcnt(0) lgkmcnt(0)
	v_pk_mul_f32 v[12:13], v[10:11], v[8:9] op_sel:[1,1] op_sel_hi:[0,1]
	v_pk_fma_f32 v[14:15], v[10:11], v[8:9], v[12:13] neg_lo:[0,0,1] neg_hi:[0,0,1]
	v_pk_fma_f32 v[8:9], v[10:11], v[8:9], v[12:13] op_sel_hi:[1,0,1]
	s_nop 0
	v_mov_b32_e32 v15, v9
	v_pk_add_f32 v[2:3], v[2:3], v[14:15]
	s_andn2_b64 exec, exec, s[4:5]
	s_cbranch_execnz .LBB110_197
; %bb.198:
	s_or_b64 exec, exec, s[4:5]
	v_mov_b32_e32 v1, 0
	ds_read_b64 v[4:5], v1 offset:368
	s_waitcnt lgkmcnt(0)
	v_pk_mul_f32 v[6:7], v[2:3], v[4:5] op_sel:[1,1] op_sel_hi:[0,1]
	v_pk_fma_f32 v[8:9], v[2:3], v[4:5], v[6:7] neg_lo:[0,0,1] neg_hi:[0,0,1]
	v_pk_fma_f32 v[2:3], v[2:3], v[4:5], v[6:7] op_sel_hi:[1,0,1]
	s_nop 0
	v_mov_b32_e32 v9, v3
	scratch_store_dwordx2 off, v[8:9], off offset:368
.LBB110_199:
	s_or_b64 exec, exec, s[0:1]
	s_mov_b64 s[4:5], -1
	; wave barrier
.LBB110_200:
	s_and_b64 vcc, exec, s[4:5]
	s_cbranch_vccz .LBB110_202
; %bb.201:
	s_lshl_b64 s[0:1], s[2:3], 2
	s_add_u32 s0, s6, s0
	s_addc_u32 s1, s7, s1
	v_mov_b32_e32 v1, 0
	global_load_dword v1, v1, s[0:1]
	s_waitcnt vmcnt(0)
	v_cmp_ne_u32_e32 vcc, 0, v1
	s_cbranch_vccz .LBB110_203
.LBB110_202:
	s_endpgm
.LBB110_203:
	v_mov_b32_e32 v1, 0x180
	v_lshl_add_u32 v1, v0, 3, v1
	v_cmp_eq_u32_e32 vcc, 46, v0
	s_and_saveexec_b64 s[0:1], vcc
	s_cbranch_execz .LBB110_205
; %bb.204:
	scratch_load_dwordx2 v[2:3], off, off offset:360
	v_mov_b32_e32 v4, 0
	v_mov_b32_e32 v5, v4
	scratch_store_dwordx2 off, v[4:5], off offset:360
	s_waitcnt vmcnt(1)
	ds_write_b64 v1, v[2:3]
.LBB110_205:
	s_or_b64 exec, exec, s[0:1]
	s_waitcnt lgkmcnt(0)
	; wave barrier
	scratch_load_dwordx2 v[4:5], off, off offset:368
	scratch_load_dwordx2 v[6:7], off, off offset:360
	v_mov_b32_e32 v2, 0
	ds_read_b64 v[8:9], v2 offset:752
	v_cmp_lt_u32_e32 vcc, 44, v0
	s_waitcnt vmcnt(1) lgkmcnt(0)
	v_pk_mul_f32 v[10:11], v[8:9], v[4:5] op_sel:[1,1] op_sel_hi:[0,1]
	v_pk_fma_f32 v[12:13], v[8:9], v[4:5], v[10:11] neg_lo:[0,0,1] neg_hi:[0,0,1]
	v_pk_fma_f32 v[4:5], v[8:9], v[4:5], v[10:11] op_sel_hi:[1,0,1]
	s_nop 0
	v_mov_b32_e32 v13, v5
	v_pk_add_f32 v[4:5], v[12:13], 0 op_sel_hi:[1,0]
	s_waitcnt vmcnt(0)
	v_pk_add_f32 v[4:5], v[6:7], v[4:5] neg_lo:[0,1] neg_hi:[0,1]
	scratch_store_dwordx2 off, v[4:5], off offset:360
	s_and_saveexec_b64 s[0:1], vcc
	s_cbranch_execz .LBB110_207
; %bb.206:
	scratch_load_dwordx2 v[4:5], off, off offset:352
	v_mov_b32_e32 v3, v2
	scratch_store_dwordx2 off, v[2:3], off offset:352
	s_waitcnt vmcnt(1)
	ds_write_b64 v1, v[4:5]
.LBB110_207:
	s_or_b64 exec, exec, s[0:1]
	s_waitcnt lgkmcnt(0)
	; wave barrier
	scratch_load_dwordx4 v[4:7], off, off offset:360
	scratch_load_dwordx2 v[12:13], off, off offset:352
	ds_read2_b64 v[8:11], v2 offset0:93 offset1:94
	v_cmp_lt_u32_e32 vcc, 43, v0
	s_waitcnt vmcnt(1) lgkmcnt(0)
	v_pk_mul_f32 v[2:3], v[8:9], v[4:5] op_sel:[1,1] op_sel_hi:[0,1]
	v_mov_b32_e32 v14, v7
	v_pk_fma_f32 v[16:17], v[8:9], v[4:5], v[2:3] neg_lo:[0,0,1] neg_hi:[0,0,1]
	v_pk_fma_f32 v[2:3], v[8:9], v[4:5], v[2:3] op_sel_hi:[1,0,1]
	v_pk_mul_f32 v[4:5], v[10:11], v[14:15] op_sel:[1,0] op_sel_hi:[0,0]
	v_mov_b32_e32 v17, v3
	v_pk_fma_f32 v[2:3], v[10:11], v[6:7], v[4:5] neg_lo:[0,0,1] neg_hi:[0,0,1]
	v_pk_fma_f32 v[4:5], v[10:11], v[6:7], v[4:5] op_sel_hi:[1,0,1]
	v_pk_add_f32 v[6:7], v[16:17], 0 op_sel_hi:[1,0]
	v_mov_b32_e32 v3, v5
	v_pk_add_f32 v[2:3], v[6:7], v[2:3]
	s_waitcnt vmcnt(0)
	v_pk_add_f32 v[2:3], v[12:13], v[2:3] neg_lo:[0,1] neg_hi:[0,1]
	scratch_store_dwordx2 off, v[2:3], off offset:352
	s_and_saveexec_b64 s[0:1], vcc
	s_cbranch_execz .LBB110_209
; %bb.208:
	scratch_load_dwordx2 v[2:3], off, off offset:344
	v_mov_b32_e32 v4, 0
	v_mov_b32_e32 v5, v4
	scratch_store_dwordx2 off, v[4:5], off offset:344
	s_waitcnt vmcnt(1)
	ds_write_b64 v1, v[2:3]
.LBB110_209:
	s_or_b64 exec, exec, s[0:1]
	s_waitcnt lgkmcnt(0)
	; wave barrier
	scratch_load_dwordx4 v[4:7], off, off offset:352
	scratch_load_dwordx2 v[12:13], off, off offset:368
	scratch_load_dwordx2 v[14:15], off, off offset:344
	v_mov_b32_e32 v2, 0
	ds_read_b128 v[8:11], v2 offset:736
	ds_read_b64 v[16:17], v2 offset:752
	v_cmp_lt_u32_e32 vcc, 42, v0
	s_waitcnt vmcnt(2) lgkmcnt(1)
	v_pk_mul_f32 v[18:19], v[8:9], v[4:5] op_sel:[1,1] op_sel_hi:[0,1]
	v_mov_b32_e32 v20, v7
	v_pk_fma_f32 v[24:25], v[8:9], v[4:5], v[18:19] neg_lo:[0,0,1] neg_hi:[0,0,1]
	v_pk_fma_f32 v[4:5], v[8:9], v[4:5], v[18:19] op_sel_hi:[1,0,1]
	v_pk_mul_f32 v[8:9], v[10:11], v[20:21] op_sel:[1,0] op_sel_hi:[0,0]
	s_waitcnt vmcnt(1) lgkmcnt(0)
	v_pk_mul_f32 v[22:23], v[16:17], v[12:13] op_sel:[1,1] op_sel_hi:[0,1]
	v_mov_b32_e32 v25, v5
	v_pk_fma_f32 v[4:5], v[10:11], v[6:7], v[8:9] neg_lo:[0,0,1] neg_hi:[0,0,1]
	v_pk_fma_f32 v[6:7], v[10:11], v[6:7], v[8:9] op_sel_hi:[1,0,1]
	v_pk_fma_f32 v[18:19], v[16:17], v[12:13], v[22:23] neg_lo:[0,0,1] neg_hi:[0,0,1]
	v_pk_fma_f32 v[12:13], v[16:17], v[12:13], v[22:23] op_sel_hi:[1,0,1]
	v_pk_add_f32 v[8:9], v[24:25], 0 op_sel_hi:[1,0]
	v_mov_b32_e32 v5, v7
	v_mov_b32_e32 v19, v13
	v_pk_add_f32 v[4:5], v[8:9], v[4:5]
	s_nop 0
	v_pk_add_f32 v[4:5], v[4:5], v[18:19]
	s_waitcnt vmcnt(0)
	v_pk_add_f32 v[4:5], v[14:15], v[4:5] neg_lo:[0,1] neg_hi:[0,1]
	scratch_store_dwordx2 off, v[4:5], off offset:344
	s_and_saveexec_b64 s[0:1], vcc
	s_cbranch_execz .LBB110_211
; %bb.210:
	scratch_load_dwordx2 v[4:5], off, off offset:336
	v_mov_b32_e32 v3, v2
	scratch_store_dwordx2 off, v[2:3], off offset:336
	s_waitcnt vmcnt(1)
	ds_write_b64 v1, v[4:5]
.LBB110_211:
	s_or_b64 exec, exec, s[0:1]
	s_waitcnt lgkmcnt(0)
	; wave barrier
	scratch_load_dwordx4 v[4:7], off, off offset:344
	scratch_load_dwordx4 v[8:11], off, off offset:360
	scratch_load_dwordx2 v[20:21], off, off offset:336
	ds_read2_b64 v[12:15], v2 offset0:91 offset1:92
	ds_read2_b64 v[16:19], v2 offset0:93 offset1:94
	v_cmp_lt_u32_e32 vcc, 41, v0
	s_waitcnt vmcnt(2) lgkmcnt(1)
	v_pk_mul_f32 v[2:3], v[12:13], v[4:5] op_sel:[1,1] op_sel_hi:[0,1]
	v_mov_b32_e32 v22, v7
	s_waitcnt vmcnt(1) lgkmcnt(0)
	v_pk_mul_f32 v[24:25], v[16:17], v[8:9] op_sel:[1,1] op_sel_hi:[0,1]
	v_mov_b32_e32 v26, v11
	v_pk_fma_f32 v[28:29], v[12:13], v[4:5], v[2:3] neg_lo:[0,0,1] neg_hi:[0,0,1]
	v_pk_fma_f32 v[2:3], v[12:13], v[4:5], v[2:3] op_sel_hi:[1,0,1]
	v_pk_mul_f32 v[4:5], v[14:15], v[22:23] op_sel:[1,0] op_sel_hi:[0,0]
	v_pk_fma_f32 v[12:13], v[16:17], v[8:9], v[24:25] neg_lo:[0,0,1] neg_hi:[0,0,1]
	v_pk_fma_f32 v[8:9], v[16:17], v[8:9], v[24:25] op_sel_hi:[1,0,1]
	v_pk_mul_f32 v[16:17], v[18:19], v[26:27] op_sel:[1,0] op_sel_hi:[0,0]
	v_mov_b32_e32 v29, v3
	v_pk_fma_f32 v[2:3], v[14:15], v[6:7], v[4:5] neg_lo:[0,0,1] neg_hi:[0,0,1]
	v_pk_fma_f32 v[4:5], v[14:15], v[6:7], v[4:5] op_sel_hi:[1,0,1]
	v_mov_b32_e32 v13, v9
	v_pk_fma_f32 v[6:7], v[18:19], v[10:11], v[16:17] neg_lo:[0,0,1] neg_hi:[0,0,1]
	v_pk_fma_f32 v[8:9], v[18:19], v[10:11], v[16:17] op_sel_hi:[1,0,1]
	v_pk_add_f32 v[10:11], v[28:29], 0 op_sel_hi:[1,0]
	v_mov_b32_e32 v3, v5
	v_pk_add_f32 v[2:3], v[10:11], v[2:3]
	v_mov_b32_e32 v7, v9
	v_pk_add_f32 v[2:3], v[2:3], v[12:13]
	s_nop 0
	v_pk_add_f32 v[2:3], v[2:3], v[6:7]
	s_waitcnt vmcnt(0)
	v_pk_add_f32 v[2:3], v[20:21], v[2:3] neg_lo:[0,1] neg_hi:[0,1]
	scratch_store_dwordx2 off, v[2:3], off offset:336
	s_and_saveexec_b64 s[0:1], vcc
	s_cbranch_execz .LBB110_213
; %bb.212:
	scratch_load_dwordx2 v[2:3], off, off offset:328
	v_mov_b32_e32 v4, 0
	v_mov_b32_e32 v5, v4
	scratch_store_dwordx2 off, v[4:5], off offset:328
	s_waitcnt vmcnt(1)
	ds_write_b64 v1, v[2:3]
.LBB110_213:
	s_or_b64 exec, exec, s[0:1]
	s_waitcnt lgkmcnt(0)
	; wave barrier
	scratch_load_dwordx4 v[4:7], off, off offset:336
	scratch_load_dwordx4 v[8:11], off, off offset:352
	scratch_load_dwordx2 v[20:21], off, off offset:368
	v_mov_b32_e32 v2, 0
	ds_read_b128 v[12:15], v2 offset:720
	ds_read_b128 v[16:19], v2 offset:736
	ds_read_b64 v[22:23], v2 offset:752
	v_cmp_lt_u32_e32 vcc, 40, v0
	s_waitcnt vmcnt(2) lgkmcnt(2)
	v_pk_mul_f32 v[24:25], v[12:13], v[4:5] op_sel:[1,1] op_sel_hi:[0,1]
	v_pk_fma_f32 v[26:27], v[12:13], v[4:5], v[24:25] neg_lo:[0,0,1] neg_hi:[0,0,1]
	v_pk_fma_f32 v[4:5], v[12:13], v[4:5], v[24:25] op_sel_hi:[1,0,1]
	v_mov_b32_e32 v12, v7
	v_pk_mul_f32 v[12:13], v[14:15], v[12:13] op_sel:[1,0] op_sel_hi:[0,0]
	v_pk_fma_f32 v[24:25], v[14:15], v[6:7], v[12:13] neg_lo:[0,0,1] neg_hi:[0,0,1]
	v_pk_fma_f32 v[6:7], v[14:15], v[6:7], v[12:13] op_sel_hi:[1,0,1]
	v_mov_b32_e32 v27, v5
	v_mov_b32_e32 v25, v7
	s_waitcnt vmcnt(1) lgkmcnt(1)
	v_pk_mul_f32 v[6:7], v[16:17], v[8:9] op_sel:[1,1] op_sel_hi:[0,1]
	v_pk_fma_f32 v[12:13], v[16:17], v[8:9], v[6:7] neg_lo:[0,0,1] neg_hi:[0,0,1]
	v_pk_fma_f32 v[6:7], v[16:17], v[8:9], v[6:7] op_sel_hi:[1,0,1]
	v_pk_add_f32 v[4:5], v[26:27], 0 op_sel_hi:[1,0]
	v_mov_b32_e32 v6, v11
	v_mov_b32_e32 v13, v7
	v_pk_mul_f32 v[6:7], v[18:19], v[6:7] op_sel:[1,0] op_sel_hi:[0,0]
	v_pk_add_f32 v[4:5], v[4:5], v[24:25]
	v_pk_fma_f32 v[8:9], v[18:19], v[10:11], v[6:7] neg_lo:[0,0,1] neg_hi:[0,0,1]
	v_pk_fma_f32 v[6:7], v[18:19], v[10:11], v[6:7] op_sel_hi:[1,0,1]
	v_pk_add_f32 v[4:5], v[4:5], v[12:13]
	v_mov_b32_e32 v9, v7
	s_waitcnt vmcnt(0) lgkmcnt(0)
	v_pk_mul_f32 v[6:7], v[22:23], v[20:21] op_sel:[1,1] op_sel_hi:[0,1]
	v_pk_add_f32 v[4:5], v[4:5], v[8:9]
	v_pk_fma_f32 v[8:9], v[22:23], v[20:21], v[6:7] neg_lo:[0,0,1] neg_hi:[0,0,1]
	v_pk_fma_f32 v[6:7], v[22:23], v[20:21], v[6:7] op_sel_hi:[1,0,1]
	s_nop 0
	v_mov_b32_e32 v9, v7
	scratch_load_dwordx2 v[6:7], off, off offset:328
	v_pk_add_f32 v[4:5], v[4:5], v[8:9]
	s_waitcnt vmcnt(0)
	v_pk_add_f32 v[4:5], v[6:7], v[4:5] neg_lo:[0,1] neg_hi:[0,1]
	scratch_store_dwordx2 off, v[4:5], off offset:328
	s_and_saveexec_b64 s[0:1], vcc
	s_cbranch_execz .LBB110_215
; %bb.214:
	scratch_load_dwordx2 v[4:5], off, off offset:320
	v_mov_b32_e32 v3, v2
	scratch_store_dwordx2 off, v[2:3], off offset:320
	s_waitcnt vmcnt(1)
	ds_write_b64 v1, v[4:5]
.LBB110_215:
	s_or_b64 exec, exec, s[0:1]
	s_waitcnt lgkmcnt(0)
	; wave barrier
	scratch_load_dwordx4 v[4:7], off, off offset:328
	scratch_load_dwordx4 v[8:11], off, off offset:344
	;; [unrolled: 1-line block ×3, first 2 shown]
	ds_read2_b64 v[16:19], v2 offset0:89 offset1:90
	ds_read2_b64 v[20:23], v2 offset0:91 offset1:92
	;; [unrolled: 1-line block ×3, first 2 shown]
	v_cmp_lt_u32_e32 vcc, 39, v0
	s_waitcnt vmcnt(2) lgkmcnt(2)
	v_pk_mul_f32 v[2:3], v[16:17], v[4:5] op_sel:[1,1] op_sel_hi:[0,1]
	v_pk_fma_f32 v[28:29], v[16:17], v[4:5], v[2:3] neg_lo:[0,0,1] neg_hi:[0,0,1]
	v_pk_fma_f32 v[2:3], v[16:17], v[4:5], v[2:3] op_sel_hi:[1,0,1]
	v_mov_b32_e32 v4, v7
	v_pk_mul_f32 v[4:5], v[18:19], v[4:5] op_sel:[1,0] op_sel_hi:[0,0]
	v_pk_fma_f32 v[16:17], v[18:19], v[6:7], v[4:5] neg_lo:[0,0,1] neg_hi:[0,0,1]
	v_pk_fma_f32 v[4:5], v[18:19], v[6:7], v[4:5] op_sel_hi:[1,0,1]
	v_mov_b32_e32 v29, v3
	v_mov_b32_e32 v17, v5
	s_waitcnt vmcnt(1) lgkmcnt(1)
	v_pk_mul_f32 v[4:5], v[20:21], v[8:9] op_sel:[1,1] op_sel_hi:[0,1]
	v_pk_fma_f32 v[6:7], v[20:21], v[8:9], v[4:5] neg_lo:[0,0,1] neg_hi:[0,0,1]
	v_pk_fma_f32 v[4:5], v[20:21], v[8:9], v[4:5] op_sel_hi:[1,0,1]
	v_pk_add_f32 v[2:3], v[28:29], 0 op_sel_hi:[1,0]
	v_mov_b32_e32 v4, v11
	v_pk_add_f32 v[2:3], v[2:3], v[16:17]
	v_mov_b32_e32 v7, v5
	v_pk_mul_f32 v[4:5], v[22:23], v[4:5] op_sel:[1,0] op_sel_hi:[0,0]
	v_pk_add_f32 v[2:3], v[2:3], v[6:7]
	v_pk_fma_f32 v[6:7], v[22:23], v[10:11], v[4:5] neg_lo:[0,0,1] neg_hi:[0,0,1]
	v_pk_fma_f32 v[4:5], v[22:23], v[10:11], v[4:5] op_sel_hi:[1,0,1]
	s_nop 0
	v_mov_b32_e32 v7, v5
	s_waitcnt vmcnt(0) lgkmcnt(0)
	v_pk_mul_f32 v[4:5], v[24:25], v[12:13] op_sel:[1,1] op_sel_hi:[0,1]
	v_pk_add_f32 v[2:3], v[2:3], v[6:7]
	v_pk_fma_f32 v[6:7], v[24:25], v[12:13], v[4:5] neg_lo:[0,0,1] neg_hi:[0,0,1]
	v_pk_fma_f32 v[4:5], v[24:25], v[12:13], v[4:5] op_sel_hi:[1,0,1]
	s_nop 0
	v_mov_b32_e32 v4, v15
	v_mov_b32_e32 v7, v5
	v_pk_mul_f32 v[4:5], v[26:27], v[4:5] op_sel:[1,0] op_sel_hi:[0,0]
	v_pk_add_f32 v[2:3], v[2:3], v[6:7]
	v_pk_fma_f32 v[6:7], v[26:27], v[14:15], v[4:5] neg_lo:[0,0,1] neg_hi:[0,0,1]
	v_pk_fma_f32 v[4:5], v[26:27], v[14:15], v[4:5] op_sel_hi:[1,0,1]
	s_nop 0
	v_mov_b32_e32 v7, v5
	scratch_load_dwordx2 v[4:5], off, off offset:320
	v_pk_add_f32 v[2:3], v[2:3], v[6:7]
	s_waitcnt vmcnt(0)
	v_pk_add_f32 v[2:3], v[4:5], v[2:3] neg_lo:[0,1] neg_hi:[0,1]
	scratch_store_dwordx2 off, v[2:3], off offset:320
	s_and_saveexec_b64 s[0:1], vcc
	s_cbranch_execz .LBB110_217
; %bb.216:
	scratch_load_dwordx2 v[2:3], off, off offset:312
	v_mov_b32_e32 v4, 0
	v_mov_b32_e32 v5, v4
	scratch_store_dwordx2 off, v[4:5], off offset:312
	s_waitcnt vmcnt(1)
	ds_write_b64 v1, v[2:3]
.LBB110_217:
	s_or_b64 exec, exec, s[0:1]
	s_waitcnt lgkmcnt(0)
	; wave barrier
	scratch_load_dwordx4 v[4:7], off, off offset:320
	scratch_load_dwordx4 v[8:11], off, off offset:336
	scratch_load_dwordx4 v[12:15], off, off offset:352
	scratch_load_dwordx2 v[28:29], off, off offset:368
	scratch_load_dwordx2 v[30:31], off, off offset:312
	v_mov_b32_e32 v2, 0
	ds_read_b128 v[16:19], v2 offset:704
	ds_read_b128 v[20:23], v2 offset:720
	;; [unrolled: 1-line block ×3, first 2 shown]
	ds_read_b64 v[32:33], v2 offset:752
	v_cmp_lt_u32_e32 vcc, 38, v0
	s_waitcnt vmcnt(4) lgkmcnt(3)
	v_pk_mul_f32 v[34:35], v[16:17], v[4:5] op_sel:[1,1] op_sel_hi:[0,1]
	v_mov_b32_e32 v36, v7
	v_pk_fma_f32 v[48:49], v[16:17], v[4:5], v[34:35] neg_lo:[0,0,1] neg_hi:[0,0,1]
	v_pk_fma_f32 v[4:5], v[16:17], v[4:5], v[34:35] op_sel_hi:[1,0,1]
	v_pk_mul_f32 v[16:17], v[18:19], v[36:37] op_sel:[1,0] op_sel_hi:[0,0]
	s_waitcnt vmcnt(3) lgkmcnt(2)
	v_pk_mul_f32 v[38:39], v[20:21], v[8:9] op_sel:[1,1] op_sel_hi:[0,1]
	v_mov_b32_e32 v40, v11
	v_mov_b32_e32 v49, v5
	v_pk_fma_f32 v[4:5], v[18:19], v[6:7], v[16:17] neg_lo:[0,0,1] neg_hi:[0,0,1]
	v_pk_fma_f32 v[6:7], v[18:19], v[6:7], v[16:17] op_sel_hi:[1,0,1]
	v_pk_fma_f32 v[34:35], v[20:21], v[8:9], v[38:39] neg_lo:[0,0,1] neg_hi:[0,0,1]
	v_pk_fma_f32 v[8:9], v[20:21], v[8:9], v[38:39] op_sel_hi:[1,0,1]
	v_pk_mul_f32 v[20:21], v[22:23], v[40:41] op_sel:[1,0] op_sel_hi:[0,0]
	v_pk_add_f32 v[16:17], v[48:49], 0 op_sel_hi:[1,0]
	v_mov_b32_e32 v5, v7
	s_waitcnt vmcnt(2) lgkmcnt(1)
	v_pk_mul_f32 v[42:43], v[24:25], v[12:13] op_sel:[1,1] op_sel_hi:[0,1]
	v_mov_b32_e32 v44, v15
	v_mov_b32_e32 v35, v9
	v_pk_fma_f32 v[8:9], v[22:23], v[10:11], v[20:21] neg_lo:[0,0,1] neg_hi:[0,0,1]
	v_pk_fma_f32 v[10:11], v[22:23], v[10:11], v[20:21] op_sel_hi:[1,0,1]
	v_pk_add_f32 v[4:5], v[16:17], v[4:5]
	v_pk_fma_f32 v[36:37], v[24:25], v[12:13], v[42:43] neg_lo:[0,0,1] neg_hi:[0,0,1]
	v_pk_fma_f32 v[12:13], v[24:25], v[12:13], v[42:43] op_sel_hi:[1,0,1]
	v_pk_mul_f32 v[24:25], v[26:27], v[44:45] op_sel:[1,0] op_sel_hi:[0,0]
	v_mov_b32_e32 v9, v11
	v_pk_add_f32 v[4:5], v[4:5], v[34:35]
	s_waitcnt vmcnt(1) lgkmcnt(0)
	v_pk_mul_f32 v[46:47], v[32:33], v[28:29] op_sel:[1,1] op_sel_hi:[0,1]
	v_mov_b32_e32 v37, v13
	v_pk_fma_f32 v[12:13], v[26:27], v[14:15], v[24:25] neg_lo:[0,0,1] neg_hi:[0,0,1]
	v_pk_fma_f32 v[14:15], v[26:27], v[14:15], v[24:25] op_sel_hi:[1,0,1]
	v_pk_add_f32 v[4:5], v[4:5], v[8:9]
	v_pk_fma_f32 v[38:39], v[32:33], v[28:29], v[46:47] neg_lo:[0,0,1] neg_hi:[0,0,1]
	v_pk_fma_f32 v[28:29], v[32:33], v[28:29], v[46:47] op_sel_hi:[1,0,1]
	v_mov_b32_e32 v13, v15
	v_pk_add_f32 v[4:5], v[4:5], v[36:37]
	v_mov_b32_e32 v39, v29
	v_pk_add_f32 v[4:5], v[4:5], v[12:13]
	s_nop 0
	v_pk_add_f32 v[4:5], v[4:5], v[38:39]
	s_waitcnt vmcnt(0)
	v_pk_add_f32 v[4:5], v[30:31], v[4:5] neg_lo:[0,1] neg_hi:[0,1]
	scratch_store_dwordx2 off, v[4:5], off offset:312
	s_and_saveexec_b64 s[0:1], vcc
	s_cbranch_execz .LBB110_219
; %bb.218:
	scratch_load_dwordx2 v[4:5], off, off offset:304
	v_mov_b32_e32 v3, v2
	scratch_store_dwordx2 off, v[2:3], off offset:304
	s_waitcnt vmcnt(1)
	ds_write_b64 v1, v[4:5]
.LBB110_219:
	s_or_b64 exec, exec, s[0:1]
	s_waitcnt lgkmcnt(0)
	; wave barrier
	scratch_load_dwordx4 v[4:7], off, off offset:312
	scratch_load_dwordx4 v[8:11], off, off offset:328
	;; [unrolled: 1-line block ×4, first 2 shown]
	scratch_load_dwordx2 v[36:37], off, off offset:304
	ds_read2_b64 v[20:23], v2 offset0:87 offset1:88
	ds_read2_b64 v[24:27], v2 offset0:89 offset1:90
	;; [unrolled: 1-line block ×4, first 2 shown]
	v_cmp_lt_u32_e32 vcc, 37, v0
	s_waitcnt vmcnt(4) lgkmcnt(3)
	v_pk_mul_f32 v[2:3], v[20:21], v[4:5] op_sel:[1,1] op_sel_hi:[0,1]
	v_mov_b32_e32 v38, v7
	s_waitcnt vmcnt(3) lgkmcnt(2)
	v_pk_mul_f32 v[40:41], v[24:25], v[8:9] op_sel:[1,1] op_sel_hi:[0,1]
	v_mov_b32_e32 v42, v11
	;; [unrolled: 3-line block ×4, first 2 shown]
	v_pk_fma_f32 v[52:53], v[20:21], v[4:5], v[2:3] neg_lo:[0,0,1] neg_hi:[0,0,1]
	v_pk_fma_f32 v[2:3], v[20:21], v[4:5], v[2:3] op_sel_hi:[1,0,1]
	v_pk_mul_f32 v[4:5], v[22:23], v[38:39] op_sel:[1,0] op_sel_hi:[0,0]
	v_pk_fma_f32 v[20:21], v[24:25], v[8:9], v[40:41] neg_lo:[0,0,1] neg_hi:[0,0,1]
	v_pk_fma_f32 v[8:9], v[24:25], v[8:9], v[40:41] op_sel_hi:[1,0,1]
	v_pk_mul_f32 v[24:25], v[26:27], v[42:43] op_sel:[1,0] op_sel_hi:[0,0]
	;; [unrolled: 3-line block ×4, first 2 shown]
	v_mov_b32_e32 v53, v3
	v_pk_fma_f32 v[2:3], v[22:23], v[6:7], v[4:5] neg_lo:[0,0,1] neg_hi:[0,0,1]
	v_pk_fma_f32 v[4:5], v[22:23], v[6:7], v[4:5] op_sel_hi:[1,0,1]
	v_mov_b32_e32 v21, v9
	v_pk_fma_f32 v[6:7], v[26:27], v[10:11], v[24:25] neg_lo:[0,0,1] neg_hi:[0,0,1]
	v_pk_fma_f32 v[8:9], v[26:27], v[10:11], v[24:25] op_sel_hi:[1,0,1]
	;; [unrolled: 3-line block ×4, first 2 shown]
	v_pk_add_f32 v[18:19], v[52:53], 0 op_sel_hi:[1,0]
	v_mov_b32_e32 v3, v5
	v_pk_add_f32 v[2:3], v[18:19], v[2:3]
	v_mov_b32_e32 v7, v9
	v_pk_add_f32 v[2:3], v[2:3], v[20:21]
	;; [unrolled: 2-line block ×4, first 2 shown]
	s_nop 0
	v_pk_add_f32 v[2:3], v[2:3], v[10:11]
	s_nop 0
	v_pk_add_f32 v[2:3], v[2:3], v[40:41]
	;; [unrolled: 2-line block ×3, first 2 shown]
	s_waitcnt vmcnt(0)
	v_pk_add_f32 v[2:3], v[36:37], v[2:3] neg_lo:[0,1] neg_hi:[0,1]
	scratch_store_dwordx2 off, v[2:3], off offset:304
	s_and_saveexec_b64 s[0:1], vcc
	s_cbranch_execz .LBB110_221
; %bb.220:
	scratch_load_dwordx2 v[2:3], off, off offset:296
	v_mov_b32_e32 v4, 0
	v_mov_b32_e32 v5, v4
	scratch_store_dwordx2 off, v[4:5], off offset:296
	s_waitcnt vmcnt(1)
	ds_write_b64 v1, v[2:3]
.LBB110_221:
	s_or_b64 exec, exec, s[0:1]
	s_waitcnt lgkmcnt(0)
	; wave barrier
	scratch_load_dwordx4 v[4:7], off, off offset:304
	scratch_load_dwordx4 v[8:11], off, off offset:320
	;; [unrolled: 1-line block ×4, first 2 shown]
	scratch_load_dwordx2 v[36:37], off, off offset:368
	scratch_load_dwordx2 v[38:39], off, off offset:296
	v_mov_b32_e32 v2, 0
	ds_read_b128 v[20:23], v2 offset:688
	ds_read_b128 v[24:27], v2 offset:704
	;; [unrolled: 1-line block ×4, first 2 shown]
	ds_read_b64 v[40:41], v2 offset:752
	v_cmp_lt_u32_e32 vcc, 36, v0
	s_waitcnt vmcnt(5) lgkmcnt(4)
	v_mul_f32_e32 v43, v20, v5
	v_mul_f32_e32 v3, v21, v5
	v_mov_b32_e32 v44, v7
	s_waitcnt vmcnt(4) lgkmcnt(3)
	v_pk_mul_f32 v[46:47], v[24:25], v[8:9] op_sel:[1,1] op_sel_hi:[0,1]
	v_mov_b32_e32 v48, v11
	s_waitcnt vmcnt(1) lgkmcnt(0)
	v_pk_mul_f32 v[58:59], v[40:41], v[36:37] op_sel:[1,1] op_sel_hi:[0,1]
	v_fmac_f32_e32 v43, v21, v4
	v_fma_f32 v42, v20, v4, -v3
	v_pk_mul_f32 v[4:5], v[22:23], v[44:45] op_sel:[1,0] op_sel_hi:[0,0]
	v_pk_fma_f32 v[20:21], v[24:25], v[8:9], v[46:47] neg_lo:[0,0,1] neg_hi:[0,0,1]
	v_pk_fma_f32 v[8:9], v[24:25], v[8:9], v[46:47] op_sel_hi:[1,0,1]
	v_pk_mul_f32 v[24:25], v[26:27], v[48:49] op_sel:[1,0] op_sel_hi:[0,0]
	v_pk_fma_f32 v[48:49], v[40:41], v[36:37], v[58:59] neg_lo:[0,0,1] neg_hi:[0,0,1]
	v_pk_fma_f32 v[36:37], v[40:41], v[36:37], v[58:59] op_sel_hi:[1,0,1]
	v_pk_add_f32 v[40:41], v[42:43], 0 op_sel_hi:[1,0]
	v_pk_fma_f32 v[42:43], v[22:23], v[6:7], v[4:5] neg_lo:[0,0,1] neg_hi:[0,0,1]
	v_pk_fma_f32 v[4:5], v[22:23], v[6:7], v[4:5] op_sel_hi:[1,0,1]
	v_pk_mul_f32 v[50:51], v[28:29], v[12:13] op_sel:[1,1] op_sel_hi:[0,1]
	v_mov_b32_e32 v43, v5
	v_mov_b32_e32 v52, v15
	;; [unrolled: 1-line block ×3, first 2 shown]
	v_pk_fma_f32 v[6:7], v[26:27], v[10:11], v[24:25] neg_lo:[0,0,1] neg_hi:[0,0,1]
	v_pk_fma_f32 v[8:9], v[26:27], v[10:11], v[24:25] op_sel_hi:[1,0,1]
	v_pk_add_f32 v[4:5], v[40:41], v[42:43]
	v_pk_fma_f32 v[44:45], v[28:29], v[12:13], v[50:51] neg_lo:[0,0,1] neg_hi:[0,0,1]
	v_pk_fma_f32 v[12:13], v[28:29], v[12:13], v[50:51] op_sel_hi:[1,0,1]
	v_pk_mul_f32 v[28:29], v[30:31], v[52:53] op_sel:[1,0] op_sel_hi:[0,0]
	v_mov_b32_e32 v7, v9
	v_pk_add_f32 v[4:5], v[4:5], v[20:21]
	v_pk_mul_f32 v[54:55], v[32:33], v[16:17] op_sel:[1,1] op_sel_hi:[0,1]
	v_mov_b32_e32 v56, v19
	v_mov_b32_e32 v45, v13
	v_pk_fma_f32 v[10:11], v[30:31], v[14:15], v[28:29] neg_lo:[0,0,1] neg_hi:[0,0,1]
	v_pk_fma_f32 v[12:13], v[30:31], v[14:15], v[28:29] op_sel_hi:[1,0,1]
	v_pk_add_f32 v[4:5], v[4:5], v[6:7]
	v_pk_fma_f32 v[46:47], v[32:33], v[16:17], v[54:55] neg_lo:[0,0,1] neg_hi:[0,0,1]
	v_pk_fma_f32 v[16:17], v[32:33], v[16:17], v[54:55] op_sel_hi:[1,0,1]
	v_pk_mul_f32 v[32:33], v[34:35], v[56:57] op_sel:[1,0] op_sel_hi:[0,0]
	v_mov_b32_e32 v11, v13
	v_pk_add_f32 v[4:5], v[4:5], v[44:45]
	v_mov_b32_e32 v47, v17
	v_pk_fma_f32 v[14:15], v[34:35], v[18:19], v[32:33] neg_lo:[0,0,1] neg_hi:[0,0,1]
	v_pk_fma_f32 v[16:17], v[34:35], v[18:19], v[32:33] op_sel_hi:[1,0,1]
	v_pk_add_f32 v[4:5], v[4:5], v[10:11]
	v_mov_b32_e32 v15, v17
	v_pk_add_f32 v[4:5], v[4:5], v[46:47]
	v_mov_b32_e32 v49, v37
	v_pk_add_f32 v[4:5], v[4:5], v[14:15]
	s_nop 0
	v_pk_add_f32 v[4:5], v[4:5], v[48:49]
	s_waitcnt vmcnt(0)
	v_pk_add_f32 v[4:5], v[38:39], v[4:5] neg_lo:[0,1] neg_hi:[0,1]
	scratch_store_dwordx2 off, v[4:5], off offset:296
	s_and_saveexec_b64 s[0:1], vcc
	s_cbranch_execz .LBB110_223
; %bb.222:
	scratch_load_dwordx2 v[4:5], off, off offset:288
	v_mov_b32_e32 v3, v2
	scratch_store_dwordx2 off, v[2:3], off offset:288
	s_waitcnt vmcnt(1)
	ds_write_b64 v1, v[4:5]
.LBB110_223:
	s_or_b64 exec, exec, s[0:1]
	s_waitcnt lgkmcnt(0)
	; wave barrier
	scratch_load_dwordx4 v[4:7], off, off offset:296
	scratch_load_dwordx4 v[8:11], off, off offset:312
	;; [unrolled: 1-line block ×5, first 2 shown]
	scratch_load_dwordx2 v[44:45], off, off offset:288
	ds_read2_b64 v[24:27], v2 offset0:85 offset1:86
	ds_read2_b64 v[28:31], v2 offset0:87 offset1:88
	;; [unrolled: 1-line block ×5, first 2 shown]
	v_cmp_lt_u32_e32 vcc, 35, v0
	s_waitcnt vmcnt(5) lgkmcnt(4)
	v_mul_f32_e32 v3, v24, v5
	v_mul_f32_e32 v2, v25, v5
	;; [unrolled: 1-line block ×4, first 2 shown]
	s_waitcnt vmcnt(4) lgkmcnt(3)
	v_pk_mul_f32 v[48:49], v[28:29], v[8:9] op_sel:[1,1] op_sel_hi:[0,1]
	v_mov_b32_e32 v50, v11
	v_fmac_f32_e32 v3, v25, v4
	v_fma_f32 v2, v24, v4, -v2
	v_fmac_f32_e32 v47, v27, v6
	v_fma_f32 v46, v26, v6, -v5
	v_pk_fma_f32 v[4:5], v[28:29], v[8:9], v[48:49] neg_lo:[0,0,1] neg_hi:[0,0,1]
	v_pk_fma_f32 v[6:7], v[28:29], v[8:9], v[48:49] op_sel_hi:[1,0,1]
	v_pk_mul_f32 v[8:9], v[30:31], v[50:51] op_sel:[1,0] op_sel_hi:[0,0]
	v_pk_add_f32 v[2:3], v[2:3], 0 op_sel_hi:[1,0]
	s_waitcnt vmcnt(3) lgkmcnt(2)
	v_pk_mul_f32 v[52:53], v[32:33], v[12:13] op_sel:[1,1] op_sel_hi:[0,1]
	v_mov_b32_e32 v54, v15
	v_mov_b32_e32 v5, v7
	v_pk_fma_f32 v[6:7], v[30:31], v[10:11], v[8:9] neg_lo:[0,0,1] neg_hi:[0,0,1]
	v_pk_fma_f32 v[8:9], v[30:31], v[10:11], v[8:9] op_sel_hi:[1,0,1]
	v_pk_add_f32 v[2:3], v[2:3], v[46:47]
	v_pk_fma_f32 v[24:25], v[32:33], v[12:13], v[52:53] neg_lo:[0,0,1] neg_hi:[0,0,1]
	v_pk_fma_f32 v[12:13], v[32:33], v[12:13], v[52:53] op_sel_hi:[1,0,1]
	v_pk_mul_f32 v[26:27], v[34:35], v[54:55] op_sel:[1,0] op_sel_hi:[0,0]
	v_mov_b32_e32 v7, v9
	v_pk_add_f32 v[2:3], v[2:3], v[4:5]
	s_waitcnt vmcnt(2) lgkmcnt(1)
	v_pk_mul_f32 v[56:57], v[36:37], v[16:17] op_sel:[1,1] op_sel_hi:[0,1]
	v_mov_b32_e32 v58, v19
	v_mov_b32_e32 v25, v13
	v_pk_fma_f32 v[10:11], v[34:35], v[14:15], v[26:27] neg_lo:[0,0,1] neg_hi:[0,0,1]
	v_pk_fma_f32 v[12:13], v[34:35], v[14:15], v[26:27] op_sel_hi:[1,0,1]
	v_pk_add_f32 v[2:3], v[2:3], v[6:7]
	v_pk_fma_f32 v[28:29], v[36:37], v[16:17], v[56:57] neg_lo:[0,0,1] neg_hi:[0,0,1]
	v_pk_fma_f32 v[16:17], v[36:37], v[16:17], v[56:57] op_sel_hi:[1,0,1]
	v_pk_mul_f32 v[32:33], v[38:39], v[58:59] op_sel:[1,0] op_sel_hi:[0,0]
	v_mov_b32_e32 v11, v13
	v_pk_add_f32 v[2:3], v[2:3], v[24:25]
	;; [unrolled: 12-line block ×3, first 2 shown]
	v_mov_b32_e32 v37, v21
	v_pk_fma_f32 v[18:19], v[42:43], v[22:23], v[40:41] neg_lo:[0,0,1] neg_hi:[0,0,1]
	v_pk_fma_f32 v[20:21], v[42:43], v[22:23], v[40:41] op_sel_hi:[1,0,1]
	v_pk_add_f32 v[2:3], v[2:3], v[14:15]
	v_mov_b32_e32 v19, v21
	v_pk_add_f32 v[2:3], v[2:3], v[36:37]
	s_nop 0
	v_pk_add_f32 v[2:3], v[2:3], v[18:19]
	s_waitcnt vmcnt(0)
	v_pk_add_f32 v[2:3], v[44:45], v[2:3] neg_lo:[0,1] neg_hi:[0,1]
	scratch_store_dwordx2 off, v[2:3], off offset:288
	s_and_saveexec_b64 s[0:1], vcc
	s_cbranch_execz .LBB110_225
; %bb.224:
	scratch_load_dwordx2 v[2:3], off, off offset:280
	v_mov_b32_e32 v4, 0
	v_mov_b32_e32 v5, v4
	scratch_store_dwordx2 off, v[4:5], off offset:280
	s_waitcnt vmcnt(1)
	ds_write_b64 v1, v[2:3]
.LBB110_225:
	s_or_b64 exec, exec, s[0:1]
	s_waitcnt lgkmcnt(0)
	; wave barrier
	scratch_load_dwordx4 v[4:7], off, off offset:288
	scratch_load_dwordx4 v[8:11], off, off offset:304
	;; [unrolled: 1-line block ×5, first 2 shown]
	scratch_load_dwordx2 v[44:45], off, off offset:368
	scratch_load_dwordx2 v[46:47], off, off offset:280
	v_mov_b32_e32 v2, 0
	ds_read_b128 v[24:27], v2 offset:672
	ds_read_b128 v[28:31], v2 offset:688
	;; [unrolled: 1-line block ×5, first 2 shown]
	ds_read_b64 v[48:49], v2 offset:752
	v_cmp_lt_u32_e32 vcc, 34, v0
	s_waitcnt vmcnt(6) lgkmcnt(5)
	v_mul_f32_e32 v3, v24, v5
	v_mul_f32_e32 v5, v25, v5
	;; [unrolled: 1-line block ×3, first 2 shown]
	s_waitcnt vmcnt(5) lgkmcnt(4)
	v_mul_f32_e32 v53, v28, v9
	v_mul_f32_e32 v7, v27, v7
	;; [unrolled: 1-line block ×3, first 2 shown]
	v_mov_b32_e32 v54, v11
	s_waitcnt vmcnt(3) lgkmcnt(2)
	v_pk_mul_f32 v[60:61], v[36:37], v[16:17] op_sel:[1,1] op_sel_hi:[0,1]
	s_waitcnt vmcnt(2) lgkmcnt(1)
	v_pk_mul_f32 v[64:65], v[40:41], v[20:21] op_sel:[1,1] op_sel_hi:[0,1]
	;; [unrolled: 2-line block ×3, first 2 shown]
	v_fmac_f32_e32 v3, v25, v4
	v_fma_f32 v55, v24, v4, -v5
	v_fmac_f32_e32 v51, v27, v6
	v_fmac_f32_e32 v53, v29, v8
	v_fma_f32 v50, v26, v6, -v7
	v_fma_f32 v52, v28, v8, -v9
	v_pk_mul_f32 v[4:5], v[30:31], v[54:55] op_sel:[1,0] op_sel_hi:[0,0]
	v_pk_fma_f32 v[24:25], v[36:37], v[16:17], v[60:61] neg_lo:[0,0,1] neg_hi:[0,0,1]
	v_pk_fma_f32 v[16:17], v[36:37], v[16:17], v[60:61] op_sel_hi:[1,0,1]
	v_pk_fma_f32 v[28:29], v[40:41], v[20:21], v[64:65] neg_lo:[0,0,1] neg_hi:[0,0,1]
	v_pk_fma_f32 v[20:21], v[40:41], v[20:21], v[64:65] op_sel_hi:[1,0,1]
	;; [unrolled: 2-line block ×3, first 2 shown]
	v_add_f32_e32 v45, 0, v3
	v_add_f32_e32 v44, 0, v55
	v_pk_mul_f32 v[56:57], v[32:33], v[12:13] op_sel:[1,1] op_sel_hi:[0,1]
	v_mov_b32_e32 v58, v15
	v_pk_fma_f32 v[48:49], v[30:31], v[10:11], v[4:5] neg_lo:[0,0,1] neg_hi:[0,0,1]
	v_pk_fma_f32 v[4:5], v[30:31], v[10:11], v[4:5] op_sel_hi:[1,0,1]
	v_mov_b32_e32 v29, v21
	v_pk_add_f32 v[20:21], v[44:45], v[50:51]
	v_pk_fma_f32 v[6:7], v[32:33], v[12:13], v[56:57] neg_lo:[0,0,1] neg_hi:[0,0,1]
	v_pk_fma_f32 v[8:9], v[32:33], v[12:13], v[56:57] op_sel_hi:[1,0,1]
	v_pk_mul_f32 v[12:13], v[34:35], v[58:59] op_sel:[1,0] op_sel_hi:[0,0]
	v_mov_b32_e32 v49, v5
	v_pk_add_f32 v[4:5], v[20:21], v[52:53]
	v_mov_b32_e32 v62, v19
	v_mov_b32_e32 v7, v9
	v_pk_fma_f32 v[8:9], v[34:35], v[14:15], v[12:13] neg_lo:[0,0,1] neg_hi:[0,0,1]
	v_pk_fma_f32 v[10:11], v[34:35], v[14:15], v[12:13] op_sel_hi:[1,0,1]
	v_pk_add_f32 v[4:5], v[4:5], v[48:49]
	v_pk_mul_f32 v[26:27], v[38:39], v[62:63] op_sel:[1,0] op_sel_hi:[0,0]
	v_mov_b32_e32 v9, v11
	v_pk_add_f32 v[4:5], v[4:5], v[6:7]
	v_mov_b32_e32 v66, v23
	v_mov_b32_e32 v25, v17
	v_pk_fma_f32 v[12:13], v[38:39], v[18:19], v[26:27] neg_lo:[0,0,1] neg_hi:[0,0,1]
	v_pk_fma_f32 v[14:15], v[38:39], v[18:19], v[26:27] op_sel_hi:[1,0,1]
	v_pk_add_f32 v[4:5], v[4:5], v[8:9]
	v_pk_mul_f32 v[32:33], v[42:43], v[66:67] op_sel:[1,0] op_sel_hi:[0,0]
	v_mov_b32_e32 v13, v15
	v_pk_add_f32 v[4:5], v[4:5], v[24:25]
	v_pk_fma_f32 v[16:17], v[42:43], v[22:23], v[32:33] neg_lo:[0,0,1] neg_hi:[0,0,1]
	v_pk_fma_f32 v[18:19], v[42:43], v[22:23], v[32:33] op_sel_hi:[1,0,1]
	v_pk_add_f32 v[4:5], v[4:5], v[12:13]
	v_mov_b32_e32 v17, v19
	v_pk_add_f32 v[4:5], v[4:5], v[28:29]
	v_mov_b32_e32 v37, v41
	v_pk_add_f32 v[4:5], v[4:5], v[16:17]
	s_nop 0
	v_pk_add_f32 v[4:5], v[4:5], v[36:37]
	s_waitcnt vmcnt(0)
	v_pk_add_f32 v[4:5], v[46:47], v[4:5] neg_lo:[0,1] neg_hi:[0,1]
	scratch_store_dwordx2 off, v[4:5], off offset:280
	s_and_saveexec_b64 s[0:1], vcc
	s_cbranch_execz .LBB110_227
; %bb.226:
	scratch_load_dwordx2 v[4:5], off, off offset:272
	v_mov_b32_e32 v3, v2
	scratch_store_dwordx2 off, v[2:3], off offset:272
	s_waitcnt vmcnt(1)
	ds_write_b64 v1, v[4:5]
.LBB110_227:
	s_or_b64 exec, exec, s[0:1]
	s_waitcnt lgkmcnt(0)
	; wave barrier
	scratch_load_dwordx4 v[4:7], off, off offset:280
	scratch_load_dwordx4 v[8:11], off, off offset:296
	;; [unrolled: 1-line block ×6, first 2 shown]
	scratch_load_dwordx2 v[52:53], off, off offset:272
	ds_read2_b64 v[28:31], v2 offset0:83 offset1:84
	ds_read2_b64 v[32:35], v2 offset0:85 offset1:86
	ds_read2_b64 v[36:39], v2 offset0:87 offset1:88
	ds_read2_b64 v[40:43], v2 offset0:89 offset1:90
	ds_read2_b64 v[44:47], v2 offset0:91 offset1:92
	ds_read2_b64 v[48:51], v2 offset0:93 offset1:94
	v_cmp_lt_u32_e32 vcc, 33, v0
	s_waitcnt vmcnt(6) lgkmcnt(5)
	v_mul_f32_e32 v59, v28, v5
	v_mul_f32_e32 v63, v30, v7
	s_waitcnt vmcnt(5) lgkmcnt(4)
	v_mul_f32_e32 v3, v32, v9
	v_mul_f32_e32 v2, v29, v5
	;; [unrolled: 1-line block ×4, first 2 shown]
	s_waitcnt vmcnt(1) lgkmcnt(0)
	v_pk_mul_f32 v[68:69], v[48:49], v[24:25] op_sel:[1,1] op_sel_hi:[0,1]
	v_pk_mul_f32 v[56:57], v[36:37], v[12:13] op_sel:[1,1] op_sel_hi:[0,1]
	v_fmac_f32_e32 v59, v29, v4
	v_fmac_f32_e32 v3, v33, v8
	v_fma_f32 v67, v28, v4, -v2
	v_fma_f32 v2, v32, v8, -v7
	v_pk_fma_f32 v[32:33], v[48:49], v[24:25], v[68:69] neg_lo:[0,0,1] neg_hi:[0,0,1]
	v_pk_fma_f32 v[24:25], v[48:49], v[24:25], v[68:69] op_sel_hi:[1,0,1]
	v_fmac_f32_e32 v63, v31, v6
	v_fma_f32 v71, v30, v6, -v5
	v_pk_fma_f32 v[4:5], v[36:37], v[12:13], v[56:57] neg_lo:[0,0,1] neg_hi:[0,0,1]
	v_pk_fma_f32 v[6:7], v[36:37], v[12:13], v[56:57] op_sel_hi:[1,0,1]
	v_add_f32_e32 v24, 0, v59
	v_add_f32_e32 v36, 0, v67
	v_mul_f32_e32 v55, v34, v11
	v_mul_f32_e32 v9, v35, v11
	v_mov_b32_e32 v58, v15
	v_mov_b32_e32 v33, v25
	v_add_f32_e32 v25, v24, v63
	v_add_f32_e32 v24, v36, v71
	v_fmac_f32_e32 v55, v35, v10
	v_fma_f32 v54, v34, v10, -v9
	v_pk_mul_f32 v[8:9], v[38:39], v[58:59] op_sel:[1,0] op_sel_hi:[0,0]
	v_pk_add_f32 v[2:3], v[24:25], v[2:3]
	v_pk_mul_f32 v[60:61], v[40:41], v[16:17] op_sel:[1,1] op_sel_hi:[0,1]
	v_mov_b32_e32 v62, v19
	v_mov_b32_e32 v5, v7
	v_pk_fma_f32 v[6:7], v[38:39], v[14:15], v[8:9] neg_lo:[0,0,1] neg_hi:[0,0,1]
	v_pk_fma_f32 v[8:9], v[38:39], v[14:15], v[8:9] op_sel_hi:[1,0,1]
	v_pk_add_f32 v[2:3], v[2:3], v[54:55]
	v_pk_fma_f32 v[10:11], v[40:41], v[16:17], v[60:61] neg_lo:[0,0,1] neg_hi:[0,0,1]
	v_pk_fma_f32 v[12:13], v[40:41], v[16:17], v[60:61] op_sel_hi:[1,0,1]
	v_pk_mul_f32 v[16:17], v[42:43], v[62:63] op_sel:[1,0] op_sel_hi:[0,0]
	v_mov_b32_e32 v7, v9
	v_pk_add_f32 v[2:3], v[2:3], v[4:5]
	v_pk_mul_f32 v[64:65], v[44:45], v[20:21] op_sel:[1,1] op_sel_hi:[0,1]
	v_mov_b32_e32 v66, v23
	v_mov_b32_e32 v11, v13
	v_pk_fma_f32 v[12:13], v[42:43], v[18:19], v[16:17] neg_lo:[0,0,1] neg_hi:[0,0,1]
	v_pk_fma_f32 v[14:15], v[42:43], v[18:19], v[16:17] op_sel_hi:[1,0,1]
	v_pk_add_f32 v[2:3], v[2:3], v[6:7]
	v_pk_fma_f32 v[28:29], v[44:45], v[20:21], v[64:65] neg_lo:[0,0,1] neg_hi:[0,0,1]
	v_pk_fma_f32 v[20:21], v[44:45], v[20:21], v[64:65] op_sel_hi:[1,0,1]
	v_pk_mul_f32 v[30:31], v[46:47], v[66:67] op_sel:[1,0] op_sel_hi:[0,0]
	v_mov_b32_e32 v13, v15
	v_pk_add_f32 v[2:3], v[2:3], v[10:11]
	v_mov_b32_e32 v70, v27
	v_mov_b32_e32 v29, v21
	v_pk_fma_f32 v[16:17], v[46:47], v[22:23], v[30:31] neg_lo:[0,0,1] neg_hi:[0,0,1]
	v_pk_fma_f32 v[18:19], v[46:47], v[22:23], v[30:31] op_sel_hi:[1,0,1]
	v_pk_add_f32 v[2:3], v[2:3], v[12:13]
	v_pk_mul_f32 v[34:35], v[50:51], v[70:71] op_sel:[1,0] op_sel_hi:[0,0]
	v_mov_b32_e32 v17, v19
	v_pk_add_f32 v[2:3], v[2:3], v[28:29]
	v_pk_fma_f32 v[20:21], v[50:51], v[26:27], v[34:35] neg_lo:[0,0,1] neg_hi:[0,0,1]
	v_pk_fma_f32 v[22:23], v[50:51], v[26:27], v[34:35] op_sel_hi:[1,0,1]
	v_pk_add_f32 v[2:3], v[2:3], v[16:17]
	v_mov_b32_e32 v21, v23
	v_pk_add_f32 v[2:3], v[2:3], v[32:33]
	s_nop 0
	v_pk_add_f32 v[2:3], v[2:3], v[20:21]
	s_waitcnt vmcnt(0)
	v_pk_add_f32 v[2:3], v[52:53], v[2:3] neg_lo:[0,1] neg_hi:[0,1]
	scratch_store_dwordx2 off, v[2:3], off offset:272
	s_and_saveexec_b64 s[0:1], vcc
	s_cbranch_execz .LBB110_229
; %bb.228:
	scratch_load_dwordx2 v[2:3], off, off offset:264
	v_mov_b32_e32 v4, 0
	v_mov_b32_e32 v5, v4
	scratch_store_dwordx2 off, v[4:5], off offset:264
	s_waitcnt vmcnt(1)
	ds_write_b64 v1, v[2:3]
.LBB110_229:
	s_or_b64 exec, exec, s[0:1]
	s_waitcnt lgkmcnt(0)
	; wave barrier
	scratch_load_dwordx4 v[4:7], off, off offset:272
	scratch_load_dwordx4 v[8:11], off, off offset:288
	;; [unrolled: 1-line block ×6, first 2 shown]
	scratch_load_dwordx2 v[52:53], off, off offset:368
	scratch_load_dwordx2 v[54:55], off, off offset:264
	v_mov_b32_e32 v2, 0
	ds_read_b128 v[28:31], v2 offset:656
	ds_read_b128 v[32:35], v2 offset:672
	ds_read_b128 v[36:39], v2 offset:688
	ds_read_b128 v[40:43], v2 offset:704
	ds_read_b128 v[44:47], v2 offset:720
	ds_read_b128 v[48:51], v2 offset:736
	ds_read_b64 v[56:57], v2 offset:752
	v_cmp_lt_u32_e32 vcc, 32, v0
	s_waitcnt vmcnt(7) lgkmcnt(6)
	v_mul_f32_e32 v63, v30, v7
	v_mul_f32_e32 v3, v28, v5
	s_waitcnt vmcnt(5) lgkmcnt(4)
	v_mul_f32_e32 v61, v36, v13
	v_mul_f32_e32 v5, v29, v5
	v_mov_b32_e32 v62, v15
	s_waitcnt vmcnt(2) lgkmcnt(1)
	v_pk_mul_f32 v[72:73], v[48:49], v[24:25] op_sel:[1,1] op_sel_hi:[0,1]
	v_fmac_f32_e32 v63, v31, v6
	v_mul_f32_e32 v7, v31, v7
	v_mul_f32_e32 v13, v37, v13
	v_fmac_f32_e32 v3, v29, v4
	v_fmac_f32_e32 v61, v37, v12
	v_fma_f32 v37, v28, v4, -v5
	v_pk_mul_f32 v[4:5], v[38:39], v[62:63] op_sel:[1,0] op_sel_hi:[0,0]
	v_pk_fma_f32 v[28:29], v[48:49], v[24:25], v[72:73] neg_lo:[0,0,1] neg_hi:[0,0,1]
	v_pk_fma_f32 v[24:25], v[48:49], v[24:25], v[72:73] op_sel_hi:[1,0,1]
	v_mul_f32_e32 v67, v32, v9
	v_mul_f32_e32 v9, v33, v9
	v_fma_f32 v71, v30, v6, -v7
	v_fma_f32 v60, v36, v12, -v13
	v_add_f32_e32 v3, 0, v3
	v_add_f32_e32 v24, 0, v37
	v_pk_fma_f32 v[36:37], v[38:39], v[14:15], v[4:5] neg_lo:[0,0,1] neg_hi:[0,0,1]
	v_pk_fma_f32 v[4:5], v[38:39], v[14:15], v[4:5] op_sel_hi:[1,0,1]
	v_mul_f32_e32 v59, v34, v11
	v_mul_f32_e32 v11, v35, v11
	v_fmac_f32_e32 v67, v33, v8
	v_fma_f32 v75, v32, v8, -v9
	v_add_f32_e32 v3, v3, v63
	v_add_f32_e32 v4, v24, v71
	v_fmac_f32_e32 v59, v35, v10
	v_fma_f32 v58, v34, v10, -v11
	v_mov_b32_e32 v37, v5
	v_add_f32_e32 v5, v3, v67
	v_add_f32_e32 v4, v4, v75
	v_pk_mul_f32 v[64:65], v[40:41], v[16:17] op_sel:[1,1] op_sel_hi:[0,1]
	v_mov_b32_e32 v66, v19
	v_pk_add_f32 v[4:5], v[4:5], v[58:59]
	v_pk_fma_f32 v[6:7], v[40:41], v[16:17], v[64:65] neg_lo:[0,0,1] neg_hi:[0,0,1]
	v_pk_fma_f32 v[8:9], v[40:41], v[16:17], v[64:65] op_sel_hi:[1,0,1]
	v_pk_mul_f32 v[10:11], v[42:43], v[66:67] op_sel:[1,0] op_sel_hi:[0,0]
	v_pk_add_f32 v[4:5], v[4:5], v[60:61]
	v_pk_mul_f32 v[68:69], v[44:45], v[20:21] op_sel:[1,1] op_sel_hi:[0,1]
	v_mov_b32_e32 v70, v23
	v_mov_b32_e32 v7, v9
	v_pk_fma_f32 v[8:9], v[42:43], v[18:19], v[10:11] neg_lo:[0,0,1] neg_hi:[0,0,1]
	v_pk_fma_f32 v[10:11], v[42:43], v[18:19], v[10:11] op_sel_hi:[1,0,1]
	v_pk_add_f32 v[4:5], v[4:5], v[36:37]
	v_pk_fma_f32 v[12:13], v[44:45], v[20:21], v[68:69] neg_lo:[0,0,1] neg_hi:[0,0,1]
	v_pk_fma_f32 v[16:17], v[44:45], v[20:21], v[68:69] op_sel_hi:[1,0,1]
	v_pk_mul_f32 v[20:21], v[46:47], v[70:71] op_sel:[1,0] op_sel_hi:[0,0]
	v_mov_b32_e32 v9, v11
	v_pk_add_f32 v[4:5], v[4:5], v[6:7]
	v_mov_b32_e32 v74, v27
	v_mov_b32_e32 v13, v17
	v_pk_fma_f32 v[14:15], v[46:47], v[22:23], v[20:21] neg_lo:[0,0,1] neg_hi:[0,0,1]
	v_pk_fma_f32 v[16:17], v[46:47], v[22:23], v[20:21] op_sel_hi:[1,0,1]
	v_pk_add_f32 v[4:5], v[4:5], v[8:9]
	v_pk_mul_f32 v[30:31], v[50:51], v[74:75] op_sel:[1,0] op_sel_hi:[0,0]
	v_mov_b32_e32 v15, v17
	v_pk_add_f32 v[4:5], v[4:5], v[12:13]
	s_waitcnt vmcnt(1) lgkmcnt(0)
	v_pk_mul_f32 v[76:77], v[56:57], v[52:53] op_sel:[1,1] op_sel_hi:[0,1]
	v_mov_b32_e32 v29, v25
	v_pk_fma_f32 v[18:19], v[50:51], v[26:27], v[30:31] neg_lo:[0,0,1] neg_hi:[0,0,1]
	v_pk_fma_f32 v[20:21], v[50:51], v[26:27], v[30:31] op_sel_hi:[1,0,1]
	v_pk_add_f32 v[4:5], v[4:5], v[14:15]
	v_pk_fma_f32 v[32:33], v[56:57], v[52:53], v[76:77] neg_lo:[0,0,1] neg_hi:[0,0,1]
	v_pk_fma_f32 v[34:35], v[56:57], v[52:53], v[76:77] op_sel_hi:[1,0,1]
	v_mov_b32_e32 v19, v21
	v_pk_add_f32 v[4:5], v[4:5], v[28:29]
	v_mov_b32_e32 v33, v35
	v_pk_add_f32 v[4:5], v[4:5], v[18:19]
	s_nop 0
	v_pk_add_f32 v[4:5], v[4:5], v[32:33]
	s_waitcnt vmcnt(0)
	v_pk_add_f32 v[4:5], v[54:55], v[4:5] neg_lo:[0,1] neg_hi:[0,1]
	scratch_store_dwordx2 off, v[4:5], off offset:264
	s_and_saveexec_b64 s[0:1], vcc
	s_cbranch_execz .LBB110_231
; %bb.230:
	scratch_load_dwordx2 v[4:5], off, off offset:256
	v_mov_b32_e32 v3, v2
	scratch_store_dwordx2 off, v[2:3], off offset:256
	s_waitcnt vmcnt(1)
	ds_write_b64 v1, v[4:5]
.LBB110_231:
	s_or_b64 exec, exec, s[0:1]
	s_waitcnt lgkmcnt(0)
	; wave barrier
	scratch_load_dwordx4 v[8:11], off, off offset:264
	scratch_load_dwordx4 v[16:19], off, off offset:280
	ds_read2_b64 v[4:7], v2 offset0:81 offset1:82
	scratch_load_dwordx4 v[24:27], off, off offset:296
	v_cmp_lt_u32_e32 vcc, 31, v0
	s_waitcnt vmcnt(2) lgkmcnt(0)
	v_mul_f32_e32 v3, v4, v9
	v_fmac_f32_e32 v3, v5, v8
	v_mul_f32_e32 v12, v6, v11
	v_add_f32_e32 v3, 0, v3
	v_fmac_f32_e32 v12, v7, v10
	v_add_f32_e32 v3, v3, v12
	ds_read2_b64 v[12:15], v2 offset0:83 offset1:84
	s_waitcnt vmcnt(1) lgkmcnt(0)
	v_mul_f32_e32 v20, v12, v17
	v_fmac_f32_e32 v20, v13, v16
	v_add_f32_e32 v3, v3, v20
	v_mul_f32_e32 v20, v14, v19
	v_fmac_f32_e32 v20, v15, v18
	v_add_f32_e32 v45, v3, v20
	ds_read2_b64 v[20:23], v2 offset0:85 offset1:86
	scratch_load_dwordx4 v[28:31], off, off offset:312
	scratch_load_dwordx4 v[32:35], off, off offset:328
	;; [unrolled: 1-line block ×4, first 2 shown]
	v_mul_f32_e32 v3, v5, v9
	v_fma_f32 v3, v4, v8, -v3
	v_mul_f32_e32 v4, v7, v11
	v_add_f32_e32 v3, 0, v3
	v_fma_f32 v4, v6, v10, -v4
	v_add_f32_e32 v3, v3, v4
	v_mul_f32_e32 v4, v13, v17
	v_fma_f32 v4, v12, v16, -v4
	v_add_f32_e32 v3, v3, v4
	v_mul_f32_e32 v4, v15, v19
	v_fma_f32 v4, v14, v18, -v4
	v_add_f32_e32 v44, v3, v4
	ds_read2_b64 v[4:7], v2 offset0:87 offset1:88
	ds_read2_b64 v[8:11], v2 offset0:89 offset1:90
	;; [unrolled: 1-line block ×4, first 2 shown]
	s_waitcnt vmcnt(4) lgkmcnt(4)
	v_mul_f32_e32 v47, v20, v25
	v_mul_f32_e32 v3, v21, v25
	v_fmac_f32_e32 v47, v21, v24
	v_mul_f32_e32 v49, v22, v27
	v_fma_f32 v46, v20, v24, -v3
	v_mul_f32_e32 v3, v23, v27
	v_fmac_f32_e32 v49, v23, v26
	v_fma_f32 v48, v22, v26, -v3
	v_pk_add_f32 v[2:3], v[44:45], v[46:47]
	s_waitcnt vmcnt(3) lgkmcnt(3)
	v_pk_mul_f32 v[20:21], v[4:5], v[28:29] op_sel:[1,1] op_sel_hi:[0,1]
	v_pk_fma_f32 v[22:23], v[4:5], v[28:29], v[20:21] neg_lo:[0,0,1] neg_hi:[0,0,1]
	v_pk_fma_f32 v[4:5], v[4:5], v[28:29], v[20:21] op_sel_hi:[1,0,1]
	v_pk_add_f32 v[2:3], v[2:3], v[48:49]
	v_mov_b32_e32 v4, v31
	v_mov_b32_e32 v23, v5
	v_pk_mul_f32 v[4:5], v[6:7], v[4:5] op_sel:[1,0] op_sel_hi:[0,0]
	v_pk_fma_f32 v[20:21], v[6:7], v[30:31], v[4:5] neg_lo:[0,0,1] neg_hi:[0,0,1]
	v_pk_fma_f32 v[4:5], v[6:7], v[30:31], v[4:5] op_sel_hi:[1,0,1]
	v_pk_add_f32 v[2:3], v[2:3], v[22:23]
	v_mov_b32_e32 v21, v5
	s_waitcnt vmcnt(2) lgkmcnt(2)
	v_pk_mul_f32 v[4:5], v[8:9], v[32:33] op_sel:[1,1] op_sel_hi:[0,1]
	v_pk_fma_f32 v[6:7], v[8:9], v[32:33], v[4:5] neg_lo:[0,0,1] neg_hi:[0,0,1]
	v_pk_fma_f32 v[4:5], v[8:9], v[32:33], v[4:5] op_sel_hi:[1,0,1]
	v_pk_add_f32 v[2:3], v[2:3], v[20:21]
	v_mov_b32_e32 v4, v35
	v_mov_b32_e32 v7, v5
	v_pk_mul_f32 v[4:5], v[10:11], v[4:5] op_sel:[1,0] op_sel_hi:[0,0]
	v_pk_add_f32 v[2:3], v[2:3], v[6:7]
	v_pk_fma_f32 v[6:7], v[10:11], v[34:35], v[4:5] neg_lo:[0,0,1] neg_hi:[0,0,1]
	v_pk_fma_f32 v[4:5], v[10:11], v[34:35], v[4:5] op_sel_hi:[1,0,1]
	s_nop 0
	v_mov_b32_e32 v7, v5
	s_waitcnt vmcnt(1) lgkmcnt(1)
	v_pk_mul_f32 v[4:5], v[12:13], v[36:37] op_sel:[1,1] op_sel_hi:[0,1]
	v_pk_add_f32 v[2:3], v[2:3], v[6:7]
	v_pk_fma_f32 v[6:7], v[12:13], v[36:37], v[4:5] neg_lo:[0,0,1] neg_hi:[0,0,1]
	v_pk_fma_f32 v[4:5], v[12:13], v[36:37], v[4:5] op_sel_hi:[1,0,1]
	s_nop 0
	v_mov_b32_e32 v4, v39
	v_mov_b32_e32 v7, v5
	v_pk_mul_f32 v[4:5], v[14:15], v[4:5] op_sel:[1,0] op_sel_hi:[0,0]
	v_pk_add_f32 v[2:3], v[2:3], v[6:7]
	v_pk_fma_f32 v[6:7], v[14:15], v[38:39], v[4:5] neg_lo:[0,0,1] neg_hi:[0,0,1]
	v_pk_fma_f32 v[4:5], v[14:15], v[38:39], v[4:5] op_sel_hi:[1,0,1]
	s_nop 0
	v_mov_b32_e32 v7, v5
	s_waitcnt vmcnt(0) lgkmcnt(0)
	v_pk_mul_f32 v[4:5], v[16:17], v[40:41] op_sel:[1,1] op_sel_hi:[0,1]
	v_pk_add_f32 v[2:3], v[2:3], v[6:7]
	v_pk_fma_f32 v[6:7], v[16:17], v[40:41], v[4:5] neg_lo:[0,0,1] neg_hi:[0,0,1]
	v_pk_fma_f32 v[4:5], v[16:17], v[40:41], v[4:5] op_sel_hi:[1,0,1]
	s_nop 0
	v_mov_b32_e32 v4, v43
	v_mov_b32_e32 v7, v5
	v_pk_mul_f32 v[4:5], v[18:19], v[4:5] op_sel:[1,0] op_sel_hi:[0,0]
	v_pk_add_f32 v[2:3], v[2:3], v[6:7]
	v_pk_fma_f32 v[6:7], v[18:19], v[42:43], v[4:5] neg_lo:[0,0,1] neg_hi:[0,0,1]
	v_pk_fma_f32 v[4:5], v[18:19], v[42:43], v[4:5] op_sel_hi:[1,0,1]
	s_nop 0
	v_mov_b32_e32 v7, v5
	scratch_load_dwordx2 v[4:5], off, off offset:256
	v_pk_add_f32 v[2:3], v[2:3], v[6:7]
	s_waitcnt vmcnt(0)
	v_pk_add_f32 v[2:3], v[4:5], v[2:3] neg_lo:[0,1] neg_hi:[0,1]
	scratch_store_dwordx2 off, v[2:3], off offset:256
	s_and_saveexec_b64 s[0:1], vcc
	s_cbranch_execz .LBB110_233
; %bb.232:
	scratch_load_dwordx2 v[2:3], off, off offset:248
	v_mov_b32_e32 v4, 0
	v_mov_b32_e32 v5, v4
	scratch_store_dwordx2 off, v[4:5], off offset:248
	s_waitcnt vmcnt(1)
	ds_write_b64 v1, v[2:3]
.LBB110_233:
	s_or_b64 exec, exec, s[0:1]
	v_mov_b32_e32 v2, 0
	s_waitcnt lgkmcnt(0)
	; wave barrier
	ds_read_b128 v[4:7], v2 offset:640
	ds_read_b128 v[8:11], v2 offset:656
	;; [unrolled: 1-line block ×4, first 2 shown]
	scratch_load_dwordx4 v[20:23], off, off offset:256
	v_cmp_lt_u32_e32 vcc, 30, v0
	s_waitcnt vmcnt(0) lgkmcnt(3)
	v_mul_f32_e32 v3, v4, v21
	v_fmac_f32_e32 v3, v5, v20
	v_mul_f32_e32 v24, v6, v23
	v_add_f32_e32 v3, 0, v3
	v_fmac_f32_e32 v24, v7, v22
	v_add_f32_e32 v3, v3, v24
	scratch_load_dwordx4 v[24:27], off, off offset:272
	s_waitcnt vmcnt(0) lgkmcnt(2)
	v_mul_f32_e32 v28, v8, v25
	v_fmac_f32_e32 v28, v9, v24
	v_add_f32_e32 v3, v3, v28
	v_mul_f32_e32 v28, v10, v27
	v_fmac_f32_e32 v28, v11, v26
	v_add_f32_e32 v3, v3, v28
	scratch_load_dwordx4 v[28:31], off, off offset:288
	s_waitcnt vmcnt(0) lgkmcnt(1)
	v_mul_f32_e32 v32, v12, v29
	v_fmac_f32_e32 v32, v13, v28
	v_add_f32_e32 v49, v3, v32
	scratch_load_dwordx4 v[32:35], off, off offset:304
	scratch_load_dwordx4 v[36:39], off, off offset:320
	;; [unrolled: 1-line block ×4, first 2 shown]
	scratch_load_dwordx2 v[54:55], off, off offset:368
	v_mul_f32_e32 v3, v5, v21
	v_fma_f32 v3, v4, v20, -v3
	v_mul_f32_e32 v4, v7, v23
	v_add_f32_e32 v3, 0, v3
	v_fma_f32 v4, v6, v22, -v4
	v_add_f32_e32 v3, v3, v4
	v_mul_f32_e32 v4, v9, v25
	v_fma_f32 v4, v8, v24, -v4
	v_add_f32_e32 v3, v3, v4
	v_mul_f32_e32 v4, v11, v27
	;; [unrolled: 3-line block ×3, first 2 shown]
	v_fma_f32 v4, v12, v28, -v4
	v_mul_f32_e32 v51, v14, v31
	v_add_f32_e32 v48, v3, v4
	v_mul_f32_e32 v3, v15, v31
	v_fmac_f32_e32 v51, v15, v30
	v_fma_f32 v50, v14, v30, -v3
	v_pk_add_f32 v[20:21], v[48:49], v[50:51]
	s_waitcnt vmcnt(4)
	v_mov_b32_e32 v22, v35
	s_waitcnt lgkmcnt(0)
	v_mul_f32_e32 v53, v16, v33
	v_mul_f32_e32 v3, v17, v33
	v_pk_mul_f32 v[22:23], v[18:19], v[22:23] op_sel:[1,0] op_sel_hi:[0,0]
	v_fmac_f32_e32 v53, v17, v32
	v_fma_f32 v52, v16, v32, -v3
	ds_read_b128 v[4:7], v2 offset:704
	ds_read_b128 v[8:11], v2 offset:720
	;; [unrolled: 1-line block ×3, first 2 shown]
	ds_read_b64 v[16:17], v2 offset:752
	v_pk_fma_f32 v[24:25], v[18:19], v[34:35], v[22:23] neg_lo:[0,0,1] neg_hi:[0,0,1]
	v_pk_fma_f32 v[18:19], v[18:19], v[34:35], v[22:23] op_sel_hi:[1,0,1]
	v_pk_add_f32 v[20:21], v[20:21], v[52:53]
	v_mov_b32_e32 v25, v19
	v_pk_add_f32 v[18:19], v[20:21], v[24:25]
	s_waitcnt vmcnt(3) lgkmcnt(3)
	v_pk_mul_f32 v[20:21], v[4:5], v[36:37] op_sel:[1,1] op_sel_hi:[0,1]
	v_pk_fma_f32 v[22:23], v[4:5], v[36:37], v[20:21] neg_lo:[0,0,1] neg_hi:[0,0,1]
	v_pk_fma_f32 v[4:5], v[4:5], v[36:37], v[20:21] op_sel_hi:[1,0,1]
	s_nop 0
	v_mov_b32_e32 v23, v5
	v_pk_add_f32 v[4:5], v[18:19], v[22:23]
	v_mov_b32_e32 v18, v39
	v_pk_mul_f32 v[18:19], v[6:7], v[18:19] op_sel:[1,0] op_sel_hi:[0,0]
	v_pk_fma_f32 v[20:21], v[6:7], v[38:39], v[18:19] neg_lo:[0,0,1] neg_hi:[0,0,1]
	v_pk_fma_f32 v[6:7], v[6:7], v[38:39], v[18:19] op_sel_hi:[1,0,1]
	s_nop 0
	v_mov_b32_e32 v21, v7
	s_waitcnt vmcnt(2) lgkmcnt(2)
	v_pk_mul_f32 v[6:7], v[8:9], v[40:41] op_sel:[1,1] op_sel_hi:[0,1]
	v_pk_fma_f32 v[18:19], v[8:9], v[40:41], v[6:7] neg_lo:[0,0,1] neg_hi:[0,0,1]
	v_pk_fma_f32 v[6:7], v[8:9], v[40:41], v[6:7] op_sel_hi:[1,0,1]
	v_pk_add_f32 v[4:5], v[4:5], v[20:21]
	v_mov_b32_e32 v6, v43
	v_mov_b32_e32 v19, v7
	v_pk_mul_f32 v[6:7], v[10:11], v[6:7] op_sel:[1,0] op_sel_hi:[0,0]
	v_pk_fma_f32 v[8:9], v[10:11], v[42:43], v[6:7] neg_lo:[0,0,1] neg_hi:[0,0,1]
	v_pk_fma_f32 v[6:7], v[10:11], v[42:43], v[6:7] op_sel_hi:[1,0,1]
	v_pk_add_f32 v[4:5], v[4:5], v[18:19]
	v_mov_b32_e32 v9, v7
	s_waitcnt vmcnt(1) lgkmcnt(1)
	v_pk_mul_f32 v[6:7], v[12:13], v[44:45] op_sel:[1,1] op_sel_hi:[0,1]
	v_pk_add_f32 v[4:5], v[4:5], v[8:9]
	v_pk_fma_f32 v[8:9], v[12:13], v[44:45], v[6:7] neg_lo:[0,0,1] neg_hi:[0,0,1]
	v_pk_fma_f32 v[6:7], v[12:13], v[44:45], v[6:7] op_sel_hi:[1,0,1]
	s_nop 0
	v_mov_b32_e32 v6, v47
	v_mov_b32_e32 v9, v7
	v_pk_mul_f32 v[6:7], v[14:15], v[6:7] op_sel:[1,0] op_sel_hi:[0,0]
	v_pk_add_f32 v[4:5], v[4:5], v[8:9]
	v_pk_fma_f32 v[8:9], v[14:15], v[46:47], v[6:7] neg_lo:[0,0,1] neg_hi:[0,0,1]
	v_pk_fma_f32 v[6:7], v[14:15], v[46:47], v[6:7] op_sel_hi:[1,0,1]
	s_nop 0
	v_mov_b32_e32 v9, v7
	s_waitcnt vmcnt(0) lgkmcnt(0)
	v_pk_mul_f32 v[6:7], v[16:17], v[54:55] op_sel:[1,1] op_sel_hi:[0,1]
	v_pk_add_f32 v[4:5], v[4:5], v[8:9]
	v_pk_fma_f32 v[8:9], v[16:17], v[54:55], v[6:7] neg_lo:[0,0,1] neg_hi:[0,0,1]
	v_pk_fma_f32 v[6:7], v[16:17], v[54:55], v[6:7] op_sel_hi:[1,0,1]
	s_nop 0
	v_mov_b32_e32 v9, v7
	scratch_load_dwordx2 v[6:7], off, off offset:248
	v_pk_add_f32 v[4:5], v[4:5], v[8:9]
	s_waitcnt vmcnt(0)
	v_pk_add_f32 v[4:5], v[6:7], v[4:5] neg_lo:[0,1] neg_hi:[0,1]
	scratch_store_dwordx2 off, v[4:5], off offset:248
	s_and_saveexec_b64 s[0:1], vcc
	s_cbranch_execz .LBB110_235
; %bb.234:
	scratch_load_dwordx2 v[4:5], off, off offset:240
	v_mov_b32_e32 v3, v2
	scratch_store_dwordx2 off, v[2:3], off offset:240
	s_waitcnt vmcnt(1)
	ds_write_b64 v1, v[4:5]
.LBB110_235:
	s_or_b64 exec, exec, s[0:1]
	s_waitcnt lgkmcnt(0)
	; wave barrier
	scratch_load_dwordx4 v[8:11], off, off offset:248
	scratch_load_dwordx4 v[16:19], off, off offset:264
	;; [unrolled: 1-line block ×4, first 2 shown]
	ds_read2_b64 v[4:7], v2 offset0:79 offset1:80
	v_cmp_lt_u32_e32 vcc, 29, v0
	s_waitcnt vmcnt(3) lgkmcnt(0)
	v_mul_f32_e32 v3, v4, v9
	v_fmac_f32_e32 v3, v5, v8
	v_mul_f32_e32 v12, v6, v11
	v_add_f32_e32 v3, 0, v3
	v_fmac_f32_e32 v12, v7, v10
	v_add_f32_e32 v3, v3, v12
	ds_read2_b64 v[12:15], v2 offset0:81 offset1:82
	s_waitcnt vmcnt(2) lgkmcnt(0)
	v_mul_f32_e32 v20, v12, v17
	v_fmac_f32_e32 v20, v13, v16
	v_add_f32_e32 v3, v3, v20
	v_mul_f32_e32 v20, v14, v19
	v_fmac_f32_e32 v20, v15, v18
	v_add_f32_e32 v3, v3, v20
	ds_read2_b64 v[20:23], v2 offset0:83 offset1:84
	s_waitcnt vmcnt(1) lgkmcnt(0)
	v_mul_f32_e32 v28, v20, v25
	v_fmac_f32_e32 v28, v21, v24
	v_add_f32_e32 v3, v3, v28
	v_mul_f32_e32 v28, v22, v27
	v_fmac_f32_e32 v28, v23, v26
	v_add_f32_e32 v53, v3, v28
	ds_read2_b64 v[28:31], v2 offset0:85 offset1:86
	scratch_load_dwordx4 v[36:39], off, off offset:312
	scratch_load_dwordx4 v[40:43], off, off offset:328
	;; [unrolled: 1-line block ×4, first 2 shown]
	v_mul_f32_e32 v3, v5, v9
	v_fma_f32 v3, v4, v8, -v3
	v_mul_f32_e32 v4, v7, v11
	v_add_f32_e32 v3, 0, v3
	v_fma_f32 v4, v6, v10, -v4
	v_add_f32_e32 v3, v3, v4
	v_mul_f32_e32 v4, v13, v17
	v_fma_f32 v4, v12, v16, -v4
	v_add_f32_e32 v3, v3, v4
	v_mul_f32_e32 v4, v15, v19
	;; [unrolled: 3-line block ×4, first 2 shown]
	v_fma_f32 v4, v22, v26, -v4
	v_add_f32_e32 v52, v3, v4
	ds_read2_b64 v[4:7], v2 offset0:87 offset1:88
	ds_read2_b64 v[8:11], v2 offset0:89 offset1:90
	ds_read2_b64 v[12:15], v2 offset0:91 offset1:92
	ds_read2_b64 v[16:19], v2 offset0:93 offset1:94
	s_waitcnt vmcnt(4) lgkmcnt(4)
	v_mul_f32_e32 v55, v28, v33
	v_mul_f32_e32 v3, v29, v33
	v_fmac_f32_e32 v55, v29, v32
	v_mul_f32_e32 v57, v30, v35
	v_fma_f32 v54, v28, v32, -v3
	v_mul_f32_e32 v3, v31, v35
	v_fmac_f32_e32 v57, v31, v34
	v_fma_f32 v56, v30, v34, -v3
	v_pk_add_f32 v[2:3], v[52:53], v[54:55]
	s_waitcnt vmcnt(3) lgkmcnt(3)
	v_pk_mul_f32 v[20:21], v[4:5], v[36:37] op_sel:[1,1] op_sel_hi:[0,1]
	v_pk_fma_f32 v[22:23], v[4:5], v[36:37], v[20:21] neg_lo:[0,0,1] neg_hi:[0,0,1]
	v_pk_fma_f32 v[4:5], v[4:5], v[36:37], v[20:21] op_sel_hi:[1,0,1]
	v_pk_add_f32 v[2:3], v[2:3], v[56:57]
	v_mov_b32_e32 v4, v39
	v_mov_b32_e32 v23, v5
	v_pk_mul_f32 v[4:5], v[6:7], v[4:5] op_sel:[1,0] op_sel_hi:[0,0]
	v_pk_fma_f32 v[20:21], v[6:7], v[38:39], v[4:5] neg_lo:[0,0,1] neg_hi:[0,0,1]
	v_pk_fma_f32 v[4:5], v[6:7], v[38:39], v[4:5] op_sel_hi:[1,0,1]
	v_pk_add_f32 v[2:3], v[2:3], v[22:23]
	v_mov_b32_e32 v21, v5
	s_waitcnt vmcnt(2) lgkmcnt(2)
	v_pk_mul_f32 v[4:5], v[8:9], v[40:41] op_sel:[1,1] op_sel_hi:[0,1]
	v_pk_fma_f32 v[6:7], v[8:9], v[40:41], v[4:5] neg_lo:[0,0,1] neg_hi:[0,0,1]
	v_pk_fma_f32 v[4:5], v[8:9], v[40:41], v[4:5] op_sel_hi:[1,0,1]
	v_pk_add_f32 v[2:3], v[2:3], v[20:21]
	v_mov_b32_e32 v4, v43
	v_mov_b32_e32 v7, v5
	v_pk_mul_f32 v[4:5], v[10:11], v[4:5] op_sel:[1,0] op_sel_hi:[0,0]
	v_pk_add_f32 v[2:3], v[2:3], v[6:7]
	v_pk_fma_f32 v[6:7], v[10:11], v[42:43], v[4:5] neg_lo:[0,0,1] neg_hi:[0,0,1]
	v_pk_fma_f32 v[4:5], v[10:11], v[42:43], v[4:5] op_sel_hi:[1,0,1]
	s_nop 0
	v_mov_b32_e32 v7, v5
	s_waitcnt vmcnt(1) lgkmcnt(1)
	v_pk_mul_f32 v[4:5], v[12:13], v[44:45] op_sel:[1,1] op_sel_hi:[0,1]
	v_pk_add_f32 v[2:3], v[2:3], v[6:7]
	v_pk_fma_f32 v[6:7], v[12:13], v[44:45], v[4:5] neg_lo:[0,0,1] neg_hi:[0,0,1]
	v_pk_fma_f32 v[4:5], v[12:13], v[44:45], v[4:5] op_sel_hi:[1,0,1]
	s_nop 0
	v_mov_b32_e32 v4, v47
	v_mov_b32_e32 v7, v5
	v_pk_mul_f32 v[4:5], v[14:15], v[4:5] op_sel:[1,0] op_sel_hi:[0,0]
	v_pk_add_f32 v[2:3], v[2:3], v[6:7]
	v_pk_fma_f32 v[6:7], v[14:15], v[46:47], v[4:5] neg_lo:[0,0,1] neg_hi:[0,0,1]
	v_pk_fma_f32 v[4:5], v[14:15], v[46:47], v[4:5] op_sel_hi:[1,0,1]
	s_nop 0
	v_mov_b32_e32 v7, v5
	s_waitcnt vmcnt(0) lgkmcnt(0)
	v_pk_mul_f32 v[4:5], v[16:17], v[48:49] op_sel:[1,1] op_sel_hi:[0,1]
	v_pk_add_f32 v[2:3], v[2:3], v[6:7]
	v_pk_fma_f32 v[6:7], v[16:17], v[48:49], v[4:5] neg_lo:[0,0,1] neg_hi:[0,0,1]
	v_pk_fma_f32 v[4:5], v[16:17], v[48:49], v[4:5] op_sel_hi:[1,0,1]
	s_nop 0
	v_mov_b32_e32 v4, v51
	v_mov_b32_e32 v7, v5
	v_pk_mul_f32 v[4:5], v[18:19], v[4:5] op_sel:[1,0] op_sel_hi:[0,0]
	v_pk_add_f32 v[2:3], v[2:3], v[6:7]
	v_pk_fma_f32 v[6:7], v[18:19], v[50:51], v[4:5] neg_lo:[0,0,1] neg_hi:[0,0,1]
	v_pk_fma_f32 v[4:5], v[18:19], v[50:51], v[4:5] op_sel_hi:[1,0,1]
	s_nop 0
	v_mov_b32_e32 v7, v5
	scratch_load_dwordx2 v[4:5], off, off offset:240
	v_pk_add_f32 v[2:3], v[2:3], v[6:7]
	s_waitcnt vmcnt(0)
	v_pk_add_f32 v[2:3], v[4:5], v[2:3] neg_lo:[0,1] neg_hi:[0,1]
	scratch_store_dwordx2 off, v[2:3], off offset:240
	s_and_saveexec_b64 s[0:1], vcc
	s_cbranch_execz .LBB110_237
; %bb.236:
	scratch_load_dwordx2 v[2:3], off, off offset:232
	v_mov_b32_e32 v4, 0
	v_mov_b32_e32 v5, v4
	scratch_store_dwordx2 off, v[4:5], off offset:232
	s_waitcnt vmcnt(1)
	ds_write_b64 v1, v[2:3]
.LBB110_237:
	s_or_b64 exec, exec, s[0:1]
	v_mov_b32_e32 v2, 0
	s_waitcnt lgkmcnt(0)
	; wave barrier
	ds_read_b128 v[4:7], v2 offset:624
	ds_read_b128 v[8:11], v2 offset:640
	;; [unrolled: 1-line block ×4, first 2 shown]
	scratch_load_dwordx4 v[20:23], off, off offset:240
	scratch_load_dwordx4 v[40:43], off, off offset:304
	v_cmp_lt_u32_e32 vcc, 28, v0
	s_waitcnt vmcnt(1) lgkmcnt(3)
	v_mul_f32_e32 v3, v4, v21
	v_fmac_f32_e32 v3, v5, v20
	v_mul_f32_e32 v24, v6, v23
	v_add_f32_e32 v3, 0, v3
	v_fmac_f32_e32 v24, v7, v22
	v_add_f32_e32 v3, v3, v24
	scratch_load_dwordx4 v[24:27], off, off offset:256
	s_waitcnt vmcnt(0) lgkmcnt(2)
	v_mul_f32_e32 v28, v8, v25
	v_fmac_f32_e32 v28, v9, v24
	v_add_f32_e32 v3, v3, v28
	v_mul_f32_e32 v28, v10, v27
	v_fmac_f32_e32 v28, v11, v26
	v_add_f32_e32 v3, v3, v28
	scratch_load_dwordx4 v[28:31], off, off offset:272
	s_waitcnt vmcnt(0) lgkmcnt(1)
	v_mul_f32_e32 v32, v12, v29
	v_fmac_f32_e32 v32, v13, v28
	v_add_f32_e32 v3, v3, v32
	v_mul_f32_e32 v32, v14, v31
	v_fmac_f32_e32 v32, v15, v30
	v_add_f32_e32 v3, v3, v32
	scratch_load_dwordx4 v[32:35], off, off offset:288
	s_waitcnt vmcnt(0) lgkmcnt(0)
	v_mul_f32_e32 v36, v16, v33
	v_fmac_f32_e32 v36, v17, v32
	v_add_f32_e32 v57, v3, v36
	ds_read_b128 v[36:39], v2 offset:688
	scratch_load_dwordx4 v[44:47], off, off offset:320
	scratch_load_dwordx4 v[48:51], off, off offset:336
	;; [unrolled: 1-line block ×3, first 2 shown]
	scratch_load_dwordx2 v[62:63], off, off offset:368
	v_mul_f32_e32 v3, v5, v21
	v_fma_f32 v3, v4, v20, -v3
	v_mul_f32_e32 v4, v7, v23
	v_add_f32_e32 v3, 0, v3
	v_fma_f32 v4, v6, v22, -v4
	v_add_f32_e32 v3, v3, v4
	v_mul_f32_e32 v4, v9, v25
	v_fma_f32 v4, v8, v24, -v4
	v_add_f32_e32 v3, v3, v4
	v_mul_f32_e32 v4, v11, v27
	;; [unrolled: 3-line block ×5, first 2 shown]
	v_fma_f32 v4, v16, v32, -v4
	v_mul_f32_e32 v59, v18, v35
	v_add_f32_e32 v56, v3, v4
	v_mul_f32_e32 v3, v19, v35
	v_mov_b32_e32 v20, v43
	v_fmac_f32_e32 v59, v19, v34
	s_waitcnt lgkmcnt(0)
	v_mul_f32_e32 v61, v36, v41
	v_fma_f32 v58, v18, v34, -v3
	v_mul_f32_e32 v3, v37, v41
	ds_read_b128 v[4:7], v2 offset:704
	ds_read_b128 v[8:11], v2 offset:720
	;; [unrolled: 1-line block ×3, first 2 shown]
	ds_read_b64 v[16:17], v2 offset:752
	v_pk_mul_f32 v[20:21], v[38:39], v[20:21] op_sel:[1,0] op_sel_hi:[0,0]
	v_fmac_f32_e32 v61, v37, v40
	v_fma_f32 v60, v36, v40, -v3
	v_pk_add_f32 v[18:19], v[56:57], v[58:59]
	v_pk_fma_f32 v[22:23], v[38:39], v[42:43], v[20:21] neg_lo:[0,0,1] neg_hi:[0,0,1]
	v_pk_fma_f32 v[20:21], v[38:39], v[42:43], v[20:21] op_sel_hi:[1,0,1]
	v_pk_add_f32 v[18:19], v[18:19], v[60:61]
	v_mov_b32_e32 v23, v21
	v_pk_add_f32 v[18:19], v[18:19], v[22:23]
	s_waitcnt vmcnt(3) lgkmcnt(3)
	v_pk_mul_f32 v[20:21], v[4:5], v[44:45] op_sel:[1,1] op_sel_hi:[0,1]
	v_pk_fma_f32 v[22:23], v[4:5], v[44:45], v[20:21] neg_lo:[0,0,1] neg_hi:[0,0,1]
	v_pk_fma_f32 v[4:5], v[4:5], v[44:45], v[20:21] op_sel_hi:[1,0,1]
	s_nop 0
	v_mov_b32_e32 v23, v5
	v_pk_add_f32 v[4:5], v[18:19], v[22:23]
	v_mov_b32_e32 v18, v47
	v_pk_mul_f32 v[18:19], v[6:7], v[18:19] op_sel:[1,0] op_sel_hi:[0,0]
	v_pk_fma_f32 v[20:21], v[6:7], v[46:47], v[18:19] neg_lo:[0,0,1] neg_hi:[0,0,1]
	v_pk_fma_f32 v[6:7], v[6:7], v[46:47], v[18:19] op_sel_hi:[1,0,1]
	s_nop 0
	v_mov_b32_e32 v21, v7
	s_waitcnt vmcnt(2) lgkmcnt(2)
	v_pk_mul_f32 v[6:7], v[8:9], v[48:49] op_sel:[1,1] op_sel_hi:[0,1]
	v_pk_fma_f32 v[18:19], v[8:9], v[48:49], v[6:7] neg_lo:[0,0,1] neg_hi:[0,0,1]
	v_pk_fma_f32 v[6:7], v[8:9], v[48:49], v[6:7] op_sel_hi:[1,0,1]
	v_pk_add_f32 v[4:5], v[4:5], v[20:21]
	v_mov_b32_e32 v6, v51
	v_mov_b32_e32 v19, v7
	v_pk_mul_f32 v[6:7], v[10:11], v[6:7] op_sel:[1,0] op_sel_hi:[0,0]
	v_pk_fma_f32 v[8:9], v[10:11], v[50:51], v[6:7] neg_lo:[0,0,1] neg_hi:[0,0,1]
	v_pk_fma_f32 v[6:7], v[10:11], v[50:51], v[6:7] op_sel_hi:[1,0,1]
	v_pk_add_f32 v[4:5], v[4:5], v[18:19]
	v_mov_b32_e32 v9, v7
	s_waitcnt vmcnt(1) lgkmcnt(1)
	v_pk_mul_f32 v[6:7], v[12:13], v[52:53] op_sel:[1,1] op_sel_hi:[0,1]
	v_pk_add_f32 v[4:5], v[4:5], v[8:9]
	v_pk_fma_f32 v[8:9], v[12:13], v[52:53], v[6:7] neg_lo:[0,0,1] neg_hi:[0,0,1]
	v_pk_fma_f32 v[6:7], v[12:13], v[52:53], v[6:7] op_sel_hi:[1,0,1]
	s_nop 0
	v_mov_b32_e32 v6, v55
	v_mov_b32_e32 v9, v7
	v_pk_mul_f32 v[6:7], v[14:15], v[6:7] op_sel:[1,0] op_sel_hi:[0,0]
	v_pk_add_f32 v[4:5], v[4:5], v[8:9]
	v_pk_fma_f32 v[8:9], v[14:15], v[54:55], v[6:7] neg_lo:[0,0,1] neg_hi:[0,0,1]
	v_pk_fma_f32 v[6:7], v[14:15], v[54:55], v[6:7] op_sel_hi:[1,0,1]
	s_nop 0
	v_mov_b32_e32 v9, v7
	s_waitcnt vmcnt(0) lgkmcnt(0)
	v_pk_mul_f32 v[6:7], v[16:17], v[62:63] op_sel:[1,1] op_sel_hi:[0,1]
	v_pk_add_f32 v[4:5], v[4:5], v[8:9]
	v_pk_fma_f32 v[8:9], v[16:17], v[62:63], v[6:7] neg_lo:[0,0,1] neg_hi:[0,0,1]
	v_pk_fma_f32 v[6:7], v[16:17], v[62:63], v[6:7] op_sel_hi:[1,0,1]
	s_nop 0
	v_mov_b32_e32 v9, v7
	scratch_load_dwordx2 v[6:7], off, off offset:232
	v_pk_add_f32 v[4:5], v[4:5], v[8:9]
	s_waitcnt vmcnt(0)
	v_pk_add_f32 v[4:5], v[6:7], v[4:5] neg_lo:[0,1] neg_hi:[0,1]
	scratch_store_dwordx2 off, v[4:5], off offset:232
	s_and_saveexec_b64 s[0:1], vcc
	s_cbranch_execz .LBB110_239
; %bb.238:
	scratch_load_dwordx2 v[4:5], off, off offset:224
	v_mov_b32_e32 v3, v2
	scratch_store_dwordx2 off, v[2:3], off offset:224
	s_waitcnt vmcnt(1)
	ds_write_b64 v1, v[4:5]
.LBB110_239:
	s_or_b64 exec, exec, s[0:1]
	s_waitcnt lgkmcnt(0)
	; wave barrier
	scratch_load_dwordx4 v[8:11], off, off offset:232
	scratch_load_dwordx4 v[16:19], off, off offset:248
	;; [unrolled: 1-line block ×4, first 2 shown]
	ds_read2_b64 v[4:7], v2 offset0:77 offset1:78
	scratch_load_dwordx4 v[40:43], off, off offset:296
	v_cmp_lt_u32_e32 vcc, 27, v0
	s_waitcnt vmcnt(4) lgkmcnt(0)
	v_mul_f32_e32 v3, v4, v9
	v_fmac_f32_e32 v3, v5, v8
	v_mul_f32_e32 v12, v6, v11
	v_add_f32_e32 v3, 0, v3
	v_fmac_f32_e32 v12, v7, v10
	v_add_f32_e32 v3, v3, v12
	ds_read2_b64 v[12:15], v2 offset0:79 offset1:80
	s_waitcnt vmcnt(3) lgkmcnt(0)
	v_mul_f32_e32 v20, v12, v17
	v_fmac_f32_e32 v20, v13, v16
	v_add_f32_e32 v3, v3, v20
	v_mul_f32_e32 v20, v14, v19
	v_fmac_f32_e32 v20, v15, v18
	v_add_f32_e32 v3, v3, v20
	ds_read2_b64 v[20:23], v2 offset0:81 offset1:82
	s_waitcnt vmcnt(2) lgkmcnt(0)
	v_mul_f32_e32 v28, v20, v25
	v_fmac_f32_e32 v28, v21, v24
	v_add_f32_e32 v3, v3, v28
	v_mul_f32_e32 v28, v22, v27
	;; [unrolled: 8-line block ×3, first 2 shown]
	v_fmac_f32_e32 v36, v31, v34
	v_add_f32_e32 v61, v3, v36
	ds_read2_b64 v[36:39], v2 offset0:85 offset1:86
	scratch_load_dwordx4 v[44:47], off, off offset:312
	scratch_load_dwordx4 v[48:51], off, off offset:328
	;; [unrolled: 1-line block ×4, first 2 shown]
	v_mul_f32_e32 v3, v5, v9
	v_fma_f32 v3, v4, v8, -v3
	v_mul_f32_e32 v4, v7, v11
	v_add_f32_e32 v3, 0, v3
	v_fma_f32 v4, v6, v10, -v4
	v_add_f32_e32 v3, v3, v4
	v_mul_f32_e32 v4, v13, v17
	v_fma_f32 v4, v12, v16, -v4
	v_add_f32_e32 v3, v3, v4
	v_mul_f32_e32 v4, v15, v19
	;; [unrolled: 3-line block ×6, first 2 shown]
	v_fma_f32 v4, v30, v34, -v4
	v_add_f32_e32 v60, v3, v4
	ds_read2_b64 v[4:7], v2 offset0:87 offset1:88
	ds_read2_b64 v[8:11], v2 offset0:89 offset1:90
	;; [unrolled: 1-line block ×4, first 2 shown]
	s_waitcnt vmcnt(4) lgkmcnt(4)
	v_mul_f32_e32 v63, v36, v41
	v_mul_f32_e32 v3, v37, v41
	v_fmac_f32_e32 v63, v37, v40
	v_mul_f32_e32 v65, v38, v43
	v_fma_f32 v62, v36, v40, -v3
	v_mul_f32_e32 v3, v39, v43
	v_fmac_f32_e32 v65, v39, v42
	v_fma_f32 v64, v38, v42, -v3
	v_pk_add_f32 v[2:3], v[60:61], v[62:63]
	s_waitcnt vmcnt(3) lgkmcnt(3)
	v_pk_mul_f32 v[20:21], v[4:5], v[44:45] op_sel:[1,1] op_sel_hi:[0,1]
	v_pk_fma_f32 v[22:23], v[4:5], v[44:45], v[20:21] neg_lo:[0,0,1] neg_hi:[0,0,1]
	v_pk_fma_f32 v[4:5], v[4:5], v[44:45], v[20:21] op_sel_hi:[1,0,1]
	v_pk_add_f32 v[2:3], v[2:3], v[64:65]
	v_mov_b32_e32 v4, v47
	v_mov_b32_e32 v23, v5
	v_pk_mul_f32 v[4:5], v[6:7], v[4:5] op_sel:[1,0] op_sel_hi:[0,0]
	v_pk_fma_f32 v[20:21], v[6:7], v[46:47], v[4:5] neg_lo:[0,0,1] neg_hi:[0,0,1]
	v_pk_fma_f32 v[4:5], v[6:7], v[46:47], v[4:5] op_sel_hi:[1,0,1]
	v_pk_add_f32 v[2:3], v[2:3], v[22:23]
	v_mov_b32_e32 v21, v5
	s_waitcnt vmcnt(2) lgkmcnt(2)
	v_pk_mul_f32 v[4:5], v[8:9], v[48:49] op_sel:[1,1] op_sel_hi:[0,1]
	v_pk_fma_f32 v[6:7], v[8:9], v[48:49], v[4:5] neg_lo:[0,0,1] neg_hi:[0,0,1]
	v_pk_fma_f32 v[4:5], v[8:9], v[48:49], v[4:5] op_sel_hi:[1,0,1]
	v_pk_add_f32 v[2:3], v[2:3], v[20:21]
	v_mov_b32_e32 v4, v51
	v_mov_b32_e32 v7, v5
	v_pk_mul_f32 v[4:5], v[10:11], v[4:5] op_sel:[1,0] op_sel_hi:[0,0]
	v_pk_add_f32 v[2:3], v[2:3], v[6:7]
	v_pk_fma_f32 v[6:7], v[10:11], v[50:51], v[4:5] neg_lo:[0,0,1] neg_hi:[0,0,1]
	v_pk_fma_f32 v[4:5], v[10:11], v[50:51], v[4:5] op_sel_hi:[1,0,1]
	s_nop 0
	v_mov_b32_e32 v7, v5
	s_waitcnt vmcnt(1) lgkmcnt(1)
	v_pk_mul_f32 v[4:5], v[12:13], v[52:53] op_sel:[1,1] op_sel_hi:[0,1]
	v_pk_add_f32 v[2:3], v[2:3], v[6:7]
	v_pk_fma_f32 v[6:7], v[12:13], v[52:53], v[4:5] neg_lo:[0,0,1] neg_hi:[0,0,1]
	v_pk_fma_f32 v[4:5], v[12:13], v[52:53], v[4:5] op_sel_hi:[1,0,1]
	s_nop 0
	v_mov_b32_e32 v4, v55
	v_mov_b32_e32 v7, v5
	v_pk_mul_f32 v[4:5], v[14:15], v[4:5] op_sel:[1,0] op_sel_hi:[0,0]
	v_pk_add_f32 v[2:3], v[2:3], v[6:7]
	v_pk_fma_f32 v[6:7], v[14:15], v[54:55], v[4:5] neg_lo:[0,0,1] neg_hi:[0,0,1]
	v_pk_fma_f32 v[4:5], v[14:15], v[54:55], v[4:5] op_sel_hi:[1,0,1]
	s_nop 0
	v_mov_b32_e32 v7, v5
	s_waitcnt vmcnt(0) lgkmcnt(0)
	v_pk_mul_f32 v[4:5], v[16:17], v[56:57] op_sel:[1,1] op_sel_hi:[0,1]
	v_pk_add_f32 v[2:3], v[2:3], v[6:7]
	v_pk_fma_f32 v[6:7], v[16:17], v[56:57], v[4:5] neg_lo:[0,0,1] neg_hi:[0,0,1]
	v_pk_fma_f32 v[4:5], v[16:17], v[56:57], v[4:5] op_sel_hi:[1,0,1]
	s_nop 0
	v_mov_b32_e32 v4, v59
	v_mov_b32_e32 v7, v5
	v_pk_mul_f32 v[4:5], v[18:19], v[4:5] op_sel:[1,0] op_sel_hi:[0,0]
	v_pk_add_f32 v[2:3], v[2:3], v[6:7]
	v_pk_fma_f32 v[6:7], v[18:19], v[58:59], v[4:5] neg_lo:[0,0,1] neg_hi:[0,0,1]
	v_pk_fma_f32 v[4:5], v[18:19], v[58:59], v[4:5] op_sel_hi:[1,0,1]
	s_nop 0
	v_mov_b32_e32 v7, v5
	scratch_load_dwordx2 v[4:5], off, off offset:224
	v_pk_add_f32 v[2:3], v[2:3], v[6:7]
	s_waitcnt vmcnt(0)
	v_pk_add_f32 v[2:3], v[4:5], v[2:3] neg_lo:[0,1] neg_hi:[0,1]
	scratch_store_dwordx2 off, v[2:3], off offset:224
	s_and_saveexec_b64 s[0:1], vcc
	s_cbranch_execz .LBB110_241
; %bb.240:
	scratch_load_dwordx2 v[2:3], off, off offset:216
	v_mov_b32_e32 v4, 0
	v_mov_b32_e32 v5, v4
	scratch_store_dwordx2 off, v[4:5], off offset:216
	s_waitcnt vmcnt(1)
	ds_write_b64 v1, v[2:3]
.LBB110_241:
	s_or_b64 exec, exec, s[0:1]
	v_mov_b32_e32 v2, 0
	s_waitcnt lgkmcnt(0)
	; wave barrier
	ds_read_b128 v[4:7], v2 offset:608
	ds_read_b128 v[8:11], v2 offset:624
	;; [unrolled: 1-line block ×4, first 2 shown]
	scratch_load_dwordx4 v[20:23], off, off offset:224
	scratch_load_dwordx4 v[40:43], off, off offset:288
	v_cmp_lt_u32_e32 vcc, 26, v0
	scratch_load_dwordx4 v[48:51], off, off offset:304
	s_waitcnt vmcnt(2) lgkmcnt(3)
	v_mul_f32_e32 v3, v4, v21
	v_fmac_f32_e32 v3, v5, v20
	v_mul_f32_e32 v24, v6, v23
	v_add_f32_e32 v3, 0, v3
	v_fmac_f32_e32 v24, v7, v22
	v_add_f32_e32 v3, v3, v24
	scratch_load_dwordx4 v[24:27], off, off offset:240
	s_waitcnt vmcnt(0) lgkmcnt(2)
	v_mul_f32_e32 v28, v8, v25
	v_fmac_f32_e32 v28, v9, v24
	v_add_f32_e32 v3, v3, v28
	v_mul_f32_e32 v28, v10, v27
	v_fmac_f32_e32 v28, v11, v26
	v_add_f32_e32 v3, v3, v28
	scratch_load_dwordx4 v[28:31], off, off offset:256
	s_waitcnt vmcnt(0) lgkmcnt(1)
	v_mul_f32_e32 v32, v12, v29
	v_fmac_f32_e32 v32, v13, v28
	v_add_f32_e32 v3, v3, v32
	v_mul_f32_e32 v32, v14, v31
	;; [unrolled: 8-line block ×3, first 2 shown]
	v_fmac_f32_e32 v36, v19, v34
	v_add_f32_e32 v3, v3, v36
	ds_read_b128 v[36:39], v2 offset:672
	s_waitcnt lgkmcnt(0)
	v_mul_f32_e32 v44, v36, v41
	v_fmac_f32_e32 v44, v37, v40
	v_add_f32_e32 v65, v3, v44
	ds_read_b128 v[44:47], v2 offset:688
	scratch_load_dwordx4 v[52:55], off, off offset:320
	scratch_load_dwordx4 v[56:59], off, off offset:336
	;; [unrolled: 1-line block ×3, first 2 shown]
	scratch_load_dwordx2 v[70:71], off, off offset:368
	v_mul_f32_e32 v3, v5, v21
	v_fma_f32 v3, v4, v20, -v3
	v_mul_f32_e32 v4, v7, v23
	v_add_f32_e32 v3, 0, v3
	v_fma_f32 v4, v6, v22, -v4
	v_add_f32_e32 v3, v3, v4
	v_mul_f32_e32 v4, v9, v25
	v_fma_f32 v4, v8, v24, -v4
	v_add_f32_e32 v3, v3, v4
	v_mul_f32_e32 v4, v11, v27
	;; [unrolled: 3-line block ×7, first 2 shown]
	v_fma_f32 v4, v36, v40, -v4
	v_mul_f32_e32 v67, v38, v43
	v_add_f32_e32 v64, v3, v4
	v_mul_f32_e32 v3, v39, v43
	v_mov_b32_e32 v20, v51
	v_fmac_f32_e32 v67, v39, v42
	s_waitcnt lgkmcnt(0)
	v_mul_f32_e32 v69, v44, v49
	v_fma_f32 v66, v38, v42, -v3
	v_mul_f32_e32 v3, v45, v49
	ds_read_b128 v[4:7], v2 offset:704
	ds_read_b128 v[8:11], v2 offset:720
	;; [unrolled: 1-line block ×3, first 2 shown]
	ds_read_b64 v[16:17], v2 offset:752
	v_pk_mul_f32 v[20:21], v[46:47], v[20:21] op_sel:[1,0] op_sel_hi:[0,0]
	v_fmac_f32_e32 v69, v45, v48
	v_fma_f32 v68, v44, v48, -v3
	v_pk_add_f32 v[18:19], v[64:65], v[66:67]
	v_pk_fma_f32 v[22:23], v[46:47], v[50:51], v[20:21] neg_lo:[0,0,1] neg_hi:[0,0,1]
	v_pk_fma_f32 v[20:21], v[46:47], v[50:51], v[20:21] op_sel_hi:[1,0,1]
	v_pk_add_f32 v[18:19], v[18:19], v[68:69]
	v_mov_b32_e32 v23, v21
	v_pk_add_f32 v[18:19], v[18:19], v[22:23]
	s_waitcnt vmcnt(3) lgkmcnt(3)
	v_pk_mul_f32 v[20:21], v[4:5], v[52:53] op_sel:[1,1] op_sel_hi:[0,1]
	v_pk_fma_f32 v[22:23], v[4:5], v[52:53], v[20:21] neg_lo:[0,0,1] neg_hi:[0,0,1]
	v_pk_fma_f32 v[4:5], v[4:5], v[52:53], v[20:21] op_sel_hi:[1,0,1]
	s_nop 0
	v_mov_b32_e32 v23, v5
	v_pk_add_f32 v[4:5], v[18:19], v[22:23]
	v_mov_b32_e32 v18, v55
	v_pk_mul_f32 v[18:19], v[6:7], v[18:19] op_sel:[1,0] op_sel_hi:[0,0]
	v_pk_fma_f32 v[20:21], v[6:7], v[54:55], v[18:19] neg_lo:[0,0,1] neg_hi:[0,0,1]
	v_pk_fma_f32 v[6:7], v[6:7], v[54:55], v[18:19] op_sel_hi:[1,0,1]
	s_nop 0
	v_mov_b32_e32 v21, v7
	s_waitcnt vmcnt(2) lgkmcnt(2)
	v_pk_mul_f32 v[6:7], v[8:9], v[56:57] op_sel:[1,1] op_sel_hi:[0,1]
	v_pk_fma_f32 v[18:19], v[8:9], v[56:57], v[6:7] neg_lo:[0,0,1] neg_hi:[0,0,1]
	v_pk_fma_f32 v[6:7], v[8:9], v[56:57], v[6:7] op_sel_hi:[1,0,1]
	v_pk_add_f32 v[4:5], v[4:5], v[20:21]
	v_mov_b32_e32 v6, v59
	v_mov_b32_e32 v19, v7
	v_pk_mul_f32 v[6:7], v[10:11], v[6:7] op_sel:[1,0] op_sel_hi:[0,0]
	v_pk_fma_f32 v[8:9], v[10:11], v[58:59], v[6:7] neg_lo:[0,0,1] neg_hi:[0,0,1]
	v_pk_fma_f32 v[6:7], v[10:11], v[58:59], v[6:7] op_sel_hi:[1,0,1]
	v_pk_add_f32 v[4:5], v[4:5], v[18:19]
	v_mov_b32_e32 v9, v7
	s_waitcnt vmcnt(1) lgkmcnt(1)
	v_pk_mul_f32 v[6:7], v[12:13], v[60:61] op_sel:[1,1] op_sel_hi:[0,1]
	v_pk_add_f32 v[4:5], v[4:5], v[8:9]
	v_pk_fma_f32 v[8:9], v[12:13], v[60:61], v[6:7] neg_lo:[0,0,1] neg_hi:[0,0,1]
	v_pk_fma_f32 v[6:7], v[12:13], v[60:61], v[6:7] op_sel_hi:[1,0,1]
	s_nop 0
	v_mov_b32_e32 v6, v63
	v_mov_b32_e32 v9, v7
	v_pk_mul_f32 v[6:7], v[14:15], v[6:7] op_sel:[1,0] op_sel_hi:[0,0]
	v_pk_add_f32 v[4:5], v[4:5], v[8:9]
	v_pk_fma_f32 v[8:9], v[14:15], v[62:63], v[6:7] neg_lo:[0,0,1] neg_hi:[0,0,1]
	v_pk_fma_f32 v[6:7], v[14:15], v[62:63], v[6:7] op_sel_hi:[1,0,1]
	s_nop 0
	v_mov_b32_e32 v9, v7
	s_waitcnt vmcnt(0) lgkmcnt(0)
	v_pk_mul_f32 v[6:7], v[16:17], v[70:71] op_sel:[1,1] op_sel_hi:[0,1]
	v_pk_add_f32 v[4:5], v[4:5], v[8:9]
	v_pk_fma_f32 v[8:9], v[16:17], v[70:71], v[6:7] neg_lo:[0,0,1] neg_hi:[0,0,1]
	v_pk_fma_f32 v[6:7], v[16:17], v[70:71], v[6:7] op_sel_hi:[1,0,1]
	s_nop 0
	v_mov_b32_e32 v9, v7
	scratch_load_dwordx2 v[6:7], off, off offset:216
	v_pk_add_f32 v[4:5], v[4:5], v[8:9]
	s_waitcnt vmcnt(0)
	v_pk_add_f32 v[4:5], v[6:7], v[4:5] neg_lo:[0,1] neg_hi:[0,1]
	scratch_store_dwordx2 off, v[4:5], off offset:216
	s_and_saveexec_b64 s[0:1], vcc
	s_cbranch_execz .LBB110_243
; %bb.242:
	scratch_load_dwordx2 v[4:5], off, off offset:208
	v_mov_b32_e32 v3, v2
	scratch_store_dwordx2 off, v[2:3], off offset:208
	s_waitcnt vmcnt(1)
	ds_write_b64 v1, v[4:5]
.LBB110_243:
	s_or_b64 exec, exec, s[0:1]
	s_waitcnt lgkmcnt(0)
	; wave barrier
	scratch_load_dwordx4 v[8:11], off, off offset:216
	scratch_load_dwordx4 v[16:19], off, off offset:232
	;; [unrolled: 1-line block ×6, first 2 shown]
	ds_read2_b64 v[4:7], v2 offset0:75 offset1:76
	v_cmp_lt_u32_e32 vcc, 25, v0
	s_waitcnt vmcnt(5) lgkmcnt(0)
	v_mul_f32_e32 v3, v4, v9
	v_fmac_f32_e32 v3, v5, v8
	v_mul_f32_e32 v12, v6, v11
	v_add_f32_e32 v3, 0, v3
	v_fmac_f32_e32 v12, v7, v10
	v_add_f32_e32 v3, v3, v12
	ds_read2_b64 v[12:15], v2 offset0:77 offset1:78
	s_waitcnt vmcnt(4) lgkmcnt(0)
	v_mul_f32_e32 v20, v12, v17
	v_fmac_f32_e32 v20, v13, v16
	v_add_f32_e32 v3, v3, v20
	v_mul_f32_e32 v20, v14, v19
	v_fmac_f32_e32 v20, v15, v18
	v_add_f32_e32 v3, v3, v20
	ds_read2_b64 v[20:23], v2 offset0:79 offset1:80
	s_waitcnt vmcnt(3) lgkmcnt(0)
	v_mul_f32_e32 v28, v20, v25
	v_fmac_f32_e32 v28, v21, v24
	v_add_f32_e32 v3, v3, v28
	v_mul_f32_e32 v28, v22, v27
	;; [unrolled: 8-line block ×4, first 2 shown]
	v_fmac_f32_e32 v44, v39, v42
	v_add_f32_e32 v69, v3, v44
	ds_read2_b64 v[44:47], v2 offset0:85 offset1:86
	scratch_load_dwordx4 v[52:55], off, off offset:312
	scratch_load_dwordx4 v[56:59], off, off offset:328
	;; [unrolled: 1-line block ×4, first 2 shown]
	v_mul_f32_e32 v3, v5, v9
	v_fma_f32 v3, v4, v8, -v3
	v_mul_f32_e32 v4, v7, v11
	v_add_f32_e32 v3, 0, v3
	v_fma_f32 v4, v6, v10, -v4
	v_add_f32_e32 v3, v3, v4
	v_mul_f32_e32 v4, v13, v17
	v_fma_f32 v4, v12, v16, -v4
	v_add_f32_e32 v3, v3, v4
	v_mul_f32_e32 v4, v15, v19
	;; [unrolled: 3-line block ×8, first 2 shown]
	v_fma_f32 v4, v38, v42, -v4
	v_add_f32_e32 v68, v3, v4
	ds_read2_b64 v[4:7], v2 offset0:87 offset1:88
	ds_read2_b64 v[8:11], v2 offset0:89 offset1:90
	;; [unrolled: 1-line block ×4, first 2 shown]
	s_waitcnt vmcnt(4) lgkmcnt(4)
	v_mul_f32_e32 v71, v44, v49
	v_mul_f32_e32 v3, v45, v49
	v_fmac_f32_e32 v71, v45, v48
	v_mul_f32_e32 v73, v46, v51
	v_fma_f32 v70, v44, v48, -v3
	v_mul_f32_e32 v3, v47, v51
	v_fmac_f32_e32 v73, v47, v50
	v_fma_f32 v72, v46, v50, -v3
	v_pk_add_f32 v[2:3], v[68:69], v[70:71]
	s_waitcnt vmcnt(3) lgkmcnt(3)
	v_pk_mul_f32 v[20:21], v[4:5], v[52:53] op_sel:[1,1] op_sel_hi:[0,1]
	v_pk_fma_f32 v[22:23], v[4:5], v[52:53], v[20:21] neg_lo:[0,0,1] neg_hi:[0,0,1]
	v_pk_fma_f32 v[4:5], v[4:5], v[52:53], v[20:21] op_sel_hi:[1,0,1]
	v_pk_add_f32 v[2:3], v[2:3], v[72:73]
	v_mov_b32_e32 v4, v55
	v_mov_b32_e32 v23, v5
	v_pk_mul_f32 v[4:5], v[6:7], v[4:5] op_sel:[1,0] op_sel_hi:[0,0]
	v_pk_fma_f32 v[20:21], v[6:7], v[54:55], v[4:5] neg_lo:[0,0,1] neg_hi:[0,0,1]
	v_pk_fma_f32 v[4:5], v[6:7], v[54:55], v[4:5] op_sel_hi:[1,0,1]
	v_pk_add_f32 v[2:3], v[2:3], v[22:23]
	v_mov_b32_e32 v21, v5
	s_waitcnt vmcnt(2) lgkmcnt(2)
	v_pk_mul_f32 v[4:5], v[8:9], v[56:57] op_sel:[1,1] op_sel_hi:[0,1]
	v_pk_fma_f32 v[6:7], v[8:9], v[56:57], v[4:5] neg_lo:[0,0,1] neg_hi:[0,0,1]
	v_pk_fma_f32 v[4:5], v[8:9], v[56:57], v[4:5] op_sel_hi:[1,0,1]
	v_pk_add_f32 v[2:3], v[2:3], v[20:21]
	v_mov_b32_e32 v4, v59
	v_mov_b32_e32 v7, v5
	v_pk_mul_f32 v[4:5], v[10:11], v[4:5] op_sel:[1,0] op_sel_hi:[0,0]
	v_pk_add_f32 v[2:3], v[2:3], v[6:7]
	v_pk_fma_f32 v[6:7], v[10:11], v[58:59], v[4:5] neg_lo:[0,0,1] neg_hi:[0,0,1]
	v_pk_fma_f32 v[4:5], v[10:11], v[58:59], v[4:5] op_sel_hi:[1,0,1]
	s_nop 0
	v_mov_b32_e32 v7, v5
	s_waitcnt vmcnt(1) lgkmcnt(1)
	v_pk_mul_f32 v[4:5], v[12:13], v[60:61] op_sel:[1,1] op_sel_hi:[0,1]
	v_pk_add_f32 v[2:3], v[2:3], v[6:7]
	v_pk_fma_f32 v[6:7], v[12:13], v[60:61], v[4:5] neg_lo:[0,0,1] neg_hi:[0,0,1]
	v_pk_fma_f32 v[4:5], v[12:13], v[60:61], v[4:5] op_sel_hi:[1,0,1]
	s_nop 0
	v_mov_b32_e32 v4, v63
	v_mov_b32_e32 v7, v5
	v_pk_mul_f32 v[4:5], v[14:15], v[4:5] op_sel:[1,0] op_sel_hi:[0,0]
	v_pk_add_f32 v[2:3], v[2:3], v[6:7]
	v_pk_fma_f32 v[6:7], v[14:15], v[62:63], v[4:5] neg_lo:[0,0,1] neg_hi:[0,0,1]
	v_pk_fma_f32 v[4:5], v[14:15], v[62:63], v[4:5] op_sel_hi:[1,0,1]
	s_nop 0
	v_mov_b32_e32 v7, v5
	s_waitcnt vmcnt(0) lgkmcnt(0)
	v_pk_mul_f32 v[4:5], v[16:17], v[64:65] op_sel:[1,1] op_sel_hi:[0,1]
	v_pk_add_f32 v[2:3], v[2:3], v[6:7]
	v_pk_fma_f32 v[6:7], v[16:17], v[64:65], v[4:5] neg_lo:[0,0,1] neg_hi:[0,0,1]
	v_pk_fma_f32 v[4:5], v[16:17], v[64:65], v[4:5] op_sel_hi:[1,0,1]
	s_nop 0
	v_mov_b32_e32 v4, v67
	v_mov_b32_e32 v7, v5
	v_pk_mul_f32 v[4:5], v[18:19], v[4:5] op_sel:[1,0] op_sel_hi:[0,0]
	v_pk_add_f32 v[2:3], v[2:3], v[6:7]
	v_pk_fma_f32 v[6:7], v[18:19], v[66:67], v[4:5] neg_lo:[0,0,1] neg_hi:[0,0,1]
	v_pk_fma_f32 v[4:5], v[18:19], v[66:67], v[4:5] op_sel_hi:[1,0,1]
	s_nop 0
	v_mov_b32_e32 v7, v5
	scratch_load_dwordx2 v[4:5], off, off offset:208
	v_pk_add_f32 v[2:3], v[2:3], v[6:7]
	s_waitcnt vmcnt(0)
	v_pk_add_f32 v[2:3], v[4:5], v[2:3] neg_lo:[0,1] neg_hi:[0,1]
	scratch_store_dwordx2 off, v[2:3], off offset:208
	s_and_saveexec_b64 s[0:1], vcc
	s_cbranch_execz .LBB110_245
; %bb.244:
	scratch_load_dwordx2 v[2:3], off, off offset:200
	v_mov_b32_e32 v4, 0
	v_mov_b32_e32 v5, v4
	scratch_store_dwordx2 off, v[4:5], off offset:200
	s_waitcnt vmcnt(1)
	ds_write_b64 v1, v[2:3]
.LBB110_245:
	s_or_b64 exec, exec, s[0:1]
	s_waitcnt lgkmcnt(0)
	; wave barrier
	scratch_load_dwordx4 v[2:5], off, off offset:208
	scratch_load_dwordx4 v[6:9], off, off offset:224
	;; [unrolled: 1-line block ×10, first 2 shown]
	scratch_load_dwordx2 v[76:77], off, off offset:368
	scratch_load_dwordx2 v[78:79], off, off offset:200
	v_mov_b32_e32 v10, 0
	ds_read_b128 v[44:47], v10 offset:592
	ds_read_b128 v[48:51], v10 offset:608
	;; [unrolled: 1-line block ×8, first 2 shown]
	v_cmp_lt_u32_e32 vcc, 24, v0
	s_waitcnt vmcnt(11) lgkmcnt(7)
	v_mul_f32_e32 v11, v44, v3
	v_mul_f32_e32 v3, v45, v3
	;; [unrolled: 1-line block ×4, first 2 shown]
	v_fmac_f32_e32 v11, v45, v2
	v_fma_f32 v2, v44, v2, -v3
	s_waitcnt vmcnt(10) lgkmcnt(6)
	v_mul_f32_e32 v82, v48, v7
	v_mul_f32_e32 v7, v49, v7
	v_fma_f32 v3, v46, v4, -v5
	v_add_f32_e32 v2, 0, v2
	v_mul_f32_e32 v84, v50, v9
	v_mul_f32_e32 v9, v51, v9
	v_fmac_f32_e32 v80, v47, v4
	v_fma_f32 v4, v48, v6, -v7
	v_add_f32_e32 v11, 0, v11
	v_add_f32_e32 v2, v2, v3
	s_waitcnt vmcnt(9) lgkmcnt(5)
	v_mul_f32_e32 v85, v52, v13
	v_mul_f32_e32 v13, v53, v13
	v_fmac_f32_e32 v82, v49, v6
	v_fma_f32 v5, v50, v8, -v9
	v_add_f32_e32 v11, v11, v80
	v_add_f32_e32 v2, v2, v4
	v_mul_f32_e32 v86, v54, v15
	v_mul_f32_e32 v15, v55, v15
	v_fmac_f32_e32 v84, v51, v8
	v_fma_f32 v6, v52, v12, -v13
	v_add_f32_e32 v3, v11, v82
	v_add_f32_e32 v2, v2, v5
	s_waitcnt vmcnt(8) lgkmcnt(4)
	v_mul_f32_e32 v87, v56, v17
	v_mul_f32_e32 v17, v57, v17
	v_fmac_f32_e32 v85, v53, v12
	v_fma_f32 v7, v54, v14, -v15
	v_add_f32_e32 v3, v3, v84
	;; [unrolled: 13-line block ×4, first 2 shown]
	v_add_f32_e32 v2, v2, v12
	v_fmac_f32_e32 v90, v63, v22
	v_fma_f32 v14, v64, v24, -v25
	v_add_f32_e32 v3, v3, v89
	v_add_f32_e32 v2, v2, v13
	v_mul_f32_e32 v81, v66, v27
	v_fmac_f32_e32 v91, v65, v24
	v_add_f32_e32 v3, v3, v90
	v_add_f32_e32 v12, v2, v14
	v_mul_f32_e32 v2, v67, v27
	s_waitcnt vmcnt(5)
	v_mov_b32_e32 v16, v31
	s_waitcnt lgkmcnt(1)
	v_mul_f32_e32 v83, v68, v29
	v_fmac_f32_e32 v81, v67, v26
	v_add_f32_e32 v13, v3, v91
	v_fma_f32 v80, v66, v26, -v2
	v_mul_f32_e32 v2, v69, v29
	v_pk_mul_f32 v[16:17], v[70:71], v[16:17] op_sel:[1,0] op_sel_hi:[0,0]
	v_fmac_f32_e32 v83, v69, v28
	v_fma_f32 v82, v68, v28, -v2
	v_pk_add_f32 v[12:13], v[12:13], v[80:81]
	v_pk_fma_f32 v[18:19], v[70:71], v[30:31], v[16:17] neg_lo:[0,0,1] neg_hi:[0,0,1]
	v_pk_fma_f32 v[16:17], v[70:71], v[30:31], v[16:17] op_sel_hi:[1,0,1]
	v_pk_add_f32 v[12:13], v[12:13], v[82:83]
	v_mov_b32_e32 v19, v17
	s_waitcnt vmcnt(4) lgkmcnt(0)
	v_pk_mul_f32 v[16:17], v[72:73], v[32:33] op_sel:[1,1] op_sel_hi:[0,1]
	v_pk_add_f32 v[12:13], v[12:13], v[18:19]
	v_pk_fma_f32 v[18:19], v[72:73], v[32:33], v[16:17] neg_lo:[0,0,1] neg_hi:[0,0,1]
	v_pk_fma_f32 v[16:17], v[72:73], v[32:33], v[16:17] op_sel_hi:[1,0,1]
	ds_read_b128 v[2:5], v10 offset:720
	ds_read_b128 v[6:9], v10 offset:736
	ds_read_b64 v[14:15], v10 offset:752
	v_mov_b32_e32 v16, v35
	v_mov_b32_e32 v19, v17
	v_pk_mul_f32 v[16:17], v[74:75], v[16:17] op_sel:[1,0] op_sel_hi:[0,0]
	v_pk_add_f32 v[12:13], v[12:13], v[18:19]
	v_pk_fma_f32 v[18:19], v[74:75], v[34:35], v[16:17] neg_lo:[0,0,1] neg_hi:[0,0,1]
	v_pk_fma_f32 v[16:17], v[74:75], v[34:35], v[16:17] op_sel_hi:[1,0,1]
	s_nop 0
	v_mov_b32_e32 v19, v17
	s_waitcnt vmcnt(3) lgkmcnt(2)
	v_pk_mul_f32 v[16:17], v[2:3], v[36:37] op_sel:[1,1] op_sel_hi:[0,1]
	v_pk_add_f32 v[12:13], v[12:13], v[18:19]
	v_pk_fma_f32 v[18:19], v[2:3], v[36:37], v[16:17] neg_lo:[0,0,1] neg_hi:[0,0,1]
	v_pk_fma_f32 v[2:3], v[2:3], v[36:37], v[16:17] op_sel_hi:[1,0,1]
	s_nop 0
	v_mov_b32_e32 v19, v3
	v_pk_add_f32 v[2:3], v[12:13], v[18:19]
	v_mov_b32_e32 v12, v39
	v_pk_mul_f32 v[12:13], v[4:5], v[12:13] op_sel:[1,0] op_sel_hi:[0,0]
	v_pk_fma_f32 v[16:17], v[4:5], v[38:39], v[12:13] neg_lo:[0,0,1] neg_hi:[0,0,1]
	v_pk_fma_f32 v[4:5], v[4:5], v[38:39], v[12:13] op_sel_hi:[1,0,1]
	s_nop 0
	v_mov_b32_e32 v17, v5
	s_waitcnt vmcnt(2) lgkmcnt(1)
	v_pk_mul_f32 v[4:5], v[6:7], v[40:41] op_sel:[1,1] op_sel_hi:[0,1]
	v_pk_fma_f32 v[12:13], v[6:7], v[40:41], v[4:5] neg_lo:[0,0,1] neg_hi:[0,0,1]
	v_pk_fma_f32 v[4:5], v[6:7], v[40:41], v[4:5] op_sel_hi:[1,0,1]
	v_pk_add_f32 v[2:3], v[2:3], v[16:17]
	v_mov_b32_e32 v4, v43
	v_mov_b32_e32 v13, v5
	v_pk_mul_f32 v[4:5], v[8:9], v[4:5] op_sel:[1,0] op_sel_hi:[0,0]
	v_pk_fma_f32 v[6:7], v[8:9], v[42:43], v[4:5] neg_lo:[0,0,1] neg_hi:[0,0,1]
	v_pk_fma_f32 v[4:5], v[8:9], v[42:43], v[4:5] op_sel_hi:[1,0,1]
	v_pk_add_f32 v[2:3], v[2:3], v[12:13]
	v_mov_b32_e32 v7, v5
	s_waitcnt vmcnt(1) lgkmcnt(0)
	v_pk_mul_f32 v[4:5], v[14:15], v[76:77] op_sel:[1,1] op_sel_hi:[0,1]
	v_pk_add_f32 v[2:3], v[2:3], v[6:7]
	v_pk_fma_f32 v[6:7], v[14:15], v[76:77], v[4:5] neg_lo:[0,0,1] neg_hi:[0,0,1]
	v_pk_fma_f32 v[4:5], v[14:15], v[76:77], v[4:5] op_sel_hi:[1,0,1]
	s_nop 0
	v_mov_b32_e32 v7, v5
	v_pk_add_f32 v[2:3], v[2:3], v[6:7]
	s_waitcnt vmcnt(0)
	v_pk_add_f32 v[2:3], v[78:79], v[2:3] neg_lo:[0,1] neg_hi:[0,1]
	scratch_store_dwordx2 off, v[2:3], off offset:200
	s_and_saveexec_b64 s[0:1], vcc
	s_cbranch_execz .LBB110_247
; %bb.246:
	scratch_load_dwordx2 v[2:3], off, off offset:192
	v_mov_b32_e32 v11, v10
	scratch_store_dwordx2 off, v[10:11], off offset:192
	s_waitcnt vmcnt(1)
	ds_write_b64 v1, v[2:3]
.LBB110_247:
	s_or_b64 exec, exec, s[0:1]
	s_waitcnt lgkmcnt(0)
	; wave barrier
	scratch_load_dwordx4 v[6:9], off, off offset:200
	scratch_load_dwordx4 v[12:15], off, off offset:216
	;; [unrolled: 1-line block ×7, first 2 shown]
	ds_read2_b64 v[36:39], v10 offset0:73 offset1:74
	ds_read2_b64 v[40:43], v10 offset0:75 offset1:76
	;; [unrolled: 1-line block ×6, first 2 shown]
	scratch_load_dwordx4 v[60:63], off, off offset:312
	scratch_load_dwordx4 v[64:67], off, off offset:328
	;; [unrolled: 1-line block ×4, first 2 shown]
	ds_read2_b64 v[72:75], v10 offset0:85 offset1:86
	ds_read2_b64 v[76:79], v10 offset0:87 offset1:88
	scratch_load_dwordx2 v[80:81], off, off offset:192
	v_cmp_lt_u32_e32 vcc, 23, v0
	s_waitcnt vmcnt(11) lgkmcnt(7)
	v_mul_f32_e32 v11, v36, v7
	v_mul_f32_e32 v82, v38, v9
	;; [unrolled: 1-line block ×3, first 2 shown]
	v_fmac_f32_e32 v11, v37, v6
	s_waitcnt vmcnt(10) lgkmcnt(6)
	v_mul_f32_e32 v84, v40, v13
	v_mul_f32_e32 v9, v39, v9
	v_fmac_f32_e32 v82, v39, v8
	v_fma_f32 v6, v36, v6, -v7
	v_add_f32_e32 v11, 0, v11
	v_mul_f32_e32 v86, v42, v15
	v_fmac_f32_e32 v84, v41, v12
	v_fma_f32 v7, v38, v8, -v9
	v_add_f32_e32 v6, 0, v6
	v_add_f32_e32 v11, v11, v82
	s_waitcnt vmcnt(9) lgkmcnt(5)
	v_mul_f32_e32 v87, v44, v17
	v_mul_f32_e32 v13, v41, v13
	v_fmac_f32_e32 v86, v43, v14
	v_add_f32_e32 v6, v6, v7
	v_add_f32_e32 v7, v11, v84
	v_mul_f32_e32 v88, v46, v19
	v_mul_f32_e32 v15, v43, v15
	v_fmac_f32_e32 v87, v45, v16
	v_fma_f32 v8, v40, v12, -v13
	v_add_f32_e32 v7, v7, v86
	s_waitcnt vmcnt(8) lgkmcnt(4)
	v_mul_f32_e32 v89, v48, v21
	v_mul_f32_e32 v17, v45, v17
	v_fmac_f32_e32 v88, v47, v18
	v_fma_f32 v9, v42, v14, -v15
	v_add_f32_e32 v6, v6, v8
	v_add_f32_e32 v7, v7, v87
	v_mul_f32_e32 v90, v50, v23
	v_mul_f32_e32 v19, v47, v19
	v_fmac_f32_e32 v89, v49, v20
	v_fma_f32 v12, v44, v16, -v17
	v_add_f32_e32 v6, v6, v9
	v_add_f32_e32 v7, v7, v88
	s_waitcnt vmcnt(7) lgkmcnt(3)
	v_mul_f32_e32 v91, v52, v25
	v_mul_f32_e32 v21, v49, v21
	v_fmac_f32_e32 v90, v51, v22
	v_fma_f32 v13, v46, v18, -v19
	v_add_f32_e32 v6, v6, v12
	v_add_f32_e32 v7, v7, v89
	v_mul_f32_e32 v92, v54, v27
	v_mul_f32_e32 v23, v51, v23
	v_fmac_f32_e32 v91, v53, v24
	v_fma_f32 v14, v48, v20, -v21
	v_add_f32_e32 v6, v6, v13
	v_add_f32_e32 v7, v7, v90
	s_waitcnt vmcnt(6) lgkmcnt(2)
	v_mul_f32_e32 v93, v56, v29
	v_mul_f32_e32 v25, v53, v25
	v_fmac_f32_e32 v92, v55, v26
	v_fma_f32 v15, v50, v22, -v23
	v_add_f32_e32 v6, v6, v14
	v_add_f32_e32 v7, v7, v91
	v_mul_f32_e32 v94, v58, v31
	v_mul_f32_e32 v27, v55, v27
	v_fmac_f32_e32 v93, v57, v28
	v_fma_f32 v16, v52, v24, -v25
	v_add_f32_e32 v6, v6, v15
	v_add_f32_e32 v7, v7, v92
	v_mul_f32_e32 v29, v57, v29
	v_fmac_f32_e32 v94, v59, v30
	v_fma_f32 v17, v54, v26, -v27
	v_add_f32_e32 v6, v6, v16
	v_add_f32_e32 v7, v7, v93
	v_fma_f32 v18, v56, v28, -v29
	v_add_f32_e32 v6, v6, v17
	v_add_f32_e32 v21, v7, v94
	v_mul_f32_e32 v7, v59, v31
	v_add_f32_e32 v6, v6, v18
	v_fma_f32 v7, v58, v30, -v7
	s_waitcnt vmcnt(5) lgkmcnt(1)
	v_mul_f32_e32 v83, v72, v33
	v_add_f32_e32 v20, v6, v7
	v_mul_f32_e32 v6, v73, v33
	v_fmac_f32_e32 v83, v73, v32
	v_fma_f32 v82, v72, v32, -v6
	v_mul_f32_e32 v6, v75, v35
	v_fma_f32 v84, v74, v34, -v6
	ds_read2_b64 v[6:9], v10 offset0:89 offset1:90
	ds_read2_b64 v[12:15], v10 offset0:91 offset1:92
	;; [unrolled: 1-line block ×3, first 2 shown]
	v_pk_add_f32 v[10:11], v[20:21], v[82:83]
	s_waitcnt vmcnt(4) lgkmcnt(3)
	v_pk_mul_f32 v[20:21], v[76:77], v[60:61] op_sel:[1,1] op_sel_hi:[0,1]
	v_mul_f32_e32 v85, v74, v35
	v_pk_fma_f32 v[22:23], v[76:77], v[60:61], v[20:21] neg_lo:[0,0,1] neg_hi:[0,0,1]
	v_pk_fma_f32 v[20:21], v[76:77], v[60:61], v[20:21] op_sel_hi:[1,0,1]
	v_fmac_f32_e32 v85, v75, v34
	v_mov_b32_e32 v20, v63
	v_pk_add_f32 v[10:11], v[10:11], v[84:85]
	v_mov_b32_e32 v23, v21
	v_pk_mul_f32 v[20:21], v[78:79], v[20:21] op_sel:[1,0] op_sel_hi:[0,0]
	v_pk_add_f32 v[10:11], v[10:11], v[22:23]
	v_pk_fma_f32 v[22:23], v[78:79], v[62:63], v[20:21] neg_lo:[0,0,1] neg_hi:[0,0,1]
	v_pk_fma_f32 v[20:21], v[78:79], v[62:63], v[20:21] op_sel_hi:[1,0,1]
	s_nop 0
	v_mov_b32_e32 v23, v21
	s_waitcnt vmcnt(3) lgkmcnt(2)
	v_pk_mul_f32 v[20:21], v[6:7], v[64:65] op_sel:[1,1] op_sel_hi:[0,1]
	v_pk_add_f32 v[10:11], v[10:11], v[22:23]
	v_pk_fma_f32 v[22:23], v[6:7], v[64:65], v[20:21] neg_lo:[0,0,1] neg_hi:[0,0,1]
	v_pk_fma_f32 v[6:7], v[6:7], v[64:65], v[20:21] op_sel_hi:[1,0,1]
	s_nop 0
	v_mov_b32_e32 v23, v7
	v_pk_add_f32 v[6:7], v[10:11], v[22:23]
	v_mov_b32_e32 v10, v67
	v_pk_mul_f32 v[10:11], v[8:9], v[10:11] op_sel:[1,0] op_sel_hi:[0,0]
	v_pk_fma_f32 v[20:21], v[8:9], v[66:67], v[10:11] neg_lo:[0,0,1] neg_hi:[0,0,1]
	v_pk_fma_f32 v[8:9], v[8:9], v[66:67], v[10:11] op_sel_hi:[1,0,1]
	s_nop 0
	v_mov_b32_e32 v21, v9
	s_waitcnt vmcnt(2) lgkmcnt(1)
	v_pk_mul_f32 v[8:9], v[12:13], v[68:69] op_sel:[1,1] op_sel_hi:[0,1]
	v_pk_fma_f32 v[10:11], v[12:13], v[68:69], v[8:9] neg_lo:[0,0,1] neg_hi:[0,0,1]
	v_pk_fma_f32 v[8:9], v[12:13], v[68:69], v[8:9] op_sel_hi:[1,0,1]
	v_pk_add_f32 v[6:7], v[6:7], v[20:21]
	v_mov_b32_e32 v8, v71
	v_mov_b32_e32 v11, v9
	v_pk_mul_f32 v[8:9], v[14:15], v[8:9] op_sel:[1,0] op_sel_hi:[0,0]
	v_pk_add_f32 v[6:7], v[6:7], v[10:11]
	v_pk_fma_f32 v[10:11], v[14:15], v[70:71], v[8:9] neg_lo:[0,0,1] neg_hi:[0,0,1]
	v_pk_fma_f32 v[8:9], v[14:15], v[70:71], v[8:9] op_sel_hi:[1,0,1]
	s_nop 0
	v_mov_b32_e32 v11, v9
	s_waitcnt vmcnt(1) lgkmcnt(0)
	v_pk_mul_f32 v[8:9], v[16:17], v[2:3] op_sel:[1,1] op_sel_hi:[0,1]
	v_pk_add_f32 v[6:7], v[6:7], v[10:11]
	v_pk_fma_f32 v[10:11], v[16:17], v[2:3], v[8:9] neg_lo:[0,0,1] neg_hi:[0,0,1]
	v_pk_fma_f32 v[2:3], v[16:17], v[2:3], v[8:9] op_sel_hi:[1,0,1]
	s_nop 0
	v_mov_b32_e32 v11, v3
	v_pk_add_f32 v[2:3], v[6:7], v[10:11]
	v_mov_b32_e32 v6, v5
	v_pk_mul_f32 v[6:7], v[18:19], v[6:7] op_sel:[1,0] op_sel_hi:[0,0]
	v_pk_fma_f32 v[8:9], v[18:19], v[4:5], v[6:7] neg_lo:[0,0,1] neg_hi:[0,0,1]
	v_pk_fma_f32 v[4:5], v[18:19], v[4:5], v[6:7] op_sel_hi:[1,0,1]
	s_nop 0
	v_mov_b32_e32 v9, v5
	v_pk_add_f32 v[2:3], v[2:3], v[8:9]
	s_waitcnt vmcnt(0)
	v_pk_add_f32 v[2:3], v[80:81], v[2:3] neg_lo:[0,1] neg_hi:[0,1]
	scratch_store_dwordx2 off, v[2:3], off offset:192
	s_and_saveexec_b64 s[0:1], vcc
	s_cbranch_execz .LBB110_249
; %bb.248:
	scratch_load_dwordx2 v[2:3], off, off offset:184
	v_mov_b32_e32 v4, 0
	v_mov_b32_e32 v5, v4
	scratch_store_dwordx2 off, v[4:5], off offset:184
	s_waitcnt vmcnt(1)
	ds_write_b64 v1, v[2:3]
.LBB110_249:
	s_or_b64 exec, exec, s[0:1]
	s_waitcnt lgkmcnt(0)
	; wave barrier
	scratch_load_dwordx4 v[6:9], off, off offset:192
	scratch_load_dwordx4 v[14:17], off, off offset:208
	scratch_load_dwordx4 v[24:27], off, off offset:224
	scratch_load_dwordx4 v[28:31], off, off offset:240
	scratch_load_dwordx4 v[18:21], off, off offset:256
	scratch_load_dwordx4 v[32:35], off, off offset:272
	scratch_load_dwordx4 v[40:43], off, off offset:288
	scratch_load_dwordx4 v[44:47], off, off offset:304
	scratch_load_dwordx4 v[48:51], off, off offset:320
	scratch_load_dwordx4 v[10:13], off, off offset:336
	scratch_load_dwordx4 v[2:5], off, off offset:352
	scratch_load_dwordx2 v[22:23], off, off offset:368
	scratch_load_dwordx2 v[36:37], off, off offset:184
	v_mov_b32_e32 v38, 0
	ds_read_b128 v[52:55], v38 offset:576
	ds_read_b128 v[56:59], v38 offset:592
	;; [unrolled: 1-line block ×8, first 2 shown]
	v_cmp_lt_u32_e32 vcc, 22, v0
	s_waitcnt vmcnt(12) lgkmcnt(7)
	v_mul_f32_e32 v39, v52, v7
	v_mul_f32_e32 v84, v54, v9
	;; [unrolled: 1-line block ×3, first 2 shown]
	v_fmac_f32_e32 v39, v53, v6
	s_waitcnt vmcnt(8) lgkmcnt(3)
	v_mul_f32_e32 v93, v68, v19
	v_mul_f32_e32 v19, v69, v19
	;; [unrolled: 1-line block ×4, first 2 shown]
	v_fmac_f32_e32 v84, v55, v8
	v_fmac_f32_e32 v93, v69, v18
	v_fma_f32 v6, v52, v6, -v7
	v_fma_f32 v18, v68, v18, -v19
	v_add_f32_e32 v19, 0, v39
	v_mul_f32_e32 v88, v58, v17
	v_fmac_f32_e32 v86, v57, v14
	v_fma_f32 v7, v54, v8, -v9
	v_add_f32_e32 v6, 0, v6
	v_add_f32_e32 v19, v19, v84
	v_mul_f32_e32 v89, v60, v25
	v_fmac_f32_e32 v88, v59, v16
	v_add_f32_e32 v6, v6, v7
	v_add_f32_e32 v7, v19, v86
	v_mul_f32_e32 v90, v62, v27
	v_fmac_f32_e32 v89, v61, v24
	v_add_f32_e32 v7, v7, v88
	v_mul_f32_e32 v91, v64, v29
	v_mul_f32_e32 v15, v57, v15
	v_fmac_f32_e32 v90, v63, v26
	v_add_f32_e32 v7, v7, v89
	v_mul_f32_e32 v92, v66, v31
	v_mul_f32_e32 v17, v59, v17
	v_fmac_f32_e32 v91, v65, v28
	v_fma_f32 v8, v56, v14, -v15
	v_add_f32_e32 v7, v7, v90
	v_mul_f32_e32 v25, v61, v25
	v_fmac_f32_e32 v92, v67, v30
	v_fma_f32 v9, v58, v16, -v17
	v_add_f32_e32 v6, v6, v8
	v_add_f32_e32 v7, v7, v91
	v_mul_f32_e32 v94, v70, v21
	v_mul_f32_e32 v27, v63, v27
	v_fma_f32 v14, v60, v24, -v25
	v_add_f32_e32 v6, v6, v9
	v_add_f32_e32 v7, v7, v92
	s_waitcnt vmcnt(7) lgkmcnt(2)
	v_mul_f32_e32 v95, v72, v33
	v_mul_f32_e32 v29, v65, v29
	v_fmac_f32_e32 v94, v71, v20
	v_fma_f32 v15, v62, v26, -v27
	v_add_f32_e32 v6, v6, v14
	v_add_f32_e32 v7, v7, v93
	v_mul_f32_e32 v96, v74, v35
	v_mul_f32_e32 v31, v67, v31
	v_fmac_f32_e32 v95, v73, v32
	v_fma_f32 v16, v64, v28, -v29
	v_add_f32_e32 v6, v6, v15
	v_add_f32_e32 v7, v7, v94
	s_waitcnt vmcnt(6) lgkmcnt(1)
	v_mul_f32_e32 v97, v76, v41
	v_fmac_f32_e32 v96, v75, v34
	v_fma_f32 v17, v66, v30, -v31
	v_add_f32_e32 v6, v6, v16
	v_add_f32_e32 v7, v7, v95
	v_mul_f32_e32 v21, v71, v21
	v_fmac_f32_e32 v97, v77, v40
	v_add_f32_e32 v6, v6, v17
	v_add_f32_e32 v7, v7, v96
	;; [unrolled: 1-line block ×4, first 2 shown]
	v_fma_f32 v7, v70, v20, -v21
	v_add_f32_e32 v6, v6, v7
	v_mul_f32_e32 v7, v73, v33
	v_fma_f32 v7, v72, v32, -v7
	v_add_f32_e32 v6, v6, v7
	v_mul_f32_e32 v7, v75, v35
	;; [unrolled: 3-line block ×4, first 2 shown]
	v_mul_f32_e32 v85, v78, v43
	v_fma_f32 v84, v78, v42, -v6
	s_waitcnt vmcnt(5) lgkmcnt(0)
	v_mul_f32_e32 v6, v81, v45
	v_mov_b32_e32 v28, v47
	v_mul_f32_e32 v87, v80, v45
	v_fmac_f32_e32 v85, v79, v42
	v_fma_f32 v86, v80, v44, -v6
	ds_read_b128 v[6:9], v38 offset:704
	ds_read_b128 v[14:17], v38 offset:720
	;; [unrolled: 1-line block ×3, first 2 shown]
	ds_read_b64 v[26:27], v38 offset:752
	v_pk_mul_f32 v[28:29], v[82:83], v[28:29] op_sel:[1,0] op_sel_hi:[0,0]
	v_fmac_f32_e32 v87, v81, v44
	v_pk_add_f32 v[24:25], v[24:25], v[84:85]
	v_pk_fma_f32 v[30:31], v[82:83], v[46:47], v[28:29] neg_lo:[0,0,1] neg_hi:[0,0,1]
	v_pk_fma_f32 v[28:29], v[82:83], v[46:47], v[28:29] op_sel_hi:[1,0,1]
	v_pk_add_f32 v[24:25], v[24:25], v[86:87]
	v_mov_b32_e32 v31, v29
	s_waitcnt vmcnt(4) lgkmcnt(3)
	v_pk_mul_f32 v[28:29], v[6:7], v[48:49] op_sel:[1,1] op_sel_hi:[0,1]
	v_pk_add_f32 v[24:25], v[24:25], v[30:31]
	v_pk_fma_f32 v[30:31], v[6:7], v[48:49], v[28:29] neg_lo:[0,0,1] neg_hi:[0,0,1]
	v_pk_fma_f32 v[6:7], v[6:7], v[48:49], v[28:29] op_sel_hi:[1,0,1]
	s_nop 0
	v_mov_b32_e32 v31, v7
	v_pk_add_f32 v[6:7], v[24:25], v[30:31]
	v_mov_b32_e32 v24, v51
	v_pk_mul_f32 v[24:25], v[8:9], v[24:25] op_sel:[1,0] op_sel_hi:[0,0]
	v_pk_fma_f32 v[28:29], v[8:9], v[50:51], v[24:25] neg_lo:[0,0,1] neg_hi:[0,0,1]
	v_pk_fma_f32 v[8:9], v[8:9], v[50:51], v[24:25] op_sel_hi:[1,0,1]
	s_nop 0
	v_mov_b32_e32 v29, v9
	s_waitcnt vmcnt(3) lgkmcnt(2)
	v_pk_mul_f32 v[8:9], v[14:15], v[10:11] op_sel:[1,1] op_sel_hi:[0,1]
	v_pk_fma_f32 v[24:25], v[14:15], v[10:11], v[8:9] neg_lo:[0,0,1] neg_hi:[0,0,1]
	v_pk_fma_f32 v[8:9], v[14:15], v[10:11], v[8:9] op_sel_hi:[1,0,1]
	v_pk_add_f32 v[6:7], v[6:7], v[28:29]
	v_mov_b32_e32 v8, v13
	v_mov_b32_e32 v25, v9
	v_pk_mul_f32 v[8:9], v[16:17], v[8:9] op_sel:[1,0] op_sel_hi:[0,0]
	v_pk_fma_f32 v[10:11], v[16:17], v[12:13], v[8:9] neg_lo:[0,0,1] neg_hi:[0,0,1]
	v_pk_fma_f32 v[8:9], v[16:17], v[12:13], v[8:9] op_sel_hi:[1,0,1]
	v_pk_add_f32 v[6:7], v[6:7], v[24:25]
	v_mov_b32_e32 v11, v9
	s_waitcnt vmcnt(2) lgkmcnt(1)
	v_pk_mul_f32 v[8:9], v[18:19], v[2:3] op_sel:[1,1] op_sel_hi:[0,1]
	v_pk_add_f32 v[6:7], v[6:7], v[10:11]
	v_pk_fma_f32 v[10:11], v[18:19], v[2:3], v[8:9] neg_lo:[0,0,1] neg_hi:[0,0,1]
	v_pk_fma_f32 v[2:3], v[18:19], v[2:3], v[8:9] op_sel_hi:[1,0,1]
	s_nop 0
	v_mov_b32_e32 v11, v3
	v_pk_add_f32 v[2:3], v[6:7], v[10:11]
	v_mov_b32_e32 v6, v5
	v_pk_mul_f32 v[6:7], v[20:21], v[6:7] op_sel:[1,0] op_sel_hi:[0,0]
	v_pk_fma_f32 v[8:9], v[20:21], v[4:5], v[6:7] neg_lo:[0,0,1] neg_hi:[0,0,1]
	v_pk_fma_f32 v[4:5], v[20:21], v[4:5], v[6:7] op_sel_hi:[1,0,1]
	s_nop 0
	v_mov_b32_e32 v9, v5
	s_waitcnt vmcnt(1) lgkmcnt(0)
	v_pk_mul_f32 v[4:5], v[26:27], v[22:23] op_sel:[1,1] op_sel_hi:[0,1]
	v_pk_fma_f32 v[6:7], v[26:27], v[22:23], v[4:5] neg_lo:[0,0,1] neg_hi:[0,0,1]
	v_pk_fma_f32 v[4:5], v[26:27], v[22:23], v[4:5] op_sel_hi:[1,0,1]
	v_pk_add_f32 v[2:3], v[2:3], v[8:9]
	v_mov_b32_e32 v7, v5
	v_pk_add_f32 v[2:3], v[2:3], v[6:7]
	s_waitcnt vmcnt(0)
	v_pk_add_f32 v[2:3], v[36:37], v[2:3] neg_lo:[0,1] neg_hi:[0,1]
	scratch_store_dwordx2 off, v[2:3], off offset:184
	s_and_saveexec_b64 s[0:1], vcc
	s_cbranch_execz .LBB110_251
; %bb.250:
	scratch_load_dwordx2 v[2:3], off, off offset:176
	v_mov_b32_e32 v39, v38
	scratch_store_dwordx2 off, v[38:39], off offset:176
	s_waitcnt vmcnt(1)
	ds_write_b64 v1, v[2:3]
.LBB110_251:
	s_or_b64 exec, exec, s[0:1]
	s_waitcnt lgkmcnt(0)
	; wave barrier
	scratch_load_dwordx4 v[2:5], off, off offset:184
	scratch_load_dwordx4 v[14:17], off, off offset:200
	;; [unrolled: 1-line block ×8, first 2 shown]
	ds_read2_b64 v[48:51], v38 offset0:71 offset1:72
	ds_read2_b64 v[52:55], v38 offset0:73 offset1:74
	;; [unrolled: 1-line block ×8, first 2 shown]
	scratch_load_dwordx4 v[80:83], off, off offset:312
	scratch_load_dwordx4 v[26:29], off, off offset:328
	scratch_load_dwordx4 v[10:13], off, off offset:344
	scratch_load_dwordx4 v[6:9], off, off offset:360
	scratch_load_dwordx2 v[84:85], off, off offset:176
	v_cmp_lt_u32_e32 vcc, 21, v0
	s_waitcnt vmcnt(12) lgkmcnt(7)
	v_mul_f32_e32 v39, v48, v3
	v_mul_f32_e32 v86, v50, v5
	;; [unrolled: 1-line block ×3, first 2 shown]
	v_fmac_f32_e32 v39, v49, v2
	s_waitcnt vmcnt(8) lgkmcnt(3)
	v_mul_f32_e32 v95, v64, v19
	v_mul_f32_e32 v19, v65, v19
	;; [unrolled: 1-line block ×4, first 2 shown]
	v_fmac_f32_e32 v86, v51, v4
	v_fmac_f32_e32 v95, v65, v18
	v_fma_f32 v2, v48, v2, -v3
	v_fma_f32 v18, v64, v18, -v19
	v_add_f32_e32 v19, 0, v39
	v_mul_f32_e32 v90, v54, v17
	v_fmac_f32_e32 v88, v53, v14
	v_fma_f32 v3, v50, v4, -v5
	v_add_f32_e32 v2, 0, v2
	v_add_f32_e32 v19, v19, v86
	v_mul_f32_e32 v91, v56, v31
	v_fmac_f32_e32 v90, v55, v16
	v_add_f32_e32 v2, v2, v3
	v_add_f32_e32 v3, v19, v88
	v_mul_f32_e32 v92, v58, v33
	v_fmac_f32_e32 v91, v57, v30
	v_add_f32_e32 v3, v3, v90
	v_mul_f32_e32 v93, v60, v41
	v_fmac_f32_e32 v92, v59, v32
	;; [unrolled: 3-line block ×4, first 2 shown]
	v_add_f32_e32 v3, v3, v93
	v_mul_f32_e32 v96, v66, v21
	v_mul_f32_e32 v17, v55, v17
	v_fma_f32 v4, v52, v14, -v15
	v_add_f32_e32 v3, v3, v94
	s_waitcnt vmcnt(7) lgkmcnt(2)
	v_mul_f32_e32 v97, v68, v23
	v_mul_f32_e32 v31, v57, v31
	v_fmac_f32_e32 v96, v67, v20
	v_fma_f32 v5, v54, v16, -v17
	v_add_f32_e32 v2, v2, v4
	v_add_f32_e32 v3, v3, v95
	v_mul_f32_e32 v98, v70, v25
	v_mul_f32_e32 v33, v59, v33
	v_fmac_f32_e32 v97, v69, v22
	v_fma_f32 v14, v56, v30, -v31
	v_add_f32_e32 v2, v2, v5
	v_add_f32_e32 v3, v3, v96
	s_waitcnt vmcnt(6) lgkmcnt(1)
	v_mul_f32_e32 v99, v72, v35
	v_mul_f32_e32 v41, v61, v41
	v_fmac_f32_e32 v98, v71, v24
	v_fma_f32 v15, v58, v32, -v33
	v_add_f32_e32 v2, v2, v14
	v_add_f32_e32 v3, v3, v97
	v_mul_f32_e32 v100, v74, v37
	v_mul_f32_e32 v43, v63, v43
	v_fmac_f32_e32 v99, v73, v34
	v_fma_f32 v16, v60, v40, -v41
	v_add_f32_e32 v2, v2, v15
	v_add_f32_e32 v3, v3, v98
	v_fmac_f32_e32 v100, v75, v36
	v_fma_f32 v17, v62, v42, -v43
	v_add_f32_e32 v2, v2, v16
	v_add_f32_e32 v3, v3, v99
	;; [unrolled: 1-line block ×4, first 2 shown]
	v_mul_f32_e32 v3, v67, v21
	v_add_f32_e32 v2, v2, v18
	v_fma_f32 v3, v66, v20, -v3
	v_add_f32_e32 v2, v2, v3
	v_mul_f32_e32 v3, v69, v23
	v_fma_f32 v3, v68, v22, -v3
	v_add_f32_e32 v2, v2, v3
	v_mul_f32_e32 v3, v71, v25
	v_fma_f32 v3, v70, v24, -v3
	v_add_f32_e32 v2, v2, v3
	v_mul_f32_e32 v3, v73, v35
	v_fma_f32 v3, v72, v34, -v3
	v_add_f32_e32 v2, v2, v3
	v_mul_f32_e32 v3, v75, v37
	v_fma_f32 v3, v74, v36, -v3
	v_add_f32_e32 v30, v2, v3
	s_waitcnt vmcnt(5) lgkmcnt(0)
	v_mul_f32_e32 v2, v77, v45
	v_fma_f32 v86, v76, v44, -v2
	v_mul_f32_e32 v2, v79, v47
	v_fma_f32 v88, v78, v46, -v2
	ds_read2_b64 v[2:5], v38 offset0:87 offset1:88
	ds_read2_b64 v[14:17], v38 offset0:89 offset1:90
	;; [unrolled: 1-line block ×4, first 2 shown]
	v_mul_f32_e32 v87, v76, v45
	v_mul_f32_e32 v89, v78, v47
	v_fmac_f32_e32 v87, v77, v44
	s_waitcnt vmcnt(4) lgkmcnt(3)
	v_pk_mul_f32 v[32:33], v[2:3], v[80:81] op_sel:[1,1] op_sel_hi:[0,1]
	v_fmac_f32_e32 v89, v79, v46
	v_pk_add_f32 v[30:31], v[30:31], v[86:87]
	v_pk_fma_f32 v[34:35], v[2:3], v[80:81], v[32:33] neg_lo:[0,0,1] neg_hi:[0,0,1]
	v_pk_fma_f32 v[2:3], v[2:3], v[80:81], v[32:33] op_sel_hi:[1,0,1]
	v_pk_add_f32 v[30:31], v[30:31], v[88:89]
	v_mov_b32_e32 v35, v3
	v_pk_add_f32 v[2:3], v[30:31], v[34:35]
	v_mov_b32_e32 v30, v83
	v_pk_mul_f32 v[30:31], v[4:5], v[30:31] op_sel:[1,0] op_sel_hi:[0,0]
	v_pk_fma_f32 v[32:33], v[4:5], v[82:83], v[30:31] neg_lo:[0,0,1] neg_hi:[0,0,1]
	v_pk_fma_f32 v[4:5], v[4:5], v[82:83], v[30:31] op_sel_hi:[1,0,1]
	s_nop 0
	v_mov_b32_e32 v33, v5
	s_waitcnt vmcnt(3) lgkmcnt(2)
	v_pk_mul_f32 v[4:5], v[14:15], v[26:27] op_sel:[1,1] op_sel_hi:[0,1]
	v_pk_fma_f32 v[30:31], v[14:15], v[26:27], v[4:5] neg_lo:[0,0,1] neg_hi:[0,0,1]
	v_pk_fma_f32 v[4:5], v[14:15], v[26:27], v[4:5] op_sel_hi:[1,0,1]
	v_pk_add_f32 v[2:3], v[2:3], v[32:33]
	v_mov_b32_e32 v4, v29
	v_mov_b32_e32 v31, v5
	v_pk_mul_f32 v[4:5], v[16:17], v[4:5] op_sel:[1,0] op_sel_hi:[0,0]
	v_pk_fma_f32 v[14:15], v[16:17], v[28:29], v[4:5] neg_lo:[0,0,1] neg_hi:[0,0,1]
	v_pk_fma_f32 v[4:5], v[16:17], v[28:29], v[4:5] op_sel_hi:[1,0,1]
	v_pk_add_f32 v[2:3], v[2:3], v[30:31]
	v_mov_b32_e32 v15, v5
	s_waitcnt vmcnt(2) lgkmcnt(1)
	v_pk_mul_f32 v[4:5], v[18:19], v[10:11] op_sel:[1,1] op_sel_hi:[0,1]
	v_pk_add_f32 v[2:3], v[2:3], v[14:15]
	v_pk_fma_f32 v[14:15], v[18:19], v[10:11], v[4:5] neg_lo:[0,0,1] neg_hi:[0,0,1]
	v_pk_fma_f32 v[4:5], v[18:19], v[10:11], v[4:5] op_sel_hi:[1,0,1]
	s_nop 0
	v_mov_b32_e32 v4, v13
	v_mov_b32_e32 v15, v5
	v_pk_mul_f32 v[4:5], v[20:21], v[4:5] op_sel:[1,0] op_sel_hi:[0,0]
	v_pk_fma_f32 v[10:11], v[20:21], v[12:13], v[4:5] neg_lo:[0,0,1] neg_hi:[0,0,1]
	v_pk_fma_f32 v[4:5], v[20:21], v[12:13], v[4:5] op_sel_hi:[1,0,1]
	v_pk_add_f32 v[2:3], v[2:3], v[14:15]
	v_mov_b32_e32 v11, v5
	s_waitcnt vmcnt(1) lgkmcnt(0)
	v_pk_mul_f32 v[4:5], v[22:23], v[6:7] op_sel:[1,1] op_sel_hi:[0,1]
	v_pk_add_f32 v[2:3], v[2:3], v[10:11]
	v_pk_fma_f32 v[10:11], v[22:23], v[6:7], v[4:5] neg_lo:[0,0,1] neg_hi:[0,0,1]
	v_pk_fma_f32 v[4:5], v[22:23], v[6:7], v[4:5] op_sel_hi:[1,0,1]
	s_nop 0
	v_mov_b32_e32 v4, v9
	v_mov_b32_e32 v11, v5
	v_pk_mul_f32 v[4:5], v[24:25], v[4:5] op_sel:[1,0] op_sel_hi:[0,0]
	v_pk_fma_f32 v[6:7], v[24:25], v[8:9], v[4:5] neg_lo:[0,0,1] neg_hi:[0,0,1]
	v_pk_fma_f32 v[4:5], v[24:25], v[8:9], v[4:5] op_sel_hi:[1,0,1]
	v_pk_add_f32 v[2:3], v[2:3], v[10:11]
	v_mov_b32_e32 v7, v5
	v_pk_add_f32 v[2:3], v[2:3], v[6:7]
	s_waitcnt vmcnt(0)
	v_pk_add_f32 v[2:3], v[84:85], v[2:3] neg_lo:[0,1] neg_hi:[0,1]
	scratch_store_dwordx2 off, v[2:3], off offset:176
	s_and_saveexec_b64 s[0:1], vcc
	s_cbranch_execz .LBB110_253
; %bb.252:
	scratch_load_dwordx2 v[2:3], off, off offset:168
	v_mov_b32_e32 v4, 0
	v_mov_b32_e32 v5, v4
	scratch_store_dwordx2 off, v[4:5], off offset:168
	s_waitcnt vmcnt(1)
	ds_write_b64 v1, v[2:3]
.LBB110_253:
	s_or_b64 exec, exec, s[0:1]
	s_waitcnt lgkmcnt(0)
	; wave barrier
	scratch_load_dwordx4 v[10:13], off, off offset:176
	scratch_load_dwordx4 v[26:29], off, off offset:192
	scratch_load_dwordx4 v[38:41], off, off offset:208
	scratch_load_dwordx4 v[6:9], off, off offset:224
	scratch_load_dwordx4 v[14:17], off, off offset:240
	scratch_load_dwordx4 v[22:25], off, off offset:256
	scratch_load_dwordx4 v[30:33], off, off offset:272
	scratch_load_dwordx4 v[42:45], off, off offset:288
	scratch_load_dwordx4 v[46:49], off, off offset:304
	scratch_load_dwordx4 v[34:37], off, off offset:320
	scratch_load_dwordx4 v[18:21], off, off offset:336
	scratch_load_dwordx4 v[2:5], off, off offset:352
	scratch_load_dwordx2 v[50:51], off, off offset:368
	scratch_load_dwordx2 v[56:57], off, off offset:168
	v_mov_b32_e32 v58, 0
	ds_read_b128 v[52:55], v58 offset:560
	ds_read_b128 v[60:63], v58 offset:576
	ds_read_b128 v[64:67], v58 offset:592
	ds_read_b128 v[68:71], v58 offset:608
	ds_read_b128 v[72:75], v58 offset:624
	ds_read_b128 v[76:79], v58 offset:640
	ds_read_b128 v[80:83], v58 offset:656
	ds_read_b128 v[84:87], v58 offset:672
	ds_read_b128 v[88:91], v58 offset:688
	ds_read_b128 v[92:95], v58 offset:704
	v_cmp_lt_u32_e32 vcc, 20, v0
	s_waitcnt vmcnt(13) lgkmcnt(9)
	v_mul_f32_e32 v59, v52, v11
	v_mul_f32_e32 v96, v54, v13
	v_fmac_f32_e32 v59, v53, v10
	s_waitcnt vmcnt(10) lgkmcnt(6)
	v_mul_f32_e32 v103, v68, v7
	v_mul_f32_e32 v7, v69, v7
	;; [unrolled: 1-line block ×3, first 2 shown]
	v_fmac_f32_e32 v96, v55, v12
	v_fmac_f32_e32 v103, v69, v6
	v_fma_f32 v6, v68, v6, -v7
	v_add_f32_e32 v7, 0, v59
	v_mul_f32_e32 v100, v62, v29
	v_fmac_f32_e32 v98, v61, v26
	v_add_f32_e32 v7, v7, v96
	v_mul_f32_e32 v101, v64, v39
	v_fmac_f32_e32 v100, v63, v28
	;; [unrolled: 3-line block ×3, first 2 shown]
	v_add_f32_e32 v7, v7, v100
	v_fmac_f32_e32 v102, v67, v40
	v_add_f32_e32 v7, v7, v101
	v_mul_f32_e32 v104, v70, v9
	v_add_f32_e32 v7, v7, v102
	s_waitcnt vmcnt(9) lgkmcnt(5)
	v_mul_f32_e32 v105, v72, v15
	v_fmac_f32_e32 v104, v71, v8
	v_add_f32_e32 v7, v7, v103
	v_mul_f32_e32 v106, v74, v17
	v_mul_f32_e32 v11, v53, v11
	v_fmac_f32_e32 v105, v73, v14
	v_add_f32_e32 v7, v7, v104
	s_waitcnt vmcnt(8) lgkmcnt(4)
	v_mul_f32_e32 v107, v76, v23
	v_mul_f32_e32 v13, v55, v13
	v_fmac_f32_e32 v106, v75, v16
	v_fma_f32 v10, v52, v10, -v11
	v_add_f32_e32 v7, v7, v105
	v_mul_f32_e32 v108, v78, v25
	v_mul_f32_e32 v27, v61, v27
	v_fmac_f32_e32 v107, v77, v22
	v_fma_f32 v11, v54, v12, -v13
	v_add_f32_e32 v10, 0, v10
	v_add_f32_e32 v7, v7, v106
	s_waitcnt vmcnt(7) lgkmcnt(3)
	v_mul_f32_e32 v109, v80, v31
	v_mul_f32_e32 v29, v63, v29
	v_fmac_f32_e32 v108, v79, v24
	v_fma_f32 v12, v60, v26, -v27
	v_add_f32_e32 v10, v10, v11
	v_add_f32_e32 v7, v7, v107
	v_mul_f32_e32 v110, v82, v33
	v_mul_f32_e32 v39, v65, v39
	v_fmac_f32_e32 v109, v81, v30
	v_fma_f32 v13, v62, v28, -v29
	v_add_f32_e32 v10, v10, v12
	v_add_f32_e32 v7, v7, v108
	s_waitcnt vmcnt(6) lgkmcnt(2)
	v_mul_f32_e32 v111, v84, v43
	v_mul_f32_e32 v41, v67, v41
	v_fmac_f32_e32 v110, v83, v32
	v_fma_f32 v26, v64, v38, -v39
	v_add_f32_e32 v10, v10, v13
	v_add_f32_e32 v7, v7, v109
	v_fmac_f32_e32 v111, v85, v42
	v_fma_f32 v27, v66, v40, -v41
	v_add_f32_e32 v10, v10, v26
	v_add_f32_e32 v7, v7, v110
	;; [unrolled: 1-line block ×4, first 2 shown]
	v_mul_f32_e32 v7, v71, v9
	v_add_f32_e32 v6, v10, v6
	v_fma_f32 v7, v70, v8, -v7
	v_add_f32_e32 v6, v6, v7
	v_mul_f32_e32 v7, v73, v15
	v_fma_f32 v7, v72, v14, -v7
	v_add_f32_e32 v6, v6, v7
	v_mul_f32_e32 v7, v75, v17
	;; [unrolled: 3-line block ×7, first 2 shown]
	v_fma_f32 v7, v84, v42, -v7
	v_mul_f32_e32 v97, v86, v45
	v_add_f32_e32 v26, v6, v7
	v_mul_f32_e32 v6, v87, v45
	s_waitcnt vmcnt(5)
	v_mov_b32_e32 v22, v49
	s_waitcnt lgkmcnt(1)
	v_mul_f32_e32 v99, v88, v47
	v_fmac_f32_e32 v97, v87, v44
	v_fma_f32 v96, v86, v44, -v6
	v_mul_f32_e32 v6, v89, v47
	v_pk_mul_f32 v[22:23], v[90:91], v[22:23] op_sel:[1,0] op_sel_hi:[0,0]
	v_fmac_f32_e32 v99, v89, v46
	v_fma_f32 v98, v88, v46, -v6
	v_pk_add_f32 v[16:17], v[26:27], v[96:97]
	v_pk_fma_f32 v[24:25], v[90:91], v[48:49], v[22:23] neg_lo:[0,0,1] neg_hi:[0,0,1]
	v_pk_fma_f32 v[22:23], v[90:91], v[48:49], v[22:23] op_sel_hi:[1,0,1]
	v_pk_add_f32 v[16:17], v[16:17], v[98:99]
	v_mov_b32_e32 v25, v23
	s_waitcnt vmcnt(4) lgkmcnt(0)
	v_pk_mul_f32 v[22:23], v[92:93], v[34:35] op_sel:[1,1] op_sel_hi:[0,1]
	v_pk_add_f32 v[16:17], v[16:17], v[24:25]
	v_pk_fma_f32 v[24:25], v[92:93], v[34:35], v[22:23] neg_lo:[0,0,1] neg_hi:[0,0,1]
	v_pk_fma_f32 v[22:23], v[92:93], v[34:35], v[22:23] op_sel_hi:[1,0,1]
	ds_read_b128 v[6:9], v58 offset:720
	ds_read_b128 v[10:13], v58 offset:736
	ds_read_b64 v[14:15], v58 offset:752
	v_mov_b32_e32 v22, v37
	v_mov_b32_e32 v25, v23
	v_pk_mul_f32 v[22:23], v[94:95], v[22:23] op_sel:[1,0] op_sel_hi:[0,0]
	v_pk_add_f32 v[16:17], v[16:17], v[24:25]
	v_pk_fma_f32 v[24:25], v[94:95], v[36:37], v[22:23] neg_lo:[0,0,1] neg_hi:[0,0,1]
	v_pk_fma_f32 v[22:23], v[94:95], v[36:37], v[22:23] op_sel_hi:[1,0,1]
	s_nop 0
	v_mov_b32_e32 v25, v23
	s_waitcnt vmcnt(3) lgkmcnt(2)
	v_pk_mul_f32 v[22:23], v[6:7], v[18:19] op_sel:[1,1] op_sel_hi:[0,1]
	v_pk_add_f32 v[16:17], v[16:17], v[24:25]
	v_pk_fma_f32 v[24:25], v[6:7], v[18:19], v[22:23] neg_lo:[0,0,1] neg_hi:[0,0,1]
	v_pk_fma_f32 v[6:7], v[6:7], v[18:19], v[22:23] op_sel_hi:[1,0,1]
	s_nop 0
	v_mov_b32_e32 v25, v7
	v_pk_add_f32 v[6:7], v[16:17], v[24:25]
	v_mov_b32_e32 v16, v21
	v_pk_mul_f32 v[16:17], v[8:9], v[16:17] op_sel:[1,0] op_sel_hi:[0,0]
	v_pk_fma_f32 v[18:19], v[8:9], v[20:21], v[16:17] neg_lo:[0,0,1] neg_hi:[0,0,1]
	v_pk_fma_f32 v[8:9], v[8:9], v[20:21], v[16:17] op_sel_hi:[1,0,1]
	s_nop 0
	v_mov_b32_e32 v19, v9
	s_waitcnt vmcnt(2) lgkmcnt(1)
	v_pk_mul_f32 v[8:9], v[10:11], v[2:3] op_sel:[1,1] op_sel_hi:[0,1]
	v_pk_fma_f32 v[16:17], v[10:11], v[2:3], v[8:9] neg_lo:[0,0,1] neg_hi:[0,0,1]
	v_pk_fma_f32 v[2:3], v[10:11], v[2:3], v[8:9] op_sel_hi:[1,0,1]
	v_pk_add_f32 v[6:7], v[6:7], v[18:19]
	v_mov_b32_e32 v17, v3
	v_pk_add_f32 v[2:3], v[6:7], v[16:17]
	v_mov_b32_e32 v6, v5
	v_pk_mul_f32 v[6:7], v[12:13], v[6:7] op_sel:[1,0] op_sel_hi:[0,0]
	v_pk_fma_f32 v[8:9], v[12:13], v[4:5], v[6:7] neg_lo:[0,0,1] neg_hi:[0,0,1]
	v_pk_fma_f32 v[4:5], v[12:13], v[4:5], v[6:7] op_sel_hi:[1,0,1]
	s_nop 0
	v_mov_b32_e32 v9, v5
	s_waitcnt vmcnt(1) lgkmcnt(0)
	v_pk_mul_f32 v[4:5], v[14:15], v[50:51] op_sel:[1,1] op_sel_hi:[0,1]
	v_pk_fma_f32 v[6:7], v[14:15], v[50:51], v[4:5] neg_lo:[0,0,1] neg_hi:[0,0,1]
	v_pk_fma_f32 v[4:5], v[14:15], v[50:51], v[4:5] op_sel_hi:[1,0,1]
	v_pk_add_f32 v[2:3], v[2:3], v[8:9]
	v_mov_b32_e32 v7, v5
	v_pk_add_f32 v[2:3], v[2:3], v[6:7]
	s_waitcnt vmcnt(0)
	v_pk_add_f32 v[2:3], v[56:57], v[2:3] neg_lo:[0,1] neg_hi:[0,1]
	scratch_store_dwordx2 off, v[2:3], off offset:168
	s_and_saveexec_b64 s[0:1], vcc
	s_cbranch_execz .LBB110_255
; %bb.254:
	scratch_load_dwordx2 v[2:3], off, off offset:160
	v_mov_b32_e32 v59, v58
	scratch_store_dwordx2 off, v[58:59], off offset:160
	s_waitcnt vmcnt(1)
	ds_write_b64 v1, v[2:3]
.LBB110_255:
	s_or_b64 exec, exec, s[0:1]
	s_waitcnt lgkmcnt(0)
	; wave barrier
	scratch_load_dwordx4 v[2:5], off, off offset:168
	scratch_load_dwordx4 v[18:21], off, off offset:184
	;; [unrolled: 1-line block ×9, first 2 shown]
	ds_read2_b64 v[60:63], v58 offset0:69 offset1:70
	ds_read2_b64 v[64:67], v58 offset0:71 offset1:72
	;; [unrolled: 1-line block ×8, first 2 shown]
	scratch_load_dwordx4 v[50:53], off, off offset:312
	scratch_load_dwordx4 v[34:37], off, off offset:328
	;; [unrolled: 1-line block ×4, first 2 shown]
	ds_read2_b64 v[88:91], v58 offset0:85 offset1:86
	ds_read2_b64 v[92:95], v58 offset0:87 offset1:88
	scratch_load_dwordx2 v[96:97], off, off offset:160
	v_cmp_lt_u32_e32 vcc, 19, v0
	s_waitcnt vmcnt(13) lgkmcnt(9)
	v_mul_f32_e32 v59, v60, v3
	v_mul_f32_e32 v98, v62, v5
	;; [unrolled: 1-line block ×3, first 2 shown]
	s_waitcnt vmcnt(10) lgkmcnt(6)
	v_mul_f32_e32 v105, v72, v7
	v_mul_f32_e32 v7, v73, v7
	v_fmac_f32_e32 v59, v61, v2
	v_mul_f32_e32 v100, v64, v19
	v_mul_f32_e32 v5, v63, v5
	v_fmac_f32_e32 v98, v63, v4
	v_fmac_f32_e32 v105, v73, v6
	v_fma_f32 v2, v60, v2, -v3
	v_fma_f32 v6, v72, v6, -v7
	v_add_f32_e32 v7, 0, v59
	v_mul_f32_e32 v102, v66, v21
	v_fmac_f32_e32 v100, v65, v18
	v_fma_f32 v3, v62, v4, -v5
	v_add_f32_e32 v2, 0, v2
	v_add_f32_e32 v7, v7, v98
	v_mul_f32_e32 v103, v68, v39
	v_fmac_f32_e32 v102, v67, v20
	v_add_f32_e32 v2, v2, v3
	v_add_f32_e32 v3, v7, v100
	v_mul_f32_e32 v104, v70, v41
	v_fmac_f32_e32 v103, v69, v38
	v_add_f32_e32 v3, v3, v102
	v_fmac_f32_e32 v104, v71, v40
	v_add_f32_e32 v3, v3, v103
	v_mul_f32_e32 v106, v74, v9
	v_add_f32_e32 v3, v3, v104
	s_waitcnt vmcnt(9) lgkmcnt(5)
	v_mul_f32_e32 v107, v76, v15
	v_fmac_f32_e32 v106, v75, v8
	v_add_f32_e32 v3, v3, v105
	v_mul_f32_e32 v108, v78, v17
	v_fmac_f32_e32 v107, v77, v14
	v_add_f32_e32 v3, v3, v106
	s_waitcnt vmcnt(8) lgkmcnt(4)
	v_mul_f32_e32 v109, v80, v23
	v_fmac_f32_e32 v108, v79, v16
	v_add_f32_e32 v3, v3, v107
	v_mul_f32_e32 v110, v82, v25
	v_fmac_f32_e32 v109, v81, v22
	v_add_f32_e32 v3, v3, v108
	s_waitcnt vmcnt(7) lgkmcnt(3)
	v_mul_f32_e32 v111, v84, v31
	v_mul_f32_e32 v19, v65, v19
	v_fmac_f32_e32 v110, v83, v24
	v_add_f32_e32 v3, v3, v109
	v_mul_f32_e32 v112, v86, v33
	v_mul_f32_e32 v21, v67, v21
	v_fmac_f32_e32 v111, v85, v30
	v_fma_f32 v4, v64, v18, -v19
	v_add_f32_e32 v3, v3, v110
	s_waitcnt vmcnt(6) lgkmcnt(2)
	v_mul_f32_e32 v113, v54, v43
	v_mul_f32_e32 v39, v69, v39
	v_fmac_f32_e32 v112, v87, v32
	v_fma_f32 v5, v66, v20, -v21
	v_add_f32_e32 v2, v2, v4
	v_add_f32_e32 v3, v3, v111
	v_mul_f32_e32 v114, v56, v45
	v_mul_f32_e32 v41, v71, v41
	v_fmac_f32_e32 v113, v55, v42
	v_fma_f32 v18, v68, v38, -v39
	v_add_f32_e32 v2, v2, v5
	v_add_f32_e32 v3, v3, v112
	v_fmac_f32_e32 v114, v57, v44
	v_fma_f32 v19, v70, v40, -v41
	v_add_f32_e32 v2, v2, v18
	v_add_f32_e32 v3, v3, v113
	;; [unrolled: 1-line block ×4, first 2 shown]
	v_mul_f32_e32 v3, v75, v9
	v_add_f32_e32 v2, v2, v6
	v_fma_f32 v3, v74, v8, -v3
	v_add_f32_e32 v2, v2, v3
	v_mul_f32_e32 v3, v77, v15
	v_fma_f32 v3, v76, v14, -v3
	v_add_f32_e32 v2, v2, v3
	v_mul_f32_e32 v3, v79, v17
	;; [unrolled: 3-line block ×8, first 2 shown]
	v_fma_f32 v3, v56, v44, -v3
	s_waitcnt vmcnt(5) lgkmcnt(1)
	v_mul_f32_e32 v99, v88, v47
	v_add_f32_e32 v18, v2, v3
	v_mul_f32_e32 v2, v89, v47
	s_waitcnt vmcnt(4) lgkmcnt(0)
	v_pk_mul_f32 v[20:21], v[92:93], v[50:51] op_sel:[1,1] op_sel_hi:[0,1]
	v_mul_f32_e32 v101, v90, v49
	v_fmac_f32_e32 v99, v89, v46
	v_fma_f32 v98, v88, v46, -v2
	v_mul_f32_e32 v2, v91, v49
	v_pk_fma_f32 v[22:23], v[92:93], v[50:51], v[20:21] neg_lo:[0,0,1] neg_hi:[0,0,1]
	v_pk_fma_f32 v[20:21], v[92:93], v[50:51], v[20:21] op_sel_hi:[1,0,1]
	v_fmac_f32_e32 v101, v91, v48
	v_fma_f32 v100, v90, v48, -v2
	ds_read2_b64 v[2:5], v58 offset0:89 offset1:90
	ds_read2_b64 v[6:9], v58 offset0:91 offset1:92
	;; [unrolled: 1-line block ×3, first 2 shown]
	v_pk_add_f32 v[18:19], v[18:19], v[98:99]
	v_mov_b32_e32 v20, v53
	v_pk_add_f32 v[18:19], v[18:19], v[100:101]
	v_mov_b32_e32 v23, v21
	v_pk_mul_f32 v[20:21], v[94:95], v[20:21] op_sel:[1,0] op_sel_hi:[0,0]
	v_pk_add_f32 v[18:19], v[18:19], v[22:23]
	v_pk_fma_f32 v[22:23], v[94:95], v[52:53], v[20:21] neg_lo:[0,0,1] neg_hi:[0,0,1]
	v_pk_fma_f32 v[20:21], v[94:95], v[52:53], v[20:21] op_sel_hi:[1,0,1]
	s_nop 0
	v_mov_b32_e32 v23, v21
	s_waitcnt vmcnt(3) lgkmcnt(2)
	v_pk_mul_f32 v[20:21], v[2:3], v[34:35] op_sel:[1,1] op_sel_hi:[0,1]
	v_pk_add_f32 v[18:19], v[18:19], v[22:23]
	v_pk_fma_f32 v[22:23], v[2:3], v[34:35], v[20:21] neg_lo:[0,0,1] neg_hi:[0,0,1]
	v_pk_fma_f32 v[2:3], v[2:3], v[34:35], v[20:21] op_sel_hi:[1,0,1]
	s_nop 0
	v_mov_b32_e32 v23, v3
	v_pk_add_f32 v[2:3], v[18:19], v[22:23]
	v_mov_b32_e32 v18, v37
	v_pk_mul_f32 v[18:19], v[4:5], v[18:19] op_sel:[1,0] op_sel_hi:[0,0]
	v_pk_fma_f32 v[20:21], v[4:5], v[36:37], v[18:19] neg_lo:[0,0,1] neg_hi:[0,0,1]
	v_pk_fma_f32 v[4:5], v[4:5], v[36:37], v[18:19] op_sel_hi:[1,0,1]
	s_nop 0
	v_mov_b32_e32 v21, v5
	s_waitcnt vmcnt(2) lgkmcnt(1)
	v_pk_mul_f32 v[4:5], v[6:7], v[26:27] op_sel:[1,1] op_sel_hi:[0,1]
	v_pk_fma_f32 v[18:19], v[6:7], v[26:27], v[4:5] neg_lo:[0,0,1] neg_hi:[0,0,1]
	v_pk_fma_f32 v[4:5], v[6:7], v[26:27], v[4:5] op_sel_hi:[1,0,1]
	v_pk_add_f32 v[2:3], v[2:3], v[20:21]
	v_mov_b32_e32 v4, v29
	v_mov_b32_e32 v19, v5
	v_pk_mul_f32 v[4:5], v[8:9], v[4:5] op_sel:[1,0] op_sel_hi:[0,0]
	v_pk_fma_f32 v[6:7], v[8:9], v[28:29], v[4:5] neg_lo:[0,0,1] neg_hi:[0,0,1]
	v_pk_fma_f32 v[4:5], v[8:9], v[28:29], v[4:5] op_sel_hi:[1,0,1]
	v_pk_add_f32 v[2:3], v[2:3], v[18:19]
	v_mov_b32_e32 v7, v5
	s_waitcnt vmcnt(1) lgkmcnt(0)
	v_pk_mul_f32 v[4:5], v[14:15], v[10:11] op_sel:[1,1] op_sel_hi:[0,1]
	v_pk_add_f32 v[2:3], v[2:3], v[6:7]
	v_pk_fma_f32 v[6:7], v[14:15], v[10:11], v[4:5] neg_lo:[0,0,1] neg_hi:[0,0,1]
	v_pk_fma_f32 v[4:5], v[14:15], v[10:11], v[4:5] op_sel_hi:[1,0,1]
	s_nop 0
	v_mov_b32_e32 v4, v13
	v_mov_b32_e32 v7, v5
	v_pk_mul_f32 v[4:5], v[16:17], v[4:5] op_sel:[1,0] op_sel_hi:[0,0]
	v_pk_add_f32 v[2:3], v[2:3], v[6:7]
	v_pk_fma_f32 v[6:7], v[16:17], v[12:13], v[4:5] neg_lo:[0,0,1] neg_hi:[0,0,1]
	v_pk_fma_f32 v[4:5], v[16:17], v[12:13], v[4:5] op_sel_hi:[1,0,1]
	s_nop 0
	v_mov_b32_e32 v7, v5
	v_pk_add_f32 v[2:3], v[2:3], v[6:7]
	s_waitcnt vmcnt(0)
	v_pk_add_f32 v[2:3], v[96:97], v[2:3] neg_lo:[0,1] neg_hi:[0,1]
	scratch_store_dwordx2 off, v[2:3], off offset:160
	s_and_saveexec_b64 s[0:1], vcc
	s_cbranch_execz .LBB110_257
; %bb.256:
	scratch_load_dwordx2 v[2:3], off, off offset:152
	v_mov_b32_e32 v4, 0
	v_mov_b32_e32 v5, v4
	scratch_store_dwordx2 off, v[4:5], off offset:152
	s_waitcnt vmcnt(1)
	ds_write_b64 v1, v[2:3]
.LBB110_257:
	s_or_b64 exec, exec, s[0:1]
	s_waitcnt lgkmcnt(0)
	; wave barrier
	scratch_load_dwordx4 v[18:21], off, off offset:160
	scratch_load_dwordx4 v[30:33], off, off offset:176
	;; [unrolled: 1-line block ×13, first 2 shown]
	scratch_load_dwordx2 v[54:55], off, off offset:368
	scratch_load_dwordx2 v[80:81], off, off offset:152
	v_mov_b32_e32 v82, 0
	ds_read_b128 v[56:59], v82 offset:544
	ds_read_b128 v[60:63], v82 offset:560
	;; [unrolled: 1-line block ×10, first 2 shown]
	v_cmp_lt_u32_e32 vcc, 18, v0
	s_waitcnt vmcnt(14) lgkmcnt(9)
	v_mul_f32_e32 v83, v56, v19
	v_mul_f32_e32 v100, v58, v21
	s_waitcnt vmcnt(12) lgkmcnt(7)
	v_mul_f32_e32 v105, v64, v3
	v_mul_f32_e32 v3, v65, v3
	v_fmac_f32_e32 v83, v57, v18
	v_mul_f32_e32 v102, v60, v31
	v_fmac_f32_e32 v100, v59, v20
	v_fmac_f32_e32 v105, v65, v2
	v_fma_f32 v2, v64, v2, -v3
	v_add_f32_e32 v3, 0, v83
	v_mul_f32_e32 v104, v62, v33
	v_fmac_f32_e32 v102, v61, v30
	v_add_f32_e32 v3, v3, v100
	v_fmac_f32_e32 v104, v63, v32
	v_add_f32_e32 v3, v3, v102
	v_mul_f32_e32 v106, v66, v5
	v_add_f32_e32 v3, v3, v104
	s_waitcnt vmcnt(11) lgkmcnt(6)
	v_mul_f32_e32 v107, v68, v7
	v_fmac_f32_e32 v106, v67, v4
	v_add_f32_e32 v3, v3, v105
	v_mul_f32_e32 v108, v70, v9
	v_fmac_f32_e32 v107, v69, v6
	v_add_f32_e32 v3, v3, v106
	s_waitcnt vmcnt(10) lgkmcnt(5)
	v_mul_f32_e32 v109, v72, v15
	v_fmac_f32_e32 v108, v71, v8
	v_add_f32_e32 v3, v3, v107
	v_mul_f32_e32 v110, v74, v17
	v_fmac_f32_e32 v109, v73, v14
	;; [unrolled: 7-line block ×3, first 2 shown]
	v_add_f32_e32 v3, v3, v110
	s_waitcnt vmcnt(8) lgkmcnt(3)
	v_mul_f32_e32 v113, v84, v35
	v_mul_f32_e32 v19, v57, v19
	v_fmac_f32_e32 v112, v79, v24
	v_add_f32_e32 v3, v3, v111
	v_mul_f32_e32 v114, v86, v37
	v_mul_f32_e32 v21, v59, v21
	v_fmac_f32_e32 v113, v85, v34
	v_fma_f32 v18, v56, v18, -v19
	v_add_f32_e32 v3, v3, v112
	s_waitcnt vmcnt(7) lgkmcnt(2)
	v_mul_f32_e32 v115, v88, v39
	v_mul_f32_e32 v31, v61, v31
	v_fmac_f32_e32 v114, v87, v36
	v_fma_f32 v19, v58, v20, -v21
	v_add_f32_e32 v18, 0, v18
	v_add_f32_e32 v3, v3, v113
	v_mul_f32_e32 v116, v90, v41
	v_mul_f32_e32 v33, v63, v33
	v_fmac_f32_e32 v115, v89, v38
	v_fma_f32 v20, v60, v30, -v31
	v_add_f32_e32 v18, v18, v19
	v_add_f32_e32 v3, v3, v114
	s_waitcnt vmcnt(6) lgkmcnt(1)
	v_mul_f32_e32 v117, v92, v51
	v_fmac_f32_e32 v116, v91, v40
	v_fma_f32 v21, v62, v32, -v33
	v_add_f32_e32 v18, v18, v20
	v_add_f32_e32 v3, v3, v115
	v_mul_f32_e32 v5, v67, v5
	v_fmac_f32_e32 v117, v93, v50
	v_add_f32_e32 v18, v18, v21
	v_add_f32_e32 v3, v3, v116
	;; [unrolled: 1-line block ×4, first 2 shown]
	v_fma_f32 v3, v66, v4, -v5
	v_add_f32_e32 v2, v2, v3
	v_mul_f32_e32 v3, v69, v7
	v_fma_f32 v3, v68, v6, -v3
	v_add_f32_e32 v2, v2, v3
	v_mul_f32_e32 v3, v71, v9
	;; [unrolled: 3-line block ×12, first 2 shown]
	v_mul_f32_e32 v101, v94, v53
	v_fma_f32 v100, v94, v52, -v2
	s_waitcnt vmcnt(5) lgkmcnt(0)
	v_mul_f32_e32 v2, v97, v47
	v_mov_b32_e32 v22, v49
	v_mul_f32_e32 v103, v96, v47
	v_fmac_f32_e32 v101, v95, v52
	v_fma_f32 v102, v96, v46, -v2
	ds_read_b128 v[2:5], v82 offset:704
	ds_read_b128 v[6:9], v82 offset:720
	;; [unrolled: 1-line block ×3, first 2 shown]
	ds_read_b64 v[20:21], v82 offset:752
	v_pk_mul_f32 v[22:23], v[98:99], v[22:23] op_sel:[1,0] op_sel_hi:[0,0]
	v_fmac_f32_e32 v103, v97, v46
	v_pk_add_f32 v[18:19], v[18:19], v[100:101]
	v_pk_fma_f32 v[24:25], v[98:99], v[48:49], v[22:23] neg_lo:[0,0,1] neg_hi:[0,0,1]
	v_pk_fma_f32 v[22:23], v[98:99], v[48:49], v[22:23] op_sel_hi:[1,0,1]
	v_pk_add_f32 v[18:19], v[18:19], v[102:103]
	v_mov_b32_e32 v25, v23
	s_waitcnt vmcnt(4) lgkmcnt(3)
	v_pk_mul_f32 v[22:23], v[2:3], v[42:43] op_sel:[1,1] op_sel_hi:[0,1]
	v_pk_add_f32 v[18:19], v[18:19], v[24:25]
	v_pk_fma_f32 v[24:25], v[2:3], v[42:43], v[22:23] neg_lo:[0,0,1] neg_hi:[0,0,1]
	v_pk_fma_f32 v[2:3], v[2:3], v[42:43], v[22:23] op_sel_hi:[1,0,1]
	s_nop 0
	v_mov_b32_e32 v25, v3
	v_pk_add_f32 v[2:3], v[18:19], v[24:25]
	v_mov_b32_e32 v18, v45
	v_pk_mul_f32 v[18:19], v[4:5], v[18:19] op_sel:[1,0] op_sel_hi:[0,0]
	v_pk_fma_f32 v[22:23], v[4:5], v[44:45], v[18:19] neg_lo:[0,0,1] neg_hi:[0,0,1]
	v_pk_fma_f32 v[4:5], v[4:5], v[44:45], v[18:19] op_sel_hi:[1,0,1]
	s_nop 0
	v_mov_b32_e32 v23, v5
	s_waitcnt vmcnt(3) lgkmcnt(2)
	v_pk_mul_f32 v[4:5], v[6:7], v[26:27] op_sel:[1,1] op_sel_hi:[0,1]
	v_pk_fma_f32 v[18:19], v[6:7], v[26:27], v[4:5] neg_lo:[0,0,1] neg_hi:[0,0,1]
	v_pk_fma_f32 v[4:5], v[6:7], v[26:27], v[4:5] op_sel_hi:[1,0,1]
	v_pk_add_f32 v[2:3], v[2:3], v[22:23]
	v_mov_b32_e32 v4, v29
	v_mov_b32_e32 v19, v5
	v_pk_mul_f32 v[4:5], v[8:9], v[4:5] op_sel:[1,0] op_sel_hi:[0,0]
	v_pk_fma_f32 v[6:7], v[8:9], v[28:29], v[4:5] neg_lo:[0,0,1] neg_hi:[0,0,1]
	v_pk_fma_f32 v[4:5], v[8:9], v[28:29], v[4:5] op_sel_hi:[1,0,1]
	v_pk_add_f32 v[2:3], v[2:3], v[18:19]
	v_mov_b32_e32 v7, v5
	s_waitcnt vmcnt(2) lgkmcnt(1)
	v_pk_mul_f32 v[4:5], v[14:15], v[10:11] op_sel:[1,1] op_sel_hi:[0,1]
	v_pk_add_f32 v[2:3], v[2:3], v[6:7]
	v_pk_fma_f32 v[6:7], v[14:15], v[10:11], v[4:5] neg_lo:[0,0,1] neg_hi:[0,0,1]
	v_pk_fma_f32 v[4:5], v[14:15], v[10:11], v[4:5] op_sel_hi:[1,0,1]
	s_nop 0
	v_mov_b32_e32 v4, v13
	v_mov_b32_e32 v7, v5
	v_pk_mul_f32 v[4:5], v[16:17], v[4:5] op_sel:[1,0] op_sel_hi:[0,0]
	v_pk_add_f32 v[2:3], v[2:3], v[6:7]
	v_pk_fma_f32 v[6:7], v[16:17], v[12:13], v[4:5] neg_lo:[0,0,1] neg_hi:[0,0,1]
	v_pk_fma_f32 v[4:5], v[16:17], v[12:13], v[4:5] op_sel_hi:[1,0,1]
	s_nop 0
	v_mov_b32_e32 v7, v5
	s_waitcnt vmcnt(1) lgkmcnt(0)
	v_pk_mul_f32 v[4:5], v[20:21], v[54:55] op_sel:[1,1] op_sel_hi:[0,1]
	v_pk_add_f32 v[2:3], v[2:3], v[6:7]
	v_pk_fma_f32 v[6:7], v[20:21], v[54:55], v[4:5] neg_lo:[0,0,1] neg_hi:[0,0,1]
	v_pk_fma_f32 v[4:5], v[20:21], v[54:55], v[4:5] op_sel_hi:[1,0,1]
	s_nop 0
	v_mov_b32_e32 v7, v5
	v_pk_add_f32 v[2:3], v[2:3], v[6:7]
	s_waitcnt vmcnt(0)
	v_pk_add_f32 v[2:3], v[80:81], v[2:3] neg_lo:[0,1] neg_hi:[0,1]
	scratch_store_dwordx2 off, v[2:3], off offset:152
	s_and_saveexec_b64 s[0:1], vcc
	s_cbranch_execz .LBB110_259
; %bb.258:
	scratch_load_dwordx2 v[2:3], off, off offset:144
	v_mov_b32_e32 v83, v82
	scratch_store_dwordx2 off, v[82:83], off offset:144
	s_waitcnt vmcnt(1)
	ds_write_b64 v1, v[2:3]
.LBB110_259:
	s_or_b64 exec, exec, s[0:1]
	s_waitcnt lgkmcnt(0)
	; wave barrier
	scratch_load_dwordx4 v[10:13], off, off offset:152
	scratch_load_dwordx4 v[26:29], off, off offset:168
	;; [unrolled: 1-line block ×10, first 2 shown]
	ds_read2_b64 v[84:87], v82 offset0:67 offset1:68
	ds_read2_b64 v[88:91], v82 offset0:69 offset1:70
	;; [unrolled: 1-line block ×10, first 2 shown]
	scratch_load_dwordx4 v[54:57], off, off offset:312
	scratch_load_dwordx4 v[46:49], off, off offset:328
	;; [unrolled: 1-line block ×4, first 2 shown]
	scratch_load_dwordx2 v[100:101], off, off offset:144
	v_cmp_lt_u32_e32 vcc, 17, v0
	s_waitcnt vmcnt(14) lgkmcnt(9)
	v_mul_f32_e32 v83, v84, v11
	v_mul_f32_e32 v102, v86, v13
	s_waitcnt vmcnt(12) lgkmcnt(7)
	v_mul_f32_e32 v107, v92, v3
	v_mul_f32_e32 v3, v93, v3
	v_fmac_f32_e32 v83, v85, v10
	v_mul_f32_e32 v104, v88, v27
	v_fmac_f32_e32 v102, v87, v12
	v_fmac_f32_e32 v107, v93, v2
	v_fma_f32 v2, v92, v2, -v3
	v_add_f32_e32 v3, 0, v83
	v_mul_f32_e32 v106, v90, v29
	v_fmac_f32_e32 v104, v89, v26
	v_add_f32_e32 v3, v3, v102
	v_fmac_f32_e32 v106, v91, v28
	v_add_f32_e32 v3, v3, v104
	v_mul_f32_e32 v108, v94, v5
	v_add_f32_e32 v3, v3, v106
	s_waitcnt vmcnt(11) lgkmcnt(6)
	v_mul_f32_e32 v109, v96, v7
	v_fmac_f32_e32 v108, v95, v4
	v_add_f32_e32 v3, v3, v107
	v_mul_f32_e32 v110, v98, v9
	v_fmac_f32_e32 v109, v97, v6
	v_add_f32_e32 v3, v3, v108
	s_waitcnt vmcnt(10) lgkmcnt(5)
	v_mul_f32_e32 v111, v78, v15
	v_fmac_f32_e32 v110, v99, v8
	v_add_f32_e32 v3, v3, v109
	v_mul_f32_e32 v112, v80, v17
	v_fmac_f32_e32 v111, v79, v14
	;; [unrolled: 7-line block ×4, first 2 shown]
	v_add_f32_e32 v3, v3, v114
	s_waitcnt vmcnt(7) lgkmcnt(2)
	v_mul_f32_e32 v117, v66, v39
	v_mul_f32_e32 v11, v85, v11
	v_fmac_f32_e32 v116, v73, v32
	v_add_f32_e32 v3, v3, v115
	v_mul_f32_e32 v118, v68, v41
	v_mul_f32_e32 v13, v87, v13
	v_fmac_f32_e32 v117, v67, v38
	v_fma_f32 v10, v84, v10, -v11
	v_add_f32_e32 v3, v3, v116
	s_waitcnt vmcnt(6) lgkmcnt(1)
	v_mul_f32_e32 v119, v62, v43
	v_mul_f32_e32 v27, v89, v27
	v_fmac_f32_e32 v118, v69, v40
	v_fma_f32 v11, v86, v12, -v13
	v_add_f32_e32 v10, 0, v10
	v_add_f32_e32 v3, v3, v117
	v_mul_f32_e32 v120, v64, v45
	v_mul_f32_e32 v29, v91, v29
	v_fmac_f32_e32 v119, v63, v42
	v_fma_f32 v12, v88, v26, -v27
	v_add_f32_e32 v10, v10, v11
	v_add_f32_e32 v3, v3, v118
	v_fmac_f32_e32 v120, v65, v44
	v_fma_f32 v13, v90, v28, -v29
	v_add_f32_e32 v10, v10, v12
	v_add_f32_e32 v3, v3, v119
	;; [unrolled: 1-line block ×4, first 2 shown]
	v_mul_f32_e32 v3, v95, v5
	v_add_f32_e32 v2, v10, v2
	v_fma_f32 v3, v94, v4, -v3
	v_add_f32_e32 v2, v2, v3
	v_mul_f32_e32 v3, v97, v7
	v_fma_f32 v3, v96, v6, -v3
	v_add_f32_e32 v2, v2, v3
	v_mul_f32_e32 v3, v99, v9
	;; [unrolled: 3-line block ×12, first 2 shown]
	v_fma_f32 v3, v64, v44, -v3
	v_add_f32_e32 v26, v2, v3
	s_waitcnt vmcnt(5) lgkmcnt(0)
	v_mul_f32_e32 v2, v59, v51
	v_fma_f32 v102, v58, v50, -v2
	v_mul_f32_e32 v2, v61, v53
	v_fma_f32 v104, v60, v52, -v2
	ds_read2_b64 v[2:5], v82 offset0:87 offset1:88
	ds_read2_b64 v[6:9], v82 offset0:89 offset1:90
	;; [unrolled: 1-line block ×4, first 2 shown]
	v_mul_f32_e32 v103, v58, v51
	v_mul_f32_e32 v105, v60, v53
	v_fmac_f32_e32 v103, v59, v50
	s_waitcnt vmcnt(4) lgkmcnt(3)
	v_pk_mul_f32 v[24:25], v[2:3], v[54:55] op_sel:[1,1] op_sel_hi:[0,1]
	v_fmac_f32_e32 v105, v61, v52
	v_pk_add_f32 v[22:23], v[26:27], v[102:103]
	v_pk_fma_f32 v[26:27], v[2:3], v[54:55], v[24:25] neg_lo:[0,0,1] neg_hi:[0,0,1]
	v_pk_fma_f32 v[2:3], v[2:3], v[54:55], v[24:25] op_sel_hi:[1,0,1]
	v_pk_add_f32 v[22:23], v[22:23], v[104:105]
	v_mov_b32_e32 v27, v3
	v_pk_add_f32 v[2:3], v[22:23], v[26:27]
	v_mov_b32_e32 v22, v57
	v_pk_mul_f32 v[22:23], v[4:5], v[22:23] op_sel:[1,0] op_sel_hi:[0,0]
	v_pk_fma_f32 v[24:25], v[4:5], v[56:57], v[22:23] neg_lo:[0,0,1] neg_hi:[0,0,1]
	v_pk_fma_f32 v[4:5], v[4:5], v[56:57], v[22:23] op_sel_hi:[1,0,1]
	s_nop 0
	v_mov_b32_e32 v25, v5
	s_waitcnt vmcnt(3) lgkmcnt(2)
	v_pk_mul_f32 v[4:5], v[6:7], v[46:47] op_sel:[1,1] op_sel_hi:[0,1]
	v_pk_fma_f32 v[22:23], v[6:7], v[46:47], v[4:5] neg_lo:[0,0,1] neg_hi:[0,0,1]
	v_pk_fma_f32 v[4:5], v[6:7], v[46:47], v[4:5] op_sel_hi:[1,0,1]
	v_pk_add_f32 v[2:3], v[2:3], v[24:25]
	v_mov_b32_e32 v4, v49
	v_mov_b32_e32 v23, v5
	v_pk_mul_f32 v[4:5], v[8:9], v[4:5] op_sel:[1,0] op_sel_hi:[0,0]
	v_pk_fma_f32 v[6:7], v[8:9], v[48:49], v[4:5] neg_lo:[0,0,1] neg_hi:[0,0,1]
	v_pk_fma_f32 v[4:5], v[8:9], v[48:49], v[4:5] op_sel_hi:[1,0,1]
	v_pk_add_f32 v[2:3], v[2:3], v[22:23]
	v_mov_b32_e32 v7, v5
	s_waitcnt vmcnt(2) lgkmcnt(1)
	v_pk_mul_f32 v[4:5], v[10:11], v[34:35] op_sel:[1,1] op_sel_hi:[0,1]
	v_pk_add_f32 v[2:3], v[2:3], v[6:7]
	v_pk_fma_f32 v[6:7], v[10:11], v[34:35], v[4:5] neg_lo:[0,0,1] neg_hi:[0,0,1]
	v_pk_fma_f32 v[4:5], v[10:11], v[34:35], v[4:5] op_sel_hi:[1,0,1]
	s_nop 0
	v_mov_b32_e32 v4, v37
	v_mov_b32_e32 v7, v5
	v_pk_mul_f32 v[4:5], v[12:13], v[4:5] op_sel:[1,0] op_sel_hi:[0,0]
	v_pk_add_f32 v[2:3], v[2:3], v[6:7]
	v_pk_fma_f32 v[6:7], v[12:13], v[36:37], v[4:5] neg_lo:[0,0,1] neg_hi:[0,0,1]
	v_pk_fma_f32 v[4:5], v[12:13], v[36:37], v[4:5] op_sel_hi:[1,0,1]
	s_nop 0
	v_mov_b32_e32 v7, v5
	s_waitcnt vmcnt(1) lgkmcnt(0)
	v_pk_mul_f32 v[4:5], v[14:15], v[18:19] op_sel:[1,1] op_sel_hi:[0,1]
	v_pk_add_f32 v[2:3], v[2:3], v[6:7]
	v_pk_fma_f32 v[6:7], v[14:15], v[18:19], v[4:5] neg_lo:[0,0,1] neg_hi:[0,0,1]
	v_pk_fma_f32 v[4:5], v[14:15], v[18:19], v[4:5] op_sel_hi:[1,0,1]
	s_nop 0
	v_mov_b32_e32 v4, v21
	v_mov_b32_e32 v7, v5
	v_pk_mul_f32 v[4:5], v[16:17], v[4:5] op_sel:[1,0] op_sel_hi:[0,0]
	v_pk_add_f32 v[2:3], v[2:3], v[6:7]
	v_pk_fma_f32 v[6:7], v[16:17], v[20:21], v[4:5] neg_lo:[0,0,1] neg_hi:[0,0,1]
	v_pk_fma_f32 v[4:5], v[16:17], v[20:21], v[4:5] op_sel_hi:[1,0,1]
	s_nop 0
	v_mov_b32_e32 v7, v5
	v_pk_add_f32 v[2:3], v[2:3], v[6:7]
	s_waitcnt vmcnt(0)
	v_pk_add_f32 v[2:3], v[100:101], v[2:3] neg_lo:[0,1] neg_hi:[0,1]
	scratch_store_dwordx2 off, v[2:3], off offset:144
	s_and_saveexec_b64 s[0:1], vcc
	s_cbranch_execz .LBB110_261
; %bb.260:
	scratch_load_dwordx2 v[2:3], off, off offset:136
	v_mov_b32_e32 v4, 0
	v_mov_b32_e32 v5, v4
	scratch_store_dwordx2 off, v[4:5], off offset:136
	s_waitcnt vmcnt(1)
	ds_write_b64 v1, v[2:3]
.LBB110_261:
	s_or_b64 exec, exec, s[0:1]
	s_waitcnt lgkmcnt(0)
	; wave barrier
	scratch_load_dwordx4 v[26:29], off, off offset:144
	scratch_load_dwordx4 v[2:5], off, off offset:160
	;; [unrolled: 1-line block ×14, first 2 shown]
	scratch_load_dwordx2 v[58:59], off, off offset:368
	scratch_load_dwordx2 v[100:101], off, off offset:136
	v_mov_b32_e32 v102, 0
	ds_read_b128 v[60:63], v102 offset:528
	ds_read_b128 v[64:67], v102 offset:544
	;; [unrolled: 1-line block ×12, first 2 shown]
	v_cmp_lt_u32_e32 vcc, 16, v0
	s_waitcnt vmcnt(15) lgkmcnt(11)
	v_mul_f32_e32 v103, v60, v27
	v_mul_f32_e32 v112, v62, v29
	s_waitcnt vmcnt(14) lgkmcnt(10)
	v_mul_f32_e32 v114, v64, v3
	v_mul_f32_e32 v3, v65, v3
	v_fmac_f32_e32 v103, v61, v26
	v_fmac_f32_e32 v112, v63, v28
	v_fmac_f32_e32 v114, v65, v2
	v_fma_f32 v2, v64, v2, -v3
	v_add_f32_e32 v3, 0, v103
	v_mul_f32_e32 v116, v66, v5
	v_add_f32_e32 v3, v3, v112
	s_waitcnt vmcnt(13) lgkmcnt(9)
	v_mul_f32_e32 v117, v68, v7
	v_fmac_f32_e32 v116, v67, v4
	v_add_f32_e32 v3, v3, v114
	v_mul_f32_e32 v118, v70, v9
	v_fmac_f32_e32 v117, v69, v6
	v_add_f32_e32 v3, v3, v116
	s_waitcnt vmcnt(12) lgkmcnt(8)
	v_mul_f32_e32 v119, v72, v11
	v_fmac_f32_e32 v118, v71, v8
	v_add_f32_e32 v3, v3, v117
	v_mul_f32_e32 v120, v74, v13
	v_fmac_f32_e32 v119, v73, v10
	;; [unrolled: 7-line block ×6, first 2 shown]
	v_add_f32_e32 v3, v3, v126
	s_waitcnt vmcnt(7) lgkmcnt(3)
	v_mul_f32_e32 v129, v92, v43
	v_fmac_f32_e32 v128, v91, v40
	v_add_f32_e32 v3, v3, v127
	v_mul_f32_e32 v130, v94, v45
	v_mul_f32_e32 v27, v61, v27
	v_fmac_f32_e32 v129, v93, v42
	v_add_f32_e32 v3, v3, v128
	s_waitcnt vmcnt(6) lgkmcnt(2)
	v_mul_f32_e32 v131, v96, v51
	v_mul_f32_e32 v29, v63, v29
	v_fmac_f32_e32 v130, v95, v44
	v_fma_f32 v26, v60, v26, -v27
	v_add_f32_e32 v3, v3, v129
	v_fmac_f32_e32 v131, v97, v50
	v_fma_f32 v27, v62, v28, -v29
	v_add_f32_e32 v26, 0, v26
	v_add_f32_e32 v3, v3, v130
	;; [unrolled: 1-line block ×4, first 2 shown]
	v_mul_f32_e32 v3, v67, v5
	v_add_f32_e32 v2, v26, v2
	v_fma_f32 v3, v66, v4, -v3
	v_add_f32_e32 v2, v2, v3
	v_mul_f32_e32 v3, v69, v7
	v_fma_f32 v3, v68, v6, -v3
	v_add_f32_e32 v2, v2, v3
	v_mul_f32_e32 v3, v71, v9
	;; [unrolled: 3-line block ×15, first 2 shown]
	v_fma_f32 v3, v96, v50, -v3
	v_mul_f32_e32 v113, v98, v53
	v_add_f32_e32 v26, v2, v3
	v_mul_f32_e32 v2, v99, v53
	s_waitcnt vmcnt(5)
	v_mov_b32_e32 v14, v57
	s_waitcnt lgkmcnt(1)
	v_mul_f32_e32 v115, v104, v55
	v_fmac_f32_e32 v113, v99, v52
	v_fma_f32 v112, v98, v52, -v2
	v_mul_f32_e32 v2, v105, v55
	v_pk_mul_f32 v[14:15], v[106:107], v[14:15] op_sel:[1,0] op_sel_hi:[0,0]
	v_fmac_f32_e32 v115, v105, v54
	v_fma_f32 v114, v104, v54, -v2
	v_pk_add_f32 v[12:13], v[26:27], v[112:113]
	v_pk_fma_f32 v[16:17], v[106:107], v[56:57], v[14:15] neg_lo:[0,0,1] neg_hi:[0,0,1]
	v_pk_fma_f32 v[14:15], v[106:107], v[56:57], v[14:15] op_sel_hi:[1,0,1]
	v_pk_add_f32 v[12:13], v[12:13], v[114:115]
	v_mov_b32_e32 v17, v15
	s_waitcnt vmcnt(4) lgkmcnt(0)
	v_pk_mul_f32 v[14:15], v[108:109], v[46:47] op_sel:[1,1] op_sel_hi:[0,1]
	v_pk_add_f32 v[12:13], v[12:13], v[16:17]
	v_pk_fma_f32 v[16:17], v[108:109], v[46:47], v[14:15] neg_lo:[0,0,1] neg_hi:[0,0,1]
	v_pk_fma_f32 v[14:15], v[108:109], v[46:47], v[14:15] op_sel_hi:[1,0,1]
	ds_read_b128 v[2:5], v102 offset:720
	ds_read_b128 v[6:9], v102 offset:736
	ds_read_b64 v[10:11], v102 offset:752
	v_mov_b32_e32 v14, v49
	v_mov_b32_e32 v17, v15
	v_pk_mul_f32 v[14:15], v[110:111], v[14:15] op_sel:[1,0] op_sel_hi:[0,0]
	v_pk_add_f32 v[12:13], v[12:13], v[16:17]
	v_pk_fma_f32 v[16:17], v[110:111], v[48:49], v[14:15] neg_lo:[0,0,1] neg_hi:[0,0,1]
	v_pk_fma_f32 v[14:15], v[110:111], v[48:49], v[14:15] op_sel_hi:[1,0,1]
	s_nop 0
	v_mov_b32_e32 v17, v15
	s_waitcnt vmcnt(3) lgkmcnt(2)
	v_pk_mul_f32 v[14:15], v[2:3], v[34:35] op_sel:[1,1] op_sel_hi:[0,1]
	v_pk_add_f32 v[12:13], v[12:13], v[16:17]
	v_pk_fma_f32 v[16:17], v[2:3], v[34:35], v[14:15] neg_lo:[0,0,1] neg_hi:[0,0,1]
	v_pk_fma_f32 v[2:3], v[2:3], v[34:35], v[14:15] op_sel_hi:[1,0,1]
	s_nop 0
	v_mov_b32_e32 v17, v3
	v_pk_add_f32 v[2:3], v[12:13], v[16:17]
	v_mov_b32_e32 v12, v37
	v_pk_mul_f32 v[12:13], v[4:5], v[12:13] op_sel:[1,0] op_sel_hi:[0,0]
	v_pk_fma_f32 v[14:15], v[4:5], v[36:37], v[12:13] neg_lo:[0,0,1] neg_hi:[0,0,1]
	v_pk_fma_f32 v[4:5], v[4:5], v[36:37], v[12:13] op_sel_hi:[1,0,1]
	s_nop 0
	v_mov_b32_e32 v15, v5
	s_waitcnt vmcnt(2) lgkmcnt(1)
	v_pk_mul_f32 v[4:5], v[6:7], v[18:19] op_sel:[1,1] op_sel_hi:[0,1]
	v_pk_fma_f32 v[12:13], v[6:7], v[18:19], v[4:5] neg_lo:[0,0,1] neg_hi:[0,0,1]
	v_pk_fma_f32 v[4:5], v[6:7], v[18:19], v[4:5] op_sel_hi:[1,0,1]
	v_pk_add_f32 v[2:3], v[2:3], v[14:15]
	v_mov_b32_e32 v4, v21
	v_mov_b32_e32 v13, v5
	v_pk_mul_f32 v[4:5], v[8:9], v[4:5] op_sel:[1,0] op_sel_hi:[0,0]
	v_pk_fma_f32 v[6:7], v[8:9], v[20:21], v[4:5] neg_lo:[0,0,1] neg_hi:[0,0,1]
	v_pk_fma_f32 v[4:5], v[8:9], v[20:21], v[4:5] op_sel_hi:[1,0,1]
	v_pk_add_f32 v[2:3], v[2:3], v[12:13]
	v_mov_b32_e32 v7, v5
	s_waitcnt vmcnt(1) lgkmcnt(0)
	v_pk_mul_f32 v[4:5], v[10:11], v[58:59] op_sel:[1,1] op_sel_hi:[0,1]
	v_pk_add_f32 v[2:3], v[2:3], v[6:7]
	v_pk_fma_f32 v[6:7], v[10:11], v[58:59], v[4:5] neg_lo:[0,0,1] neg_hi:[0,0,1]
	v_pk_fma_f32 v[4:5], v[10:11], v[58:59], v[4:5] op_sel_hi:[1,0,1]
	s_nop 0
	v_mov_b32_e32 v7, v5
	v_pk_add_f32 v[2:3], v[2:3], v[6:7]
	s_waitcnt vmcnt(0)
	v_pk_add_f32 v[2:3], v[100:101], v[2:3] neg_lo:[0,1] neg_hi:[0,1]
	scratch_store_dwordx2 off, v[2:3], off offset:136
	s_and_saveexec_b64 s[0:1], vcc
	s_cbranch_execz .LBB110_263
; %bb.262:
	scratch_load_dwordx2 v[2:3], off, off offset:128
	v_mov_b32_e32 v103, v102
	scratch_store_dwordx2 off, v[102:103], off offset:128
	s_waitcnt vmcnt(1)
	ds_write_b64 v1, v[2:3]
.LBB110_263:
	s_or_b64 exec, exec, s[0:1]
	s_waitcnt lgkmcnt(0)
	; wave barrier
	scratch_load_dwordx4 v[18:21], off, off offset:136
	scratch_load_dwordx4 v[2:5], off, off offset:152
	;; [unrolled: 1-line block ×11, first 2 shown]
	ds_read2_b64 v[104:107], v102 offset0:65 offset1:66
	ds_read2_b64 v[98:101], v102 offset0:67 offset1:68
	;; [unrolled: 1-line block ×10, first 2 shown]
	scratch_load_dwordx4 v[58:61], off, off offset:312
	scratch_load_dwordx4 v[50:53], off, off offset:328
	;; [unrolled: 1-line block ×4, first 2 shown]
	ds_read2_b64 v[78:81], v102 offset0:85 offset1:86
	ds_read2_b64 v[108:111], v102 offset0:87 offset1:88
	scratch_load_dwordx2 v[112:113], off, off offset:128
	v_cmp_lt_u32_e32 vcc, 15, v0
	s_waitcnt vmcnt(15) lgkmcnt(11)
	v_mul_f32_e32 v103, v104, v19
	v_mul_f32_e32 v114, v106, v21
	s_waitcnt vmcnt(14) lgkmcnt(10)
	v_mul_f32_e32 v116, v98, v3
	v_mul_f32_e32 v3, v99, v3
	v_fmac_f32_e32 v103, v105, v18
	v_fmac_f32_e32 v114, v107, v20
	;; [unrolled: 1-line block ×3, first 2 shown]
	v_fma_f32 v2, v98, v2, -v3
	v_add_f32_e32 v3, 0, v103
	v_mul_f32_e32 v118, v100, v5
	v_add_f32_e32 v3, v3, v114
	s_waitcnt vmcnt(13) lgkmcnt(9)
	v_mul_f32_e32 v119, v94, v7
	v_fmac_f32_e32 v118, v101, v4
	v_add_f32_e32 v3, v3, v116
	v_mul_f32_e32 v120, v96, v9
	v_fmac_f32_e32 v119, v95, v6
	v_add_f32_e32 v3, v3, v118
	s_waitcnt vmcnt(12) lgkmcnt(8)
	v_mul_f32_e32 v121, v90, v11
	v_fmac_f32_e32 v120, v97, v8
	v_add_f32_e32 v3, v3, v119
	v_mul_f32_e32 v122, v92, v13
	v_fmac_f32_e32 v121, v91, v10
	;; [unrolled: 7-line block ×7, first 2 shown]
	v_add_f32_e32 v3, v3, v130
	s_waitcnt vmcnt(6) lgkmcnt(2)
	v_mul_f32_e32 v133, v62, v47
	v_mul_f32_e32 v19, v105, v19
	v_fmac_f32_e32 v132, v69, v44
	v_add_f32_e32 v3, v3, v131
	v_mul_f32_e32 v134, v64, v49
	v_mul_f32_e32 v21, v107, v21
	v_fmac_f32_e32 v133, v63, v46
	v_fma_f32 v18, v104, v18, -v19
	v_add_f32_e32 v3, v3, v132
	v_fmac_f32_e32 v134, v65, v48
	v_fma_f32 v19, v106, v20, -v21
	v_add_f32_e32 v18, 0, v18
	v_add_f32_e32 v3, v3, v133
	;; [unrolled: 1-line block ×4, first 2 shown]
	v_mul_f32_e32 v3, v101, v5
	v_add_f32_e32 v2, v18, v2
	v_fma_f32 v3, v100, v4, -v3
	v_add_f32_e32 v2, v2, v3
	v_mul_f32_e32 v3, v95, v7
	v_fma_f32 v3, v94, v6, -v3
	v_add_f32_e32 v2, v2, v3
	v_mul_f32_e32 v3, v97, v9
	;; [unrolled: 3-line block ×16, first 2 shown]
	v_fma_f32 v3, v64, v48, -v3
	s_waitcnt vmcnt(5) lgkmcnt(1)
	v_mul_f32_e32 v115, v78, v55
	v_add_f32_e32 v18, v2, v3
	v_mul_f32_e32 v2, v79, v55
	v_fmac_f32_e32 v115, v79, v54
	v_fma_f32 v114, v78, v54, -v2
	s_waitcnt vmcnt(4) lgkmcnt(0)
	v_pk_mul_f32 v[16:17], v[108:109], v[58:59] op_sel:[1,1] op_sel_hi:[0,1]
	v_mul_f32_e32 v117, v80, v57
	v_mul_f32_e32 v2, v81, v57
	v_pk_add_f32 v[14:15], v[18:19], v[114:115]
	v_pk_fma_f32 v[18:19], v[108:109], v[58:59], v[16:17] neg_lo:[0,0,1] neg_hi:[0,0,1]
	v_pk_fma_f32 v[16:17], v[108:109], v[58:59], v[16:17] op_sel_hi:[1,0,1]
	v_fmac_f32_e32 v117, v81, v56
	v_fma_f32 v116, v80, v56, -v2
	ds_read2_b64 v[2:5], v102 offset0:89 offset1:90
	ds_read2_b64 v[6:9], v102 offset0:91 offset1:92
	;; [unrolled: 1-line block ×3, first 2 shown]
	v_mov_b32_e32 v16, v61
	v_pk_add_f32 v[14:15], v[14:15], v[116:117]
	v_mov_b32_e32 v19, v17
	v_pk_mul_f32 v[16:17], v[110:111], v[16:17] op_sel:[1,0] op_sel_hi:[0,0]
	v_pk_add_f32 v[14:15], v[14:15], v[18:19]
	v_pk_fma_f32 v[18:19], v[110:111], v[60:61], v[16:17] neg_lo:[0,0,1] neg_hi:[0,0,1]
	v_pk_fma_f32 v[16:17], v[110:111], v[60:61], v[16:17] op_sel_hi:[1,0,1]
	s_nop 0
	v_mov_b32_e32 v19, v17
	s_waitcnt vmcnt(3) lgkmcnt(2)
	v_pk_mul_f32 v[16:17], v[2:3], v[50:51] op_sel:[1,1] op_sel_hi:[0,1]
	v_pk_add_f32 v[14:15], v[14:15], v[18:19]
	v_pk_fma_f32 v[18:19], v[2:3], v[50:51], v[16:17] neg_lo:[0,0,1] neg_hi:[0,0,1]
	v_pk_fma_f32 v[2:3], v[2:3], v[50:51], v[16:17] op_sel_hi:[1,0,1]
	s_nop 0
	v_mov_b32_e32 v19, v3
	v_pk_add_f32 v[2:3], v[14:15], v[18:19]
	v_mov_b32_e32 v14, v53
	v_pk_mul_f32 v[14:15], v[4:5], v[14:15] op_sel:[1,0] op_sel_hi:[0,0]
	v_pk_fma_f32 v[16:17], v[4:5], v[52:53], v[14:15] neg_lo:[0,0,1] neg_hi:[0,0,1]
	v_pk_fma_f32 v[4:5], v[4:5], v[52:53], v[14:15] op_sel_hi:[1,0,1]
	s_nop 0
	v_mov_b32_e32 v17, v5
	s_waitcnt vmcnt(2) lgkmcnt(1)
	v_pk_mul_f32 v[4:5], v[6:7], v[38:39] op_sel:[1,1] op_sel_hi:[0,1]
	v_pk_fma_f32 v[14:15], v[6:7], v[38:39], v[4:5] neg_lo:[0,0,1] neg_hi:[0,0,1]
	v_pk_fma_f32 v[4:5], v[6:7], v[38:39], v[4:5] op_sel_hi:[1,0,1]
	v_pk_add_f32 v[2:3], v[2:3], v[16:17]
	v_mov_b32_e32 v4, v41
	v_mov_b32_e32 v15, v5
	v_pk_mul_f32 v[4:5], v[8:9], v[4:5] op_sel:[1,0] op_sel_hi:[0,0]
	v_pk_fma_f32 v[6:7], v[8:9], v[40:41], v[4:5] neg_lo:[0,0,1] neg_hi:[0,0,1]
	v_pk_fma_f32 v[4:5], v[8:9], v[40:41], v[4:5] op_sel_hi:[1,0,1]
	v_pk_add_f32 v[2:3], v[2:3], v[14:15]
	v_mov_b32_e32 v7, v5
	s_waitcnt vmcnt(1) lgkmcnt(0)
	v_pk_mul_f32 v[4:5], v[10:11], v[26:27] op_sel:[1,1] op_sel_hi:[0,1]
	v_pk_add_f32 v[2:3], v[2:3], v[6:7]
	v_pk_fma_f32 v[6:7], v[10:11], v[26:27], v[4:5] neg_lo:[0,0,1] neg_hi:[0,0,1]
	v_pk_fma_f32 v[4:5], v[10:11], v[26:27], v[4:5] op_sel_hi:[1,0,1]
	s_nop 0
	v_mov_b32_e32 v4, v29
	v_mov_b32_e32 v7, v5
	v_pk_mul_f32 v[4:5], v[12:13], v[4:5] op_sel:[1,0] op_sel_hi:[0,0]
	v_pk_add_f32 v[2:3], v[2:3], v[6:7]
	v_pk_fma_f32 v[6:7], v[12:13], v[28:29], v[4:5] neg_lo:[0,0,1] neg_hi:[0,0,1]
	v_pk_fma_f32 v[4:5], v[12:13], v[28:29], v[4:5] op_sel_hi:[1,0,1]
	s_nop 0
	v_mov_b32_e32 v7, v5
	v_pk_add_f32 v[2:3], v[2:3], v[6:7]
	s_waitcnt vmcnt(0)
	v_pk_add_f32 v[2:3], v[112:113], v[2:3] neg_lo:[0,1] neg_hi:[0,1]
	scratch_store_dwordx2 off, v[2:3], off offset:128
	s_and_saveexec_b64 s[0:1], vcc
	s_cbranch_execz .LBB110_265
; %bb.264:
	scratch_load_dwordx2 v[2:3], off, off offset:120
	v_mov_b32_e32 v4, 0
	v_mov_b32_e32 v5, v4
	scratch_store_dwordx2 off, v[4:5], off offset:120
	s_waitcnt vmcnt(1)
	ds_write_b64 v1, v[2:3]
.LBB110_265:
	s_or_b64 exec, exec, s[0:1]
	s_waitcnt lgkmcnt(0)
	; wave barrier
	scratch_load_dwordx4 v[2:5], off, off offset:128
	scratch_load_dwordx4 v[6:9], off, off offset:144
	;; [unrolled: 1-line block ×15, first 2 shown]
	scratch_load_dwordx2 v[62:63], off, off offset:368
	scratch_load_dwordx2 v[112:113], off, off offset:120
	v_mov_b32_e32 v114, 0
	ds_read_b128 v[64:67], v114 offset:512
	ds_read_b128 v[68:71], v114 offset:528
	;; [unrolled: 1-line block ×12, first 2 shown]
	v_cmp_lt_u32_e32 vcc, 14, v0
	s_waitcnt vmcnt(16) lgkmcnt(11)
	v_mul_f32_e32 v115, v64, v3
	v_mul_f32_e32 v116, v66, v5
	;; [unrolled: 1-line block ×3, first 2 shown]
	v_fmac_f32_e32 v115, v65, v2
	s_waitcnt vmcnt(15) lgkmcnt(10)
	v_mul_f32_e32 v118, v68, v7
	v_fmac_f32_e32 v116, v67, v4
	v_fma_f32 v2, v64, v2, -v3
	v_add_f32_e32 v3, 0, v115
	v_mul_f32_e32 v120, v70, v9
	v_fmac_f32_e32 v118, v69, v6
	v_add_f32_e32 v3, v3, v116
	s_waitcnt vmcnt(14) lgkmcnt(9)
	v_mul_f32_e32 v121, v72, v11
	v_fmac_f32_e32 v120, v71, v8
	v_add_f32_e32 v3, v3, v118
	v_mul_f32_e32 v122, v74, v13
	v_fmac_f32_e32 v121, v73, v10
	v_add_f32_e32 v3, v3, v120
	s_waitcnt vmcnt(13) lgkmcnt(8)
	v_mul_f32_e32 v123, v76, v15
	v_fmac_f32_e32 v122, v75, v12
	;; [unrolled: 7-line block ×9, first 2 shown]
	v_add_f32_e32 v3, v3, v135
	v_mul_f32_e32 v5, v67, v5
	v_fmac_f32_e32 v137, v105, v58
	v_add_f32_e32 v3, v3, v136
	v_add_f32_e32 v2, 0, v2
	;; [unrolled: 1-line block ×3, first 2 shown]
	v_fma_f32 v3, v66, v4, -v5
	v_add_f32_e32 v2, v2, v3
	v_mul_f32_e32 v3, v69, v7
	v_fma_f32 v3, v68, v6, -v3
	v_add_f32_e32 v2, v2, v3
	v_mul_f32_e32 v3, v71, v9
	;; [unrolled: 3-line block ×20, first 2 shown]
	v_mul_f32_e32 v117, v106, v61
	v_fma_f32 v116, v106, v60, -v2
	s_waitcnt vmcnt(5) lgkmcnt(0)
	v_mul_f32_e32 v2, v109, v55
	v_mov_b32_e32 v18, v57
	v_mul_f32_e32 v119, v108, v55
	v_fmac_f32_e32 v117, v107, v60
	v_fma_f32 v118, v108, v54, -v2
	ds_read_b128 v[2:5], v114 offset:704
	ds_read_b128 v[6:9], v114 offset:720
	ds_read_b128 v[10:13], v114 offset:736
	ds_read_b64 v[14:15], v114 offset:752
	v_pk_mul_f32 v[18:19], v[110:111], v[18:19] op_sel:[1,0] op_sel_hi:[0,0]
	v_fmac_f32_e32 v119, v109, v54
	v_pk_add_f32 v[16:17], v[64:65], v[116:117]
	v_pk_fma_f32 v[20:21], v[110:111], v[56:57], v[18:19] neg_lo:[0,0,1] neg_hi:[0,0,1]
	v_pk_fma_f32 v[18:19], v[110:111], v[56:57], v[18:19] op_sel_hi:[1,0,1]
	v_pk_add_f32 v[16:17], v[16:17], v[118:119]
	v_mov_b32_e32 v21, v19
	s_waitcnt vmcnt(4) lgkmcnt(3)
	v_pk_mul_f32 v[18:19], v[2:3], v[50:51] op_sel:[1,1] op_sel_hi:[0,1]
	v_pk_add_f32 v[16:17], v[16:17], v[20:21]
	v_pk_fma_f32 v[20:21], v[2:3], v[50:51], v[18:19] neg_lo:[0,0,1] neg_hi:[0,0,1]
	v_pk_fma_f32 v[2:3], v[2:3], v[50:51], v[18:19] op_sel_hi:[1,0,1]
	s_nop 0
	v_mov_b32_e32 v21, v3
	v_pk_add_f32 v[2:3], v[16:17], v[20:21]
	v_mov_b32_e32 v16, v53
	v_pk_mul_f32 v[16:17], v[4:5], v[16:17] op_sel:[1,0] op_sel_hi:[0,0]
	v_pk_fma_f32 v[18:19], v[4:5], v[52:53], v[16:17] neg_lo:[0,0,1] neg_hi:[0,0,1]
	v_pk_fma_f32 v[4:5], v[4:5], v[52:53], v[16:17] op_sel_hi:[1,0,1]
	s_nop 0
	v_mov_b32_e32 v19, v5
	s_waitcnt vmcnt(3) lgkmcnt(2)
	v_pk_mul_f32 v[4:5], v[6:7], v[38:39] op_sel:[1,1] op_sel_hi:[0,1]
	v_pk_fma_f32 v[16:17], v[6:7], v[38:39], v[4:5] neg_lo:[0,0,1] neg_hi:[0,0,1]
	v_pk_fma_f32 v[4:5], v[6:7], v[38:39], v[4:5] op_sel_hi:[1,0,1]
	v_pk_add_f32 v[2:3], v[2:3], v[18:19]
	v_mov_b32_e32 v4, v41
	v_mov_b32_e32 v17, v5
	v_pk_mul_f32 v[4:5], v[8:9], v[4:5] op_sel:[1,0] op_sel_hi:[0,0]
	v_pk_fma_f32 v[6:7], v[8:9], v[40:41], v[4:5] neg_lo:[0,0,1] neg_hi:[0,0,1]
	v_pk_fma_f32 v[4:5], v[8:9], v[40:41], v[4:5] op_sel_hi:[1,0,1]
	v_pk_add_f32 v[2:3], v[2:3], v[16:17]
	v_mov_b32_e32 v7, v5
	s_waitcnt vmcnt(2) lgkmcnt(1)
	v_pk_mul_f32 v[4:5], v[10:11], v[26:27] op_sel:[1,1] op_sel_hi:[0,1]
	v_pk_add_f32 v[2:3], v[2:3], v[6:7]
	v_pk_fma_f32 v[6:7], v[10:11], v[26:27], v[4:5] neg_lo:[0,0,1] neg_hi:[0,0,1]
	v_pk_fma_f32 v[4:5], v[10:11], v[26:27], v[4:5] op_sel_hi:[1,0,1]
	s_nop 0
	v_mov_b32_e32 v4, v29
	v_mov_b32_e32 v7, v5
	v_pk_mul_f32 v[4:5], v[12:13], v[4:5] op_sel:[1,0] op_sel_hi:[0,0]
	v_pk_add_f32 v[2:3], v[2:3], v[6:7]
	v_pk_fma_f32 v[6:7], v[12:13], v[28:29], v[4:5] neg_lo:[0,0,1] neg_hi:[0,0,1]
	v_pk_fma_f32 v[4:5], v[12:13], v[28:29], v[4:5] op_sel_hi:[1,0,1]
	s_nop 0
	v_mov_b32_e32 v7, v5
	s_waitcnt vmcnt(1) lgkmcnt(0)
	v_pk_mul_f32 v[4:5], v[14:15], v[62:63] op_sel:[1,1] op_sel_hi:[0,1]
	v_pk_add_f32 v[2:3], v[2:3], v[6:7]
	v_pk_fma_f32 v[6:7], v[14:15], v[62:63], v[4:5] neg_lo:[0,0,1] neg_hi:[0,0,1]
	v_pk_fma_f32 v[4:5], v[14:15], v[62:63], v[4:5] op_sel_hi:[1,0,1]
	s_nop 0
	v_mov_b32_e32 v7, v5
	v_pk_add_f32 v[2:3], v[2:3], v[6:7]
	s_waitcnt vmcnt(0)
	v_pk_add_f32 v[2:3], v[112:113], v[2:3] neg_lo:[0,1] neg_hi:[0,1]
	scratch_store_dwordx2 off, v[2:3], off offset:120
	s_and_saveexec_b64 s[0:1], vcc
	s_cbranch_execz .LBB110_267
; %bb.266:
	scratch_load_dwordx2 v[2:3], off, off offset:112
	v_mov_b32_e32 v115, v114
	scratch_store_dwordx2 off, v[114:115], off offset:112
	s_waitcnt vmcnt(1)
	ds_write_b64 v1, v[2:3]
.LBB110_267:
	s_or_b64 exec, exec, s[0:1]
	s_waitcnt lgkmcnt(0)
	; wave barrier
	scratch_load_dwordx4 v[2:5], off, off offset:120
	scratch_load_dwordx4 v[6:9], off, off offset:136
	;; [unrolled: 1-line block ×12, first 2 shown]
	ds_read2_b64 v[110:113], v114 offset0:63 offset1:64
	ds_read2_b64 v[106:109], v114 offset0:65 offset1:66
	;; [unrolled: 1-line block ×12, first 2 shown]
	scratch_load_dwordx4 v[62:65], off, off offset:312
	scratch_load_dwordx4 v[54:57], off, off offset:328
	scratch_load_dwordx4 v[42:45], off, off offset:344
	scratch_load_dwordx4 v[34:37], off, off offset:360
	scratch_load_dwordx2 v[116:117], off, off offset:112
	v_cmp_lt_u32_e32 vcc, 13, v0
	s_waitcnt vmcnt(16) lgkmcnt(11)
	v_mul_f32_e32 v115, v110, v3
	v_mul_f32_e32 v118, v112, v5
	;; [unrolled: 1-line block ×3, first 2 shown]
	v_fmac_f32_e32 v115, v111, v2
	s_waitcnt vmcnt(15) lgkmcnt(10)
	v_mul_f32_e32 v120, v106, v7
	v_fmac_f32_e32 v118, v113, v4
	v_fma_f32 v2, v110, v2, -v3
	v_add_f32_e32 v3, 0, v115
	v_mul_f32_e32 v122, v108, v9
	v_fmac_f32_e32 v120, v107, v6
	v_add_f32_e32 v3, v3, v118
	s_waitcnt vmcnt(14) lgkmcnt(9)
	v_mul_f32_e32 v123, v102, v11
	v_fmac_f32_e32 v122, v109, v8
	v_add_f32_e32 v3, v3, v120
	v_mul_f32_e32 v124, v104, v13
	v_fmac_f32_e32 v123, v103, v10
	v_add_f32_e32 v3, v3, v122
	s_waitcnt vmcnt(13) lgkmcnt(8)
	v_mul_f32_e32 v125, v98, v15
	v_fmac_f32_e32 v124, v105, v12
	;; [unrolled: 7-line block ×9, first 2 shown]
	v_add_f32_e32 v3, v3, v137
	v_mul_f32_e32 v140, v72, v53
	v_fmac_f32_e32 v139, v71, v50
	v_add_f32_e32 v3, v3, v138
	v_fmac_f32_e32 v140, v73, v52
	v_add_f32_e32 v3, v3, v139
	v_add_f32_e32 v111, v3, v140
	v_mul_f32_e32 v3, v113, v5
	v_add_f32_e32 v2, 0, v2
	v_fma_f32 v3, v112, v4, -v3
	v_add_f32_e32 v2, v2, v3
	v_mul_f32_e32 v3, v107, v7
	v_fma_f32 v3, v106, v6, -v3
	v_add_f32_e32 v2, v2, v3
	v_mul_f32_e32 v3, v109, v9
	;; [unrolled: 3-line block ×20, first 2 shown]
	v_fma_f32 v3, v72, v52, -v3
	v_add_f32_e32 v110, v2, v3
	s_waitcnt vmcnt(5) lgkmcnt(0)
	v_mul_f32_e32 v2, v67, v59
	v_fma_f32 v118, v66, v58, -v2
	v_mul_f32_e32 v2, v69, v61
	v_fma_f32 v120, v68, v60, -v2
	ds_read2_b64 v[2:5], v114 offset0:87 offset1:88
	ds_read2_b64 v[6:9], v114 offset0:89 offset1:90
	;; [unrolled: 1-line block ×4, first 2 shown]
	v_mul_f32_e32 v119, v66, v59
	v_mul_f32_e32 v121, v68, v61
	v_fmac_f32_e32 v119, v67, v58
	s_waitcnt vmcnt(4) lgkmcnt(3)
	v_pk_mul_f32 v[20:21], v[2:3], v[62:63] op_sel:[1,1] op_sel_hi:[0,1]
	v_fmac_f32_e32 v121, v69, v60
	v_pk_add_f32 v[18:19], v[110:111], v[118:119]
	v_pk_fma_f32 v[22:23], v[2:3], v[62:63], v[20:21] neg_lo:[0,0,1] neg_hi:[0,0,1]
	v_pk_fma_f32 v[2:3], v[2:3], v[62:63], v[20:21] op_sel_hi:[1,0,1]
	v_pk_add_f32 v[18:19], v[18:19], v[120:121]
	v_mov_b32_e32 v23, v3
	v_pk_add_f32 v[2:3], v[18:19], v[22:23]
	v_mov_b32_e32 v18, v65
	v_pk_mul_f32 v[18:19], v[4:5], v[18:19] op_sel:[1,0] op_sel_hi:[0,0]
	v_pk_fma_f32 v[20:21], v[4:5], v[64:65], v[18:19] neg_lo:[0,0,1] neg_hi:[0,0,1]
	v_pk_fma_f32 v[4:5], v[4:5], v[64:65], v[18:19] op_sel_hi:[1,0,1]
	s_nop 0
	v_mov_b32_e32 v21, v5
	s_waitcnt vmcnt(3) lgkmcnt(2)
	v_pk_mul_f32 v[4:5], v[6:7], v[54:55] op_sel:[1,1] op_sel_hi:[0,1]
	v_pk_fma_f32 v[18:19], v[6:7], v[54:55], v[4:5] neg_lo:[0,0,1] neg_hi:[0,0,1]
	v_pk_fma_f32 v[4:5], v[6:7], v[54:55], v[4:5] op_sel_hi:[1,0,1]
	v_pk_add_f32 v[2:3], v[2:3], v[20:21]
	v_mov_b32_e32 v4, v57
	v_mov_b32_e32 v19, v5
	v_pk_mul_f32 v[4:5], v[8:9], v[4:5] op_sel:[1,0] op_sel_hi:[0,0]
	v_pk_fma_f32 v[6:7], v[8:9], v[56:57], v[4:5] neg_lo:[0,0,1] neg_hi:[0,0,1]
	v_pk_fma_f32 v[4:5], v[8:9], v[56:57], v[4:5] op_sel_hi:[1,0,1]
	v_pk_add_f32 v[2:3], v[2:3], v[18:19]
	v_mov_b32_e32 v7, v5
	s_waitcnt vmcnt(2) lgkmcnt(1)
	v_pk_mul_f32 v[4:5], v[10:11], v[42:43] op_sel:[1,1] op_sel_hi:[0,1]
	v_pk_add_f32 v[2:3], v[2:3], v[6:7]
	v_pk_fma_f32 v[6:7], v[10:11], v[42:43], v[4:5] neg_lo:[0,0,1] neg_hi:[0,0,1]
	v_pk_fma_f32 v[4:5], v[10:11], v[42:43], v[4:5] op_sel_hi:[1,0,1]
	s_nop 0
	v_mov_b32_e32 v4, v45
	v_mov_b32_e32 v7, v5
	v_pk_mul_f32 v[4:5], v[12:13], v[4:5] op_sel:[1,0] op_sel_hi:[0,0]
	v_pk_add_f32 v[2:3], v[2:3], v[6:7]
	v_pk_fma_f32 v[6:7], v[12:13], v[44:45], v[4:5] neg_lo:[0,0,1] neg_hi:[0,0,1]
	v_pk_fma_f32 v[4:5], v[12:13], v[44:45], v[4:5] op_sel_hi:[1,0,1]
	s_nop 0
	v_mov_b32_e32 v7, v5
	s_waitcnt vmcnt(1) lgkmcnt(0)
	v_pk_mul_f32 v[4:5], v[14:15], v[34:35] op_sel:[1,1] op_sel_hi:[0,1]
	v_pk_add_f32 v[2:3], v[2:3], v[6:7]
	v_pk_fma_f32 v[6:7], v[14:15], v[34:35], v[4:5] neg_lo:[0,0,1] neg_hi:[0,0,1]
	v_pk_fma_f32 v[4:5], v[14:15], v[34:35], v[4:5] op_sel_hi:[1,0,1]
	s_nop 0
	v_mov_b32_e32 v4, v37
	v_mov_b32_e32 v7, v5
	v_pk_mul_f32 v[4:5], v[16:17], v[4:5] op_sel:[1,0] op_sel_hi:[0,0]
	v_pk_add_f32 v[2:3], v[2:3], v[6:7]
	v_pk_fma_f32 v[6:7], v[16:17], v[36:37], v[4:5] neg_lo:[0,0,1] neg_hi:[0,0,1]
	v_pk_fma_f32 v[4:5], v[16:17], v[36:37], v[4:5] op_sel_hi:[1,0,1]
	s_nop 0
	v_mov_b32_e32 v7, v5
	v_pk_add_f32 v[2:3], v[2:3], v[6:7]
	s_waitcnt vmcnt(0)
	v_pk_add_f32 v[2:3], v[116:117], v[2:3] neg_lo:[0,1] neg_hi:[0,1]
	scratch_store_dwordx2 off, v[2:3], off offset:112
	s_and_saveexec_b64 s[0:1], vcc
	s_cbranch_execz .LBB110_269
; %bb.268:
	scratch_load_dwordx2 v[2:3], off, off offset:104
	v_mov_b32_e32 v4, 0
	v_mov_b32_e32 v5, v4
	scratch_store_dwordx2 off, v[4:5], off offset:104
	s_waitcnt vmcnt(1)
	ds_write_b64 v1, v[2:3]
.LBB110_269:
	s_or_b64 exec, exec, s[0:1]
	s_waitcnt lgkmcnt(0)
	; wave barrier
	scratch_load_dwordx4 v[2:5], off, off offset:112
	scratch_load_dwordx4 v[6:9], off, off offset:128
	;; [unrolled: 1-line block ×13, first 2 shown]
	v_mov_b32_e32 v106, 0
	scratch_load_dwordx2 v[124:125], off, off offset:104
	ds_read_b128 v[54:57], v106 offset:496
	ds_read_b128 v[58:61], v106 offset:512
	;; [unrolled: 1-line block ×14, first 2 shown]
	v_cmp_lt_u32_e32 vcc, 12, v0
	s_waitcnt vmcnt(13) lgkmcnt(13)
	v_mul_f32_e32 v107, v54, v3
	v_mul_f32_e32 v112, v56, v5
	v_fmac_f32_e32 v107, v55, v2
	s_waitcnt vmcnt(12) lgkmcnt(12)
	v_mul_f32_e32 v113, v58, v7
	v_fmac_f32_e32 v112, v57, v4
	v_add_f32_e32 v107, 0, v107
	v_mul_f32_e32 v114, v60, v9
	v_fmac_f32_e32 v113, v59, v6
	v_add_f32_e32 v107, v107, v112
	s_waitcnt vmcnt(11) lgkmcnt(11)
	v_mul_f32_e32 v115, v62, v11
	v_fmac_f32_e32 v114, v61, v8
	v_add_f32_e32 v107, v107, v113
	v_mul_f32_e32 v116, v64, v13
	v_fmac_f32_e32 v115, v63, v10
	v_add_f32_e32 v107, v107, v114
	;; [unrolled: 7-line block ×8, first 2 shown]
	s_waitcnt vmcnt(4) lgkmcnt(4)
	v_mul_f32_e32 v133, v90, v39
	v_fmac_f32_e32 v132, v89, v36
	v_add_f32_e32 v107, v107, v131
	v_fmac_f32_e32 v133, v91, v38
	v_add_f32_e32 v107, v107, v132
	v_add_f32_e32 v107, v107, v133
	scratch_load_dwordx4 v[112:115], off, off offset:320
	scratch_load_dwordx4 v[116:119], off, off offset:336
	;; [unrolled: 1-line block ×3, first 2 shown]
	scratch_load_dwordx2 v[132:133], off, off offset:368
	v_mul_f32_e32 v3, v55, v3
	v_fma_f32 v2, v54, v2, -v3
	v_mul_f32_e32 v3, v57, v5
	v_add_f32_e32 v2, 0, v2
	v_fma_f32 v3, v56, v4, -v3
	v_add_f32_e32 v2, v2, v3
	v_mul_f32_e32 v3, v59, v7
	v_fma_f32 v3, v58, v6, -v3
	v_add_f32_e32 v2, v2, v3
	v_mul_f32_e32 v3, v61, v9
	;; [unrolled: 3-line block ×18, first 2 shown]
	v_fma_f32 v3, v92, v40, -v3
	v_add_f32_e32 v2, v2, v3
	s_waitcnt vmcnt(7) lgkmcnt(3)
	v_mul_f32_e32 v3, v95, v43
	v_fma_f32 v3, v94, v42, -v3
	v_mul_f32_e32 v134, v92, v41
	v_add_f32_e32 v2, v2, v3
	v_mul_f32_e32 v3, v97, v45
	v_mul_f32_e32 v135, v94, v43
	v_fmac_f32_e32 v134, v93, v40
	v_fma_f32 v3, v96, v44, -v3
	v_mul_f32_e32 v136, v96, v45
	v_fmac_f32_e32 v135, v95, v42
	v_add_f32_e32 v107, v107, v134
	v_add_f32_e32 v2, v2, v3
	s_waitcnt vmcnt(6) lgkmcnt(2)
	v_mul_f32_e32 v3, v99, v47
	v_mul_f32_e32 v137, v98, v47
	v_fmac_f32_e32 v136, v97, v44
	v_add_f32_e32 v107, v107, v135
	v_fma_f32 v3, v98, v46, -v3
	v_mul_f32_e32 v127, v100, v49
	v_fmac_f32_e32 v137, v99, v46
	v_add_f32_e32 v107, v107, v136
	v_add_f32_e32 v130, v2, v3
	v_mul_f32_e32 v2, v101, v49
	s_waitcnt vmcnt(5)
	v_mov_b32_e32 v14, v53
	s_waitcnt lgkmcnt(1)
	v_mul_f32_e32 v129, v102, v51
	v_fmac_f32_e32 v127, v101, v48
	v_add_f32_e32 v131, v107, v137
	v_fma_f32 v126, v100, v48, -v2
	v_mul_f32_e32 v2, v103, v51
	v_pk_mul_f32 v[14:15], v[104:105], v[14:15] op_sel:[1,0] op_sel_hi:[0,0]
	v_fmac_f32_e32 v129, v103, v50
	v_fma_f32 v128, v102, v50, -v2
	v_pk_add_f32 v[12:13], v[130:131], v[126:127]
	v_pk_fma_f32 v[16:17], v[104:105], v[52:53], v[14:15] neg_lo:[0,0,1] neg_hi:[0,0,1]
	v_pk_fma_f32 v[14:15], v[104:105], v[52:53], v[14:15] op_sel_hi:[1,0,1]
	v_pk_add_f32 v[12:13], v[12:13], v[128:129]
	v_mov_b32_e32 v17, v15
	s_waitcnt vmcnt(3) lgkmcnt(0)
	v_pk_mul_f32 v[14:15], v[108:109], v[112:113] op_sel:[1,1] op_sel_hi:[0,1]
	v_pk_add_f32 v[12:13], v[12:13], v[16:17]
	v_pk_fma_f32 v[16:17], v[108:109], v[112:113], v[14:15] neg_lo:[0,0,1] neg_hi:[0,0,1]
	v_pk_fma_f32 v[14:15], v[108:109], v[112:113], v[14:15] op_sel_hi:[1,0,1]
	ds_read_b128 v[2:5], v106 offset:720
	ds_read_b128 v[6:9], v106 offset:736
	ds_read_b64 v[10:11], v106 offset:752
	v_mov_b32_e32 v14, v115
	v_mov_b32_e32 v17, v15
	v_pk_mul_f32 v[14:15], v[110:111], v[14:15] op_sel:[1,0] op_sel_hi:[0,0]
	v_pk_add_f32 v[12:13], v[12:13], v[16:17]
	v_pk_fma_f32 v[16:17], v[110:111], v[114:115], v[14:15] neg_lo:[0,0,1] neg_hi:[0,0,1]
	v_pk_fma_f32 v[14:15], v[110:111], v[114:115], v[14:15] op_sel_hi:[1,0,1]
	s_nop 0
	v_mov_b32_e32 v17, v15
	s_waitcnt vmcnt(2) lgkmcnt(2)
	v_pk_mul_f32 v[14:15], v[2:3], v[116:117] op_sel:[1,1] op_sel_hi:[0,1]
	v_pk_add_f32 v[12:13], v[12:13], v[16:17]
	v_pk_fma_f32 v[16:17], v[2:3], v[116:117], v[14:15] neg_lo:[0,0,1] neg_hi:[0,0,1]
	v_pk_fma_f32 v[2:3], v[2:3], v[116:117], v[14:15] op_sel_hi:[1,0,1]
	s_nop 0
	v_mov_b32_e32 v17, v3
	v_pk_add_f32 v[2:3], v[12:13], v[16:17]
	v_mov_b32_e32 v12, v119
	v_pk_mul_f32 v[12:13], v[4:5], v[12:13] op_sel:[1,0] op_sel_hi:[0,0]
	v_pk_fma_f32 v[14:15], v[4:5], v[118:119], v[12:13] neg_lo:[0,0,1] neg_hi:[0,0,1]
	v_pk_fma_f32 v[4:5], v[4:5], v[118:119], v[12:13] op_sel_hi:[1,0,1]
	s_nop 0
	v_mov_b32_e32 v15, v5
	s_waitcnt vmcnt(1) lgkmcnt(1)
	v_pk_mul_f32 v[4:5], v[6:7], v[120:121] op_sel:[1,1] op_sel_hi:[0,1]
	v_pk_fma_f32 v[12:13], v[6:7], v[120:121], v[4:5] neg_lo:[0,0,1] neg_hi:[0,0,1]
	v_pk_fma_f32 v[4:5], v[6:7], v[120:121], v[4:5] op_sel_hi:[1,0,1]
	v_pk_add_f32 v[2:3], v[2:3], v[14:15]
	v_mov_b32_e32 v4, v123
	v_mov_b32_e32 v13, v5
	v_pk_mul_f32 v[4:5], v[8:9], v[4:5] op_sel:[1,0] op_sel_hi:[0,0]
	v_pk_fma_f32 v[6:7], v[8:9], v[122:123], v[4:5] neg_lo:[0,0,1] neg_hi:[0,0,1]
	v_pk_fma_f32 v[4:5], v[8:9], v[122:123], v[4:5] op_sel_hi:[1,0,1]
	v_pk_add_f32 v[2:3], v[2:3], v[12:13]
	v_mov_b32_e32 v7, v5
	s_waitcnt vmcnt(0) lgkmcnt(0)
	v_pk_mul_f32 v[4:5], v[10:11], v[132:133] op_sel:[1,1] op_sel_hi:[0,1]
	v_pk_add_f32 v[2:3], v[2:3], v[6:7]
	v_pk_fma_f32 v[6:7], v[10:11], v[132:133], v[4:5] neg_lo:[0,0,1] neg_hi:[0,0,1]
	v_pk_fma_f32 v[4:5], v[10:11], v[132:133], v[4:5] op_sel_hi:[1,0,1]
	s_nop 0
	v_mov_b32_e32 v7, v5
	v_pk_add_f32 v[2:3], v[2:3], v[6:7]
	s_nop 0
	v_pk_add_f32 v[2:3], v[124:125], v[2:3] neg_lo:[0,1] neg_hi:[0,1]
	scratch_store_dwordx2 off, v[2:3], off offset:104
	s_and_saveexec_b64 s[0:1], vcc
	s_cbranch_execz .LBB110_271
; %bb.270:
	scratch_load_dwordx2 v[2:3], off, off offset:96
	v_mov_b32_e32 v107, v106
	scratch_store_dwordx2 off, v[106:107], off offset:96
	s_waitcnt vmcnt(1)
	ds_write_b64 v1, v[2:3]
.LBB110_271:
	s_or_b64 exec, exec, s[0:1]
	s_waitcnt lgkmcnt(0)
	; wave barrier
	scratch_load_dwordx4 v[2:5], off, off offset:104
	scratch_load_dwordx4 v[6:9], off, off offset:120
	;; [unrolled: 1-line block ×13, first 2 shown]
	ds_read2_b64 v[102:105], v106 offset0:61 offset1:62
	ds_read2_b64 v[98:101], v106 offset0:63 offset1:64
	;; [unrolled: 1-line block ×14, first 2 shown]
	scratch_load_dwordx2 v[128:129], off, off offset:96
	v_cmp_lt_u32_e32 vcc, 11, v0
	s_waitcnt vmcnt(13) lgkmcnt(13)
	v_mul_f32_e32 v107, v102, v3
	v_mul_f32_e32 v112, v104, v5
	v_fmac_f32_e32 v107, v103, v2
	s_waitcnt vmcnt(12) lgkmcnt(12)
	v_mul_f32_e32 v113, v98, v7
	v_fmac_f32_e32 v112, v105, v4
	v_add_f32_e32 v107, 0, v107
	v_mul_f32_e32 v114, v100, v9
	v_fmac_f32_e32 v113, v99, v6
	v_add_f32_e32 v107, v107, v112
	s_waitcnt vmcnt(11) lgkmcnt(11)
	v_mul_f32_e32 v115, v94, v11
	v_fmac_f32_e32 v114, v101, v8
	v_add_f32_e32 v107, v107, v113
	v_mul_f32_e32 v116, v96, v13
	v_fmac_f32_e32 v115, v95, v10
	v_add_f32_e32 v107, v107, v114
	;; [unrolled: 7-line block ×7, first 2 shown]
	s_waitcnt vmcnt(5) lgkmcnt(5)
	v_mul_f32_e32 v127, v70, v35
	v_fmac_f32_e32 v126, v77, v32
	v_add_f32_e32 v107, v107, v125
	v_fmac_f32_e32 v127, v71, v34
	v_add_f32_e32 v107, v107, v126
	v_add_f32_e32 v107, v107, v127
	scratch_load_dwordx4 v[112:115], off, off offset:312
	scratch_load_dwordx4 v[116:119], off, off offset:328
	;; [unrolled: 1-line block ×4, first 2 shown]
	v_mul_f32_e32 v3, v103, v3
	v_fma_f32 v2, v102, v2, -v3
	v_mul_f32_e32 v3, v105, v5
	v_add_f32_e32 v2, 0, v2
	v_fma_f32 v3, v104, v4, -v3
	v_add_f32_e32 v2, v2, v3
	v_mul_f32_e32 v3, v99, v7
	v_fma_f32 v3, v98, v6, -v3
	v_add_f32_e32 v2, v2, v3
	v_mul_f32_e32 v3, v101, v9
	;; [unrolled: 3-line block ×16, first 2 shown]
	v_fma_f32 v3, v72, v36, -v3
	v_add_f32_e32 v2, v2, v3
	s_waitcnt vmcnt(8) lgkmcnt(4)
	v_mul_f32_e32 v3, v67, v39
	v_fma_f32 v3, v66, v38, -v3
	v_add_f32_e32 v2, v2, v3
	v_mul_f32_e32 v3, v69, v41
	v_fma_f32 v3, v68, v40, -v3
	v_add_f32_e32 v2, v2, v3
	s_waitcnt vmcnt(7) lgkmcnt(3)
	v_mul_f32_e32 v3, v63, v43
	v_mul_f32_e32 v130, v72, v37
	v_fma_f32 v3, v62, v42, -v3
	v_mul_f32_e32 v132, v66, v39
	v_fmac_f32_e32 v130, v73, v36
	v_add_f32_e32 v2, v2, v3
	v_mul_f32_e32 v3, v65, v45
	v_mul_f32_e32 v134, v68, v41
	v_fmac_f32_e32 v132, v67, v38
	v_add_f32_e32 v107, v107, v130
	v_fma_f32 v3, v64, v44, -v3
	v_mul_f32_e32 v135, v62, v43
	v_fmac_f32_e32 v134, v69, v40
	v_add_f32_e32 v107, v107, v132
	v_add_f32_e32 v2, v2, v3
	s_waitcnt vmcnt(6) lgkmcnt(2)
	v_mul_f32_e32 v3, v59, v47
	v_mul_f32_e32 v136, v64, v45
	v_fmac_f32_e32 v135, v63, v42
	v_add_f32_e32 v107, v107, v134
	v_fma_f32 v3, v58, v46, -v3
	v_mul_f32_e32 v137, v58, v47
	v_fmac_f32_e32 v136, v65, v44
	v_add_f32_e32 v107, v107, v135
	v_add_f32_e32 v2, v2, v3
	v_mul_f32_e32 v3, v61, v49
	v_mul_f32_e32 v138, v60, v49
	v_fmac_f32_e32 v137, v59, v46
	v_add_f32_e32 v107, v107, v136
	v_fma_f32 v3, v60, v48, -v3
	s_waitcnt vmcnt(5) lgkmcnt(1)
	v_mul_f32_e32 v131, v54, v51
	v_fmac_f32_e32 v138, v61, v48
	v_add_f32_e32 v107, v107, v137
	v_add_f32_e32 v134, v2, v3
	v_mul_f32_e32 v2, v55, v51
	s_waitcnt vmcnt(3) lgkmcnt(0)
	v_pk_mul_f32 v[16:17], v[108:109], v[112:113] op_sel:[1,1] op_sel_hi:[0,1]
	v_mul_f32_e32 v133, v56, v53
	v_fmac_f32_e32 v131, v55, v50
	v_add_f32_e32 v135, v107, v138
	v_fma_f32 v130, v54, v50, -v2
	v_mul_f32_e32 v2, v57, v53
	v_pk_fma_f32 v[18:19], v[108:109], v[112:113], v[16:17] neg_lo:[0,0,1] neg_hi:[0,0,1]
	v_pk_fma_f32 v[16:17], v[108:109], v[112:113], v[16:17] op_sel_hi:[1,0,1]
	v_fmac_f32_e32 v133, v57, v52
	v_fma_f32 v132, v56, v52, -v2
	ds_read2_b64 v[2:5], v106 offset0:89 offset1:90
	ds_read2_b64 v[6:9], v106 offset0:91 offset1:92
	;; [unrolled: 1-line block ×3, first 2 shown]
	v_pk_add_f32 v[14:15], v[134:135], v[130:131]
	v_mov_b32_e32 v16, v115
	v_pk_add_f32 v[14:15], v[14:15], v[132:133]
	v_mov_b32_e32 v19, v17
	v_pk_mul_f32 v[16:17], v[110:111], v[16:17] op_sel:[1,0] op_sel_hi:[0,0]
	v_pk_add_f32 v[14:15], v[14:15], v[18:19]
	v_pk_fma_f32 v[18:19], v[110:111], v[114:115], v[16:17] neg_lo:[0,0,1] neg_hi:[0,0,1]
	v_pk_fma_f32 v[16:17], v[110:111], v[114:115], v[16:17] op_sel_hi:[1,0,1]
	s_nop 0
	v_mov_b32_e32 v19, v17
	s_waitcnt vmcnt(2) lgkmcnt(2)
	v_pk_mul_f32 v[16:17], v[2:3], v[116:117] op_sel:[1,1] op_sel_hi:[0,1]
	v_pk_add_f32 v[14:15], v[14:15], v[18:19]
	v_pk_fma_f32 v[18:19], v[2:3], v[116:117], v[16:17] neg_lo:[0,0,1] neg_hi:[0,0,1]
	v_pk_fma_f32 v[2:3], v[2:3], v[116:117], v[16:17] op_sel_hi:[1,0,1]
	s_nop 0
	v_mov_b32_e32 v19, v3
	v_pk_add_f32 v[2:3], v[14:15], v[18:19]
	v_mov_b32_e32 v14, v119
	v_pk_mul_f32 v[14:15], v[4:5], v[14:15] op_sel:[1,0] op_sel_hi:[0,0]
	v_pk_fma_f32 v[16:17], v[4:5], v[118:119], v[14:15] neg_lo:[0,0,1] neg_hi:[0,0,1]
	v_pk_fma_f32 v[4:5], v[4:5], v[118:119], v[14:15] op_sel_hi:[1,0,1]
	s_nop 0
	v_mov_b32_e32 v17, v5
	s_waitcnt vmcnt(1) lgkmcnt(1)
	v_pk_mul_f32 v[4:5], v[6:7], v[120:121] op_sel:[1,1] op_sel_hi:[0,1]
	v_pk_fma_f32 v[14:15], v[6:7], v[120:121], v[4:5] neg_lo:[0,0,1] neg_hi:[0,0,1]
	v_pk_fma_f32 v[4:5], v[6:7], v[120:121], v[4:5] op_sel_hi:[1,0,1]
	v_pk_add_f32 v[2:3], v[2:3], v[16:17]
	v_mov_b32_e32 v4, v123
	v_mov_b32_e32 v15, v5
	v_pk_mul_f32 v[4:5], v[8:9], v[4:5] op_sel:[1,0] op_sel_hi:[0,0]
	v_pk_fma_f32 v[6:7], v[8:9], v[122:123], v[4:5] neg_lo:[0,0,1] neg_hi:[0,0,1]
	v_pk_fma_f32 v[4:5], v[8:9], v[122:123], v[4:5] op_sel_hi:[1,0,1]
	v_pk_add_f32 v[2:3], v[2:3], v[14:15]
	v_mov_b32_e32 v7, v5
	s_waitcnt vmcnt(0) lgkmcnt(0)
	v_pk_mul_f32 v[4:5], v[10:11], v[124:125] op_sel:[1,1] op_sel_hi:[0,1]
	v_pk_add_f32 v[2:3], v[2:3], v[6:7]
	v_pk_fma_f32 v[6:7], v[10:11], v[124:125], v[4:5] neg_lo:[0,0,1] neg_hi:[0,0,1]
	v_pk_fma_f32 v[4:5], v[10:11], v[124:125], v[4:5] op_sel_hi:[1,0,1]
	s_nop 0
	v_mov_b32_e32 v4, v127
	v_mov_b32_e32 v7, v5
	v_pk_mul_f32 v[4:5], v[12:13], v[4:5] op_sel:[1,0] op_sel_hi:[0,0]
	v_pk_add_f32 v[2:3], v[2:3], v[6:7]
	v_pk_fma_f32 v[6:7], v[12:13], v[126:127], v[4:5] neg_lo:[0,0,1] neg_hi:[0,0,1]
	v_pk_fma_f32 v[4:5], v[12:13], v[126:127], v[4:5] op_sel_hi:[1,0,1]
	s_nop 0
	v_mov_b32_e32 v7, v5
	v_pk_add_f32 v[2:3], v[2:3], v[6:7]
	s_nop 0
	v_pk_add_f32 v[2:3], v[128:129], v[2:3] neg_lo:[0,1] neg_hi:[0,1]
	scratch_store_dwordx2 off, v[2:3], off offset:96
	s_and_saveexec_b64 s[0:1], vcc
	s_cbranch_execz .LBB110_273
; %bb.272:
	scratch_load_dwordx2 v[2:3], off, off offset:88
	v_mov_b32_e32 v4, 0
	v_mov_b32_e32 v5, v4
	scratch_store_dwordx2 off, v[4:5], off offset:88
	s_waitcnt vmcnt(1)
	ds_write_b64 v1, v[2:3]
.LBB110_273:
	s_or_b64 exec, exec, s[0:1]
	s_waitcnt lgkmcnt(0)
	; wave barrier
	scratch_load_dwordx4 v[2:5], off, off offset:96
	scratch_load_dwordx4 v[6:9], off, off offset:112
	;; [unrolled: 1-line block ×13, first 2 shown]
	v_mov_b32_e32 v114, 0
	scratch_load_dwordx4 v[54:57], off, off offset:304
	scratch_load_dwordx2 v[128:129], off, off offset:88
	ds_read_b128 v[58:61], v114 offset:480
	ds_read_b128 v[62:65], v114 offset:496
	;; [unrolled: 1-line block ×14, first 2 shown]
	v_cmp_lt_u32_e32 vcc, 10, v0
	s_waitcnt vmcnt(14) lgkmcnt(13)
	v_mul_f32_e32 v115, v58, v3
	v_mul_f32_e32 v116, v60, v5
	v_fmac_f32_e32 v115, v59, v2
	s_waitcnt vmcnt(13) lgkmcnt(12)
	v_mul_f32_e32 v117, v62, v7
	v_fmac_f32_e32 v116, v61, v4
	v_add_f32_e32 v115, 0, v115
	v_mul_f32_e32 v118, v64, v9
	v_fmac_f32_e32 v117, v63, v6
	v_add_f32_e32 v115, v115, v116
	s_waitcnt vmcnt(12) lgkmcnt(11)
	v_mul_f32_e32 v119, v66, v11
	v_fmac_f32_e32 v118, v65, v8
	v_add_f32_e32 v115, v115, v117
	v_mul_f32_e32 v120, v68, v13
	v_fmac_f32_e32 v119, v67, v10
	v_add_f32_e32 v115, v115, v118
	;; [unrolled: 7-line block ×6, first 2 shown]
	s_waitcnt vmcnt(7) lgkmcnt(6)
	v_mul_f32_e32 v131, v86, v31
	v_fmac_f32_e32 v130, v85, v28
	v_add_f32_e32 v115, v115, v127
	scratch_load_dwordx4 v[116:119], off, off offset:320
	v_mul_f32_e32 v132, v88, v33
	v_fmac_f32_e32 v131, v87, v30
	v_add_f32_e32 v115, v115, v130
	s_waitcnt vmcnt(7) lgkmcnt(5)
	v_mul_f32_e32 v133, v90, v35
	v_fmac_f32_e32 v132, v89, v32
	v_add_f32_e32 v115, v115, v131
	v_mul_f32_e32 v134, v92, v37
	v_fmac_f32_e32 v133, v91, v34
	v_add_f32_e32 v115, v115, v132
	s_waitcnt vmcnt(6) lgkmcnt(4)
	v_mul_f32_e32 v135, v94, v39
	v_fmac_f32_e32 v134, v93, v36
	v_add_f32_e32 v115, v115, v133
	;; [unrolled: 7-line block ×3, first 2 shown]
	v_fmac_f32_e32 v137, v99, v42
	v_add_f32_e32 v115, v115, v136
	v_add_f32_e32 v115, v115, v137
	scratch_load_dwordx4 v[120:123], off, off offset:336
	scratch_load_dwordx4 v[124:127], off, off offset:352
	scratch_load_dwordx2 v[136:137], off, off offset:368
	v_mul_f32_e32 v3, v59, v3
	v_fma_f32 v2, v58, v2, -v3
	v_mul_f32_e32 v3, v61, v5
	v_add_f32_e32 v2, 0, v2
	v_fma_f32 v3, v60, v4, -v3
	v_add_f32_e32 v2, v2, v3
	v_mul_f32_e32 v3, v63, v7
	v_fma_f32 v3, v62, v6, -v3
	v_add_f32_e32 v2, v2, v3
	v_mul_f32_e32 v3, v65, v9
	;; [unrolled: 3-line block ×20, first 2 shown]
	v_fma_f32 v3, v100, v44, -v3
	v_add_f32_e32 v2, v2, v3
	s_waitcnt vmcnt(7) lgkmcnt(2)
	v_mul_f32_e32 v3, v103, v47
	v_fma_f32 v3, v102, v46, -v3
	v_add_f32_e32 v2, v2, v3
	v_mul_f32_e32 v3, v105, v49
	v_mul_f32_e32 v138, v100, v45
	v_fma_f32 v3, v104, v48, -v3
	v_mul_f32_e32 v139, v102, v47
	v_fmac_f32_e32 v138, v101, v44
	v_add_f32_e32 v2, v2, v3
	s_waitcnt vmcnt(6) lgkmcnt(1)
	v_mul_f32_e32 v3, v107, v51
	v_mul_f32_e32 v140, v104, v49
	v_fmac_f32_e32 v139, v103, v46
	v_add_f32_e32 v115, v115, v138
	v_fma_f32 v3, v106, v50, -v3
	v_mul_f32_e32 v141, v106, v51
	v_fmac_f32_e32 v140, v105, v48
	v_add_f32_e32 v115, v115, v139
	v_add_f32_e32 v130, v2, v3
	v_mul_f32_e32 v2, v109, v53
	v_fmac_f32_e32 v141, v107, v50
	v_add_f32_e32 v115, v115, v140
	v_mul_f32_e32 v133, v108, v53
	v_fma_f32 v132, v108, v52, -v2
	s_waitcnt vmcnt(5) lgkmcnt(0)
	v_mul_f32_e32 v2, v111, v55
	v_mov_b32_e32 v18, v57
	v_add_f32_e32 v131, v115, v141
	v_fmac_f32_e32 v133, v109, v52
	v_mul_f32_e32 v135, v110, v55
	v_fma_f32 v134, v110, v54, -v2
	ds_read_b128 v[2:5], v114 offset:704
	ds_read_b128 v[6:9], v114 offset:720
	;; [unrolled: 1-line block ×3, first 2 shown]
	ds_read_b64 v[14:15], v114 offset:752
	v_pk_mul_f32 v[18:19], v[112:113], v[18:19] op_sel:[1,0] op_sel_hi:[0,0]
	v_fmac_f32_e32 v135, v111, v54
	v_pk_add_f32 v[16:17], v[130:131], v[132:133]
	v_pk_fma_f32 v[20:21], v[112:113], v[56:57], v[18:19] neg_lo:[0,0,1] neg_hi:[0,0,1]
	v_pk_fma_f32 v[18:19], v[112:113], v[56:57], v[18:19] op_sel_hi:[1,0,1]
	v_pk_add_f32 v[16:17], v[16:17], v[134:135]
	v_mov_b32_e32 v21, v19
	s_waitcnt vmcnt(3) lgkmcnt(3)
	v_pk_mul_f32 v[18:19], v[2:3], v[116:117] op_sel:[1,1] op_sel_hi:[0,1]
	v_pk_add_f32 v[16:17], v[16:17], v[20:21]
	v_pk_fma_f32 v[20:21], v[2:3], v[116:117], v[18:19] neg_lo:[0,0,1] neg_hi:[0,0,1]
	v_pk_fma_f32 v[2:3], v[2:3], v[116:117], v[18:19] op_sel_hi:[1,0,1]
	s_nop 0
	v_mov_b32_e32 v21, v3
	v_pk_add_f32 v[2:3], v[16:17], v[20:21]
	v_mov_b32_e32 v16, v119
	v_pk_mul_f32 v[16:17], v[4:5], v[16:17] op_sel:[1,0] op_sel_hi:[0,0]
	v_pk_fma_f32 v[18:19], v[4:5], v[118:119], v[16:17] neg_lo:[0,0,1] neg_hi:[0,0,1]
	v_pk_fma_f32 v[4:5], v[4:5], v[118:119], v[16:17] op_sel_hi:[1,0,1]
	s_nop 0
	v_mov_b32_e32 v19, v5
	s_waitcnt vmcnt(2) lgkmcnt(2)
	v_pk_mul_f32 v[4:5], v[6:7], v[120:121] op_sel:[1,1] op_sel_hi:[0,1]
	v_pk_fma_f32 v[16:17], v[6:7], v[120:121], v[4:5] neg_lo:[0,0,1] neg_hi:[0,0,1]
	v_pk_fma_f32 v[4:5], v[6:7], v[120:121], v[4:5] op_sel_hi:[1,0,1]
	v_pk_add_f32 v[2:3], v[2:3], v[18:19]
	v_mov_b32_e32 v4, v123
	v_mov_b32_e32 v17, v5
	v_pk_mul_f32 v[4:5], v[8:9], v[4:5] op_sel:[1,0] op_sel_hi:[0,0]
	v_pk_fma_f32 v[6:7], v[8:9], v[122:123], v[4:5] neg_lo:[0,0,1] neg_hi:[0,0,1]
	v_pk_fma_f32 v[4:5], v[8:9], v[122:123], v[4:5] op_sel_hi:[1,0,1]
	v_pk_add_f32 v[2:3], v[2:3], v[16:17]
	v_mov_b32_e32 v7, v5
	s_waitcnt vmcnt(1) lgkmcnt(1)
	v_pk_mul_f32 v[4:5], v[10:11], v[124:125] op_sel:[1,1] op_sel_hi:[0,1]
	v_pk_add_f32 v[2:3], v[2:3], v[6:7]
	v_pk_fma_f32 v[6:7], v[10:11], v[124:125], v[4:5] neg_lo:[0,0,1] neg_hi:[0,0,1]
	v_pk_fma_f32 v[4:5], v[10:11], v[124:125], v[4:5] op_sel_hi:[1,0,1]
	s_nop 0
	v_mov_b32_e32 v4, v127
	v_mov_b32_e32 v7, v5
	v_pk_mul_f32 v[4:5], v[12:13], v[4:5] op_sel:[1,0] op_sel_hi:[0,0]
	v_pk_add_f32 v[2:3], v[2:3], v[6:7]
	v_pk_fma_f32 v[6:7], v[12:13], v[126:127], v[4:5] neg_lo:[0,0,1] neg_hi:[0,0,1]
	v_pk_fma_f32 v[4:5], v[12:13], v[126:127], v[4:5] op_sel_hi:[1,0,1]
	s_nop 0
	v_mov_b32_e32 v7, v5
	s_waitcnt vmcnt(0) lgkmcnt(0)
	v_pk_mul_f32 v[4:5], v[14:15], v[136:137] op_sel:[1,1] op_sel_hi:[0,1]
	v_pk_add_f32 v[2:3], v[2:3], v[6:7]
	v_pk_fma_f32 v[6:7], v[14:15], v[136:137], v[4:5] neg_lo:[0,0,1] neg_hi:[0,0,1]
	v_pk_fma_f32 v[4:5], v[14:15], v[136:137], v[4:5] op_sel_hi:[1,0,1]
	s_nop 0
	v_mov_b32_e32 v7, v5
	v_pk_add_f32 v[2:3], v[2:3], v[6:7]
	s_nop 0
	v_pk_add_f32 v[2:3], v[128:129], v[2:3] neg_lo:[0,1] neg_hi:[0,1]
	scratch_store_dwordx2 off, v[2:3], off offset:88
	s_and_saveexec_b64 s[0:1], vcc
	s_cbranch_execz .LBB110_275
; %bb.274:
	scratch_load_dwordx2 v[2:3], off, off offset:80
	v_mov_b32_e32 v115, v114
	scratch_store_dwordx2 off, v[114:115], off offset:80
	s_waitcnt vmcnt(1)
	ds_write_b64 v1, v[2:3]
.LBB110_275:
	s_or_b64 exec, exec, s[0:1]
	s_waitcnt lgkmcnt(0)
	; wave barrier
	scratch_load_dwordx4 v[2:5], off, off offset:88
	scratch_load_dwordx4 v[6:9], off, off offset:104
	;; [unrolled: 1-line block ×13, first 2 shown]
	ds_read2_b64 v[110:113], v114 offset0:59 offset1:60
	ds_read2_b64 v[106:109], v114 offset0:61 offset1:62
	;; [unrolled: 1-line block ×14, first 2 shown]
	scratch_load_dwordx4 v[66:69], off, off offset:296
	scratch_load_dwordx2 v[132:133], off, off offset:80
	v_cmp_lt_u32_e32 vcc, 9, v0
	s_waitcnt vmcnt(14) lgkmcnt(13)
	v_mul_f32_e32 v115, v110, v3
	v_mul_f32_e32 v116, v112, v5
	v_fmac_f32_e32 v115, v111, v2
	s_waitcnt vmcnt(13) lgkmcnt(12)
	v_mul_f32_e32 v117, v106, v7
	v_fmac_f32_e32 v116, v113, v4
	v_add_f32_e32 v115, 0, v115
	v_mul_f32_e32 v118, v108, v9
	v_fmac_f32_e32 v117, v107, v6
	v_add_f32_e32 v115, v115, v116
	s_waitcnt vmcnt(12) lgkmcnt(11)
	v_mul_f32_e32 v119, v102, v11
	v_fmac_f32_e32 v118, v109, v8
	v_add_f32_e32 v115, v115, v117
	v_mul_f32_e32 v120, v104, v13
	v_fmac_f32_e32 v119, v103, v10
	v_add_f32_e32 v115, v115, v118
	;; [unrolled: 7-line block ×4, first 2 shown]
	s_waitcnt vmcnt(9) lgkmcnt(8)
	v_mul_f32_e32 v125, v90, v23
	v_fmac_f32_e32 v124, v97, v20
	v_add_f32_e32 v115, v115, v123
	scratch_load_dwordx4 v[116:119], off, off offset:312
	v_mul_f32_e32 v126, v92, v25
	v_fmac_f32_e32 v125, v91, v22
	v_add_f32_e32 v115, v115, v124
	s_waitcnt vmcnt(9) lgkmcnt(7)
	v_mul_f32_e32 v127, v86, v27
	v_fmac_f32_e32 v126, v93, v24
	v_add_f32_e32 v115, v115, v125
	v_mul_f32_e32 v128, v88, v29
	v_fmac_f32_e32 v127, v87, v26
	v_add_f32_e32 v115, v115, v126
	s_waitcnt vmcnt(8) lgkmcnt(6)
	v_mul_f32_e32 v129, v82, v31
	v_fmac_f32_e32 v128, v89, v28
	v_add_f32_e32 v115, v115, v127
	;; [unrolled: 7-line block ×3, first 2 shown]
	v_fmac_f32_e32 v131, v79, v34
	v_add_f32_e32 v115, v115, v130
	v_add_f32_e32 v115, v115, v131
	scratch_load_dwordx4 v[120:123], off, off offset:328
	scratch_load_dwordx4 v[124:127], off, off offset:344
	;; [unrolled: 1-line block ×3, first 2 shown]
	v_mul_f32_e32 v3, v111, v3
	v_fma_f32 v2, v110, v2, -v3
	v_mul_f32_e32 v3, v113, v5
	v_add_f32_e32 v2, 0, v2
	v_fma_f32 v3, v112, v4, -v3
	v_add_f32_e32 v2, v2, v3
	v_mul_f32_e32 v3, v107, v7
	v_fma_f32 v3, v106, v6, -v3
	v_add_f32_e32 v2, v2, v3
	v_mul_f32_e32 v3, v109, v9
	;; [unrolled: 3-line block ×16, first 2 shown]
	v_fma_f32 v3, v80, v36, -v3
	v_add_f32_e32 v2, v2, v3
	s_waitcnt vmcnt(9) lgkmcnt(4)
	v_mul_f32_e32 v3, v75, v39
	v_fma_f32 v3, v74, v38, -v3
	v_add_f32_e32 v2, v2, v3
	v_mul_f32_e32 v3, v77, v41
	v_fma_f32 v3, v76, v40, -v3
	v_add_f32_e32 v2, v2, v3
	s_waitcnt vmcnt(8) lgkmcnt(3)
	v_mul_f32_e32 v3, v71, v43
	v_fma_f32 v3, v70, v42, -v3
	v_add_f32_e32 v2, v2, v3
	v_mul_f32_e32 v3, v73, v45
	v_fma_f32 v3, v72, v44, -v3
	v_add_f32_e32 v2, v2, v3
	s_waitcnt vmcnt(7) lgkmcnt(2)
	v_mul_f32_e32 v3, v63, v47
	v_fma_f32 v3, v62, v46, -v3
	v_mul_f32_e32 v134, v80, v37
	v_add_f32_e32 v2, v2, v3
	v_mul_f32_e32 v3, v65, v49
	v_mul_f32_e32 v135, v74, v39
	v_fmac_f32_e32 v134, v81, v36
	v_fma_f32 v3, v64, v48, -v3
	v_mul_f32_e32 v136, v76, v41
	v_fmac_f32_e32 v135, v75, v38
	v_add_f32_e32 v115, v115, v134
	v_add_f32_e32 v2, v2, v3
	s_waitcnt vmcnt(6) lgkmcnt(1)
	v_mul_f32_e32 v3, v55, v51
	v_mul_f32_e32 v137, v70, v43
	v_fmac_f32_e32 v136, v77, v40
	v_add_f32_e32 v115, v115, v135
	v_fma_f32 v3, v54, v50, -v3
	v_mul_f32_e32 v138, v72, v45
	v_fmac_f32_e32 v137, v71, v42
	v_add_f32_e32 v115, v115, v136
	v_add_f32_e32 v2, v2, v3
	v_mul_f32_e32 v3, v57, v53
	v_mul_f32_e32 v139, v62, v47
	v_fmac_f32_e32 v138, v73, v44
	v_add_f32_e32 v115, v115, v137
	v_fma_f32 v3, v56, v52, -v3
	v_mul_f32_e32 v140, v64, v49
	v_fmac_f32_e32 v139, v63, v46
	v_add_f32_e32 v115, v115, v138
	v_add_f32_e32 v134, v2, v3
	s_waitcnt vmcnt(5) lgkmcnt(0)
	v_mul_f32_e32 v2, v59, v67
	v_mul_f32_e32 v141, v54, v51
	v_fmac_f32_e32 v140, v65, v48
	v_add_f32_e32 v115, v115, v139
	v_fma_f32 v136, v58, v66, -v2
	v_mul_f32_e32 v2, v61, v69
	v_mul_f32_e32 v142, v56, v53
	v_fmac_f32_e32 v141, v55, v50
	v_add_f32_e32 v115, v115, v140
	v_fma_f32 v138, v60, v68, -v2
	ds_read2_b64 v[2:5], v114 offset0:87 offset1:88
	ds_read2_b64 v[6:9], v114 offset0:89 offset1:90
	;; [unrolled: 1-line block ×4, first 2 shown]
	v_add_f32_e32 v115, v115, v141
	v_fmac_f32_e32 v142, v57, v52
	v_mul_f32_e32 v137, v58, v67
	v_add_f32_e32 v135, v115, v142
	v_fmac_f32_e32 v137, v59, v66
	v_mul_f32_e32 v139, v60, v69
	s_waitcnt vmcnt(3) lgkmcnt(3)
	v_pk_mul_f32 v[20:21], v[2:3], v[116:117] op_sel:[1,1] op_sel_hi:[0,1]
	v_fmac_f32_e32 v139, v61, v68
	v_pk_add_f32 v[18:19], v[134:135], v[136:137]
	v_pk_fma_f32 v[22:23], v[2:3], v[116:117], v[20:21] neg_lo:[0,0,1] neg_hi:[0,0,1]
	v_pk_fma_f32 v[2:3], v[2:3], v[116:117], v[20:21] op_sel_hi:[1,0,1]
	v_pk_add_f32 v[18:19], v[18:19], v[138:139]
	v_mov_b32_e32 v23, v3
	v_pk_add_f32 v[2:3], v[18:19], v[22:23]
	v_mov_b32_e32 v18, v119
	v_pk_mul_f32 v[18:19], v[4:5], v[18:19] op_sel:[1,0] op_sel_hi:[0,0]
	v_pk_fma_f32 v[20:21], v[4:5], v[118:119], v[18:19] neg_lo:[0,0,1] neg_hi:[0,0,1]
	v_pk_fma_f32 v[4:5], v[4:5], v[118:119], v[18:19] op_sel_hi:[1,0,1]
	s_nop 0
	v_mov_b32_e32 v21, v5
	s_waitcnt vmcnt(2) lgkmcnt(2)
	v_pk_mul_f32 v[4:5], v[6:7], v[120:121] op_sel:[1,1] op_sel_hi:[0,1]
	v_pk_fma_f32 v[18:19], v[6:7], v[120:121], v[4:5] neg_lo:[0,0,1] neg_hi:[0,0,1]
	v_pk_fma_f32 v[4:5], v[6:7], v[120:121], v[4:5] op_sel_hi:[1,0,1]
	v_pk_add_f32 v[2:3], v[2:3], v[20:21]
	v_mov_b32_e32 v4, v123
	v_mov_b32_e32 v19, v5
	v_pk_mul_f32 v[4:5], v[8:9], v[4:5] op_sel:[1,0] op_sel_hi:[0,0]
	v_pk_fma_f32 v[6:7], v[8:9], v[122:123], v[4:5] neg_lo:[0,0,1] neg_hi:[0,0,1]
	v_pk_fma_f32 v[4:5], v[8:9], v[122:123], v[4:5] op_sel_hi:[1,0,1]
	v_pk_add_f32 v[2:3], v[2:3], v[18:19]
	v_mov_b32_e32 v7, v5
	s_waitcnt vmcnt(1) lgkmcnt(1)
	v_pk_mul_f32 v[4:5], v[10:11], v[124:125] op_sel:[1,1] op_sel_hi:[0,1]
	v_pk_add_f32 v[2:3], v[2:3], v[6:7]
	v_pk_fma_f32 v[6:7], v[10:11], v[124:125], v[4:5] neg_lo:[0,0,1] neg_hi:[0,0,1]
	v_pk_fma_f32 v[4:5], v[10:11], v[124:125], v[4:5] op_sel_hi:[1,0,1]
	s_nop 0
	v_mov_b32_e32 v4, v127
	v_mov_b32_e32 v7, v5
	v_pk_mul_f32 v[4:5], v[12:13], v[4:5] op_sel:[1,0] op_sel_hi:[0,0]
	v_pk_add_f32 v[2:3], v[2:3], v[6:7]
	v_pk_fma_f32 v[6:7], v[12:13], v[126:127], v[4:5] neg_lo:[0,0,1] neg_hi:[0,0,1]
	v_pk_fma_f32 v[4:5], v[12:13], v[126:127], v[4:5] op_sel_hi:[1,0,1]
	s_nop 0
	v_mov_b32_e32 v7, v5
	s_waitcnt vmcnt(0) lgkmcnt(0)
	v_pk_mul_f32 v[4:5], v[14:15], v[128:129] op_sel:[1,1] op_sel_hi:[0,1]
	v_pk_add_f32 v[2:3], v[2:3], v[6:7]
	v_pk_fma_f32 v[6:7], v[14:15], v[128:129], v[4:5] neg_lo:[0,0,1] neg_hi:[0,0,1]
	v_pk_fma_f32 v[4:5], v[14:15], v[128:129], v[4:5] op_sel_hi:[1,0,1]
	s_nop 0
	v_mov_b32_e32 v4, v131
	v_mov_b32_e32 v7, v5
	v_pk_mul_f32 v[4:5], v[16:17], v[4:5] op_sel:[1,0] op_sel_hi:[0,0]
	v_pk_add_f32 v[2:3], v[2:3], v[6:7]
	v_pk_fma_f32 v[6:7], v[16:17], v[130:131], v[4:5] neg_lo:[0,0,1] neg_hi:[0,0,1]
	v_pk_fma_f32 v[4:5], v[16:17], v[130:131], v[4:5] op_sel_hi:[1,0,1]
	s_nop 0
	v_mov_b32_e32 v7, v5
	v_pk_add_f32 v[2:3], v[2:3], v[6:7]
	s_nop 0
	v_pk_add_f32 v[2:3], v[132:133], v[2:3] neg_lo:[0,1] neg_hi:[0,1]
	scratch_store_dwordx2 off, v[2:3], off offset:80
	s_and_saveexec_b64 s[0:1], vcc
	s_cbranch_execz .LBB110_277
; %bb.276:
	scratch_load_dwordx2 v[2:3], off, off offset:72
	v_mov_b32_e32 v4, 0
	v_mov_b32_e32 v5, v4
	scratch_store_dwordx2 off, v[4:5], off offset:72
	s_waitcnt vmcnt(1)
	ds_write_b64 v1, v[2:3]
.LBB110_277:
	s_or_b64 exec, exec, s[0:1]
	s_waitcnt lgkmcnt(0)
	; wave barrier
	scratch_load_dwordx4 v[2:5], off, off offset:80
	scratch_load_dwordx4 v[6:9], off, off offset:96
	;; [unrolled: 1-line block ×15, first 2 shown]
	scratch_load_dwordx2 v[140:141], off, off offset:72
	v_mov_b32_e32 v118, 0
	ds_read_b128 v[62:65], v118 offset:464
	ds_read_b128 v[66:69], v118 offset:480
	;; [unrolled: 1-line block ×14, first 2 shown]
	v_cmp_lt_u32_e32 vcc, 8, v0
	s_waitcnt vmcnt(15) lgkmcnt(13)
	v_mul_f32_e32 v119, v62, v3
	v_mul_f32_e32 v120, v64, v5
	v_fmac_f32_e32 v119, v63, v2
	s_waitcnt vmcnt(14) lgkmcnt(12)
	v_mul_f32_e32 v121, v66, v7
	v_fmac_f32_e32 v120, v65, v4
	v_add_f32_e32 v119, 0, v119
	v_mul_f32_e32 v122, v68, v9
	v_fmac_f32_e32 v121, v67, v6
	v_add_f32_e32 v119, v119, v120
	s_waitcnt vmcnt(13) lgkmcnt(11)
	v_mul_f32_e32 v123, v70, v11
	v_fmac_f32_e32 v122, v69, v8
	v_add_f32_e32 v119, v119, v121
	v_mul_f32_e32 v124, v72, v13
	v_fmac_f32_e32 v123, v71, v10
	v_add_f32_e32 v119, v119, v122
	;; [unrolled: 7-line block ×11, first 2 shown]
	s_waitcnt vmcnt(3) lgkmcnt(1)
	v_mul_f32_e32 v145, v110, v51
	v_fmac_f32_e32 v144, v109, v48
	v_add_f32_e32 v119, v119, v143
	v_add_f32_e32 v119, v119, v144
	v_fmac_f32_e32 v145, v111, v50
	v_mul_f32_e32 v120, v112, v53
	v_add_f32_e32 v119, v119, v145
	v_fmac_f32_e32 v120, v113, v52
	s_waitcnt vmcnt(2) lgkmcnt(0)
	v_mul_f32_e32 v124, v114, v55
	v_add_f32_e32 v119, v119, v120
	v_fmac_f32_e32 v124, v115, v54
	ds_read_b128 v[120:123], v118 offset:688
	v_add_f32_e32 v143, v119, v124
	ds_read_b128 v[124:127], v118 offset:704
	scratch_load_dwordx4 v[128:131], off, off offset:320
	scratch_load_dwordx4 v[132:135], off, off offset:336
	;; [unrolled: 1-line block ×3, first 2 shown]
	scratch_load_dwordx2 v[148:149], off, off offset:368
	v_mul_f32_e32 v3, v63, v3
	v_fma_f32 v2, v62, v2, -v3
	v_mul_f32_e32 v3, v65, v5
	v_add_f32_e32 v2, 0, v2
	v_fma_f32 v3, v64, v4, -v3
	v_add_f32_e32 v2, v2, v3
	v_mul_f32_e32 v3, v67, v7
	v_fma_f32 v3, v66, v6, -v3
	v_add_f32_e32 v2, v2, v3
	v_mul_f32_e32 v3, v69, v9
	;; [unrolled: 3-line block ×25, first 2 shown]
	v_fma_f32 v3, v114, v54, -v3
	v_mul_f32_e32 v145, v116, v57
	v_add_f32_e32 v142, v2, v3
	v_mul_f32_e32 v2, v117, v57
	s_waitcnt vmcnt(5)
	v_mov_b32_e32 v14, v61
	v_fmac_f32_e32 v145, v117, v56
	s_waitcnt lgkmcnt(1)
	v_mul_f32_e32 v147, v120, v59
	v_fma_f32 v144, v116, v56, -v2
	v_mul_f32_e32 v2, v121, v59
	v_pk_mul_f32 v[14:15], v[122:123], v[14:15] op_sel:[1,0] op_sel_hi:[0,0]
	v_fmac_f32_e32 v147, v121, v58
	v_fma_f32 v146, v120, v58, -v2
	v_pk_add_f32 v[12:13], v[142:143], v[144:145]
	v_pk_fma_f32 v[16:17], v[122:123], v[60:61], v[14:15] neg_lo:[0,0,1] neg_hi:[0,0,1]
	v_pk_fma_f32 v[14:15], v[122:123], v[60:61], v[14:15] op_sel_hi:[1,0,1]
	v_pk_add_f32 v[12:13], v[12:13], v[146:147]
	v_mov_b32_e32 v17, v15
	s_waitcnt vmcnt(3) lgkmcnt(0)
	v_pk_mul_f32 v[14:15], v[124:125], v[128:129] op_sel:[1,1] op_sel_hi:[0,1]
	v_pk_add_f32 v[12:13], v[12:13], v[16:17]
	v_pk_fma_f32 v[16:17], v[124:125], v[128:129], v[14:15] neg_lo:[0,0,1] neg_hi:[0,0,1]
	v_pk_fma_f32 v[14:15], v[124:125], v[128:129], v[14:15] op_sel_hi:[1,0,1]
	ds_read_b128 v[2:5], v118 offset:720
	ds_read_b128 v[6:9], v118 offset:736
	ds_read_b64 v[10:11], v118 offset:752
	v_mov_b32_e32 v14, v131
	v_mov_b32_e32 v17, v15
	v_pk_mul_f32 v[14:15], v[126:127], v[14:15] op_sel:[1,0] op_sel_hi:[0,0]
	v_pk_add_f32 v[12:13], v[12:13], v[16:17]
	v_pk_fma_f32 v[16:17], v[126:127], v[130:131], v[14:15] neg_lo:[0,0,1] neg_hi:[0,0,1]
	v_pk_fma_f32 v[14:15], v[126:127], v[130:131], v[14:15] op_sel_hi:[1,0,1]
	s_nop 0
	v_mov_b32_e32 v17, v15
	s_waitcnt vmcnt(2) lgkmcnt(2)
	v_pk_mul_f32 v[14:15], v[2:3], v[132:133] op_sel:[1,1] op_sel_hi:[0,1]
	v_pk_add_f32 v[12:13], v[12:13], v[16:17]
	v_pk_fma_f32 v[16:17], v[2:3], v[132:133], v[14:15] neg_lo:[0,0,1] neg_hi:[0,0,1]
	v_pk_fma_f32 v[2:3], v[2:3], v[132:133], v[14:15] op_sel_hi:[1,0,1]
	s_nop 0
	v_mov_b32_e32 v17, v3
	v_pk_add_f32 v[2:3], v[12:13], v[16:17]
	v_mov_b32_e32 v12, v135
	v_pk_mul_f32 v[12:13], v[4:5], v[12:13] op_sel:[1,0] op_sel_hi:[0,0]
	v_pk_fma_f32 v[14:15], v[4:5], v[134:135], v[12:13] neg_lo:[0,0,1] neg_hi:[0,0,1]
	v_pk_fma_f32 v[4:5], v[4:5], v[134:135], v[12:13] op_sel_hi:[1,0,1]
	s_nop 0
	v_mov_b32_e32 v15, v5
	s_waitcnt vmcnt(1) lgkmcnt(1)
	v_pk_mul_f32 v[4:5], v[6:7], v[136:137] op_sel:[1,1] op_sel_hi:[0,1]
	v_pk_fma_f32 v[12:13], v[6:7], v[136:137], v[4:5] neg_lo:[0,0,1] neg_hi:[0,0,1]
	v_pk_fma_f32 v[4:5], v[6:7], v[136:137], v[4:5] op_sel_hi:[1,0,1]
	v_pk_add_f32 v[2:3], v[2:3], v[14:15]
	v_mov_b32_e32 v4, v139
	v_mov_b32_e32 v13, v5
	v_pk_mul_f32 v[4:5], v[8:9], v[4:5] op_sel:[1,0] op_sel_hi:[0,0]
	v_pk_fma_f32 v[6:7], v[8:9], v[138:139], v[4:5] neg_lo:[0,0,1] neg_hi:[0,0,1]
	v_pk_fma_f32 v[4:5], v[8:9], v[138:139], v[4:5] op_sel_hi:[1,0,1]
	v_pk_add_f32 v[2:3], v[2:3], v[12:13]
	v_mov_b32_e32 v7, v5
	s_waitcnt vmcnt(0) lgkmcnt(0)
	v_pk_mul_f32 v[4:5], v[10:11], v[148:149] op_sel:[1,1] op_sel_hi:[0,1]
	v_pk_add_f32 v[2:3], v[2:3], v[6:7]
	v_pk_fma_f32 v[6:7], v[10:11], v[148:149], v[4:5] neg_lo:[0,0,1] neg_hi:[0,0,1]
	v_pk_fma_f32 v[4:5], v[10:11], v[148:149], v[4:5] op_sel_hi:[1,0,1]
	s_nop 0
	v_mov_b32_e32 v7, v5
	v_pk_add_f32 v[2:3], v[2:3], v[6:7]
	s_nop 0
	v_pk_add_f32 v[2:3], v[140:141], v[2:3] neg_lo:[0,1] neg_hi:[0,1]
	scratch_store_dwordx2 off, v[2:3], off offset:72
	s_and_saveexec_b64 s[0:1], vcc
	s_cbranch_execz .LBB110_279
; %bb.278:
	scratch_load_dwordx2 v[2:3], off, off offset:64
	v_mov_b32_e32 v119, v118
	scratch_store_dwordx2 off, v[118:119], off offset:64
	s_waitcnt vmcnt(1)
	ds_write_b64 v1, v[2:3]
.LBB110_279:
	s_or_b64 exec, exec, s[0:1]
	s_waitcnt lgkmcnt(0)
	; wave barrier
	scratch_load_dwordx4 v[2:5], off, off offset:72
	scratch_load_dwordx4 v[6:9], off, off offset:88
	;; [unrolled: 1-line block ×13, first 2 shown]
	ds_read2_b64 v[114:117], v118 offset0:57 offset1:58
	ds_read2_b64 v[110:113], v118 offset0:59 offset1:60
	;; [unrolled: 1-line block ×14, first 2 shown]
	scratch_load_dwordx4 v[62:65], off, off offset:280
	scratch_load_dwordx4 v[70:73], off, off offset:296
	scratch_load_dwordx2 v[144:145], off, off offset:64
	v_cmp_lt_u32_e32 vcc, 7, v0
	s_waitcnt vmcnt(15) lgkmcnt(13)
	v_mul_f32_e32 v119, v114, v3
	v_mul_f32_e32 v120, v116, v5
	v_fmac_f32_e32 v119, v115, v2
	s_waitcnt vmcnt(14) lgkmcnt(12)
	v_mul_f32_e32 v121, v110, v7
	v_fmac_f32_e32 v120, v117, v4
	v_add_f32_e32 v119, 0, v119
	v_mul_f32_e32 v122, v112, v9
	v_fmac_f32_e32 v121, v111, v6
	v_add_f32_e32 v119, v119, v120
	s_waitcnt vmcnt(13) lgkmcnt(11)
	v_mul_f32_e32 v123, v106, v11
	v_fmac_f32_e32 v122, v113, v8
	v_add_f32_e32 v119, v119, v121
	v_mul_f32_e32 v124, v108, v13
	v_fmac_f32_e32 v123, v107, v10
	v_add_f32_e32 v119, v119, v122
	;; [unrolled: 7-line block ×11, first 2 shown]
	s_waitcnt vmcnt(3) lgkmcnt(1)
	v_mul_f32_e32 v143, v54, v51
	v_fmac_f32_e32 v142, v69, v48
	v_add_f32_e32 v119, v119, v141
	v_fmac_f32_e32 v143, v55, v50
	v_add_f32_e32 v119, v119, v142
	v_mul_f32_e32 v120, v56, v53
	v_add_f32_e32 v119, v119, v143
	v_fmac_f32_e32 v120, v57, v52
	v_add_f32_e32 v119, v119, v120
	s_waitcnt vmcnt(2) lgkmcnt(0)
	v_mul_f32_e32 v120, v58, v63
	v_fmac_f32_e32 v120, v59, v62
	v_mul_f32_e32 v124, v60, v65
	v_add_f32_e32 v119, v119, v120
	v_fmac_f32_e32 v124, v61, v64
	ds_read2_b64 v[120:123], v118 offset0:85 offset1:86
	v_add_f32_e32 v147, v119, v124
	ds_read2_b64 v[124:127], v118 offset0:87 offset1:88
	scratch_load_dwordx4 v[128:131], off, off offset:312
	scratch_load_dwordx4 v[132:135], off, off offset:328
	scratch_load_dwordx4 v[136:139], off, off offset:344
	scratch_load_dwordx4 v[140:143], off, off offset:360
	v_mul_f32_e32 v3, v115, v3
	v_fma_f32 v2, v114, v2, -v3
	v_mul_f32_e32 v3, v117, v5
	v_add_f32_e32 v2, 0, v2
	v_fma_f32 v3, v116, v4, -v3
	v_add_f32_e32 v2, v2, v3
	v_mul_f32_e32 v3, v111, v7
	v_fma_f32 v3, v110, v6, -v3
	v_add_f32_e32 v2, v2, v3
	v_mul_f32_e32 v3, v113, v9
	;; [unrolled: 3-line block ×26, first 2 shown]
	v_fma_f32 v3, v60, v64, -v3
	s_waitcnt vmcnt(5) lgkmcnt(1)
	v_mul_f32_e32 v149, v120, v71
	v_add_f32_e32 v146, v2, v3
	v_mul_f32_e32 v2, v121, v71
	s_waitcnt vmcnt(3) lgkmcnt(0)
	v_pk_mul_f32 v[16:17], v[124:125], v[128:129] op_sel:[1,1] op_sel_hi:[0,1]
	v_fmac_f32_e32 v149, v121, v70
	v_mul_f32_e32 v151, v122, v73
	v_fma_f32 v148, v120, v70, -v2
	v_mul_f32_e32 v2, v123, v73
	v_pk_fma_f32 v[18:19], v[124:125], v[128:129], v[16:17] neg_lo:[0,0,1] neg_hi:[0,0,1]
	v_pk_fma_f32 v[16:17], v[124:125], v[128:129], v[16:17] op_sel_hi:[1,0,1]
	v_fmac_f32_e32 v151, v123, v72
	v_fma_f32 v150, v122, v72, -v2
	ds_read2_b64 v[2:5], v118 offset0:89 offset1:90
	ds_read2_b64 v[6:9], v118 offset0:91 offset1:92
	;; [unrolled: 1-line block ×3, first 2 shown]
	v_pk_add_f32 v[14:15], v[146:147], v[148:149]
	v_mov_b32_e32 v16, v131
	v_pk_add_f32 v[14:15], v[14:15], v[150:151]
	v_mov_b32_e32 v19, v17
	v_pk_mul_f32 v[16:17], v[126:127], v[16:17] op_sel:[1,0] op_sel_hi:[0,0]
	v_pk_add_f32 v[14:15], v[14:15], v[18:19]
	v_pk_fma_f32 v[18:19], v[126:127], v[130:131], v[16:17] neg_lo:[0,0,1] neg_hi:[0,0,1]
	v_pk_fma_f32 v[16:17], v[126:127], v[130:131], v[16:17] op_sel_hi:[1,0,1]
	s_nop 0
	v_mov_b32_e32 v19, v17
	s_waitcnt vmcnt(2) lgkmcnt(2)
	v_pk_mul_f32 v[16:17], v[2:3], v[132:133] op_sel:[1,1] op_sel_hi:[0,1]
	v_pk_add_f32 v[14:15], v[14:15], v[18:19]
	v_pk_fma_f32 v[18:19], v[2:3], v[132:133], v[16:17] neg_lo:[0,0,1] neg_hi:[0,0,1]
	v_pk_fma_f32 v[2:3], v[2:3], v[132:133], v[16:17] op_sel_hi:[1,0,1]
	s_nop 0
	v_mov_b32_e32 v19, v3
	v_pk_add_f32 v[2:3], v[14:15], v[18:19]
	v_mov_b32_e32 v14, v135
	v_pk_mul_f32 v[14:15], v[4:5], v[14:15] op_sel:[1,0] op_sel_hi:[0,0]
	v_pk_fma_f32 v[16:17], v[4:5], v[134:135], v[14:15] neg_lo:[0,0,1] neg_hi:[0,0,1]
	v_pk_fma_f32 v[4:5], v[4:5], v[134:135], v[14:15] op_sel_hi:[1,0,1]
	s_nop 0
	v_mov_b32_e32 v17, v5
	s_waitcnt vmcnt(1) lgkmcnt(1)
	v_pk_mul_f32 v[4:5], v[6:7], v[136:137] op_sel:[1,1] op_sel_hi:[0,1]
	v_pk_fma_f32 v[14:15], v[6:7], v[136:137], v[4:5] neg_lo:[0,0,1] neg_hi:[0,0,1]
	v_pk_fma_f32 v[4:5], v[6:7], v[136:137], v[4:5] op_sel_hi:[1,0,1]
	v_pk_add_f32 v[2:3], v[2:3], v[16:17]
	v_mov_b32_e32 v4, v139
	v_mov_b32_e32 v15, v5
	v_pk_mul_f32 v[4:5], v[8:9], v[4:5] op_sel:[1,0] op_sel_hi:[0,0]
	v_pk_fma_f32 v[6:7], v[8:9], v[138:139], v[4:5] neg_lo:[0,0,1] neg_hi:[0,0,1]
	v_pk_fma_f32 v[4:5], v[8:9], v[138:139], v[4:5] op_sel_hi:[1,0,1]
	v_pk_add_f32 v[2:3], v[2:3], v[14:15]
	v_mov_b32_e32 v7, v5
	s_waitcnt vmcnt(0) lgkmcnt(0)
	v_pk_mul_f32 v[4:5], v[10:11], v[140:141] op_sel:[1,1] op_sel_hi:[0,1]
	v_pk_add_f32 v[2:3], v[2:3], v[6:7]
	v_pk_fma_f32 v[6:7], v[10:11], v[140:141], v[4:5] neg_lo:[0,0,1] neg_hi:[0,0,1]
	v_pk_fma_f32 v[4:5], v[10:11], v[140:141], v[4:5] op_sel_hi:[1,0,1]
	s_nop 0
	v_mov_b32_e32 v4, v143
	v_mov_b32_e32 v7, v5
	v_pk_mul_f32 v[4:5], v[12:13], v[4:5] op_sel:[1,0] op_sel_hi:[0,0]
	v_pk_add_f32 v[2:3], v[2:3], v[6:7]
	v_pk_fma_f32 v[6:7], v[12:13], v[142:143], v[4:5] neg_lo:[0,0,1] neg_hi:[0,0,1]
	v_pk_fma_f32 v[4:5], v[12:13], v[142:143], v[4:5] op_sel_hi:[1,0,1]
	s_nop 0
	v_mov_b32_e32 v7, v5
	v_pk_add_f32 v[2:3], v[2:3], v[6:7]
	s_nop 0
	v_pk_add_f32 v[2:3], v[144:145], v[2:3] neg_lo:[0,1] neg_hi:[0,1]
	scratch_store_dwordx2 off, v[2:3], off offset:64
	s_and_saveexec_b64 s[0:1], vcc
	s_cbranch_execz .LBB110_281
; %bb.280:
	scratch_load_dwordx2 v[2:3], off, off offset:56
	v_mov_b32_e32 v4, 0
	v_mov_b32_e32 v5, v4
	scratch_store_dwordx2 off, v[4:5], off offset:56
	s_waitcnt vmcnt(1)
	ds_write_b64 v1, v[2:3]
.LBB110_281:
	s_or_b64 exec, exec, s[0:1]
	s_waitcnt lgkmcnt(0)
	; wave barrier
	scratch_load_dwordx4 v[2:5], off, off offset:64
	scratch_load_dwordx4 v[6:9], off, off offset:80
	scratch_load_dwordx4 v[10:13], off, off offset:96
	scratch_load_dwordx4 v[14:17], off, off offset:112
	scratch_load_dwordx4 v[18:21], off, off offset:128
	scratch_load_dwordx4 v[22:25], off, off offset:144
	scratch_load_dwordx4 v[26:29], off, off offset:160
	scratch_load_dwordx4 v[30:33], off, off offset:176
	scratch_load_dwordx4 v[34:37], off, off offset:192
	scratch_load_dwordx4 v[38:41], off, off offset:208
	scratch_load_dwordx4 v[42:45], off, off offset:224
	scratch_load_dwordx4 v[46:49], off, off offset:240
	scratch_load_dwordx4 v[50:53], off, off offset:256
	scratch_load_dwordx4 v[54:57], off, off offset:272
	scratch_load_dwordx4 v[62:65], off, off offset:288
	scratch_load_dwordx4 v[58:61], off, off offset:304
	scratch_load_dwordx2 v[144:145], off, off offset:56
	v_mov_b32_e32 v122, 0
	ds_read_b128 v[66:69], v122 offset:448
	ds_read_b128 v[70:73], v122 offset:464
	;; [unrolled: 1-line block ×14, first 2 shown]
	v_cmp_lt_u32_e32 vcc, 6, v0
	s_waitcnt vmcnt(16) lgkmcnt(13)
	v_mul_f32_e32 v123, v66, v3
	v_mul_f32_e32 v124, v68, v5
	v_fmac_f32_e32 v123, v67, v2
	s_waitcnt vmcnt(15) lgkmcnt(12)
	v_mul_f32_e32 v125, v70, v7
	v_fmac_f32_e32 v124, v69, v4
	v_add_f32_e32 v123, 0, v123
	v_mul_f32_e32 v126, v72, v9
	v_fmac_f32_e32 v125, v71, v6
	v_add_f32_e32 v123, v123, v124
	s_waitcnt vmcnt(14) lgkmcnt(11)
	v_mul_f32_e32 v127, v74, v11
	v_fmac_f32_e32 v126, v73, v8
	v_add_f32_e32 v123, v123, v125
	v_mul_f32_e32 v128, v76, v13
	v_fmac_f32_e32 v127, v75, v10
	v_add_f32_e32 v123, v123, v126
	s_waitcnt vmcnt(13) lgkmcnt(10)
	v_mul_f32_e32 v129, v78, v15
	v_fmac_f32_e32 v128, v77, v12
	v_add_f32_e32 v123, v123, v127
	v_mul_f32_e32 v130, v80, v17
	v_fmac_f32_e32 v129, v79, v14
	v_add_f32_e32 v123, v123, v128
	s_waitcnt vmcnt(12) lgkmcnt(9)
	v_mul_f32_e32 v131, v82, v19
	v_fmac_f32_e32 v130, v81, v16
	v_add_f32_e32 v123, v123, v129
	v_mul_f32_e32 v132, v84, v21
	v_fmac_f32_e32 v131, v83, v18
	v_add_f32_e32 v123, v123, v130
	s_waitcnt vmcnt(11) lgkmcnt(8)
	v_mul_f32_e32 v133, v86, v23
	v_fmac_f32_e32 v132, v85, v20
	v_add_f32_e32 v123, v123, v131
	v_mul_f32_e32 v134, v88, v25
	v_fmac_f32_e32 v133, v87, v22
	v_add_f32_e32 v123, v123, v132
	s_waitcnt vmcnt(10) lgkmcnt(7)
	v_mul_f32_e32 v135, v90, v27
	v_fmac_f32_e32 v134, v89, v24
	v_add_f32_e32 v123, v123, v133
	v_mul_f32_e32 v136, v92, v29
	v_fmac_f32_e32 v135, v91, v26
	v_add_f32_e32 v123, v123, v134
	s_waitcnt vmcnt(9) lgkmcnt(6)
	v_mul_f32_e32 v137, v94, v31
	v_fmac_f32_e32 v136, v93, v28
	v_add_f32_e32 v123, v123, v135
	v_mul_f32_e32 v138, v96, v33
	v_fmac_f32_e32 v137, v95, v30
	v_add_f32_e32 v123, v123, v136
	s_waitcnt vmcnt(8) lgkmcnt(5)
	v_mul_f32_e32 v139, v98, v35
	v_fmac_f32_e32 v138, v97, v32
	v_add_f32_e32 v123, v123, v137
	v_mul_f32_e32 v140, v100, v37
	v_fmac_f32_e32 v139, v99, v34
	v_add_f32_e32 v123, v123, v138
	s_waitcnt vmcnt(7) lgkmcnt(4)
	v_mul_f32_e32 v141, v102, v39
	v_fmac_f32_e32 v140, v101, v36
	v_add_f32_e32 v123, v123, v139
	v_mul_f32_e32 v142, v104, v41
	v_fmac_f32_e32 v141, v103, v38
	v_add_f32_e32 v123, v123, v140
	s_waitcnt vmcnt(6) lgkmcnt(3)
	v_mul_f32_e32 v143, v106, v43
	v_fmac_f32_e32 v142, v105, v40
	v_add_f32_e32 v123, v123, v141
	v_mul_f32_e32 v146, v108, v45
	v_fmac_f32_e32 v143, v107, v42
	v_add_f32_e32 v123, v123, v142
	s_waitcnt vmcnt(5) lgkmcnt(2)
	v_mul_f32_e32 v147, v110, v47
	v_fmac_f32_e32 v146, v109, v44
	v_add_f32_e32 v123, v123, v143
	v_mul_f32_e32 v148, v112, v49
	v_fmac_f32_e32 v147, v111, v46
	v_add_f32_e32 v123, v123, v146
	v_fmac_f32_e32 v148, v113, v48
	v_add_f32_e32 v123, v123, v147
	s_waitcnt vmcnt(4) lgkmcnt(1)
	v_mul_f32_e32 v124, v114, v51
	v_add_f32_e32 v123, v123, v148
	v_fmac_f32_e32 v124, v115, v50
	v_add_f32_e32 v123, v123, v124
	v_mul_f32_e32 v124, v116, v53
	v_fmac_f32_e32 v124, v117, v52
	v_add_f32_e32 v123, v123, v124
	s_waitcnt vmcnt(3) lgkmcnt(0)
	v_mul_f32_e32 v124, v118, v55
	v_fmac_f32_e32 v124, v119, v54
	v_add_f32_e32 v123, v123, v124
	ds_read_b128 v[124:127], v122 offset:672
	v_mul_f32_e32 v128, v120, v57
	v_fmac_f32_e32 v128, v121, v56
	v_add_f32_e32 v123, v123, v128
	ds_read_b128 v[128:131], v122 offset:688
	s_waitcnt vmcnt(2) lgkmcnt(1)
	v_mul_f32_e32 v132, v124, v63
	v_fmac_f32_e32 v132, v125, v62
	v_add_f32_e32 v147, v123, v132
	scratch_load_dwordx4 v[132:135], off, off offset:320
	scratch_load_dwordx4 v[136:139], off, off offset:336
	scratch_load_dwordx4 v[140:143], off, off offset:352
	scratch_load_dwordx2 v[152:153], off, off offset:368
	v_mul_f32_e32 v3, v67, v3
	v_fma_f32 v2, v66, v2, -v3
	v_mul_f32_e32 v3, v69, v5
	v_add_f32_e32 v2, 0, v2
	v_fma_f32 v3, v68, v4, -v3
	v_add_f32_e32 v2, v2, v3
	v_mul_f32_e32 v3, v71, v7
	v_fma_f32 v3, v70, v6, -v3
	v_add_f32_e32 v2, v2, v3
	v_mul_f32_e32 v3, v73, v9
	;; [unrolled: 3-line block ×28, first 2 shown]
	v_mul_f32_e32 v149, v126, v65
	v_fma_f32 v148, v126, v64, -v2
	s_waitcnt vmcnt(5) lgkmcnt(0)
	v_mul_f32_e32 v2, v129, v59
	v_mov_b32_e32 v18, v61
	v_fmac_f32_e32 v149, v127, v64
	v_mul_f32_e32 v151, v128, v59
	v_fma_f32 v150, v128, v58, -v2
	ds_read_b128 v[2:5], v122 offset:704
	ds_read_b128 v[6:9], v122 offset:720
	;; [unrolled: 1-line block ×3, first 2 shown]
	ds_read_b64 v[14:15], v122 offset:752
	v_pk_mul_f32 v[18:19], v[130:131], v[18:19] op_sel:[1,0] op_sel_hi:[0,0]
	v_fmac_f32_e32 v151, v129, v58
	v_pk_add_f32 v[16:17], v[146:147], v[148:149]
	v_pk_fma_f32 v[20:21], v[130:131], v[60:61], v[18:19] neg_lo:[0,0,1] neg_hi:[0,0,1]
	v_pk_fma_f32 v[18:19], v[130:131], v[60:61], v[18:19] op_sel_hi:[1,0,1]
	v_pk_add_f32 v[16:17], v[16:17], v[150:151]
	v_mov_b32_e32 v21, v19
	s_waitcnt vmcnt(3) lgkmcnt(3)
	v_pk_mul_f32 v[18:19], v[2:3], v[132:133] op_sel:[1,1] op_sel_hi:[0,1]
	v_pk_add_f32 v[16:17], v[16:17], v[20:21]
	v_pk_fma_f32 v[20:21], v[2:3], v[132:133], v[18:19] neg_lo:[0,0,1] neg_hi:[0,0,1]
	v_pk_fma_f32 v[2:3], v[2:3], v[132:133], v[18:19] op_sel_hi:[1,0,1]
	s_nop 0
	v_mov_b32_e32 v21, v3
	v_pk_add_f32 v[2:3], v[16:17], v[20:21]
	v_mov_b32_e32 v16, v135
	v_pk_mul_f32 v[16:17], v[4:5], v[16:17] op_sel:[1,0] op_sel_hi:[0,0]
	v_pk_fma_f32 v[18:19], v[4:5], v[134:135], v[16:17] neg_lo:[0,0,1] neg_hi:[0,0,1]
	v_pk_fma_f32 v[4:5], v[4:5], v[134:135], v[16:17] op_sel_hi:[1,0,1]
	s_nop 0
	v_mov_b32_e32 v19, v5
	s_waitcnt vmcnt(2) lgkmcnt(2)
	v_pk_mul_f32 v[4:5], v[6:7], v[136:137] op_sel:[1,1] op_sel_hi:[0,1]
	v_pk_fma_f32 v[16:17], v[6:7], v[136:137], v[4:5] neg_lo:[0,0,1] neg_hi:[0,0,1]
	v_pk_fma_f32 v[4:5], v[6:7], v[136:137], v[4:5] op_sel_hi:[1,0,1]
	v_pk_add_f32 v[2:3], v[2:3], v[18:19]
	v_mov_b32_e32 v4, v139
	v_mov_b32_e32 v17, v5
	v_pk_mul_f32 v[4:5], v[8:9], v[4:5] op_sel:[1,0] op_sel_hi:[0,0]
	v_pk_fma_f32 v[6:7], v[8:9], v[138:139], v[4:5] neg_lo:[0,0,1] neg_hi:[0,0,1]
	v_pk_fma_f32 v[4:5], v[8:9], v[138:139], v[4:5] op_sel_hi:[1,0,1]
	v_pk_add_f32 v[2:3], v[2:3], v[16:17]
	v_mov_b32_e32 v7, v5
	s_waitcnt vmcnt(1) lgkmcnt(1)
	v_pk_mul_f32 v[4:5], v[10:11], v[140:141] op_sel:[1,1] op_sel_hi:[0,1]
	v_pk_add_f32 v[2:3], v[2:3], v[6:7]
	v_pk_fma_f32 v[6:7], v[10:11], v[140:141], v[4:5] neg_lo:[0,0,1] neg_hi:[0,0,1]
	v_pk_fma_f32 v[4:5], v[10:11], v[140:141], v[4:5] op_sel_hi:[1,0,1]
	s_nop 0
	v_mov_b32_e32 v4, v143
	v_mov_b32_e32 v7, v5
	v_pk_mul_f32 v[4:5], v[12:13], v[4:5] op_sel:[1,0] op_sel_hi:[0,0]
	v_pk_add_f32 v[2:3], v[2:3], v[6:7]
	v_pk_fma_f32 v[6:7], v[12:13], v[142:143], v[4:5] neg_lo:[0,0,1] neg_hi:[0,0,1]
	v_pk_fma_f32 v[4:5], v[12:13], v[142:143], v[4:5] op_sel_hi:[1,0,1]
	s_nop 0
	v_mov_b32_e32 v7, v5
	s_waitcnt vmcnt(0) lgkmcnt(0)
	v_pk_mul_f32 v[4:5], v[14:15], v[152:153] op_sel:[1,1] op_sel_hi:[0,1]
	v_pk_add_f32 v[2:3], v[2:3], v[6:7]
	v_pk_fma_f32 v[6:7], v[14:15], v[152:153], v[4:5] neg_lo:[0,0,1] neg_hi:[0,0,1]
	v_pk_fma_f32 v[4:5], v[14:15], v[152:153], v[4:5] op_sel_hi:[1,0,1]
	s_nop 0
	v_mov_b32_e32 v7, v5
	v_pk_add_f32 v[2:3], v[2:3], v[6:7]
	s_nop 0
	v_pk_add_f32 v[2:3], v[144:145], v[2:3] neg_lo:[0,1] neg_hi:[0,1]
	scratch_store_dwordx2 off, v[2:3], off offset:56
	s_and_saveexec_b64 s[0:1], vcc
	s_cbranch_execz .LBB110_283
; %bb.282:
	scratch_load_dwordx2 v[2:3], off, off offset:48
	v_mov_b32_e32 v123, v122
	scratch_store_dwordx2 off, v[122:123], off offset:48
	s_waitcnt vmcnt(1)
	ds_write_b64 v1, v[2:3]
.LBB110_283:
	s_or_b64 exec, exec, s[0:1]
	s_waitcnt lgkmcnt(0)
	; wave barrier
	scratch_load_dwordx4 v[2:5], off, off offset:56
	scratch_load_dwordx4 v[6:9], off, off offset:72
	scratch_load_dwordx4 v[10:13], off, off offset:88
	scratch_load_dwordx4 v[14:17], off, off offset:104
	scratch_load_dwordx4 v[18:21], off, off offset:120
	scratch_load_dwordx4 v[22:25], off, off offset:136
	scratch_load_dwordx4 v[26:29], off, off offset:152
	scratch_load_dwordx4 v[30:33], off, off offset:168
	scratch_load_dwordx4 v[34:37], off, off offset:184
	scratch_load_dwordx4 v[38:41], off, off offset:200
	scratch_load_dwordx4 v[42:45], off, off offset:216
	scratch_load_dwordx4 v[46:49], off, off offset:232
	scratch_load_dwordx4 v[50:53], off, off offset:248
	ds_read2_b64 v[118:121], v122 offset0:55 offset1:56
	ds_read2_b64 v[114:117], v122 offset0:57 offset1:58
	;; [unrolled: 1-line block ×14, first 2 shown]
	scratch_load_dwordx4 v[62:65], off, off offset:264
	scratch_load_dwordx4 v[70:73], off, off offset:280
	;; [unrolled: 1-line block ×3, first 2 shown]
	scratch_load_dwordx2 v[148:149], off, off offset:48
	v_cmp_lt_u32_e32 vcc, 5, v0
	s_waitcnt vmcnt(16) lgkmcnt(13)
	v_mul_f32_e32 v123, v118, v3
	v_mul_f32_e32 v124, v120, v5
	v_fmac_f32_e32 v123, v119, v2
	s_waitcnt vmcnt(15) lgkmcnt(12)
	v_mul_f32_e32 v125, v114, v7
	v_fmac_f32_e32 v124, v121, v4
	v_add_f32_e32 v123, 0, v123
	v_mul_f32_e32 v126, v116, v9
	v_fmac_f32_e32 v125, v115, v6
	v_add_f32_e32 v123, v123, v124
	s_waitcnt vmcnt(14) lgkmcnt(11)
	v_mul_f32_e32 v127, v110, v11
	v_fmac_f32_e32 v126, v117, v8
	v_add_f32_e32 v123, v123, v125
	v_mul_f32_e32 v128, v112, v13
	v_fmac_f32_e32 v127, v111, v10
	v_add_f32_e32 v123, v123, v126
	;; [unrolled: 7-line block ×11, first 2 shown]
	s_waitcnt vmcnt(4) lgkmcnt(1)
	v_mul_f32_e32 v147, v54, v51
	v_fmac_f32_e32 v146, v69, v48
	v_add_f32_e32 v123, v123, v145
	v_add_f32_e32 v123, v123, v146
	v_fmac_f32_e32 v147, v55, v50
	v_mul_f32_e32 v124, v56, v53
	v_add_f32_e32 v123, v123, v147
	v_fmac_f32_e32 v124, v57, v52
	v_add_f32_e32 v123, v123, v124
	s_waitcnt vmcnt(3) lgkmcnt(0)
	v_mul_f32_e32 v124, v58, v63
	v_fmac_f32_e32 v124, v59, v62
	v_add_f32_e32 v123, v123, v124
	ds_read2_b64 v[124:127], v122 offset0:83 offset1:84
	v_mul_f32_e32 v128, v60, v65
	v_fmac_f32_e32 v128, v61, v64
	v_add_f32_e32 v123, v123, v128
	ds_read2_b64 v[128:131], v122 offset0:85 offset1:86
	s_waitcnt vmcnt(2) lgkmcnt(1)
	v_mul_f32_e32 v132, v124, v71
	v_fmac_f32_e32 v132, v125, v70
	v_add_f32_e32 v123, v123, v132
	v_mul_f32_e32 v132, v126, v73
	v_fmac_f32_e32 v132, v127, v72
	v_add_f32_e32 v151, v123, v132
	scratch_load_dwordx4 v[132:135], off, off offset:312
	scratch_load_dwordx4 v[136:139], off, off offset:328
	;; [unrolled: 1-line block ×4, first 2 shown]
	v_mul_f32_e32 v3, v119, v3
	v_fma_f32 v2, v118, v2, -v3
	v_mul_f32_e32 v3, v121, v5
	v_add_f32_e32 v2, 0, v2
	v_fma_f32 v3, v120, v4, -v3
	v_add_f32_e32 v2, v2, v3
	v_mul_f32_e32 v3, v115, v7
	v_fma_f32 v3, v114, v6, -v3
	v_add_f32_e32 v2, v2, v3
	v_mul_f32_e32 v3, v117, v9
	;; [unrolled: 3-line block ×28, first 2 shown]
	v_fma_f32 v3, v126, v72, -v3
	v_add_f32_e32 v150, v2, v3
	s_waitcnt vmcnt(5) lgkmcnt(0)
	v_mul_f32_e32 v2, v129, v79
	v_fma_f32 v152, v128, v78, -v2
	v_mul_f32_e32 v2, v131, v81
	v_fma_f32 v156, v130, v80, -v2
	ds_read2_b64 v[2:5], v122 offset0:87 offset1:88
	ds_read2_b64 v[6:9], v122 offset0:89 offset1:90
	;; [unrolled: 1-line block ×4, first 2 shown]
	v_mul_f32_e32 v153, v128, v79
	v_fmac_f32_e32 v153, v129, v78
	v_mul_f32_e32 v157, v130, v81
	s_waitcnt vmcnt(3) lgkmcnt(3)
	v_pk_mul_f32 v[20:21], v[2:3], v[132:133] op_sel:[1,1] op_sel_hi:[0,1]
	v_fmac_f32_e32 v157, v131, v80
	v_pk_add_f32 v[18:19], v[150:151], v[152:153]
	v_pk_fma_f32 v[22:23], v[2:3], v[132:133], v[20:21] neg_lo:[0,0,1] neg_hi:[0,0,1]
	v_pk_fma_f32 v[2:3], v[2:3], v[132:133], v[20:21] op_sel_hi:[1,0,1]
	v_pk_add_f32 v[18:19], v[18:19], v[156:157]
	v_mov_b32_e32 v23, v3
	v_pk_add_f32 v[2:3], v[18:19], v[22:23]
	v_mov_b32_e32 v18, v135
	v_pk_mul_f32 v[18:19], v[4:5], v[18:19] op_sel:[1,0] op_sel_hi:[0,0]
	v_pk_fma_f32 v[20:21], v[4:5], v[134:135], v[18:19] neg_lo:[0,0,1] neg_hi:[0,0,1]
	v_pk_fma_f32 v[4:5], v[4:5], v[134:135], v[18:19] op_sel_hi:[1,0,1]
	s_nop 0
	v_mov_b32_e32 v21, v5
	s_waitcnt vmcnt(2) lgkmcnt(2)
	v_pk_mul_f32 v[4:5], v[6:7], v[136:137] op_sel:[1,1] op_sel_hi:[0,1]
	v_pk_fma_f32 v[18:19], v[6:7], v[136:137], v[4:5] neg_lo:[0,0,1] neg_hi:[0,0,1]
	v_pk_fma_f32 v[4:5], v[6:7], v[136:137], v[4:5] op_sel_hi:[1,0,1]
	v_pk_add_f32 v[2:3], v[2:3], v[20:21]
	v_mov_b32_e32 v4, v139
	v_mov_b32_e32 v19, v5
	v_pk_mul_f32 v[4:5], v[8:9], v[4:5] op_sel:[1,0] op_sel_hi:[0,0]
	v_pk_fma_f32 v[6:7], v[8:9], v[138:139], v[4:5] neg_lo:[0,0,1] neg_hi:[0,0,1]
	v_pk_fma_f32 v[4:5], v[8:9], v[138:139], v[4:5] op_sel_hi:[1,0,1]
	v_pk_add_f32 v[2:3], v[2:3], v[18:19]
	v_mov_b32_e32 v7, v5
	s_waitcnt vmcnt(1) lgkmcnt(1)
	v_pk_mul_f32 v[4:5], v[10:11], v[140:141] op_sel:[1,1] op_sel_hi:[0,1]
	v_pk_add_f32 v[2:3], v[2:3], v[6:7]
	v_pk_fma_f32 v[6:7], v[10:11], v[140:141], v[4:5] neg_lo:[0,0,1] neg_hi:[0,0,1]
	v_pk_fma_f32 v[4:5], v[10:11], v[140:141], v[4:5] op_sel_hi:[1,0,1]
	s_nop 0
	v_mov_b32_e32 v4, v143
	v_mov_b32_e32 v7, v5
	v_pk_mul_f32 v[4:5], v[12:13], v[4:5] op_sel:[1,0] op_sel_hi:[0,0]
	v_pk_add_f32 v[2:3], v[2:3], v[6:7]
	v_pk_fma_f32 v[6:7], v[12:13], v[142:143], v[4:5] neg_lo:[0,0,1] neg_hi:[0,0,1]
	v_pk_fma_f32 v[4:5], v[12:13], v[142:143], v[4:5] op_sel_hi:[1,0,1]
	s_nop 0
	v_mov_b32_e32 v7, v5
	s_waitcnt vmcnt(0) lgkmcnt(0)
	v_pk_mul_f32 v[4:5], v[14:15], v[144:145] op_sel:[1,1] op_sel_hi:[0,1]
	v_pk_add_f32 v[2:3], v[2:3], v[6:7]
	v_pk_fma_f32 v[6:7], v[14:15], v[144:145], v[4:5] neg_lo:[0,0,1] neg_hi:[0,0,1]
	v_pk_fma_f32 v[4:5], v[14:15], v[144:145], v[4:5] op_sel_hi:[1,0,1]
	s_nop 0
	v_mov_b32_e32 v4, v147
	v_mov_b32_e32 v7, v5
	v_pk_mul_f32 v[4:5], v[16:17], v[4:5] op_sel:[1,0] op_sel_hi:[0,0]
	v_pk_add_f32 v[2:3], v[2:3], v[6:7]
	v_pk_fma_f32 v[6:7], v[16:17], v[146:147], v[4:5] neg_lo:[0,0,1] neg_hi:[0,0,1]
	v_pk_fma_f32 v[4:5], v[16:17], v[146:147], v[4:5] op_sel_hi:[1,0,1]
	s_nop 0
	v_mov_b32_e32 v7, v5
	v_pk_add_f32 v[2:3], v[2:3], v[6:7]
	s_nop 0
	v_pk_add_f32 v[2:3], v[148:149], v[2:3] neg_lo:[0,1] neg_hi:[0,1]
	scratch_store_dwordx2 off, v[2:3], off offset:48
	s_and_saveexec_b64 s[0:1], vcc
	s_cbranch_execz .LBB110_285
; %bb.284:
	scratch_load_dwordx2 v[2:3], off, off offset:40
	v_mov_b32_e32 v4, 0
	v_mov_b32_e32 v5, v4
	scratch_store_dwordx2 off, v[4:5], off offset:40
	s_waitcnt vmcnt(1)
	ds_write_b64 v1, v[2:3]
.LBB110_285:
	s_or_b64 exec, exec, s[0:1]
	s_waitcnt lgkmcnt(0)
	; wave barrier
	scratch_load_dwordx4 v[62:65], off, off offset:48
	scratch_load_dwordx4 v[66:69], off, off offset:64
	;; [unrolled: 1-line block ×17, first 2 shown]
	v_mov_b32_e32 v248, 0
	ds_read_b128 v[114:117], v248 offset:432
	ds_read_b128 v[118:121], v248 offset:448
	;; [unrolled: 1-line block ×13, first 2 shown]
	v_cmp_lt_u32_e32 vcc, 4, v0
	s_waitcnt vmcnt(16) lgkmcnt(12)
	v_mul_f32_e32 v6, v114, v63
	v_mul_f32_e32 v7, v116, v65
	v_fmac_f32_e32 v6, v115, v62
	s_waitcnt vmcnt(15) lgkmcnt(11)
	v_mul_f32_e32 v8, v118, v67
	v_fmac_f32_e32 v7, v117, v64
	v_add_f32_e32 v6, 0, v6
	v_mul_f32_e32 v9, v120, v69
	v_fmac_f32_e32 v8, v119, v66
	v_add_f32_e32 v6, v6, v7
	s_waitcnt vmcnt(14) lgkmcnt(10)
	v_mul_f32_e32 v10, v122, v71
	v_fmac_f32_e32 v9, v121, v68
	v_add_f32_e32 v6, v6, v8
	v_mul_f32_e32 v11, v124, v73
	v_fmac_f32_e32 v10, v123, v70
	v_add_f32_e32 v6, v6, v9
	;; [unrolled: 7-line block ×10, first 2 shown]
	s_waitcnt vmcnt(5) lgkmcnt(1)
	v_mul_f32_e32 v56, v46, v23
	v_fmac_f32_e32 v55, v253, v104
	v_add_f32_e32 v6, v6, v54
	ds_read_b128 v[50:53], v248 offset:640
	v_mul_f32_e32 v57, v48, v25
	v_fmac_f32_e32 v56, v47, v22
	v_add_f32_e32 v6, v6, v55
	s_waitcnt vmcnt(4) lgkmcnt(1)
	v_mul_f32_e32 v58, v42, v27
	v_fmac_f32_e32 v57, v49, v24
	v_add_f32_e32 v6, v6, v56
	v_add_f32_e32 v6, v6, v57
	v_fmac_f32_e32 v58, v43, v26
	v_mul_f32_e32 v7, v44, v29
	v_add_f32_e32 v6, v6, v58
	v_fmac_f32_e32 v7, v45, v28
	ds_read_b128 v[54:57], v248 offset:656
	v_add_f32_e32 v6, v6, v7
	s_waitcnt vmcnt(3) lgkmcnt(1)
	v_mul_f32_e32 v7, v50, v31
	v_fmac_f32_e32 v7, v51, v30
	v_add_f32_e32 v6, v6, v7
	v_mul_f32_e32 v7, v52, v33
	v_fmac_f32_e32 v7, v53, v32
	ds_read_b128 v[58:61], v248 offset:672
	ds_read_b128 v[18:21], v248 offset:688
	v_add_f32_e32 v6, v6, v7
	s_waitcnt vmcnt(2) lgkmcnt(2)
	v_mul_f32_e32 v7, v54, v35
	v_fmac_f32_e32 v7, v55, v34
	v_add_f32_e32 v6, v6, v7
	v_mul_f32_e32 v7, v56, v37
	v_fmac_f32_e32 v7, v57, v36
	v_add_f32_e32 v6, v6, v7
	s_waitcnt vmcnt(1) lgkmcnt(1)
	v_mul_f32_e32 v7, v58, v39
	v_fmac_f32_e32 v7, v59, v38
	v_add_f32_e32 v109, v6, v7
	scratch_load_dwordx4 v[14:17], off, off offset:320
	scratch_load_dwordx4 v[10:13], off, off offset:336
	scratch_load_dwordx4 v[6:9], off, off offset:352
	scratch_load_dwordx2 v[106:107], off, off offset:368
	v_mul_f32_e32 v63, v115, v63
	v_mul_f32_e32 v23, v47, v23
	v_fma_f32 v62, v114, v62, -v63
	v_mul_f32_e32 v63, v117, v65
	v_fma_f32 v46, v46, v22, -v23
	scratch_load_dwordx2 v[22:23], off, off offset:40
	v_add_f32_e32 v62, 0, v62
	v_fma_f32 v63, v116, v64, -v63
	v_add_f32_e32 v62, v62, v63
	v_mul_f32_e32 v63, v119, v67
	v_fma_f32 v63, v118, v66, -v63
	v_add_f32_e32 v62, v62, v63
	v_mul_f32_e32 v63, v121, v69
	;; [unrolled: 3-line block ×21, first 2 shown]
	v_add_f32_e32 v46, v62, v46
	v_fma_f32 v24, v48, v24, -v25
	v_mul_f32_e32 v25, v43, v27
	v_add_f32_e32 v24, v46, v24
	v_fma_f32 v25, v42, v26, -v25
	v_add_f32_e32 v24, v24, v25
	v_mul_f32_e32 v25, v45, v29
	v_fma_f32 v25, v44, v28, -v25
	v_add_f32_e32 v24, v24, v25
	v_mul_f32_e32 v25, v51, v31
	;; [unrolled: 3-line block ×6, first 2 shown]
	v_fma_f32 v25, v58, v38, -v25
	v_mul_f32_e32 v111, v60, v41
	v_add_f32_e32 v108, v24, v25
	v_mul_f32_e32 v24, v61, v41
	s_waitcnt vmcnt(5)
	v_mov_b32_e32 v36, v5
	v_fmac_f32_e32 v111, v61, v40
	s_waitcnt lgkmcnt(0)
	v_mul_f32_e32 v113, v18, v3
	v_fma_f32 v110, v60, v40, -v24
	v_mul_f32_e32 v3, v19, v3
	v_pk_mul_f32 v[36:37], v[20:21], v[36:37] op_sel:[1,0] op_sel_hi:[0,0]
	v_fmac_f32_e32 v113, v19, v2
	v_fma_f32 v112, v18, v2, -v3
	ds_read_b128 v[24:27], v248 offset:704
	ds_read_b128 v[28:31], v248 offset:720
	;; [unrolled: 1-line block ×3, first 2 shown]
	ds_read_b64 v[2:3], v248 offset:752
	v_pk_add_f32 v[18:19], v[108:109], v[110:111]
	v_pk_fma_f32 v[38:39], v[20:21], v[4:5], v[36:37] neg_lo:[0,0,1] neg_hi:[0,0,1]
	v_pk_fma_f32 v[4:5], v[20:21], v[4:5], v[36:37] op_sel_hi:[1,0,1]
	v_pk_add_f32 v[18:19], v[18:19], v[112:113]
	v_mov_b32_e32 v39, v5
	v_pk_add_f32 v[4:5], v[18:19], v[38:39]
	s_waitcnt vmcnt(4) lgkmcnt(3)
	v_pk_mul_f32 v[18:19], v[24:25], v[14:15] op_sel:[1,1] op_sel_hi:[0,1]
	v_pk_fma_f32 v[20:21], v[24:25], v[14:15], v[18:19] neg_lo:[0,0,1] neg_hi:[0,0,1]
	v_pk_fma_f32 v[14:15], v[24:25], v[14:15], v[18:19] op_sel_hi:[1,0,1]
	s_nop 0
	v_mov_b32_e32 v14, v17
	v_mov_b32_e32 v21, v15
	v_pk_mul_f32 v[14:15], v[26:27], v[14:15] op_sel:[1,0] op_sel_hi:[0,0]
	v_pk_fma_f32 v[18:19], v[26:27], v[16:17], v[14:15] neg_lo:[0,0,1] neg_hi:[0,0,1]
	v_pk_fma_f32 v[14:15], v[26:27], v[16:17], v[14:15] op_sel_hi:[1,0,1]
	v_pk_add_f32 v[4:5], v[4:5], v[20:21]
	v_mov_b32_e32 v19, v15
	s_waitcnt vmcnt(3) lgkmcnt(2)
	v_pk_mul_f32 v[14:15], v[28:29], v[10:11] op_sel:[1,1] op_sel_hi:[0,1]
	v_pk_fma_f32 v[16:17], v[28:29], v[10:11], v[14:15] neg_lo:[0,0,1] neg_hi:[0,0,1]
	v_pk_fma_f32 v[10:11], v[28:29], v[10:11], v[14:15] op_sel_hi:[1,0,1]
	v_pk_add_f32 v[4:5], v[4:5], v[18:19]
	v_mov_b32_e32 v10, v13
	v_mov_b32_e32 v17, v11
	v_pk_mul_f32 v[10:11], v[30:31], v[10:11] op_sel:[1,0] op_sel_hi:[0,0]
	v_pk_fma_f32 v[14:15], v[30:31], v[12:13], v[10:11] neg_lo:[0,0,1] neg_hi:[0,0,1]
	v_pk_fma_f32 v[10:11], v[30:31], v[12:13], v[10:11] op_sel_hi:[1,0,1]
	v_pk_add_f32 v[4:5], v[4:5], v[16:17]
	v_mov_b32_e32 v15, v11
	s_waitcnt vmcnt(2) lgkmcnt(1)
	v_pk_mul_f32 v[10:11], v[32:33], v[6:7] op_sel:[1,1] op_sel_hi:[0,1]
	v_pk_fma_f32 v[12:13], v[32:33], v[6:7], v[10:11] neg_lo:[0,0,1] neg_hi:[0,0,1]
	v_pk_fma_f32 v[6:7], v[32:33], v[6:7], v[10:11] op_sel_hi:[1,0,1]
	v_pk_add_f32 v[4:5], v[4:5], v[14:15]
	;; [unrolled: 12-line block ×3, first 2 shown]
	v_mov_b32_e32 v9, v3
	v_pk_add_f32 v[2:3], v[4:5], v[8:9]
	s_waitcnt vmcnt(0)
	v_pk_add_f32 v[2:3], v[22:23], v[2:3] neg_lo:[0,1] neg_hi:[0,1]
	scratch_store_dwordx2 off, v[2:3], off offset:40
	s_and_saveexec_b64 s[0:1], vcc
	s_cbranch_execz .LBB110_287
; %bb.286:
	scratch_load_dwordx2 v[2:3], off, off offset:32
	v_mov_b32_e32 v249, v248
	scratch_store_dwordx2 off, v[248:249], off offset:32
	s_waitcnt vmcnt(1)
	ds_write_b64 v1, v[2:3]
.LBB110_287:
	s_or_b64 exec, exec, s[0:1]
	s_waitcnt lgkmcnt(0)
	; wave barrier
	scratch_load_dwordx4 v[58:61], off, off offset:40
	scratch_load_dwordx4 v[62:65], off, off offset:56
	;; [unrolled: 1-line block ×13, first 2 shown]
	ds_read2_b64 v[150:153], v248 offset0:53 offset1:54
	ds_read2_b64 v[146:149], v248 offset0:55 offset1:56
	ds_read2_b64 v[142:145], v248 offset0:57 offset1:58
	ds_read2_b64 v[138:141], v248 offset0:59 offset1:60
	ds_read2_b64 v[134:137], v248 offset0:61 offset1:62
	ds_read2_b64 v[130:133], v248 offset0:63 offset1:64
	ds_read2_b64 v[126:129], v248 offset0:65 offset1:66
	ds_read2_b64 v[122:125], v248 offset0:67 offset1:68
	ds_read2_b64 v[118:121], v248 offset0:69 offset1:70
	ds_read2_b64 v[114:117], v248 offset0:71 offset1:72
	ds_read2_b64 v[110:113], v248 offset0:73 offset1:74
	ds_read2_b64 v[106:109], v248 offset0:75 offset1:76
	ds_read2_b64 v[22:25], v248 offset0:77 offset1:78
	scratch_load_dwordx4 v[26:29], off, off offset:248
	scratch_load_dwordx4 v[30:33], off, off offset:264
	;; [unrolled: 1-line block ×4, first 2 shown]
	v_cmp_lt_u32_e32 vcc, 3, v0
	ds_read2_b64 v[54:57], v248 offset0:85 offset1:86
	s_waitcnt vmcnt(16) lgkmcnt(13)
	v_mul_f32_e32 v2, v150, v59
	v_mul_f32_e32 v3, v152, v61
	v_fmac_f32_e32 v2, v151, v58
	s_waitcnt vmcnt(15) lgkmcnt(12)
	v_mul_f32_e32 v4, v146, v63
	v_fmac_f32_e32 v3, v153, v60
	v_add_f32_e32 v2, 0, v2
	v_mul_f32_e32 v5, v148, v65
	v_fmac_f32_e32 v4, v147, v62
	v_add_f32_e32 v2, v2, v3
	s_waitcnt vmcnt(14) lgkmcnt(11)
	v_mul_f32_e32 v6, v142, v67
	v_fmac_f32_e32 v5, v149, v64
	v_add_f32_e32 v2, v2, v4
	v_mul_f32_e32 v7, v144, v69
	v_fmac_f32_e32 v6, v143, v66
	v_add_f32_e32 v2, v2, v5
	;; [unrolled: 7-line block ×6, first 2 shown]
	s_waitcnt vmcnt(9) lgkmcnt(6)
	v_mul_f32_e32 v16, v122, v87
	v_fmac_f32_e32 v15, v129, v84
	v_add_f32_e32 v2, v2, v14
	v_mul_f32_e32 v59, v151, v59
	v_mul_f32_e32 v17, v124, v89
	v_fmac_f32_e32 v16, v123, v86
	v_add_f32_e32 v2, v2, v15
	v_fma_f32 v58, v150, v58, -v59
	v_mul_f32_e32 v59, v153, v61
	s_waitcnt vmcnt(8) lgkmcnt(5)
	v_mul_f32_e32 v42, v118, v91
	v_fmac_f32_e32 v17, v125, v88
	v_add_f32_e32 v2, v2, v16
	v_add_f32_e32 v58, 0, v58
	v_fma_f32 v59, v152, v60, -v59
	v_mul_f32_e32 v43, v120, v93
	v_fmac_f32_e32 v42, v119, v90
	v_add_f32_e32 v2, v2, v17
	v_add_f32_e32 v58, v58, v59
	v_mul_f32_e32 v59, v147, v63
	s_waitcnt vmcnt(7) lgkmcnt(4)
	v_mul_f32_e32 v44, v114, v95
	v_fmac_f32_e32 v43, v121, v92
	v_add_f32_e32 v2, v2, v42
	v_fma_f32 v59, v146, v62, -v59
	v_mul_f32_e32 v45, v116, v97
	v_fmac_f32_e32 v44, v115, v94
	v_add_f32_e32 v2, v2, v43
	v_add_f32_e32 v58, v58, v59
	v_mul_f32_e32 v59, v149, v65
	s_waitcnt vmcnt(6) lgkmcnt(3)
	v_mul_f32_e32 v46, v110, v99
	v_fmac_f32_e32 v45, v117, v96
	;; [unrolled: 10-line block ×3, first 2 shown]
	v_add_f32_e32 v2, v2, v46
	ds_read2_b64 v[42:45], v248 offset0:79 offset1:80
	v_fma_f32 v59, v142, v66, -v59
	v_mul_f32_e32 v49, v108, v105
	v_fmac_f32_e32 v48, v107, v102
	v_add_f32_e32 v2, v2, v47
	v_add_f32_e32 v58, v58, v59
	v_mul_f32_e32 v59, v145, v69
	s_waitcnt vmcnt(4) lgkmcnt(2)
	v_mul_f32_e32 v50, v22, v19
	v_fmac_f32_e32 v49, v109, v104
	v_add_f32_e32 v2, v2, v48
	v_fma_f32 v59, v144, v68, -v59
	v_fmac_f32_e32 v50, v23, v18
	v_add_f32_e32 v2, v2, v49
	v_mul_f32_e32 v3, v24, v21
	v_add_f32_e32 v58, v58, v59
	v_mul_f32_e32 v59, v139, v71
	v_add_f32_e32 v2, v2, v50
	v_fmac_f32_e32 v3, v25, v20
	ds_read2_b64 v[46:49], v248 offset0:81 offset1:82
	v_fma_f32 v59, v138, v70, -v59
	v_add_f32_e32 v2, v2, v3
	s_waitcnt vmcnt(3) lgkmcnt(1)
	v_mul_f32_e32 v3, v42, v27
	v_add_f32_e32 v58, v58, v59
	v_mul_f32_e32 v59, v141, v73
	v_fmac_f32_e32 v3, v43, v26
	v_fma_f32 v59, v140, v72, -v59
	v_add_f32_e32 v2, v2, v3
	v_mul_f32_e32 v3, v44, v29
	v_add_f32_e32 v58, v58, v59
	v_mul_f32_e32 v59, v135, v75
	v_fmac_f32_e32 v3, v45, v28
	ds_read2_b64 v[50:53], v248 offset0:83 offset1:84
	v_fma_f32 v59, v134, v74, -v59
	v_add_f32_e32 v2, v2, v3
	s_waitcnt vmcnt(2) lgkmcnt(1)
	v_mul_f32_e32 v3, v46, v31
	v_add_f32_e32 v58, v58, v59
	v_mul_f32_e32 v59, v137, v77
	v_fmac_f32_e32 v3, v47, v30
	v_fma_f32 v59, v136, v76, -v59
	v_add_f32_e32 v2, v2, v3
	v_mul_f32_e32 v3, v48, v33
	v_add_f32_e32 v58, v58, v59
	v_mul_f32_e32 v59, v131, v79
	v_fmac_f32_e32 v3, v49, v32
	v_fma_f32 v59, v130, v78, -v59
	v_add_f32_e32 v2, v2, v3
	s_waitcnt vmcnt(1) lgkmcnt(0)
	v_mul_f32_e32 v3, v50, v35
	v_add_f32_e32 v58, v58, v59
	v_mul_f32_e32 v59, v133, v81
	v_fmac_f32_e32 v3, v51, v34
	v_fma_f32 v59, v132, v80, -v59
	v_add_f32_e32 v2, v2, v3
	v_mul_f32_e32 v3, v52, v37
	v_add_f32_e32 v58, v58, v59
	v_mul_f32_e32 v59, v127, v83
	v_fmac_f32_e32 v3, v53, v36
	v_fma_f32 v59, v126, v82, -v59
	v_add_f32_e32 v251, v2, v3
	scratch_load_dwordx4 v[14:17], off, off offset:312
	scratch_load_dwordx4 v[10:13], off, off offset:328
	;; [unrolled: 1-line block ×4, first 2 shown]
	v_add_f32_e32 v58, v58, v59
	v_mul_f32_e32 v59, v129, v85
	v_fma_f32 v59, v128, v84, -v59
	v_add_f32_e32 v58, v58, v59
	v_mul_f32_e32 v59, v123, v87
	v_fma_f32 v59, v122, v86, -v59
	;; [unrolled: 3-line block ×11, first 2 shown]
	scratch_load_dwordx2 v[58:59], off, off offset:32
	v_mul_f32_e32 v19, v23, v19
	v_add_f32_e32 v60, v60, v61
	v_fma_f32 v18, v22, v18, -v19
	v_mul_f32_e32 v19, v25, v21
	v_add_f32_e32 v18, v60, v18
	v_fma_f32 v19, v24, v20, -v19
	v_add_f32_e32 v18, v18, v19
	v_mul_f32_e32 v19, v43, v27
	v_fma_f32 v19, v42, v26, -v19
	v_add_f32_e32 v18, v18, v19
	v_mul_f32_e32 v19, v45, v29
	;; [unrolled: 3-line block ×6, first 2 shown]
	v_fma_f32 v19, v52, v36, -v19
	v_add_f32_e32 v250, v18, v19
	s_waitcnt vmcnt(5)
	v_mul_f32_e32 v18, v55, v39
	v_fma_f32 v252, v54, v38, -v18
	v_mul_f32_e32 v18, v57, v41
	v_fma_f32 v254, v56, v40, -v18
	ds_read2_b64 v[18:21], v248 offset0:87 offset1:88
	ds_read2_b64 v[22:25], v248 offset0:89 offset1:90
	;; [unrolled: 1-line block ×4, first 2 shown]
	v_mul_f32_e32 v253, v54, v39
	v_fmac_f32_e32 v253, v55, v38
	v_mul_f32_e32 v255, v56, v41
	v_fmac_f32_e32 v255, v57, v40
	v_pk_add_f32 v[34:35], v[250:251], v[252:253]
	s_waitcnt vmcnt(4) lgkmcnt(3)
	v_pk_mul_f32 v[36:37], v[18:19], v[14:15] op_sel:[1,1] op_sel_hi:[0,1]
	v_pk_fma_f32 v[38:39], v[18:19], v[14:15], v[36:37] neg_lo:[0,0,1] neg_hi:[0,0,1]
	v_pk_fma_f32 v[14:15], v[18:19], v[14:15], v[36:37] op_sel_hi:[1,0,1]
	v_mov_b32_e32 v18, v17
	v_pk_add_f32 v[34:35], v[34:35], v[254:255]
	v_mov_b32_e32 v39, v15
	v_pk_mul_f32 v[18:19], v[20:21], v[18:19] op_sel:[1,0] op_sel_hi:[0,0]
	v_pk_add_f32 v[14:15], v[34:35], v[38:39]
	v_pk_fma_f32 v[34:35], v[20:21], v[16:17], v[18:19] neg_lo:[0,0,1] neg_hi:[0,0,1]
	v_pk_fma_f32 v[16:17], v[20:21], v[16:17], v[18:19] op_sel_hi:[1,0,1]
	s_nop 0
	v_mov_b32_e32 v35, v17
	s_waitcnt vmcnt(3) lgkmcnt(2)
	v_pk_mul_f32 v[16:17], v[22:23], v[10:11] op_sel:[1,1] op_sel_hi:[0,1]
	v_pk_fma_f32 v[18:19], v[22:23], v[10:11], v[16:17] neg_lo:[0,0,1] neg_hi:[0,0,1]
	v_pk_fma_f32 v[10:11], v[22:23], v[10:11], v[16:17] op_sel_hi:[1,0,1]
	v_pk_add_f32 v[14:15], v[14:15], v[34:35]
	v_mov_b32_e32 v19, v11
	v_pk_add_f32 v[10:11], v[14:15], v[18:19]
	v_mov_b32_e32 v14, v13
	v_pk_mul_f32 v[14:15], v[24:25], v[14:15] op_sel:[1,0] op_sel_hi:[0,0]
	v_pk_fma_f32 v[16:17], v[24:25], v[12:13], v[14:15] neg_lo:[0,0,1] neg_hi:[0,0,1]
	v_pk_fma_f32 v[12:13], v[24:25], v[12:13], v[14:15] op_sel_hi:[1,0,1]
	s_nop 0
	v_mov_b32_e32 v17, v13
	s_waitcnt vmcnt(2) lgkmcnt(1)
	v_pk_mul_f32 v[12:13], v[26:27], v[6:7] op_sel:[1,1] op_sel_hi:[0,1]
	v_pk_fma_f32 v[14:15], v[26:27], v[6:7], v[12:13] neg_lo:[0,0,1] neg_hi:[0,0,1]
	v_pk_fma_f32 v[6:7], v[26:27], v[6:7], v[12:13] op_sel_hi:[1,0,1]
	v_pk_add_f32 v[10:11], v[10:11], v[16:17]
	v_mov_b32_e32 v15, v7
	v_pk_add_f32 v[6:7], v[10:11], v[14:15]
	v_mov_b32_e32 v10, v9
	v_pk_mul_f32 v[10:11], v[28:29], v[10:11] op_sel:[1,0] op_sel_hi:[0,0]
	;; [unrolled: 13-line block ×3, first 2 shown]
	v_pk_fma_f32 v[8:9], v[32:33], v[4:5], v[6:7] neg_lo:[0,0,1] neg_hi:[0,0,1]
	v_pk_fma_f32 v[4:5], v[32:33], v[4:5], v[6:7] op_sel_hi:[1,0,1]
	s_nop 0
	v_mov_b32_e32 v9, v5
	v_pk_add_f32 v[2:3], v[2:3], v[8:9]
	s_waitcnt vmcnt(0)
	v_pk_add_f32 v[2:3], v[58:59], v[2:3] neg_lo:[0,1] neg_hi:[0,1]
	scratch_store_dwordx2 off, v[2:3], off offset:32
	s_and_saveexec_b64 s[0:1], vcc
	s_cbranch_execz .LBB110_289
; %bb.288:
	scratch_load_dwordx2 v[2:3], off, off offset:24
	v_mov_b32_e32 v4, 0
	v_mov_b32_e32 v5, v4
	scratch_store_dwordx2 off, v[4:5], off offset:24
	s_waitcnt vmcnt(1)
	ds_write_b64 v1, v[2:3]
.LBB110_289:
	s_or_b64 exec, exec, s[0:1]
	v_mov_b32_e32 v102, 0
	s_waitcnt lgkmcnt(0)
	; wave barrier
	ds_read_b128 v[14:17], v102 offset:416
	ds_read_b128 v[10:13], v102 offset:432
	;; [unrolled: 1-line block ×4, first 2 shown]
	scratch_load_dwordx4 v[18:21], off, off offset:32
	scratch_load_dwordx4 v[38:41], off, off offset:96
	;; [unrolled: 1-line block ×12, first 2 shown]
	v_cmp_lt_u32_e32 vcc, 2, v0
	scratch_load_dwordx4 v[46:49], off, off offset:112
	scratch_load_dwordx4 v[54:57], off, off offset:128
	;; [unrolled: 1-line block ×3, first 2 shown]
	s_waitcnt vmcnt(14) lgkmcnt(3)
	v_mul_f32_e32 v22, v14, v19
	v_fmac_f32_e32 v22, v15, v18
	v_mul_f32_e32 v23, v16, v21
	v_add_f32_e32 v22, 0, v22
	v_fmac_f32_e32 v23, v17, v20
	v_add_f32_e32 v26, v22, v23
	scratch_load_dwordx4 v[22:25], off, off offset:48
	v_mul_f32_e32 v15, v15, v19
	v_fma_f32 v14, v14, v18, -v15
	v_mul_f32_e32 v15, v17, v21
	v_add_f32_e32 v14, 0, v14
	v_fma_f32 v15, v16, v20, -v15
	v_add_f32_e32 v14, v14, v15
	s_waitcnt vmcnt(4)
	v_mov_b32_e32 v18, v147
	s_waitcnt vmcnt(0) lgkmcnt(2)
	v_mul_f32_e32 v27, v10, v23
	v_fmac_f32_e32 v27, v11, v22
	v_add_f32_e32 v26, v26, v27
	v_mul_f32_e32 v27, v12, v25
	v_fmac_f32_e32 v27, v13, v24
	v_add_f32_e32 v30, v26, v27
	scratch_load_dwordx4 v[26:29], off, off offset:64
	v_mul_f32_e32 v11, v11, v23
	v_fma_f32 v10, v10, v22, -v11
	v_mul_f32_e32 v11, v13, v25
	v_add_f32_e32 v10, v14, v10
	v_fma_f32 v11, v12, v24, -v11
	v_add_f32_e32 v10, v10, v11
	s_waitcnt vmcnt(0) lgkmcnt(1)
	v_mul_f32_e32 v31, v6, v27
	v_fmac_f32_e32 v31, v7, v26
	v_add_f32_e32 v30, v30, v31
	v_mul_f32_e32 v31, v8, v29
	v_fmac_f32_e32 v31, v9, v28
	v_add_f32_e32 v34, v30, v31
	scratch_load_dwordx4 v[30:33], off, off offset:80
	v_mul_f32_e32 v7, v7, v27
	v_fma_f32 v6, v6, v26, -v7
	v_mul_f32_e32 v7, v9, v29
	v_add_f32_e32 v6, v10, v6
	v_fma_f32 v7, v8, v28, -v7
	v_add_f32_e32 v6, v6, v7
	s_waitcnt vmcnt(0) lgkmcnt(0)
	v_mul_f32_e32 v35, v2, v31
	v_fmac_f32_e32 v35, v3, v30
	v_add_f32_e32 v34, v34, v35
	v_mul_f32_e32 v35, v4, v33
	v_fmac_f32_e32 v35, v5, v32
	v_add_f32_e32 v42, v34, v35
	ds_read_b128 v[34:37], v102 offset:480
	v_mul_f32_e32 v3, v3, v31
	v_fma_f32 v2, v2, v30, -v3
	v_mul_f32_e32 v3, v5, v33
	v_add_f32_e32 v2, v6, v2
	s_waitcnt lgkmcnt(0)
	v_mul_f32_e32 v43, v34, v39
	v_fmac_f32_e32 v43, v35, v38
	v_add_f32_e32 v42, v42, v43
	v_mul_f32_e32 v43, v36, v41
	v_fmac_f32_e32 v43, v37, v40
	v_add_f32_e32 v50, v42, v43
	ds_read_b128 v[42:45], v102 offset:496
	v_fma_f32 v3, v4, v32, -v3
	v_add_f32_e32 v2, v2, v3
	v_mul_f32_e32 v3, v35, v39
	v_fma_f32 v3, v34, v38, -v3
	s_waitcnt lgkmcnt(0)
	v_mul_f32_e32 v51, v42, v47
	v_fmac_f32_e32 v51, v43, v46
	v_add_f32_e32 v50, v50, v51
	v_mul_f32_e32 v51, v44, v49
	v_fmac_f32_e32 v51, v45, v48
	v_add_f32_e32 v58, v50, v51
	ds_read_b128 v[50:53], v102 offset:512
	v_add_f32_e32 v2, v2, v3
	v_mul_f32_e32 v3, v37, v41
	v_fma_f32 v3, v36, v40, -v3
	v_add_f32_e32 v2, v2, v3
	s_waitcnt lgkmcnt(0)
	v_mul_f32_e32 v59, v50, v55
	v_fmac_f32_e32 v59, v51, v54
	v_add_f32_e32 v58, v58, v59
	v_mul_f32_e32 v59, v52, v57
	v_fmac_f32_e32 v59, v53, v56
	v_add_f32_e32 v66, v58, v59
	ds_read_b128 v[58:61], v102 offset:528
	v_mul_f32_e32 v3, v43, v47
	v_fma_f32 v3, v42, v46, -v3
	v_add_f32_e32 v2, v2, v3
	v_mul_f32_e32 v3, v45, v49
	s_waitcnt lgkmcnt(0)
	v_mul_f32_e32 v67, v58, v63
	v_fmac_f32_e32 v67, v59, v62
	v_add_f32_e32 v66, v66, v67
	v_mul_f32_e32 v67, v60, v65
	v_fmac_f32_e32 v67, v61, v64
	v_add_f32_e32 v74, v66, v67
	ds_read_b128 v[66:69], v102 offset:544
	v_fma_f32 v3, v44, v48, -v3
	v_add_f32_e32 v2, v2, v3
	v_mul_f32_e32 v3, v51, v55
	v_fma_f32 v3, v50, v54, -v3
	s_waitcnt lgkmcnt(0)
	v_mul_f32_e32 v75, v66, v71
	v_fmac_f32_e32 v75, v67, v70
	v_add_f32_e32 v74, v74, v75
	v_mul_f32_e32 v75, v68, v73
	v_fmac_f32_e32 v75, v69, v72
	v_add_f32_e32 v82, v74, v75
	ds_read_b128 v[74:77], v102 offset:560
	v_add_f32_e32 v2, v2, v3
	v_mul_f32_e32 v3, v53, v57
	v_fma_f32 v3, v52, v56, -v3
	v_add_f32_e32 v2, v2, v3
	s_waitcnt lgkmcnt(0)
	v_mul_f32_e32 v83, v74, v79
	v_fmac_f32_e32 v83, v75, v78
	v_add_f32_e32 v82, v82, v83
	v_mul_f32_e32 v83, v76, v81
	v_fmac_f32_e32 v83, v77, v80
	v_add_f32_e32 v90, v82, v83
	ds_read_b128 v[82:85], v102 offset:576
	v_mul_f32_e32 v3, v59, v63
	v_fma_f32 v3, v58, v62, -v3
	v_add_f32_e32 v2, v2, v3
	v_mul_f32_e32 v3, v61, v65
	;; [unrolled: 36-line block ×4, first 2 shown]
	s_waitcnt lgkmcnt(0)
	v_mul_f32_e32 v140, v132, v137
	v_fmac_f32_e32 v140, v133, v136
	v_add_f32_e32 v153, v103, v140
	ds_read_b128 v[140:143], v102 offset:688
	scratch_load_dwordx4 v[148:151], off, off offset:320
	scratch_load_dwordx4 v[248:251], off, off offset:336
	;; [unrolled: 1-line block ×3, first 2 shown]
	scratch_load_dwordx2 v[160:161], off, off offset:368
	v_fma_f32 v3, v92, v96, -v3
	v_add_f32_e32 v2, v2, v3
	v_mul_f32_e32 v3, v99, v105
	v_fma_f32 v3, v98, v104, -v3
	v_add_f32_e32 v2, v2, v3
	v_mul_f32_e32 v3, v101, v107
	;; [unrolled: 3-line block ×10, first 2 shown]
	v_mul_f32_e32 v157, v134, v139
	v_fma_f32 v156, v134, v138, -v2
	s_waitcnt lgkmcnt(0)
	v_mul_f32_e32 v2, v141, v145
	v_fmac_f32_e32 v157, v135, v138
	v_mul_f32_e32 v159, v140, v145
	v_fma_f32 v158, v140, v144, -v2
	ds_read_b128 v[2:5], v102 offset:704
	ds_read_b128 v[6:9], v102 offset:720
	;; [unrolled: 1-line block ×3, first 2 shown]
	ds_read_b64 v[14:15], v102 offset:752
	v_pk_mul_f32 v[18:19], v[142:143], v[18:19] op_sel:[1,0] op_sel_hi:[0,0]
	v_fmac_f32_e32 v159, v141, v144
	v_pk_add_f32 v[16:17], v[152:153], v[156:157]
	v_pk_fma_f32 v[20:21], v[142:143], v[146:147], v[18:19] neg_lo:[0,0,1] neg_hi:[0,0,1]
	v_pk_fma_f32 v[18:19], v[142:143], v[146:147], v[18:19] op_sel_hi:[1,0,1]
	v_pk_add_f32 v[16:17], v[16:17], v[158:159]
	v_mov_b32_e32 v21, v19
	v_pk_add_f32 v[16:17], v[16:17], v[20:21]
	s_waitcnt vmcnt(3) lgkmcnt(3)
	v_pk_mul_f32 v[18:19], v[2:3], v[148:149] op_sel:[1,1] op_sel_hi:[0,1]
	v_pk_fma_f32 v[20:21], v[2:3], v[148:149], v[18:19] neg_lo:[0,0,1] neg_hi:[0,0,1]
	v_pk_fma_f32 v[2:3], v[2:3], v[148:149], v[18:19] op_sel_hi:[1,0,1]
	s_nop 0
	v_mov_b32_e32 v21, v3
	v_pk_add_f32 v[2:3], v[16:17], v[20:21]
	v_mov_b32_e32 v16, v151
	v_pk_mul_f32 v[16:17], v[4:5], v[16:17] op_sel:[1,0] op_sel_hi:[0,0]
	v_pk_fma_f32 v[18:19], v[4:5], v[150:151], v[16:17] neg_lo:[0,0,1] neg_hi:[0,0,1]
	v_pk_fma_f32 v[4:5], v[4:5], v[150:151], v[16:17] op_sel_hi:[1,0,1]
	s_nop 0
	v_mov_b32_e32 v19, v5
	s_waitcnt vmcnt(2) lgkmcnt(2)
	v_pk_mul_f32 v[4:5], v[6:7], v[248:249] op_sel:[1,1] op_sel_hi:[0,1]
	v_pk_fma_f32 v[16:17], v[6:7], v[248:249], v[4:5] neg_lo:[0,0,1] neg_hi:[0,0,1]
	v_pk_fma_f32 v[4:5], v[6:7], v[248:249], v[4:5] op_sel_hi:[1,0,1]
	v_pk_add_f32 v[2:3], v[2:3], v[18:19]
	v_mov_b32_e32 v4, v251
	v_mov_b32_e32 v17, v5
	v_pk_mul_f32 v[4:5], v[8:9], v[4:5] op_sel:[1,0] op_sel_hi:[0,0]
	v_pk_fma_f32 v[6:7], v[8:9], v[250:251], v[4:5] neg_lo:[0,0,1] neg_hi:[0,0,1]
	v_pk_fma_f32 v[4:5], v[8:9], v[250:251], v[4:5] op_sel_hi:[1,0,1]
	v_pk_add_f32 v[2:3], v[2:3], v[16:17]
	v_mov_b32_e32 v7, v5
	s_waitcnt vmcnt(1) lgkmcnt(1)
	v_pk_mul_f32 v[4:5], v[10:11], v[252:253] op_sel:[1,1] op_sel_hi:[0,1]
	v_pk_add_f32 v[2:3], v[2:3], v[6:7]
	v_pk_fma_f32 v[6:7], v[10:11], v[252:253], v[4:5] neg_lo:[0,0,1] neg_hi:[0,0,1]
	v_pk_fma_f32 v[4:5], v[10:11], v[252:253], v[4:5] op_sel_hi:[1,0,1]
	s_nop 0
	v_mov_b32_e32 v4, v255
	v_mov_b32_e32 v7, v5
	v_pk_mul_f32 v[4:5], v[12:13], v[4:5] op_sel:[1,0] op_sel_hi:[0,0]
	v_pk_add_f32 v[2:3], v[2:3], v[6:7]
	v_pk_fma_f32 v[6:7], v[12:13], v[254:255], v[4:5] neg_lo:[0,0,1] neg_hi:[0,0,1]
	v_pk_fma_f32 v[4:5], v[12:13], v[254:255], v[4:5] op_sel_hi:[1,0,1]
	s_nop 0
	v_mov_b32_e32 v7, v5
	s_waitcnt vmcnt(0) lgkmcnt(0)
	v_pk_mul_f32 v[4:5], v[14:15], v[160:161] op_sel:[1,1] op_sel_hi:[0,1]
	v_pk_add_f32 v[2:3], v[2:3], v[6:7]
	v_pk_fma_f32 v[6:7], v[14:15], v[160:161], v[4:5] neg_lo:[0,0,1] neg_hi:[0,0,1]
	v_pk_fma_f32 v[4:5], v[14:15], v[160:161], v[4:5] op_sel_hi:[1,0,1]
	s_nop 0
	v_mov_b32_e32 v7, v5
	scratch_load_dwordx2 v[4:5], off, off offset:24
	v_pk_add_f32 v[2:3], v[2:3], v[6:7]
	s_waitcnt vmcnt(0)
	v_pk_add_f32 v[2:3], v[4:5], v[2:3] neg_lo:[0,1] neg_hi:[0,1]
	scratch_store_dwordx2 off, v[2:3], off offset:24
	s_and_saveexec_b64 s[0:1], vcc
	s_cbranch_execz .LBB110_291
; %bb.290:
	scratch_load_dwordx2 v[2:3], off, off offset:16
	v_mov_b32_e32 v103, v102
	scratch_store_dwordx2 off, v[102:103], off offset:16
	s_waitcnt vmcnt(1)
	ds_write_b64 v1, v[2:3]
.LBB110_291:
	s_or_b64 exec, exec, s[0:1]
	s_waitcnt lgkmcnt(0)
	; wave barrier
	scratch_load_dwordx4 v[6:9], off, off offset:24
	scratch_load_dwordx4 v[14:17], off, off offset:40
	;; [unrolled: 1-line block ×10, first 2 shown]
	ds_read2_b64 v[2:5], v102 offset0:51 offset1:52
	scratch_load_dwordx4 v[86:89], off, off offset:184
	scratch_load_dwordx4 v[94:97], off, off offset:200
	;; [unrolled: 1-line block ×8, first 2 shown]
	v_cmp_lt_u32_e32 vcc, 1, v0
	s_waitcnt vmcnt(17) lgkmcnt(0)
	v_mul_f32_e32 v10, v2, v7
	v_fmac_f32_e32 v10, v3, v6
	v_mul_f32_e32 v11, v4, v9
	v_add_f32_e32 v10, 0, v10
	v_fmac_f32_e32 v11, v5, v8
	v_add_f32_e32 v18, v10, v11
	ds_read2_b64 v[10:13], v102 offset0:53 offset1:54
	v_mul_f32_e32 v3, v3, v7
	v_fma_f32 v2, v2, v6, -v3
	v_mul_f32_e32 v3, v5, v9
	v_add_f32_e32 v2, 0, v2
	s_waitcnt vmcnt(16) lgkmcnt(0)
	v_mul_f32_e32 v19, v10, v15
	v_fmac_f32_e32 v19, v11, v14
	v_add_f32_e32 v18, v18, v19
	v_mul_f32_e32 v19, v12, v17
	v_fmac_f32_e32 v19, v13, v16
	v_add_f32_e32 v26, v18, v19
	ds_read2_b64 v[18:21], v102 offset0:55 offset1:56
	v_fma_f32 v3, v4, v8, -v3
	v_add_f32_e32 v2, v2, v3
	v_mul_f32_e32 v3, v11, v15
	v_fma_f32 v3, v10, v14, -v3
	s_waitcnt vmcnt(15) lgkmcnt(0)
	v_mul_f32_e32 v27, v18, v23
	v_fmac_f32_e32 v27, v19, v22
	v_add_f32_e32 v26, v26, v27
	v_mul_f32_e32 v27, v20, v25
	v_fmac_f32_e32 v27, v21, v24
	v_add_f32_e32 v34, v26, v27
	ds_read2_b64 v[26:29], v102 offset0:57 offset1:58
	v_add_f32_e32 v2, v2, v3
	v_mul_f32_e32 v3, v13, v17
	v_fma_f32 v3, v12, v16, -v3
	v_add_f32_e32 v2, v2, v3
	s_waitcnt vmcnt(14) lgkmcnt(0)
	v_mul_f32_e32 v35, v26, v31
	v_fmac_f32_e32 v35, v27, v30
	v_add_f32_e32 v34, v34, v35
	v_mul_f32_e32 v35, v28, v33
	v_fmac_f32_e32 v35, v29, v32
	v_add_f32_e32 v42, v34, v35
	ds_read2_b64 v[34:37], v102 offset0:59 offset1:60
	v_mul_f32_e32 v3, v19, v23
	v_fma_f32 v3, v18, v22, -v3
	v_add_f32_e32 v2, v2, v3
	v_mul_f32_e32 v3, v21, v25
	s_waitcnt vmcnt(13) lgkmcnt(0)
	v_mul_f32_e32 v43, v34, v39
	v_fmac_f32_e32 v43, v35, v38
	v_add_f32_e32 v42, v42, v43
	v_mul_f32_e32 v43, v36, v41
	v_fmac_f32_e32 v43, v37, v40
	v_add_f32_e32 v50, v42, v43
	ds_read2_b64 v[42:45], v102 offset0:61 offset1:62
	v_fma_f32 v3, v20, v24, -v3
	v_add_f32_e32 v2, v2, v3
	v_mul_f32_e32 v3, v27, v31
	v_fma_f32 v3, v26, v30, -v3
	s_waitcnt vmcnt(12) lgkmcnt(0)
	v_mul_f32_e32 v51, v42, v47
	v_fmac_f32_e32 v51, v43, v46
	v_add_f32_e32 v50, v50, v51
	v_mul_f32_e32 v51, v44, v49
	v_fmac_f32_e32 v51, v45, v48
	v_add_f32_e32 v58, v50, v51
	ds_read2_b64 v[50:53], v102 offset0:63 offset1:64
	v_add_f32_e32 v2, v2, v3
	v_mul_f32_e32 v3, v29, v33
	v_fma_f32 v3, v28, v32, -v3
	v_add_f32_e32 v2, v2, v3
	s_waitcnt vmcnt(11) lgkmcnt(0)
	v_mul_f32_e32 v59, v50, v55
	v_fmac_f32_e32 v59, v51, v54
	v_add_f32_e32 v58, v58, v59
	v_mul_f32_e32 v59, v52, v57
	v_fmac_f32_e32 v59, v53, v56
	v_add_f32_e32 v66, v58, v59
	ds_read2_b64 v[58:61], v102 offset0:65 offset1:66
	v_mul_f32_e32 v3, v35, v39
	v_fma_f32 v3, v34, v38, -v3
	v_add_f32_e32 v2, v2, v3
	v_mul_f32_e32 v3, v37, v41
	;; [unrolled: 36-line block ×5, first 2 shown]
	s_waitcnt vmcnt(1) lgkmcnt(0)
	v_mul_f32_e32 v140, v132, v137
	v_fmac_f32_e32 v140, v133, v136
	v_add_f32_e32 v103, v103, v140
	v_mul_f32_e32 v140, v134, v139
	v_fmac_f32_e32 v140, v135, v138
	v_add_f32_e32 v153, v103, v140
	ds_read2_b64 v[140:143], v102 offset0:85 offset1:86
	scratch_load_dwordx4 v[148:151], off, off offset:312
	scratch_load_dwordx4 v[248:251], off, off offset:328
	;; [unrolled: 1-line block ×4, first 2 shown]
	v_fma_f32 v3, v84, v88, -v3
	v_add_f32_e32 v2, v2, v3
	v_mul_f32_e32 v3, v91, v95
	v_fma_f32 v3, v90, v94, -v3
	v_add_f32_e32 v2, v2, v3
	v_mul_f32_e32 v3, v93, v97
	;; [unrolled: 3-line block ×12, first 2 shown]
	v_fma_f32 v3, v134, v138, -v3
	v_add_f32_e32 v152, v2, v3
	s_waitcnt vmcnt(4) lgkmcnt(0)
	v_mul_f32_e32 v2, v141, v145
	v_fma_f32 v160, v140, v144, -v2
	v_mul_f32_e32 v2, v143, v147
	v_fma_f32 v162, v142, v146, -v2
	ds_read2_b64 v[2:5], v102 offset0:87 offset1:88
	ds_read2_b64 v[6:9], v102 offset0:89 offset1:90
	;; [unrolled: 1-line block ×4, first 2 shown]
	v_mul_f32_e32 v161, v140, v145
	v_fmac_f32_e32 v161, v141, v144
	v_mul_f32_e32 v163, v142, v147
	v_fmac_f32_e32 v163, v143, v146
	v_pk_add_f32 v[18:19], v[152:153], v[160:161]
	s_waitcnt vmcnt(3) lgkmcnt(3)
	v_pk_mul_f32 v[20:21], v[2:3], v[148:149] op_sel:[1,1] op_sel_hi:[0,1]
	v_pk_fma_f32 v[22:23], v[2:3], v[148:149], v[20:21] neg_lo:[0,0,1] neg_hi:[0,0,1]
	v_pk_fma_f32 v[2:3], v[2:3], v[148:149], v[20:21] op_sel_hi:[1,0,1]
	v_pk_add_f32 v[18:19], v[18:19], v[162:163]
	v_mov_b32_e32 v23, v3
	v_pk_add_f32 v[2:3], v[18:19], v[22:23]
	v_mov_b32_e32 v18, v151
	v_pk_mul_f32 v[18:19], v[4:5], v[18:19] op_sel:[1,0] op_sel_hi:[0,0]
	v_pk_fma_f32 v[20:21], v[4:5], v[150:151], v[18:19] neg_lo:[0,0,1] neg_hi:[0,0,1]
	v_pk_fma_f32 v[4:5], v[4:5], v[150:151], v[18:19] op_sel_hi:[1,0,1]
	s_nop 0
	v_mov_b32_e32 v21, v5
	s_waitcnt vmcnt(2) lgkmcnt(2)
	v_pk_mul_f32 v[4:5], v[6:7], v[248:249] op_sel:[1,1] op_sel_hi:[0,1]
	v_pk_fma_f32 v[18:19], v[6:7], v[248:249], v[4:5] neg_lo:[0,0,1] neg_hi:[0,0,1]
	v_pk_fma_f32 v[4:5], v[6:7], v[248:249], v[4:5] op_sel_hi:[1,0,1]
	v_pk_add_f32 v[2:3], v[2:3], v[20:21]
	v_mov_b32_e32 v4, v251
	v_mov_b32_e32 v19, v5
	v_pk_mul_f32 v[4:5], v[8:9], v[4:5] op_sel:[1,0] op_sel_hi:[0,0]
	v_pk_fma_f32 v[6:7], v[8:9], v[250:251], v[4:5] neg_lo:[0,0,1] neg_hi:[0,0,1]
	v_pk_fma_f32 v[4:5], v[8:9], v[250:251], v[4:5] op_sel_hi:[1,0,1]
	v_pk_add_f32 v[2:3], v[2:3], v[18:19]
	v_mov_b32_e32 v7, v5
	s_waitcnt vmcnt(1) lgkmcnt(1)
	v_pk_mul_f32 v[4:5], v[10:11], v[252:253] op_sel:[1,1] op_sel_hi:[0,1]
	v_pk_add_f32 v[2:3], v[2:3], v[6:7]
	v_pk_fma_f32 v[6:7], v[10:11], v[252:253], v[4:5] neg_lo:[0,0,1] neg_hi:[0,0,1]
	v_pk_fma_f32 v[4:5], v[10:11], v[252:253], v[4:5] op_sel_hi:[1,0,1]
	s_nop 0
	v_mov_b32_e32 v4, v255
	v_mov_b32_e32 v7, v5
	v_pk_mul_f32 v[4:5], v[12:13], v[4:5] op_sel:[1,0] op_sel_hi:[0,0]
	v_pk_add_f32 v[2:3], v[2:3], v[6:7]
	v_pk_fma_f32 v[6:7], v[12:13], v[254:255], v[4:5] neg_lo:[0,0,1] neg_hi:[0,0,1]
	v_pk_fma_f32 v[4:5], v[12:13], v[254:255], v[4:5] op_sel_hi:[1,0,1]
	s_nop 0
	v_mov_b32_e32 v7, v5
	s_waitcnt vmcnt(0) lgkmcnt(0)
	v_pk_mul_f32 v[4:5], v[14:15], v[156:157] op_sel:[1,1] op_sel_hi:[0,1]
	v_pk_add_f32 v[2:3], v[2:3], v[6:7]
	v_pk_fma_f32 v[6:7], v[14:15], v[156:157], v[4:5] neg_lo:[0,0,1] neg_hi:[0,0,1]
	v_pk_fma_f32 v[4:5], v[14:15], v[156:157], v[4:5] op_sel_hi:[1,0,1]
	s_nop 0
	v_mov_b32_e32 v4, v159
	v_mov_b32_e32 v7, v5
	v_pk_mul_f32 v[4:5], v[16:17], v[4:5] op_sel:[1,0] op_sel_hi:[0,0]
	v_pk_add_f32 v[2:3], v[2:3], v[6:7]
	v_pk_fma_f32 v[6:7], v[16:17], v[158:159], v[4:5] neg_lo:[0,0,1] neg_hi:[0,0,1]
	v_pk_fma_f32 v[4:5], v[16:17], v[158:159], v[4:5] op_sel_hi:[1,0,1]
	s_nop 0
	v_mov_b32_e32 v7, v5
	scratch_load_dwordx2 v[4:5], off, off offset:16
	v_pk_add_f32 v[2:3], v[2:3], v[6:7]
	s_waitcnt vmcnt(0)
	v_pk_add_f32 v[2:3], v[4:5], v[2:3] neg_lo:[0,1] neg_hi:[0,1]
	scratch_store_dwordx2 off, v[2:3], off offset:16
	s_and_saveexec_b64 s[0:1], vcc
	s_cbranch_execz .LBB110_293
; %bb.292:
	scratch_load_dwordx2 v[2:3], off, off offset:8
	v_mov_b32_e32 v4, 0
	v_mov_b32_e32 v5, v4
	scratch_store_dwordx2 off, v[4:5], off offset:8
	s_waitcnt vmcnt(1)
	ds_write_b64 v1, v[2:3]
.LBB110_293:
	s_or_b64 exec, exec, s[0:1]
	v_mov_b32_e32 v110, 0
	s_waitcnt lgkmcnt(0)
	; wave barrier
	ds_read_b128 v[14:17], v110 offset:400
	ds_read_b128 v[10:13], v110 offset:416
	;; [unrolled: 1-line block ×4, first 2 shown]
	scratch_load_dwordx4 v[18:21], off, off offset:16
	scratch_load_dwordx4 v[38:41], off, off offset:80
	;; [unrolled: 1-line block ×13, first 2 shown]
	v_cmp_ne_u32_e32 vcc, 0, v0
	scratch_load_dwordx4 v[46:49], off, off offset:96
	scratch_load_dwordx4 v[54:57], off, off offset:112
	;; [unrolled: 1-line block ×3, first 2 shown]
	s_waitcnt vmcnt(15) lgkmcnt(3)
	v_mul_f32_e32 v22, v14, v19
	v_fmac_f32_e32 v22, v15, v18
	v_mul_f32_e32 v23, v16, v21
	v_add_f32_e32 v22, 0, v22
	v_fmac_f32_e32 v23, v17, v20
	v_add_f32_e32 v26, v22, v23
	scratch_load_dwordx4 v[22:25], off, off offset:32
	v_mul_f32_e32 v15, v15, v19
	v_fma_f32 v14, v14, v18, -v15
	v_mul_f32_e32 v15, v17, v21
	v_add_f32_e32 v14, 0, v14
	v_fma_f32 v15, v16, v20, -v15
	v_add_f32_e32 v14, v14, v15
	s_waitcnt vmcnt(4)
	v_mov_b32_e32 v18, v159
	s_waitcnt vmcnt(0) lgkmcnt(2)
	v_mul_f32_e32 v27, v10, v23
	v_fmac_f32_e32 v27, v11, v22
	v_add_f32_e32 v26, v26, v27
	v_mul_f32_e32 v27, v12, v25
	v_fmac_f32_e32 v27, v13, v24
	v_add_f32_e32 v30, v26, v27
	scratch_load_dwordx4 v[26:29], off, off offset:48
	v_mul_f32_e32 v11, v11, v23
	v_fma_f32 v10, v10, v22, -v11
	v_mul_f32_e32 v11, v13, v25
	v_add_f32_e32 v10, v14, v10
	v_fma_f32 v11, v12, v24, -v11
	v_add_f32_e32 v10, v10, v11
	s_waitcnt vmcnt(0) lgkmcnt(1)
	v_mul_f32_e32 v31, v6, v27
	v_fmac_f32_e32 v31, v7, v26
	v_add_f32_e32 v30, v30, v31
	v_mul_f32_e32 v31, v8, v29
	v_fmac_f32_e32 v31, v9, v28
	v_add_f32_e32 v34, v30, v31
	scratch_load_dwordx4 v[30:33], off, off offset:64
	v_mul_f32_e32 v7, v7, v27
	v_fma_f32 v6, v6, v26, -v7
	v_mul_f32_e32 v7, v9, v29
	v_add_f32_e32 v6, v10, v6
	v_fma_f32 v7, v8, v28, -v7
	v_add_f32_e32 v6, v6, v7
	s_waitcnt vmcnt(0) lgkmcnt(0)
	v_mul_f32_e32 v35, v2, v31
	v_fmac_f32_e32 v35, v3, v30
	v_add_f32_e32 v34, v34, v35
	v_mul_f32_e32 v35, v4, v33
	v_fmac_f32_e32 v35, v5, v32
	v_add_f32_e32 v42, v34, v35
	ds_read_b128 v[34:37], v110 offset:464
	v_mul_f32_e32 v3, v3, v31
	v_fma_f32 v2, v2, v30, -v3
	v_mul_f32_e32 v3, v5, v33
	v_add_f32_e32 v2, v6, v2
	s_waitcnt lgkmcnt(0)
	v_mul_f32_e32 v43, v34, v39
	v_fmac_f32_e32 v43, v35, v38
	v_add_f32_e32 v42, v42, v43
	v_mul_f32_e32 v43, v36, v41
	v_fmac_f32_e32 v43, v37, v40
	v_add_f32_e32 v50, v42, v43
	ds_read_b128 v[42:45], v110 offset:480
	v_fma_f32 v3, v4, v32, -v3
	v_add_f32_e32 v2, v2, v3
	v_mul_f32_e32 v3, v35, v39
	v_fma_f32 v3, v34, v38, -v3
	s_waitcnt lgkmcnt(0)
	v_mul_f32_e32 v51, v42, v47
	v_fmac_f32_e32 v51, v43, v46
	v_add_f32_e32 v50, v50, v51
	v_mul_f32_e32 v51, v44, v49
	v_fmac_f32_e32 v51, v45, v48
	v_add_f32_e32 v58, v50, v51
	ds_read_b128 v[50:53], v110 offset:496
	v_add_f32_e32 v2, v2, v3
	v_mul_f32_e32 v3, v37, v41
	v_fma_f32 v3, v36, v40, -v3
	v_add_f32_e32 v2, v2, v3
	s_waitcnt lgkmcnt(0)
	v_mul_f32_e32 v59, v50, v55
	v_fmac_f32_e32 v59, v51, v54
	v_add_f32_e32 v58, v58, v59
	v_mul_f32_e32 v59, v52, v57
	v_fmac_f32_e32 v59, v53, v56
	v_add_f32_e32 v66, v58, v59
	ds_read_b128 v[58:61], v110 offset:512
	v_mul_f32_e32 v3, v43, v47
	v_fma_f32 v3, v42, v46, -v3
	v_add_f32_e32 v2, v2, v3
	v_mul_f32_e32 v3, v45, v49
	s_waitcnt lgkmcnt(0)
	v_mul_f32_e32 v67, v58, v63
	v_fmac_f32_e32 v67, v59, v62
	v_add_f32_e32 v66, v66, v67
	v_mul_f32_e32 v67, v60, v65
	v_fmac_f32_e32 v67, v61, v64
	v_add_f32_e32 v74, v66, v67
	ds_read_b128 v[66:69], v110 offset:528
	v_fma_f32 v3, v44, v48, -v3
	v_add_f32_e32 v2, v2, v3
	v_mul_f32_e32 v3, v51, v55
	v_fma_f32 v3, v50, v54, -v3
	s_waitcnt lgkmcnt(0)
	v_mul_f32_e32 v75, v66, v71
	v_fmac_f32_e32 v75, v67, v70
	v_add_f32_e32 v74, v74, v75
	v_mul_f32_e32 v75, v68, v73
	v_fmac_f32_e32 v75, v69, v72
	v_add_f32_e32 v82, v74, v75
	ds_read_b128 v[74:77], v110 offset:544
	v_add_f32_e32 v2, v2, v3
	v_mul_f32_e32 v3, v53, v57
	v_fma_f32 v3, v52, v56, -v3
	v_add_f32_e32 v2, v2, v3
	s_waitcnt lgkmcnt(0)
	v_mul_f32_e32 v83, v74, v79
	v_fmac_f32_e32 v83, v75, v78
	v_add_f32_e32 v82, v82, v83
	v_mul_f32_e32 v83, v76, v81
	v_fmac_f32_e32 v83, v77, v80
	v_add_f32_e32 v90, v82, v83
	ds_read_b128 v[82:85], v110 offset:560
	v_mul_f32_e32 v3, v59, v63
	v_fma_f32 v3, v58, v62, -v3
	v_add_f32_e32 v2, v2, v3
	v_mul_f32_e32 v3, v61, v65
	;; [unrolled: 36-line block ×4, first 2 shown]
	s_waitcnt lgkmcnt(0)
	v_mul_f32_e32 v140, v132, v137
	v_fmac_f32_e32 v140, v133, v136
	v_add_f32_e32 v111, v111, v140
	v_mul_f32_e32 v140, v134, v139
	v_fmac_f32_e32 v140, v135, v138
	v_add_f32_e32 v111, v111, v140
	ds_read_b128 v[140:143], v110 offset:672
	v_fma_f32 v3, v92, v96, -v3
	v_add_f32_e32 v2, v2, v3
	v_mul_f32_e32 v3, v99, v103
	v_fma_f32 v3, v98, v102, -v3
	s_waitcnt lgkmcnt(0)
	v_mul_f32_e32 v148, v140, v145
	v_fmac_f32_e32 v148, v141, v144
	v_add_f32_e32 v153, v111, v148
	ds_read_b128 v[148:151], v110 offset:688
	scratch_load_dwordx4 v[248:251], off, off offset:320
	scratch_load_dwordx4 v[252:255], off, off offset:336
	;; [unrolled: 1-line block ×3, first 2 shown]
	scratch_load_dwordx2 v[168:169], off, off offset:368
	v_add_f32_e32 v2, v2, v3
	v_mul_f32_e32 v3, v101, v105
	v_fma_f32 v3, v100, v104, -v3
	v_add_f32_e32 v2, v2, v3
	v_mul_f32_e32 v3, v107, v113
	v_fma_f32 v3, v106, v112, -v3
	v_add_f32_e32 v2, v2, v3
	v_mul_f32_e32 v3, v109, v115
	v_fma_f32 v3, v108, v114, -v3
	v_add_f32_e32 v2, v2, v3
	v_mul_f32_e32 v3, v117, v121
	v_fma_f32 v3, v116, v120, -v3
	v_add_f32_e32 v2, v2, v3
	v_mul_f32_e32 v3, v119, v123
	v_fma_f32 v3, v118, v122, -v3
	v_add_f32_e32 v2, v2, v3
	v_mul_f32_e32 v3, v125, v129
	v_fma_f32 v3, v124, v128, -v3
	v_add_f32_e32 v2, v2, v3
	v_mul_f32_e32 v3, v127, v131
	v_fma_f32 v3, v126, v130, -v3
	v_add_f32_e32 v2, v2, v3
	v_mul_f32_e32 v3, v133, v137
	v_fma_f32 v3, v132, v136, -v3
	v_add_f32_e32 v2, v2, v3
	v_mul_f32_e32 v3, v135, v139
	v_fma_f32 v3, v134, v138, -v3
	v_add_f32_e32 v2, v2, v3
	v_mul_f32_e32 v3, v141, v145
	v_fma_f32 v3, v140, v144, -v3
	v_add_f32_e32 v152, v2, v3
	v_mul_f32_e32 v2, v143, v147
	v_mul_f32_e32 v165, v142, v147
	v_fma_f32 v164, v142, v146, -v2
	s_waitcnt lgkmcnt(0)
	v_mul_f32_e32 v2, v149, v157
	v_fmac_f32_e32 v165, v143, v146
	v_mul_f32_e32 v167, v148, v157
	v_fma_f32 v166, v148, v156, -v2
	ds_read_b128 v[2:5], v110 offset:704
	ds_read_b128 v[6:9], v110 offset:720
	;; [unrolled: 1-line block ×3, first 2 shown]
	ds_read_b64 v[14:15], v110 offset:752
	v_pk_mul_f32 v[18:19], v[150:151], v[18:19] op_sel:[1,0] op_sel_hi:[0,0]
	v_fmac_f32_e32 v167, v149, v156
	v_pk_add_f32 v[16:17], v[152:153], v[164:165]
	v_pk_fma_f32 v[20:21], v[150:151], v[158:159], v[18:19] neg_lo:[0,0,1] neg_hi:[0,0,1]
	v_pk_fma_f32 v[18:19], v[150:151], v[158:159], v[18:19] op_sel_hi:[1,0,1]
	v_pk_add_f32 v[16:17], v[16:17], v[166:167]
	v_mov_b32_e32 v21, v19
	v_pk_add_f32 v[16:17], v[16:17], v[20:21]
	s_waitcnt vmcnt(3) lgkmcnt(3)
	v_pk_mul_f32 v[18:19], v[2:3], v[248:249] op_sel:[1,1] op_sel_hi:[0,1]
	v_pk_fma_f32 v[20:21], v[2:3], v[248:249], v[18:19] neg_lo:[0,0,1] neg_hi:[0,0,1]
	v_pk_fma_f32 v[2:3], v[2:3], v[248:249], v[18:19] op_sel_hi:[1,0,1]
	s_nop 0
	v_mov_b32_e32 v21, v3
	v_pk_add_f32 v[2:3], v[16:17], v[20:21]
	v_mov_b32_e32 v16, v251
	v_pk_mul_f32 v[16:17], v[4:5], v[16:17] op_sel:[1,0] op_sel_hi:[0,0]
	v_pk_fma_f32 v[18:19], v[4:5], v[250:251], v[16:17] neg_lo:[0,0,1] neg_hi:[0,0,1]
	v_pk_fma_f32 v[4:5], v[4:5], v[250:251], v[16:17] op_sel_hi:[1,0,1]
	s_nop 0
	v_mov_b32_e32 v19, v5
	s_waitcnt vmcnt(2) lgkmcnt(2)
	v_pk_mul_f32 v[4:5], v[6:7], v[252:253] op_sel:[1,1] op_sel_hi:[0,1]
	v_pk_fma_f32 v[16:17], v[6:7], v[252:253], v[4:5] neg_lo:[0,0,1] neg_hi:[0,0,1]
	v_pk_fma_f32 v[4:5], v[6:7], v[252:253], v[4:5] op_sel_hi:[1,0,1]
	v_pk_add_f32 v[2:3], v[2:3], v[18:19]
	v_mov_b32_e32 v4, v255
	v_mov_b32_e32 v17, v5
	v_pk_mul_f32 v[4:5], v[8:9], v[4:5] op_sel:[1,0] op_sel_hi:[0,0]
	v_pk_fma_f32 v[6:7], v[8:9], v[254:255], v[4:5] neg_lo:[0,0,1] neg_hi:[0,0,1]
	v_pk_fma_f32 v[4:5], v[8:9], v[254:255], v[4:5] op_sel_hi:[1,0,1]
	v_pk_add_f32 v[2:3], v[2:3], v[16:17]
	v_mov_b32_e32 v7, v5
	s_waitcnt vmcnt(1) lgkmcnt(1)
	v_pk_mul_f32 v[4:5], v[10:11], v[160:161] op_sel:[1,1] op_sel_hi:[0,1]
	v_pk_add_f32 v[2:3], v[2:3], v[6:7]
	v_pk_fma_f32 v[6:7], v[10:11], v[160:161], v[4:5] neg_lo:[0,0,1] neg_hi:[0,0,1]
	v_pk_fma_f32 v[4:5], v[10:11], v[160:161], v[4:5] op_sel_hi:[1,0,1]
	s_nop 0
	v_mov_b32_e32 v4, v163
	v_mov_b32_e32 v7, v5
	v_pk_mul_f32 v[4:5], v[12:13], v[4:5] op_sel:[1,0] op_sel_hi:[0,0]
	v_pk_add_f32 v[2:3], v[2:3], v[6:7]
	v_pk_fma_f32 v[6:7], v[12:13], v[162:163], v[4:5] neg_lo:[0,0,1] neg_hi:[0,0,1]
	v_pk_fma_f32 v[4:5], v[12:13], v[162:163], v[4:5] op_sel_hi:[1,0,1]
	s_nop 0
	v_mov_b32_e32 v7, v5
	s_waitcnt vmcnt(0) lgkmcnt(0)
	v_pk_mul_f32 v[4:5], v[14:15], v[168:169] op_sel:[1,1] op_sel_hi:[0,1]
	v_pk_add_f32 v[2:3], v[2:3], v[6:7]
	v_pk_fma_f32 v[6:7], v[14:15], v[168:169], v[4:5] neg_lo:[0,0,1] neg_hi:[0,0,1]
	v_pk_fma_f32 v[4:5], v[14:15], v[168:169], v[4:5] op_sel_hi:[1,0,1]
	s_nop 0
	v_mov_b32_e32 v7, v5
	scratch_load_dwordx2 v[4:5], off, off offset:8
	v_pk_add_f32 v[2:3], v[2:3], v[6:7]
	s_waitcnt vmcnt(0)
	v_pk_add_f32 v[2:3], v[4:5], v[2:3] neg_lo:[0,1] neg_hi:[0,1]
	scratch_store_dwordx2 off, v[2:3], off offset:8
	s_and_saveexec_b64 s[0:1], vcc
	s_cbranch_execz .LBB110_295
; %bb.294:
	scratch_load_dwordx2 v[2:3], off, off
	v_mov_b32_e32 v111, v110
	scratch_store_dwordx2 off, v[110:111], off
	s_waitcnt vmcnt(1)
	ds_write_b64 v1, v[2:3]
.LBB110_295:
	s_or_b64 exec, exec, s[0:1]
	s_waitcnt lgkmcnt(0)
	; wave barrier
	scratch_load_dwordx4 v[4:7], off, off offset:8
	scratch_load_dwordx4 v[12:15], off, off offset:24
	;; [unrolled: 1-line block ×10, first 2 shown]
	ds_read2_b64 v[0:3], v110 offset0:49 offset1:50
	ds_read2_b64 v[116:119], v110 offset0:77 offset1:78
	scratch_load_dwordx4 v[84:87], off, off offset:168
	scratch_load_dwordx4 v[92:95], off, off offset:184
	;; [unrolled: 1-line block ×9, first 2 shown]
	s_and_b64 vcc, exec, s[10:11]
	ds_read2_b64 v[124:127], v110 offset0:79 offset1:80
	ds_read2_b64 v[132:135], v110 offset0:81 offset1:82
	;; [unrolled: 1-line block ×4, first 2 shown]
	s_waitcnt vmcnt(18) lgkmcnt(5)
	v_mul_f32_e32 v8, v0, v5
	v_fmac_f32_e32 v8, v1, v4
	v_mul_f32_e32 v9, v2, v7
	v_add_f32_e32 v8, 0, v8
	v_fmac_f32_e32 v9, v3, v6
	v_add_f32_e32 v16, v8, v9
	ds_read2_b64 v[8:11], v110 offset0:51 offset1:52
	v_mul_f32_e32 v1, v1, v5
	v_fma_f32 v0, v0, v4, -v1
	v_mul_f32_e32 v1, v3, v7
	v_add_f32_e32 v0, 0, v0
	s_waitcnt vmcnt(17) lgkmcnt(0)
	v_mul_f32_e32 v17, v8, v13
	v_fmac_f32_e32 v17, v9, v12
	v_add_f32_e32 v16, v16, v17
	v_mul_f32_e32 v17, v10, v15
	v_fmac_f32_e32 v17, v11, v14
	v_add_f32_e32 v24, v16, v17
	ds_read2_b64 v[16:19], v110 offset0:53 offset1:54
	v_fma_f32 v1, v2, v6, -v1
	v_add_f32_e32 v0, v0, v1
	v_mul_f32_e32 v1, v9, v13
	v_fma_f32 v1, v8, v12, -v1
	s_waitcnt vmcnt(16) lgkmcnt(0)
	v_mul_f32_e32 v25, v16, v21
	v_fmac_f32_e32 v25, v17, v20
	v_add_f32_e32 v24, v24, v25
	v_mul_f32_e32 v25, v18, v23
	v_fmac_f32_e32 v25, v19, v22
	v_add_f32_e32 v32, v24, v25
	ds_read2_b64 v[24:27], v110 offset0:55 offset1:56
	v_add_f32_e32 v0, v0, v1
	v_mul_f32_e32 v1, v11, v15
	v_fma_f32 v1, v10, v14, -v1
	v_add_f32_e32 v0, v0, v1
	s_waitcnt vmcnt(15) lgkmcnt(0)
	v_mul_f32_e32 v33, v24, v29
	v_fmac_f32_e32 v33, v25, v28
	v_add_f32_e32 v32, v32, v33
	v_mul_f32_e32 v33, v26, v31
	v_fmac_f32_e32 v33, v27, v30
	v_add_f32_e32 v40, v32, v33
	ds_read2_b64 v[32:35], v110 offset0:57 offset1:58
	v_mul_f32_e32 v1, v17, v21
	v_fma_f32 v1, v16, v20, -v1
	v_add_f32_e32 v0, v0, v1
	v_mul_f32_e32 v1, v19, v23
	s_waitcnt vmcnt(14) lgkmcnt(0)
	v_mul_f32_e32 v41, v32, v37
	v_fmac_f32_e32 v41, v33, v36
	v_add_f32_e32 v40, v40, v41
	v_mul_f32_e32 v41, v34, v39
	v_fmac_f32_e32 v41, v35, v38
	v_add_f32_e32 v48, v40, v41
	ds_read2_b64 v[40:43], v110 offset0:59 offset1:60
	v_fma_f32 v1, v18, v22, -v1
	v_add_f32_e32 v0, v0, v1
	v_mul_f32_e32 v1, v25, v29
	v_fma_f32 v1, v24, v28, -v1
	s_waitcnt vmcnt(13) lgkmcnt(0)
	v_mul_f32_e32 v49, v40, v45
	v_fmac_f32_e32 v49, v41, v44
	v_add_f32_e32 v48, v48, v49
	v_mul_f32_e32 v49, v42, v47
	v_fmac_f32_e32 v49, v43, v46
	v_add_f32_e32 v56, v48, v49
	ds_read2_b64 v[48:51], v110 offset0:61 offset1:62
	v_add_f32_e32 v0, v0, v1
	v_mul_f32_e32 v1, v27, v31
	v_fma_f32 v1, v26, v30, -v1
	v_add_f32_e32 v0, v0, v1
	s_waitcnt vmcnt(12) lgkmcnt(0)
	v_mul_f32_e32 v57, v48, v53
	v_fmac_f32_e32 v57, v49, v52
	v_add_f32_e32 v56, v56, v57
	v_mul_f32_e32 v57, v50, v55
	v_fmac_f32_e32 v57, v51, v54
	v_add_f32_e32 v64, v56, v57
	ds_read2_b64 v[56:59], v110 offset0:63 offset1:64
	v_mul_f32_e32 v1, v33, v37
	v_fma_f32 v1, v32, v36, -v1
	v_add_f32_e32 v0, v0, v1
	v_mul_f32_e32 v1, v35, v39
	;; [unrolled: 36-line block ×3, first 2 shown]
	s_waitcnt vmcnt(8) lgkmcnt(0)
	v_mul_f32_e32 v89, v80, v85
	v_fmac_f32_e32 v89, v81, v84
	v_add_f32_e32 v88, v88, v89
	v_mul_f32_e32 v89, v82, v87
	v_fmac_f32_e32 v89, v83, v86
	v_add_f32_e32 v96, v88, v89
	ds_read2_b64 v[88:91], v110 offset0:71 offset1:72
	v_fma_f32 v1, v50, v54, -v1
	v_add_f32_e32 v0, v0, v1
	v_mul_f32_e32 v1, v57, v61
	v_fma_f32 v1, v56, v60, -v1
	s_waitcnt vmcnt(7) lgkmcnt(0)
	v_mul_f32_e32 v97, v88, v93
	v_fmac_f32_e32 v97, v89, v92
	v_add_f32_e32 v96, v96, v97
	v_mul_f32_e32 v97, v90, v95
	v_fmac_f32_e32 v97, v91, v94
	v_add_f32_e32 v104, v96, v97
	ds_read2_b64 v[96:99], v110 offset0:73 offset1:74
	v_add_f32_e32 v0, v0, v1
	v_mul_f32_e32 v1, v59, v63
	v_fma_f32 v1, v58, v62, -v1
	v_add_f32_e32 v0, v0, v1
	s_waitcnt vmcnt(6) lgkmcnt(0)
	v_mul_f32_e32 v105, v96, v101
	v_fmac_f32_e32 v105, v97, v100
	v_add_f32_e32 v104, v104, v105
	v_mul_f32_e32 v105, v98, v103
	v_fmac_f32_e32 v105, v99, v102
	v_add_f32_e32 v108, v104, v105
	ds_read2_b64 v[104:107], v110 offset0:75 offset1:76
	scratch_load_dwordx4 v[160:163], off, off offset:312
	scratch_load_dwordx4 v[248:251], off, off offset:328
	;; [unrolled: 1-line block ×4, first 2 shown]
	v_mul_f32_e32 v1, v65, v69
	v_fma_f32 v1, v64, v68, -v1
	v_add_f32_e32 v0, v0, v1
	v_mul_f32_e32 v1, v67, v71
	v_fma_f32 v1, v66, v70, -v1
	v_add_f32_e32 v0, v0, v1
	;; [unrolled: 3-line block ×9, first 2 shown]
	v_mul_f32_e32 v1, v99, v103
	v_fma_f32 v1, v98, v102, -v1
	s_waitcnt vmcnt(9) lgkmcnt(0)
	v_mul_f32_e32 v109, v104, v113
	v_add_f32_e32 v0, v0, v1
	v_mul_f32_e32 v1, v105, v113
	v_fmac_f32_e32 v109, v105, v112
	v_fma_f32 v1, v104, v112, -v1
	v_add_f32_e32 v108, v108, v109
	v_mul_f32_e32 v109, v106, v115
	v_add_f32_e32 v0, v0, v1
	v_mul_f32_e32 v1, v107, v115
	v_fmac_f32_e32 v109, v107, v114
	v_fma_f32 v1, v106, v114, -v1
	v_add_f32_e32 v108, v108, v109
	s_waitcnt vmcnt(8)
	v_mul_f32_e32 v109, v116, v121
	v_add_f32_e32 v0, v0, v1
	v_mul_f32_e32 v1, v117, v121
	v_fmac_f32_e32 v109, v117, v120
	v_fma_f32 v1, v116, v120, -v1
	v_add_f32_e32 v108, v108, v109
	v_mul_f32_e32 v109, v118, v123
	v_add_f32_e32 v0, v0, v1
	v_mul_f32_e32 v1, v119, v123
	v_fmac_f32_e32 v109, v119, v122
	v_fma_f32 v1, v118, v122, -v1
	v_add_f32_e32 v108, v108, v109
	s_waitcnt vmcnt(7)
	;; [unrolled: 13-line block ×4, first 2 shown]
	v_mul_f32_e32 v109, v140, v145
	v_add_f32_e32 v0, v0, v1
	v_mul_f32_e32 v1, v141, v145
	v_fmac_f32_e32 v109, v141, v144
	v_fma_f32 v1, v140, v144, -v1
	v_add_f32_e32 v108, v108, v109
	v_mul_f32_e32 v109, v142, v147
	v_add_f32_e32 v0, v0, v1
	v_mul_f32_e32 v1, v143, v147
	v_fmac_f32_e32 v109, v143, v146
	v_fma_f32 v1, v142, v146, -v1
	v_add_f32_e32 v109, v108, v109
	v_add_f32_e32 v108, v0, v1
	s_waitcnt vmcnt(4)
	v_mul_f32_e32 v0, v149, v157
	v_fma_f32 v152, v148, v156, -v0
	v_mul_f32_e32 v0, v151, v159
	v_fma_f32 v168, v150, v158, -v0
	ds_read2_b64 v[0:3], v110 offset0:87 offset1:88
	ds_read2_b64 v[4:7], v110 offset0:89 offset1:90
	;; [unrolled: 1-line block ×4, first 2 shown]
	v_mul_f32_e32 v153, v148, v157
	v_fmac_f32_e32 v153, v149, v156
	v_mul_f32_e32 v169, v150, v159
	s_waitcnt vmcnt(3) lgkmcnt(3)
	v_pk_mul_f32 v[18:19], v[0:1], v[160:161] op_sel:[1,1] op_sel_hi:[0,1]
	v_fmac_f32_e32 v169, v151, v158
	v_pk_add_f32 v[16:17], v[108:109], v[152:153]
	v_pk_fma_f32 v[20:21], v[0:1], v[160:161], v[18:19] neg_lo:[0,0,1] neg_hi:[0,0,1]
	v_pk_fma_f32 v[0:1], v[0:1], v[160:161], v[18:19] op_sel_hi:[1,0,1]
	v_pk_add_f32 v[16:17], v[16:17], v[168:169]
	v_mov_b32_e32 v21, v1
	v_pk_add_f32 v[0:1], v[16:17], v[20:21]
	v_mov_b32_e32 v16, v163
	v_pk_mul_f32 v[16:17], v[2:3], v[16:17] op_sel:[1,0] op_sel_hi:[0,0]
	v_pk_fma_f32 v[18:19], v[2:3], v[162:163], v[16:17] neg_lo:[0,0,1] neg_hi:[0,0,1]
	v_pk_fma_f32 v[2:3], v[2:3], v[162:163], v[16:17] op_sel_hi:[1,0,1]
	s_nop 0
	v_mov_b32_e32 v19, v3
	s_waitcnt vmcnt(2) lgkmcnt(2)
	v_pk_mul_f32 v[2:3], v[4:5], v[248:249] op_sel:[1,1] op_sel_hi:[0,1]
	v_pk_fma_f32 v[16:17], v[4:5], v[248:249], v[2:3] neg_lo:[0,0,1] neg_hi:[0,0,1]
	v_pk_fma_f32 v[2:3], v[4:5], v[248:249], v[2:3] op_sel_hi:[1,0,1]
	v_pk_add_f32 v[0:1], v[0:1], v[18:19]
	v_mov_b32_e32 v2, v251
	v_mov_b32_e32 v17, v3
	v_pk_mul_f32 v[2:3], v[6:7], v[2:3] op_sel:[1,0] op_sel_hi:[0,0]
	v_pk_fma_f32 v[4:5], v[6:7], v[250:251], v[2:3] neg_lo:[0,0,1] neg_hi:[0,0,1]
	v_pk_fma_f32 v[2:3], v[6:7], v[250:251], v[2:3] op_sel_hi:[1,0,1]
	v_pk_add_f32 v[0:1], v[0:1], v[16:17]
	v_mov_b32_e32 v5, v3
	s_waitcnt vmcnt(1) lgkmcnt(1)
	v_pk_mul_f32 v[2:3], v[8:9], v[252:253] op_sel:[1,1] op_sel_hi:[0,1]
	v_pk_add_f32 v[0:1], v[0:1], v[4:5]
	v_pk_fma_f32 v[4:5], v[8:9], v[252:253], v[2:3] neg_lo:[0,0,1] neg_hi:[0,0,1]
	v_pk_fma_f32 v[2:3], v[8:9], v[252:253], v[2:3] op_sel_hi:[1,0,1]
	s_nop 0
	v_mov_b32_e32 v2, v255
	v_mov_b32_e32 v5, v3
	v_pk_mul_f32 v[2:3], v[10:11], v[2:3] op_sel:[1,0] op_sel_hi:[0,0]
	v_pk_add_f32 v[0:1], v[0:1], v[4:5]
	v_pk_fma_f32 v[4:5], v[10:11], v[254:255], v[2:3] neg_lo:[0,0,1] neg_hi:[0,0,1]
	v_pk_fma_f32 v[2:3], v[10:11], v[254:255], v[2:3] op_sel_hi:[1,0,1]
	s_nop 0
	v_mov_b32_e32 v5, v3
	s_waitcnt vmcnt(0) lgkmcnt(0)
	v_pk_mul_f32 v[2:3], v[12:13], v[164:165] op_sel:[1,1] op_sel_hi:[0,1]
	v_pk_add_f32 v[0:1], v[0:1], v[4:5]
	v_pk_fma_f32 v[4:5], v[12:13], v[164:165], v[2:3] neg_lo:[0,0,1] neg_hi:[0,0,1]
	v_pk_fma_f32 v[2:3], v[12:13], v[164:165], v[2:3] op_sel_hi:[1,0,1]
	s_nop 0
	v_mov_b32_e32 v2, v167
	v_mov_b32_e32 v5, v3
	v_pk_mul_f32 v[2:3], v[14:15], v[2:3] op_sel:[1,0] op_sel_hi:[0,0]
	v_pk_add_f32 v[0:1], v[0:1], v[4:5]
	v_pk_fma_f32 v[4:5], v[14:15], v[166:167], v[2:3] neg_lo:[0,0,1] neg_hi:[0,0,1]
	v_pk_fma_f32 v[2:3], v[14:15], v[166:167], v[2:3] op_sel_hi:[1,0,1]
	s_nop 0
	v_mov_b32_e32 v5, v3
	scratch_load_dwordx2 v[2:3], off, off
	v_pk_add_f32 v[0:1], v[0:1], v[4:5]
	s_waitcnt vmcnt(0)
	v_pk_add_f32 v[0:1], v[2:3], v[0:1] neg_lo:[0,1] neg_hi:[0,1]
	scratch_store_dwordx2 off, v[0:1], off
	s_cbranch_vccz .LBB110_388
; %bb.296:
	v_mov_b32_e32 v0, 0
	global_load_dword v1, v0, s[8:9] offset:180
	s_waitcnt vmcnt(0)
	v_readfirstlane_b32 s0, v1
	s_add_i32 s0, s0, -1
	s_cmp_lg_u32 s0, 45
	s_cbranch_scc0 .LBB110_298
; %bb.297:
	s_lshl_b32 s0, s0, 3
	s_nop 0
	scratch_load_dwordx2 v[2:3], off, s0
	scratch_load_dwordx2 v[4:5], off, off offset:360
	s_waitcnt vmcnt(1)
	scratch_store_dwordx2 off, v[2:3], off offset:360
	s_waitcnt vmcnt(1)
	scratch_store_dwordx2 off, v[4:5], s0
.LBB110_298:
	global_load_dword v0, v0, s[8:9] offset:176
	s_waitcnt vmcnt(0)
	v_readfirstlane_b32 s0, v0
	s_add_i32 s0, s0, -1
	s_cmp_eq_u32 s0, 44
	s_cbranch_scc1 .LBB110_300
; %bb.299:
	s_lshl_b32 s0, s0, 3
	s_nop 0
	scratch_load_dwordx2 v[0:1], off, s0
	scratch_load_dwordx2 v[2:3], off, off offset:352
	s_waitcnt vmcnt(1)
	scratch_store_dwordx2 off, v[0:1], off offset:352
	s_waitcnt vmcnt(1)
	scratch_store_dwordx2 off, v[2:3], s0
.LBB110_300:
	v_mov_b32_e32 v0, 0
	global_load_dword v1, v0, s[8:9] offset:172
	s_waitcnt vmcnt(0)
	v_readfirstlane_b32 s0, v1
	s_add_i32 s0, s0, -1
	s_cmp_eq_u32 s0, 43
	s_cbranch_scc1 .LBB110_302
; %bb.301:
	s_lshl_b32 s0, s0, 3
	s_nop 0
	scratch_load_dwordx2 v[2:3], off, s0
	scratch_load_dwordx2 v[4:5], off, off offset:344
	s_waitcnt vmcnt(1)
	scratch_store_dwordx2 off, v[2:3], off offset:344
	s_waitcnt vmcnt(1)
	scratch_store_dwordx2 off, v[4:5], s0
.LBB110_302:
	global_load_dword v0, v0, s[8:9] offset:168
	s_waitcnt vmcnt(0)
	v_readfirstlane_b32 s0, v0
	s_add_i32 s0, s0, -1
	s_cmp_eq_u32 s0, 42
	s_cbranch_scc1 .LBB110_304
; %bb.303:
	s_lshl_b32 s0, s0, 3
	s_nop 0
	scratch_load_dwordx2 v[0:1], off, s0
	scratch_load_dwordx2 v[2:3], off, off offset:336
	s_waitcnt vmcnt(1)
	scratch_store_dwordx2 off, v[0:1], off offset:336
	s_waitcnt vmcnt(1)
	scratch_store_dwordx2 off, v[2:3], s0
.LBB110_304:
	v_mov_b32_e32 v0, 0
	global_load_dword v1, v0, s[8:9] offset:164
	s_waitcnt vmcnt(0)
	v_readfirstlane_b32 s0, v1
	s_add_i32 s0, s0, -1
	s_cmp_eq_u32 s0, 41
	s_cbranch_scc1 .LBB110_306
; %bb.305:
	s_lshl_b32 s0, s0, 3
	s_nop 0
	scratch_load_dwordx2 v[2:3], off, s0
	scratch_load_dwordx2 v[4:5], off, off offset:328
	s_waitcnt vmcnt(1)
	scratch_store_dwordx2 off, v[2:3], off offset:328
	s_waitcnt vmcnt(1)
	scratch_store_dwordx2 off, v[4:5], s0
.LBB110_306:
	;; [unrolled: 33-line block ×22, first 2 shown]
	global_load_dword v2, v0, s[8:9]
	s_nop 0
	scratch_load_dwordx2 v[0:1], off, off
	s_waitcnt vmcnt(1)
	v_readfirstlane_b32 s0, v2
	s_add_i32 s0, s0, -1
	s_cmp_eq_u32 s0, 0
	s_cbranch_scc1 .LBB110_388
; %bb.387:
	s_lshl_b32 s0, s0, 3
	s_nop 0
	scratch_load_dwordx2 v[2:3], off, s0
	s_waitcnt vmcnt(0)
	scratch_store_dwordx2 off, v[2:3], off
	scratch_store_dwordx2 off, v[0:1], s0
	scratch_load_dwordx2 v[0:1], off, off
.LBB110_388:
	s_waitcnt vmcnt(0)
	flat_store_dwordx2 v[154:155], v[0:1]
	scratch_load_dwordx2 v[0:1], off, off offset:8
	v_accvgpr_read_b32 v3, a1
	v_accvgpr_read_b32 v2, a0
	s_waitcnt vmcnt(0)
	flat_store_dwordx2 v[2:3], v[0:1]
	scratch_load_dwordx2 v[0:1], off, off offset:16
	v_accvgpr_read_b32 v2, a2
	v_accvgpr_read_b32 v3, a3
	s_waitcnt vmcnt(0)
	flat_store_dwordx2 v[2:3], v[0:1]
	scratch_load_dwordx2 v[0:1], off, off offset:24
	v_accvgpr_read_b32 v2, a4
	v_accvgpr_read_b32 v3, a5
	s_waitcnt vmcnt(0)
	flat_store_dwordx2 v[2:3], v[0:1]
	scratch_load_dwordx2 v[0:1], off, off offset:32
	v_accvgpr_read_b32 v2, a6
	v_accvgpr_read_b32 v3, a7
	s_waitcnt vmcnt(0)
	flat_store_dwordx2 v[2:3], v[0:1]
	scratch_load_dwordx2 v[0:1], off, off offset:40
	v_accvgpr_read_b32 v2, a8
	v_accvgpr_read_b32 v3, a9
	s_waitcnt vmcnt(0)
	flat_store_dwordx2 v[2:3], v[0:1]
	scratch_load_dwordx2 v[0:1], off, off offset:48
	v_accvgpr_read_b32 v2, a10
	v_accvgpr_read_b32 v3, a11
	s_waitcnt vmcnt(0)
	flat_store_dwordx2 v[2:3], v[0:1]
	scratch_load_dwordx2 v[0:1], off, off offset:56
	v_accvgpr_read_b32 v2, a12
	v_accvgpr_read_b32 v3, a13
	s_waitcnt vmcnt(0)
	flat_store_dwordx2 v[2:3], v[0:1]
	scratch_load_dwordx2 v[0:1], off, off offset:64
	s_waitcnt vmcnt(0)
	flat_store_dwordx2 v[170:171], v[0:1]
	scratch_load_dwordx2 v[0:1], off, off offset:72
	;; [unrolled: 3-line block ×39, first 2 shown]
	s_waitcnt vmcnt(0)
	flat_store_dwordx2 v[246:247], v[0:1]
	s_endpgm
	.section	.rodata,"a",@progbits
	.p2align	6, 0x0
	.amdhsa_kernel _ZN9rocsolver6v33100L18getri_kernel_smallILi47E19rocblas_complex_numIfEPKPS3_EEvT1_iilPiilS8_bb
		.amdhsa_group_segment_fixed_size 760
		.amdhsa_private_segment_fixed_size 384
		.amdhsa_kernarg_size 60
		.amdhsa_user_sgpr_count 2
		.amdhsa_user_sgpr_dispatch_ptr 0
		.amdhsa_user_sgpr_queue_ptr 0
		.amdhsa_user_sgpr_kernarg_segment_ptr 1
		.amdhsa_user_sgpr_dispatch_id 0
		.amdhsa_user_sgpr_kernarg_preload_length 0
		.amdhsa_user_sgpr_kernarg_preload_offset 0
		.amdhsa_user_sgpr_private_segment_size 0
		.amdhsa_uses_dynamic_stack 0
		.amdhsa_enable_private_segment 1
		.amdhsa_system_sgpr_workgroup_id_x 1
		.amdhsa_system_sgpr_workgroup_id_y 0
		.amdhsa_system_sgpr_workgroup_id_z 0
		.amdhsa_system_sgpr_workgroup_info 0
		.amdhsa_system_vgpr_workitem_id 0
		.amdhsa_next_free_vgpr 270
		.amdhsa_next_free_sgpr 17
		.amdhsa_accum_offset 256
		.amdhsa_reserve_vcc 1
		.amdhsa_float_round_mode_32 0
		.amdhsa_float_round_mode_16_64 0
		.amdhsa_float_denorm_mode_32 3
		.amdhsa_float_denorm_mode_16_64 3
		.amdhsa_dx10_clamp 1
		.amdhsa_ieee_mode 1
		.amdhsa_fp16_overflow 0
		.amdhsa_tg_split 0
		.amdhsa_exception_fp_ieee_invalid_op 0
		.amdhsa_exception_fp_denorm_src 0
		.amdhsa_exception_fp_ieee_div_zero 0
		.amdhsa_exception_fp_ieee_overflow 0
		.amdhsa_exception_fp_ieee_underflow 0
		.amdhsa_exception_fp_ieee_inexact 0
		.amdhsa_exception_int_div_zero 0
	.end_amdhsa_kernel
	.section	.text._ZN9rocsolver6v33100L18getri_kernel_smallILi47E19rocblas_complex_numIfEPKPS3_EEvT1_iilPiilS8_bb,"axG",@progbits,_ZN9rocsolver6v33100L18getri_kernel_smallILi47E19rocblas_complex_numIfEPKPS3_EEvT1_iilPiilS8_bb,comdat
.Lfunc_end110:
	.size	_ZN9rocsolver6v33100L18getri_kernel_smallILi47E19rocblas_complex_numIfEPKPS3_EEvT1_iilPiilS8_bb, .Lfunc_end110-_ZN9rocsolver6v33100L18getri_kernel_smallILi47E19rocblas_complex_numIfEPKPS3_EEvT1_iilPiilS8_bb
                                        ; -- End function
	.set _ZN9rocsolver6v33100L18getri_kernel_smallILi47E19rocblas_complex_numIfEPKPS3_EEvT1_iilPiilS8_bb.num_vgpr, 256
	.set _ZN9rocsolver6v33100L18getri_kernel_smallILi47E19rocblas_complex_numIfEPKPS3_EEvT1_iilPiilS8_bb.num_agpr, 14
	.set _ZN9rocsolver6v33100L18getri_kernel_smallILi47E19rocblas_complex_numIfEPKPS3_EEvT1_iilPiilS8_bb.numbered_sgpr, 17
	.set _ZN9rocsolver6v33100L18getri_kernel_smallILi47E19rocblas_complex_numIfEPKPS3_EEvT1_iilPiilS8_bb.num_named_barrier, 0
	.set _ZN9rocsolver6v33100L18getri_kernel_smallILi47E19rocblas_complex_numIfEPKPS3_EEvT1_iilPiilS8_bb.private_seg_size, 384
	.set _ZN9rocsolver6v33100L18getri_kernel_smallILi47E19rocblas_complex_numIfEPKPS3_EEvT1_iilPiilS8_bb.uses_vcc, 1
	.set _ZN9rocsolver6v33100L18getri_kernel_smallILi47E19rocblas_complex_numIfEPKPS3_EEvT1_iilPiilS8_bb.uses_flat_scratch, 0
	.set _ZN9rocsolver6v33100L18getri_kernel_smallILi47E19rocblas_complex_numIfEPKPS3_EEvT1_iilPiilS8_bb.has_dyn_sized_stack, 0
	.set _ZN9rocsolver6v33100L18getri_kernel_smallILi47E19rocblas_complex_numIfEPKPS3_EEvT1_iilPiilS8_bb.has_recursion, 0
	.set _ZN9rocsolver6v33100L18getri_kernel_smallILi47E19rocblas_complex_numIfEPKPS3_EEvT1_iilPiilS8_bb.has_indirect_call, 0
	.section	.AMDGPU.csdata,"",@progbits
; Kernel info:
; codeLenInByte = 66460
; TotalNumSgprs: 23
; NumVgprs: 256
; NumAgprs: 14
; TotalNumVgprs: 270
; ScratchSize: 384
; MemoryBound: 0
; FloatMode: 240
; IeeeMode: 1
; LDSByteSize: 760 bytes/workgroup (compile time only)
; SGPRBlocks: 2
; VGPRBlocks: 33
; NumSGPRsForWavesPerEU: 23
; NumVGPRsForWavesPerEU: 270
; AccumOffset: 256
; Occupancy: 1
; WaveLimiterHint : 1
; COMPUTE_PGM_RSRC2:SCRATCH_EN: 1
; COMPUTE_PGM_RSRC2:USER_SGPR: 2
; COMPUTE_PGM_RSRC2:TRAP_HANDLER: 0
; COMPUTE_PGM_RSRC2:TGID_X_EN: 1
; COMPUTE_PGM_RSRC2:TGID_Y_EN: 0
; COMPUTE_PGM_RSRC2:TGID_Z_EN: 0
; COMPUTE_PGM_RSRC2:TIDIG_COMP_CNT: 0
; COMPUTE_PGM_RSRC3_GFX90A:ACCUM_OFFSET: 63
; COMPUTE_PGM_RSRC3_GFX90A:TG_SPLIT: 0
	.section	.text._ZN9rocsolver6v33100L18getri_kernel_smallILi48E19rocblas_complex_numIfEPKPS3_EEvT1_iilPiilS8_bb,"axG",@progbits,_ZN9rocsolver6v33100L18getri_kernel_smallILi48E19rocblas_complex_numIfEPKPS3_EEvT1_iilPiilS8_bb,comdat
	.globl	_ZN9rocsolver6v33100L18getri_kernel_smallILi48E19rocblas_complex_numIfEPKPS3_EEvT1_iilPiilS8_bb ; -- Begin function _ZN9rocsolver6v33100L18getri_kernel_smallILi48E19rocblas_complex_numIfEPKPS3_EEvT1_iilPiilS8_bb
	.p2align	8
	.type	_ZN9rocsolver6v33100L18getri_kernel_smallILi48E19rocblas_complex_numIfEPKPS3_EEvT1_iilPiilS8_bb,@function
_ZN9rocsolver6v33100L18getri_kernel_smallILi48E19rocblas_complex_numIfEPKPS3_EEvT1_iilPiilS8_bb: ; @_ZN9rocsolver6v33100L18getri_kernel_smallILi48E19rocblas_complex_numIfEPKPS3_EEvT1_iilPiilS8_bb
; %bb.0:
	v_cmp_gt_u32_e32 vcc, 48, v0
	s_and_saveexec_b64 s[4:5], vcc
	s_cbranch_execz .LBB111_206
; %bb.1:
	s_load_dword s14, s[0:1], 0x38
	s_load_dwordx2 s[8:9], s[0:1], 0x0
	s_load_dwordx4 s[4:7], s[0:1], 0x28
	s_waitcnt lgkmcnt(0)
	s_bitcmp1_b32 s14, 8
	s_cselect_b64 s[10:11], -1, 0
	s_ashr_i32 s3, s2, 31
	s_lshl_b64 s[12:13], s[2:3], 3
	s_add_u32 s8, s8, s12
	s_addc_u32 s9, s9, s13
	s_load_dwordx2 s[12:13], s[8:9], 0x0
	s_bfe_u32 s8, s14, 0x10008
	s_cmp_eq_u32 s8, 0
                                        ; implicit-def: $sgpr8_sgpr9
	s_cbranch_scc1 .LBB111_3
; %bb.2:
	s_load_dword s8, s[0:1], 0x20
	s_load_dwordx2 s[14:15], s[0:1], 0x18
	s_mul_i32 s9, s4, s3
	s_mul_hi_u32 s16, s4, s2
	s_add_i32 s16, s16, s9
	s_mul_i32 s5, s5, s2
	s_add_i32 s5, s16, s5
	s_mul_i32 s4, s4, s2
	s_waitcnt lgkmcnt(0)
	s_ashr_i32 s9, s8, 31
	s_lshl_b64 s[4:5], s[4:5], 2
	s_add_u32 s14, s14, s4
	s_addc_u32 s15, s15, s5
	s_lshl_b64 s[4:5], s[8:9], 2
	s_add_u32 s8, s14, s4
	s_addc_u32 s9, s15, s5
.LBB111_3:
	s_load_dwordx2 s[4:5], s[0:1], 0x8
	s_load_dword s14, s[0:1], 0x38
	v_lshlrev_b32_e32 v2, 3, v0
	v_mov_b32_e32 v3, 0
	s_waitcnt lgkmcnt(0)
	s_ashr_i32 s1, s4, 31
	s_mov_b32 s0, s4
	s_lshl_b64 s[0:1], s[0:1], 3
	s_add_u32 s0, s12, s0
	s_addc_u32 s1, s13, s1
	v_lshl_add_u64 v[154:155], s[0:1], 0, v[2:3]
	flat_load_dwordx2 v[4:5], v[154:155]
	s_mov_b32 s12, s5
	s_ashr_i32 s13, s5, 31
	v_lshl_add_u64 v[6:7], s[12:13], 3, v[154:155]
	v_accvgpr_write_b32 a0, v6
	s_add_i32 s4, s5, s5
	v_accvgpr_write_b32 a1, v7
	s_bitcmp0_b32 s14, 0
	s_waitcnt vmcnt(0) lgkmcnt(0)
	scratch_store_dwordx2 off, v[4:5], off
	flat_load_dwordx2 v[4:5], v[6:7]
	v_add_u32_e32 v6, s4, v0
	v_ashrrev_i32_e32 v7, 31, v6
	v_lshl_add_u64 v[8:9], v[6:7], 3, s[0:1]
	v_add_u32_e32 v6, s5, v6
	v_accvgpr_write_b32 a2, v8
	v_ashrrev_i32_e32 v7, 31, v6
	v_accvgpr_write_b32 a3, v9
	s_waitcnt vmcnt(0) lgkmcnt(0)
	scratch_store_dwordx2 off, v[4:5], off offset:8
	flat_load_dwordx2 v[4:5], v[8:9]
	v_lshl_add_u64 v[8:9], v[6:7], 3, s[0:1]
	v_add_u32_e32 v6, s5, v6
	v_accvgpr_write_b32 a4, v8
	v_ashrrev_i32_e32 v7, 31, v6
	v_accvgpr_write_b32 a5, v9
	s_waitcnt vmcnt(0) lgkmcnt(0)
	scratch_store_dwordx2 off, v[4:5], off offset:16
	flat_load_dwordx2 v[4:5], v[8:9]
	;; [unrolled: 8-line block ×9, first 2 shown]
	v_lshl_add_u64 v[8:9], v[6:7], 3, s[0:1]
	v_add_u32_e32 v6, s5, v6
	v_ashrrev_i32_e32 v7, 31, v6
	v_lshl_add_u64 v[178:179], v[6:7], 3, s[0:1]
	v_add_u32_e32 v6, s5, v6
	v_ashrrev_i32_e32 v7, 31, v6
	;; [unrolled: 3-line block ×26, first 2 shown]
	v_lshl_add_u64 v[228:229], v[6:7], 3, s[0:1]
	s_waitcnt vmcnt(0) lgkmcnt(0)
	scratch_store_dwordx2 off, v[4:5], off offset:80
	flat_load_dwordx2 v[4:5], v[8:9]
	v_add_u32_e32 v6, s5, v6
	v_ashrrev_i32_e32 v7, 31, v6
	v_lshl_add_u64 v[230:231], v[6:7], 3, s[0:1]
	v_add_u32_e32 v6, s5, v6
	v_ashrrev_i32_e32 v7, 31, v6
	v_lshl_add_u64 v[232:233], v[6:7], 3, s[0:1]
	;; [unrolled: 3-line block ×10, first 2 shown]
	v_accvgpr_write_b32 a21, v9
	v_accvgpr_write_b32 a20, v8
	s_mov_b64 s[4:5], -1
	s_waitcnt vmcnt(0) lgkmcnt(0)
	scratch_store_dwordx2 off, v[4:5], off offset:88
	flat_load_dwordx2 v[4:5], v[178:179]
	s_waitcnt vmcnt(0) lgkmcnt(0)
	scratch_store_dwordx2 off, v[4:5], off offset:96
	flat_load_dwordx2 v[4:5], v[180:181]
	;; [unrolled: 3-line block ×36, first 2 shown]
	s_waitcnt vmcnt(0) lgkmcnt(0)
	scratch_store_dwordx2 off, v[4:5], off offset:376
	s_cbranch_scc1 .LBB111_204
; %bb.4:
	v_cmp_eq_u32_e64 s[0:1], 0, v0
	s_and_saveexec_b64 s[4:5], s[0:1]
; %bb.5:
	v_mov_b32_e32 v1, 0
	ds_write_b32 v1, v1 offset:768
; %bb.6:
	s_or_b64 exec, exec, s[4:5]
	s_waitcnt lgkmcnt(0)
	; wave barrier
	scratch_load_dwordx2 v[4:5], v2, off
	s_waitcnt vmcnt(0)
	v_cmp_eq_f32_e32 vcc, 0, v4
	v_cmp_eq_f32_e64 s[4:5], 0, v5
	s_and_b64 s[4:5], vcc, s[4:5]
	s_and_saveexec_b64 s[12:13], s[4:5]
	s_cbranch_execz .LBB111_10
; %bb.7:
	v_mov_b32_e32 v1, 0
	ds_read_b32 v4, v1 offset:768
	v_add_u32_e32 v3, 1, v0
	s_waitcnt lgkmcnt(0)
	v_readfirstlane_b32 s4, v4
	s_cmp_eq_u32 s4, 0
	s_cselect_b64 s[14:15], -1, 0
	v_cmp_gt_i32_e32 vcc, s4, v3
	s_or_b64 s[14:15], s[14:15], vcc
	s_and_b64 exec, exec, s[14:15]
	s_cbranch_execz .LBB111_10
; %bb.8:
	s_mov_b64 s[14:15], 0
	v_mov_b32_e32 v4, s4
.LBB111_9:                              ; =>This Inner Loop Header: Depth=1
	ds_cmpst_rtn_b32 v4, v1, v4, v3 offset:768
	s_waitcnt lgkmcnt(0)
	v_cmp_ne_u32_e32 vcc, 0, v4
	v_cmp_le_i32_e64 s[4:5], v4, v3
	s_and_b64 s[4:5], vcc, s[4:5]
	s_and_b64 s[4:5], exec, s[4:5]
	s_or_b64 s[14:15], s[4:5], s[14:15]
	s_andn2_b64 exec, exec, s[14:15]
	s_cbranch_execnz .LBB111_9
.LBB111_10:
	s_or_b64 exec, exec, s[12:13]
	v_mov_b32_e32 v3, 0
	; wave barrier
	ds_read_b32 v1, v3 offset:768
	s_and_saveexec_b64 s[4:5], s[0:1]
	s_cbranch_execz .LBB111_12
; %bb.11:
	s_lshl_b64 s[12:13], s[2:3], 2
	s_add_u32 s12, s6, s12
	s_addc_u32 s13, s7, s13
	s_waitcnt lgkmcnt(0)
	global_store_dword v3, v1, s[12:13]
.LBB111_12:
	s_or_b64 exec, exec, s[4:5]
	s_waitcnt lgkmcnt(0)
	v_cmp_ne_u32_e32 vcc, 0, v1
	s_mov_b64 s[4:5], 0
	s_cbranch_vccnz .LBB111_204
; %bb.13:
	v_mov_b32_e32 v3, v2
	scratch_load_dwordx2 v[4:5], v3, off
                                        ; implicit-def: $vgpr7
                                        ; implicit-def: $vgpr8
	s_waitcnt vmcnt(0)
	v_cmp_ngt_f32_e64 s[4:5], |v4|, |v5|
	s_and_saveexec_b64 s[12:13], s[4:5]
	s_xor_b64 s[4:5], exec, s[12:13]
	s_cbranch_execz .LBB111_15
; %bb.14:
	v_div_scale_f32 v1, s[12:13], v5, v5, v4
	v_rcp_f32_e32 v6, v1
	v_div_scale_f32 v7, vcc, v4, v5, v4
	v_fma_f32 v8, -v1, v6, 1.0
	v_fmac_f32_e32 v6, v8, v6
	v_mul_f32_e32 v8, v7, v6
	v_fma_f32 v9, -v1, v8, v7
	v_fmac_f32_e32 v8, v9, v6
	v_fma_f32 v1, -v1, v8, v7
	v_div_fmas_f32 v1, v1, v6, v8
	v_div_fixup_f32 v1, v1, v5, v4
	v_fmac_f32_e32 v5, v4, v1
	v_div_scale_f32 v4, s[12:13], v5, v5, -1.0
	v_rcp_f32_e32 v6, v4
	s_nop 0
	v_fma_f32 v7, -v4, v6, 1.0
	v_fmac_f32_e32 v6, v7, v6
	v_div_scale_f32 v7, vcc, -1.0, v5, -1.0
	v_mul_f32_e32 v8, v7, v6
	v_fma_f32 v9, -v4, v8, v7
	v_fmac_f32_e32 v8, v9, v6
	v_fma_f32 v4, -v4, v8, v7
	v_div_fmas_f32 v4, v4, v6, v8
	v_div_fixup_f32 v7, v4, v5, -1.0
	v_mul_f32_e32 v8, v1, v7
	v_xor_b32_e32 v6, 0x80000000, v8
                                        ; implicit-def: $vgpr4_vgpr5
.LBB111_15:
	s_andn2_saveexec_b64 s[4:5], s[4:5]
	s_cbranch_execz .LBB111_17
; %bb.16:
	v_div_scale_f32 v1, s[12:13], v4, v4, v5
	v_rcp_f32_e32 v6, v1
	v_div_scale_f32 v7, vcc, v5, v4, v5
	v_fma_f32 v8, -v1, v6, 1.0
	v_fmac_f32_e32 v6, v8, v6
	v_mul_f32_e32 v8, v7, v6
	v_fma_f32 v9, -v1, v8, v7
	v_fmac_f32_e32 v8, v9, v6
	v_fma_f32 v1, -v1, v8, v7
	v_div_fmas_f32 v1, v1, v6, v8
	v_div_fixup_f32 v1, v1, v4, v5
	v_fmac_f32_e32 v4, v5, v1
	v_div_scale_f32 v5, s[12:13], v4, v4, 1.0
	v_rcp_f32_e32 v6, v5
	s_nop 0
	v_fma_f32 v7, -v5, v6, 1.0
	v_fmac_f32_e32 v6, v7, v6
	v_div_scale_f32 v7, vcc, 1.0, v4, 1.0
	v_mul_f32_e32 v8, v7, v6
	v_fma_f32 v9, -v5, v8, v7
	v_fmac_f32_e32 v8, v9, v6
	v_fma_f32 v5, -v5, v8, v7
	v_div_fmas_f32 v5, v5, v6, v8
	v_div_fixup_f32 v6, v5, v4, 1.0
	v_xor_b32_e32 v8, 0x80000000, v6
	v_mul_f32_e64 v7, v1, -v6
.LBB111_17:
	s_or_b64 exec, exec, s[4:5]
	scratch_store_dwordx2 v3, v[6:7], off
	scratch_load_dwordx2 v[4:5], off, off offset:8
	v_xor_b32_e32 v9, 0x80000000, v7
	v_add_u32_e32 v1, 0x180, v2
	s_waitcnt vmcnt(0)
	ds_write2_b64 v2, v[8:9], v[4:5] offset1:48
	s_waitcnt lgkmcnt(0)
	; wave barrier
	s_and_saveexec_b64 s[4:5], s[0:1]
	s_cbranch_execz .LBB111_19
; %bb.18:
	scratch_load_dwordx2 v[4:5], v3, off
	ds_read_b64 v[6:7], v1
	v_mov_b32_e32 v8, 0
	ds_read_b64 v[8:9], v8 offset:8
	s_waitcnt vmcnt(0) lgkmcnt(1)
	v_pk_mul_f32 v[10:11], v[6:7], v[4:5] op_sel:[1,1] op_sel_hi:[0,1]
	v_pk_fma_f32 v[12:13], v[6:7], v[4:5], v[10:11] neg_lo:[0,0,1] neg_hi:[0,0,1]
	v_pk_fma_f32 v[4:5], v[6:7], v[4:5], v[10:11] op_sel_hi:[1,0,1]
	s_nop 0
	v_mov_b32_e32 v13, v5
	v_pk_add_f32 v[4:5], v[12:13], 0 op_sel_hi:[1,0]
	s_waitcnt lgkmcnt(0)
	v_pk_mul_f32 v[6:7], v[4:5], v[8:9] op_sel:[1,1] op_sel_hi:[0,1]
	v_pk_fma_f32 v[10:11], v[4:5], v[8:9], v[6:7] neg_lo:[0,0,1] neg_hi:[0,0,1]
	v_pk_fma_f32 v[4:5], v[4:5], v[8:9], v[6:7] op_sel_hi:[1,0,1]
	s_nop 0
	v_mov_b32_e32 v11, v5
	scratch_store_dwordx2 off, v[10:11], off offset:8
.LBB111_19:
	s_or_b64 exec, exec, s[4:5]
	; wave barrier
	scratch_load_dwordx2 v[4:5], off, off offset:16
	v_cmp_gt_u32_e32 vcc, 2, v0
	s_waitcnt vmcnt(0)
	ds_write_b64 v1, v[4:5]
	s_waitcnt lgkmcnt(0)
	; wave barrier
	s_and_saveexec_b64 s[4:5], vcc
	s_cbranch_execz .LBB111_23
; %bb.20:
	scratch_load_dwordx2 v[4:5], v3, off
	ds_read_b64 v[6:7], v1
	s_waitcnt vmcnt(0) lgkmcnt(0)
	v_pk_mul_f32 v[8:9], v[6:7], v[4:5] op_sel:[1,1] op_sel_hi:[0,1]
	v_pk_fma_f32 v[10:11], v[6:7], v[4:5], v[8:9] neg_lo:[0,0,1] neg_hi:[0,0,1]
	v_pk_fma_f32 v[4:5], v[6:7], v[4:5], v[8:9] op_sel_hi:[1,0,1]
	s_nop 0
	v_mov_b32_e32 v11, v5
	v_pk_add_f32 v[4:5], v[10:11], 0 op_sel_hi:[1,0]
	s_and_saveexec_b64 s[12:13], s[0:1]
	s_cbranch_execz .LBB111_22
; %bb.21:
	scratch_load_dwordx2 v[6:7], off, off offset:8
	v_mov_b32_e32 v3, 0
	ds_read_b64 v[8:9], v3 offset:392
	s_waitcnt vmcnt(0) lgkmcnt(0)
	v_pk_mul_f32 v[10:11], v[8:9], v[6:7] op_sel:[1,1] op_sel_hi:[0,1]
	v_pk_fma_f32 v[12:13], v[8:9], v[6:7], v[10:11] neg_lo:[0,0,1] neg_hi:[0,0,1]
	v_pk_fma_f32 v[6:7], v[8:9], v[6:7], v[10:11] op_sel_hi:[1,0,1]
	s_nop 0
	v_mov_b32_e32 v13, v7
	v_pk_add_f32 v[4:5], v[4:5], v[12:13]
.LBB111_22:
	s_or_b64 exec, exec, s[12:13]
	v_mov_b32_e32 v3, 0
	ds_read_b64 v[6:7], v3 offset:16
	s_waitcnt lgkmcnt(0)
	v_pk_mul_f32 v[8:9], v[4:5], v[6:7] op_sel:[1,1] op_sel_hi:[0,1]
	v_pk_fma_f32 v[10:11], v[4:5], v[6:7], v[8:9] neg_lo:[0,0,1] neg_hi:[0,0,1]
	v_pk_fma_f32 v[4:5], v[4:5], v[6:7], v[8:9] op_sel_hi:[1,0,1]
	s_nop 0
	v_mov_b32_e32 v11, v5
	scratch_store_dwordx2 off, v[10:11], off offset:16
.LBB111_23:
	s_or_b64 exec, exec, s[4:5]
	; wave barrier
	scratch_load_dwordx2 v[4:5], off, off offset:24
	v_cmp_gt_u32_e32 vcc, 3, v0
	v_add_u32_e32 v6, -1, v0
	s_waitcnt vmcnt(0)
	ds_write_b64 v1, v[4:5]
	s_waitcnt lgkmcnt(0)
	; wave barrier
	s_and_saveexec_b64 s[0:1], vcc
	s_cbranch_execz .LBB111_27
; %bb.24:
	v_mov_b32_e32 v4, 0
	v_add_u32_e32 v3, -1, v0
	v_add_u32_e32 v7, 0x180, v2
	v_mov_b32_e32 v8, v2
	s_mov_b64 s[4:5], 0
	v_mov_b32_e32 v5, v4
.LBB111_25:                             ; =>This Inner Loop Header: Depth=1
	scratch_load_dwordx2 v[10:11], v8, off
	ds_read_b64 v[12:13], v7
	v_add_u32_e32 v3, 1, v3
	v_cmp_lt_u32_e32 vcc, 1, v3
	v_add_u32_e32 v7, 8, v7
	v_add_u32_e32 v8, 8, v8
	s_or_b64 s[4:5], vcc, s[4:5]
	s_waitcnt vmcnt(0) lgkmcnt(0)
	v_pk_mul_f32 v[14:15], v[12:13], v[10:11] op_sel:[1,1] op_sel_hi:[0,1]
	v_pk_fma_f32 v[16:17], v[12:13], v[10:11], v[14:15] neg_lo:[0,0,1] neg_hi:[0,0,1]
	v_pk_fma_f32 v[10:11], v[12:13], v[10:11], v[14:15] op_sel_hi:[1,0,1]
	s_nop 0
	v_mov_b32_e32 v17, v11
	v_pk_add_f32 v[4:5], v[4:5], v[16:17]
	s_andn2_b64 exec, exec, s[4:5]
	s_cbranch_execnz .LBB111_25
; %bb.26:
	s_or_b64 exec, exec, s[4:5]
	v_mov_b32_e32 v3, 0
	ds_read_b64 v[8:9], v3 offset:24
	s_waitcnt lgkmcnt(0)
	v_pk_mul_f32 v[10:11], v[4:5], v[8:9] op_sel:[1,1] op_sel_hi:[0,1]
	v_pk_fma_f32 v[12:13], v[4:5], v[8:9], v[10:11] neg_lo:[0,0,1] neg_hi:[0,0,1]
	v_pk_fma_f32 v[4:5], v[4:5], v[8:9], v[10:11] op_sel_hi:[1,0,1]
	s_nop 0
	v_mov_b32_e32 v13, v5
	scratch_store_dwordx2 off, v[12:13], off offset:24
.LBB111_27:
	s_or_b64 exec, exec, s[0:1]
	; wave barrier
	scratch_load_dwordx2 v[4:5], off, off offset:32
	v_cmp_gt_u32_e32 vcc, 4, v0
	s_waitcnt vmcnt(0)
	ds_write_b64 v1, v[4:5]
	s_waitcnt lgkmcnt(0)
	; wave barrier
	s_and_saveexec_b64 s[0:1], vcc
	s_cbranch_execz .LBB111_31
; %bb.28:
	v_mov_b32_e32 v4, 0
	v_add_u32_e32 v3, -1, v0
	v_add_u32_e32 v7, 0x180, v2
	v_mov_b32_e32 v8, v2
	s_mov_b64 s[4:5], 0
	v_mov_b32_e32 v5, v4
.LBB111_29:                             ; =>This Inner Loop Header: Depth=1
	scratch_load_dwordx2 v[10:11], v8, off
	ds_read_b64 v[12:13], v7
	v_add_u32_e32 v3, 1, v3
	v_cmp_lt_u32_e32 vcc, 2, v3
	v_add_u32_e32 v7, 8, v7
	v_add_u32_e32 v8, 8, v8
	s_or_b64 s[4:5], vcc, s[4:5]
	s_waitcnt vmcnt(0) lgkmcnt(0)
	v_pk_mul_f32 v[14:15], v[12:13], v[10:11] op_sel:[1,1] op_sel_hi:[0,1]
	v_pk_fma_f32 v[16:17], v[12:13], v[10:11], v[14:15] neg_lo:[0,0,1] neg_hi:[0,0,1]
	v_pk_fma_f32 v[10:11], v[12:13], v[10:11], v[14:15] op_sel_hi:[1,0,1]
	s_nop 0
	v_mov_b32_e32 v17, v11
	v_pk_add_f32 v[4:5], v[4:5], v[16:17]
	s_andn2_b64 exec, exec, s[4:5]
	s_cbranch_execnz .LBB111_29
; %bb.30:
	s_or_b64 exec, exec, s[4:5]
	v_mov_b32_e32 v3, 0
	ds_read_b64 v[8:9], v3 offset:32
	s_waitcnt lgkmcnt(0)
	v_pk_mul_f32 v[10:11], v[4:5], v[8:9] op_sel:[1,1] op_sel_hi:[0,1]
	v_pk_fma_f32 v[12:13], v[4:5], v[8:9], v[10:11] neg_lo:[0,0,1] neg_hi:[0,0,1]
	v_pk_fma_f32 v[4:5], v[4:5], v[8:9], v[10:11] op_sel_hi:[1,0,1]
	s_nop 0
	v_mov_b32_e32 v13, v5
	scratch_store_dwordx2 off, v[12:13], off offset:32
.LBB111_31:
	s_or_b64 exec, exec, s[0:1]
	; wave barrier
	scratch_load_dwordx2 v[4:5], off, off offset:40
	v_cmp_gt_u32_e32 vcc, 5, v0
	;; [unrolled: 46-line block ×19, first 2 shown]
	s_waitcnt vmcnt(0)
	ds_write_b64 v1, v[4:5]
	s_waitcnt lgkmcnt(0)
	; wave barrier
	s_and_saveexec_b64 s[0:1], vcc
	s_cbranch_execz .LBB111_103
; %bb.100:
	v_mov_b32_e32 v4, 0
	v_add_u32_e32 v3, -1, v0
	v_add_u32_e32 v7, 0x180, v2
	v_mov_b32_e32 v8, v2
	s_mov_b64 s[4:5], 0
	v_mov_b32_e32 v5, v4
.LBB111_101:                            ; =>This Inner Loop Header: Depth=1
	scratch_load_dwordx2 v[10:11], v8, off
	ds_read_b64 v[12:13], v7
	v_add_u32_e32 v3, 1, v3
	v_cmp_lt_u32_e32 vcc, 20, v3
	v_add_u32_e32 v7, 8, v7
	v_add_u32_e32 v8, 8, v8
	s_or_b64 s[4:5], vcc, s[4:5]
	s_waitcnt vmcnt(0) lgkmcnt(0)
	v_pk_mul_f32 v[14:15], v[12:13], v[10:11] op_sel:[1,1] op_sel_hi:[0,1]
	v_pk_fma_f32 v[16:17], v[12:13], v[10:11], v[14:15] neg_lo:[0,0,1] neg_hi:[0,0,1]
	v_pk_fma_f32 v[10:11], v[12:13], v[10:11], v[14:15] op_sel_hi:[1,0,1]
	s_nop 0
	v_mov_b32_e32 v17, v11
	v_pk_add_f32 v[4:5], v[4:5], v[16:17]
	s_andn2_b64 exec, exec, s[4:5]
	s_cbranch_execnz .LBB111_101
; %bb.102:
	s_or_b64 exec, exec, s[4:5]
	v_mov_b32_e32 v3, 0
	ds_read_b64 v[8:9], v3 offset:176
	s_waitcnt lgkmcnt(0)
	v_pk_mul_f32 v[10:11], v[4:5], v[8:9] op_sel:[1,1] op_sel_hi:[0,1]
	v_pk_fma_f32 v[12:13], v[4:5], v[8:9], v[10:11] neg_lo:[0,0,1] neg_hi:[0,0,1]
	v_pk_fma_f32 v[4:5], v[4:5], v[8:9], v[10:11] op_sel_hi:[1,0,1]
	s_nop 0
	v_mov_b32_e32 v13, v5
	scratch_store_dwordx2 off, v[12:13], off offset:176
.LBB111_103:
	s_or_b64 exec, exec, s[0:1]
	; wave barrier
	scratch_load_dwordx2 v[4:5], off, off offset:184
	v_cmp_gt_u32_e32 vcc, 23, v0
	s_waitcnt vmcnt(0)
	ds_write_b64 v1, v[4:5]
	s_waitcnt lgkmcnt(0)
	; wave barrier
	s_and_saveexec_b64 s[0:1], vcc
	s_cbranch_execz .LBB111_107
; %bb.104:
	v_mov_b32_e32 v4, 0
	v_add_u32_e32 v3, -1, v0
	v_add_u32_e32 v7, 0x180, v2
	v_mov_b32_e32 v8, v2
	s_mov_b64 s[4:5], 0
	v_mov_b32_e32 v5, v4
.LBB111_105:                            ; =>This Inner Loop Header: Depth=1
	scratch_load_dwordx2 v[10:11], v8, off
	ds_read_b64 v[12:13], v7
	v_add_u32_e32 v3, 1, v3
	v_cmp_lt_u32_e32 vcc, 21, v3
	v_add_u32_e32 v7, 8, v7
	v_add_u32_e32 v8, 8, v8
	s_or_b64 s[4:5], vcc, s[4:5]
	s_waitcnt vmcnt(0) lgkmcnt(0)
	v_pk_mul_f32 v[14:15], v[12:13], v[10:11] op_sel:[1,1] op_sel_hi:[0,1]
	v_pk_fma_f32 v[16:17], v[12:13], v[10:11], v[14:15] neg_lo:[0,0,1] neg_hi:[0,0,1]
	v_pk_fma_f32 v[10:11], v[12:13], v[10:11], v[14:15] op_sel_hi:[1,0,1]
	s_nop 0
	v_mov_b32_e32 v17, v11
	v_pk_add_f32 v[4:5], v[4:5], v[16:17]
	s_andn2_b64 exec, exec, s[4:5]
	s_cbranch_execnz .LBB111_105
; %bb.106:
	s_or_b64 exec, exec, s[4:5]
	v_mov_b32_e32 v3, 0
	ds_read_b64 v[8:9], v3 offset:184
	s_waitcnt lgkmcnt(0)
	v_pk_mul_f32 v[10:11], v[4:5], v[8:9] op_sel:[1,1] op_sel_hi:[0,1]
	v_pk_fma_f32 v[12:13], v[4:5], v[8:9], v[10:11] neg_lo:[0,0,1] neg_hi:[0,0,1]
	v_pk_fma_f32 v[4:5], v[4:5], v[8:9], v[10:11] op_sel_hi:[1,0,1]
	s_nop 0
	v_mov_b32_e32 v13, v5
	scratch_store_dwordx2 off, v[12:13], off offset:184
.LBB111_107:
	s_or_b64 exec, exec, s[0:1]
	; wave barrier
	scratch_load_dwordx2 v[4:5], off, off offset:192
	v_cmp_gt_u32_e32 vcc, 24, v0
	s_waitcnt vmcnt(0)
	ds_write_b64 v1, v[4:5]
	s_waitcnt lgkmcnt(0)
	; wave barrier
	s_and_saveexec_b64 s[0:1], vcc
	s_cbranch_execz .LBB111_111
; %bb.108:
	v_mov_b32_e32 v4, 0
	v_add_u32_e32 v3, -1, v0
	v_add_u32_e32 v7, 0x180, v2
	v_mov_b32_e32 v8, v2
	s_mov_b64 s[4:5], 0
	v_mov_b32_e32 v5, v4
.LBB111_109:                            ; =>This Inner Loop Header: Depth=1
	scratch_load_dwordx2 v[10:11], v8, off
	ds_read_b64 v[12:13], v7
	v_add_u32_e32 v3, 1, v3
	v_cmp_lt_u32_e32 vcc, 22, v3
	v_add_u32_e32 v7, 8, v7
	v_add_u32_e32 v8, 8, v8
	s_or_b64 s[4:5], vcc, s[4:5]
	s_waitcnt vmcnt(0) lgkmcnt(0)
	v_pk_mul_f32 v[14:15], v[12:13], v[10:11] op_sel:[1,1] op_sel_hi:[0,1]
	v_pk_fma_f32 v[16:17], v[12:13], v[10:11], v[14:15] neg_lo:[0,0,1] neg_hi:[0,0,1]
	v_pk_fma_f32 v[10:11], v[12:13], v[10:11], v[14:15] op_sel_hi:[1,0,1]
	s_nop 0
	v_mov_b32_e32 v17, v11
	v_pk_add_f32 v[4:5], v[4:5], v[16:17]
	s_andn2_b64 exec, exec, s[4:5]
	s_cbranch_execnz .LBB111_109
; %bb.110:
	s_or_b64 exec, exec, s[4:5]
	v_mov_b32_e32 v3, 0
	ds_read_b64 v[8:9], v3 offset:192
	s_waitcnt lgkmcnt(0)
	v_pk_mul_f32 v[10:11], v[4:5], v[8:9] op_sel:[1,1] op_sel_hi:[0,1]
	v_pk_fma_f32 v[12:13], v[4:5], v[8:9], v[10:11] neg_lo:[0,0,1] neg_hi:[0,0,1]
	v_pk_fma_f32 v[4:5], v[4:5], v[8:9], v[10:11] op_sel_hi:[1,0,1]
	s_nop 0
	v_mov_b32_e32 v13, v5
	scratch_store_dwordx2 off, v[12:13], off offset:192
.LBB111_111:
	s_or_b64 exec, exec, s[0:1]
	; wave barrier
	scratch_load_dwordx2 v[4:5], off, off offset:200
	v_cmp_gt_u32_e32 vcc, 25, v0
	s_waitcnt vmcnt(0)
	ds_write_b64 v1, v[4:5]
	s_waitcnt lgkmcnt(0)
	; wave barrier
	s_and_saveexec_b64 s[0:1], vcc
	s_cbranch_execz .LBB111_115
; %bb.112:
	v_mov_b32_e32 v4, 0
	v_add_u32_e32 v3, -1, v0
	v_add_u32_e32 v7, 0x180, v2
	v_mov_b32_e32 v8, v2
	s_mov_b64 s[4:5], 0
	v_mov_b32_e32 v5, v4
.LBB111_113:                            ; =>This Inner Loop Header: Depth=1
	scratch_load_dwordx2 v[10:11], v8, off
	ds_read_b64 v[12:13], v7
	v_add_u32_e32 v3, 1, v3
	v_cmp_lt_u32_e32 vcc, 23, v3
	v_add_u32_e32 v7, 8, v7
	v_add_u32_e32 v8, 8, v8
	s_or_b64 s[4:5], vcc, s[4:5]
	s_waitcnt vmcnt(0) lgkmcnt(0)
	v_pk_mul_f32 v[14:15], v[12:13], v[10:11] op_sel:[1,1] op_sel_hi:[0,1]
	v_pk_fma_f32 v[16:17], v[12:13], v[10:11], v[14:15] neg_lo:[0,0,1] neg_hi:[0,0,1]
	v_pk_fma_f32 v[10:11], v[12:13], v[10:11], v[14:15] op_sel_hi:[1,0,1]
	s_nop 0
	v_mov_b32_e32 v17, v11
	v_pk_add_f32 v[4:5], v[4:5], v[16:17]
	s_andn2_b64 exec, exec, s[4:5]
	s_cbranch_execnz .LBB111_113
; %bb.114:
	s_or_b64 exec, exec, s[4:5]
	v_mov_b32_e32 v3, 0
	ds_read_b64 v[8:9], v3 offset:200
	s_waitcnt lgkmcnt(0)
	v_pk_mul_f32 v[10:11], v[4:5], v[8:9] op_sel:[1,1] op_sel_hi:[0,1]
	v_pk_fma_f32 v[12:13], v[4:5], v[8:9], v[10:11] neg_lo:[0,0,1] neg_hi:[0,0,1]
	v_pk_fma_f32 v[4:5], v[4:5], v[8:9], v[10:11] op_sel_hi:[1,0,1]
	s_nop 0
	v_mov_b32_e32 v13, v5
	scratch_store_dwordx2 off, v[12:13], off offset:200
.LBB111_115:
	s_or_b64 exec, exec, s[0:1]
	; wave barrier
	scratch_load_dwordx2 v[4:5], off, off offset:208
	v_cmp_gt_u32_e32 vcc, 26, v0
	s_waitcnt vmcnt(0)
	ds_write_b64 v1, v[4:5]
	s_waitcnt lgkmcnt(0)
	; wave barrier
	s_and_saveexec_b64 s[0:1], vcc
	s_cbranch_execz .LBB111_119
; %bb.116:
	v_mov_b32_e32 v4, 0
	v_add_u32_e32 v3, -1, v0
	v_add_u32_e32 v7, 0x180, v2
	v_mov_b32_e32 v8, v2
	s_mov_b64 s[4:5], 0
	v_mov_b32_e32 v5, v4
.LBB111_117:                            ; =>This Inner Loop Header: Depth=1
	scratch_load_dwordx2 v[10:11], v8, off
	ds_read_b64 v[12:13], v7
	v_add_u32_e32 v3, 1, v3
	v_cmp_lt_u32_e32 vcc, 24, v3
	v_add_u32_e32 v7, 8, v7
	v_add_u32_e32 v8, 8, v8
	s_or_b64 s[4:5], vcc, s[4:5]
	s_waitcnt vmcnt(0) lgkmcnt(0)
	v_pk_mul_f32 v[14:15], v[12:13], v[10:11] op_sel:[1,1] op_sel_hi:[0,1]
	v_pk_fma_f32 v[16:17], v[12:13], v[10:11], v[14:15] neg_lo:[0,0,1] neg_hi:[0,0,1]
	v_pk_fma_f32 v[10:11], v[12:13], v[10:11], v[14:15] op_sel_hi:[1,0,1]
	s_nop 0
	v_mov_b32_e32 v17, v11
	v_pk_add_f32 v[4:5], v[4:5], v[16:17]
	s_andn2_b64 exec, exec, s[4:5]
	s_cbranch_execnz .LBB111_117
; %bb.118:
	s_or_b64 exec, exec, s[4:5]
	v_mov_b32_e32 v3, 0
	ds_read_b64 v[8:9], v3 offset:208
	s_waitcnt lgkmcnt(0)
	v_pk_mul_f32 v[10:11], v[4:5], v[8:9] op_sel:[1,1] op_sel_hi:[0,1]
	v_pk_fma_f32 v[12:13], v[4:5], v[8:9], v[10:11] neg_lo:[0,0,1] neg_hi:[0,0,1]
	v_pk_fma_f32 v[4:5], v[4:5], v[8:9], v[10:11] op_sel_hi:[1,0,1]
	s_nop 0
	v_mov_b32_e32 v13, v5
	scratch_store_dwordx2 off, v[12:13], off offset:208
.LBB111_119:
	s_or_b64 exec, exec, s[0:1]
	; wave barrier
	scratch_load_dwordx2 v[4:5], off, off offset:216
	v_cmp_gt_u32_e32 vcc, 27, v0
	s_waitcnt vmcnt(0)
	ds_write_b64 v1, v[4:5]
	s_waitcnt lgkmcnt(0)
	; wave barrier
	s_and_saveexec_b64 s[0:1], vcc
	s_cbranch_execz .LBB111_123
; %bb.120:
	v_mov_b32_e32 v4, 0
	v_add_u32_e32 v3, -1, v0
	v_add_u32_e32 v7, 0x180, v2
	v_mov_b32_e32 v8, v2
	s_mov_b64 s[4:5], 0
	v_mov_b32_e32 v5, v4
.LBB111_121:                            ; =>This Inner Loop Header: Depth=1
	scratch_load_dwordx2 v[10:11], v8, off
	ds_read_b64 v[12:13], v7
	v_add_u32_e32 v3, 1, v3
	v_cmp_lt_u32_e32 vcc, 25, v3
	v_add_u32_e32 v7, 8, v7
	v_add_u32_e32 v8, 8, v8
	s_or_b64 s[4:5], vcc, s[4:5]
	s_waitcnt vmcnt(0) lgkmcnt(0)
	v_pk_mul_f32 v[14:15], v[12:13], v[10:11] op_sel:[1,1] op_sel_hi:[0,1]
	v_pk_fma_f32 v[16:17], v[12:13], v[10:11], v[14:15] neg_lo:[0,0,1] neg_hi:[0,0,1]
	v_pk_fma_f32 v[10:11], v[12:13], v[10:11], v[14:15] op_sel_hi:[1,0,1]
	s_nop 0
	v_mov_b32_e32 v17, v11
	v_pk_add_f32 v[4:5], v[4:5], v[16:17]
	s_andn2_b64 exec, exec, s[4:5]
	s_cbranch_execnz .LBB111_121
; %bb.122:
	s_or_b64 exec, exec, s[4:5]
	v_mov_b32_e32 v3, 0
	ds_read_b64 v[8:9], v3 offset:216
	s_waitcnt lgkmcnt(0)
	v_pk_mul_f32 v[10:11], v[4:5], v[8:9] op_sel:[1,1] op_sel_hi:[0,1]
	v_pk_fma_f32 v[12:13], v[4:5], v[8:9], v[10:11] neg_lo:[0,0,1] neg_hi:[0,0,1]
	v_pk_fma_f32 v[4:5], v[4:5], v[8:9], v[10:11] op_sel_hi:[1,0,1]
	s_nop 0
	v_mov_b32_e32 v13, v5
	scratch_store_dwordx2 off, v[12:13], off offset:216
.LBB111_123:
	s_or_b64 exec, exec, s[0:1]
	; wave barrier
	scratch_load_dwordx2 v[4:5], off, off offset:224
	v_cmp_gt_u32_e32 vcc, 28, v0
	s_waitcnt vmcnt(0)
	ds_write_b64 v1, v[4:5]
	s_waitcnt lgkmcnt(0)
	; wave barrier
	s_and_saveexec_b64 s[0:1], vcc
	s_cbranch_execz .LBB111_127
; %bb.124:
	v_mov_b32_e32 v4, 0
	v_add_u32_e32 v3, -1, v0
	v_add_u32_e32 v7, 0x180, v2
	v_mov_b32_e32 v8, v2
	s_mov_b64 s[4:5], 0
	v_mov_b32_e32 v5, v4
.LBB111_125:                            ; =>This Inner Loop Header: Depth=1
	scratch_load_dwordx2 v[10:11], v8, off
	ds_read_b64 v[12:13], v7
	v_add_u32_e32 v3, 1, v3
	v_cmp_lt_u32_e32 vcc, 26, v3
	v_add_u32_e32 v7, 8, v7
	v_add_u32_e32 v8, 8, v8
	s_or_b64 s[4:5], vcc, s[4:5]
	s_waitcnt vmcnt(0) lgkmcnt(0)
	v_pk_mul_f32 v[14:15], v[12:13], v[10:11] op_sel:[1,1] op_sel_hi:[0,1]
	v_pk_fma_f32 v[16:17], v[12:13], v[10:11], v[14:15] neg_lo:[0,0,1] neg_hi:[0,0,1]
	v_pk_fma_f32 v[10:11], v[12:13], v[10:11], v[14:15] op_sel_hi:[1,0,1]
	s_nop 0
	v_mov_b32_e32 v17, v11
	v_pk_add_f32 v[4:5], v[4:5], v[16:17]
	s_andn2_b64 exec, exec, s[4:5]
	s_cbranch_execnz .LBB111_125
; %bb.126:
	s_or_b64 exec, exec, s[4:5]
	v_mov_b32_e32 v3, 0
	ds_read_b64 v[8:9], v3 offset:224
	s_waitcnt lgkmcnt(0)
	v_pk_mul_f32 v[10:11], v[4:5], v[8:9] op_sel:[1,1] op_sel_hi:[0,1]
	v_pk_fma_f32 v[12:13], v[4:5], v[8:9], v[10:11] neg_lo:[0,0,1] neg_hi:[0,0,1]
	v_pk_fma_f32 v[4:5], v[4:5], v[8:9], v[10:11] op_sel_hi:[1,0,1]
	s_nop 0
	v_mov_b32_e32 v13, v5
	scratch_store_dwordx2 off, v[12:13], off offset:224
.LBB111_127:
	s_or_b64 exec, exec, s[0:1]
	; wave barrier
	scratch_load_dwordx2 v[4:5], off, off offset:232
	v_cmp_gt_u32_e32 vcc, 29, v0
	s_waitcnt vmcnt(0)
	ds_write_b64 v1, v[4:5]
	s_waitcnt lgkmcnt(0)
	; wave barrier
	s_and_saveexec_b64 s[0:1], vcc
	s_cbranch_execz .LBB111_131
; %bb.128:
	v_mov_b32_e32 v4, 0
	v_add_u32_e32 v3, -1, v0
	v_add_u32_e32 v7, 0x180, v2
	v_mov_b32_e32 v8, v2
	s_mov_b64 s[4:5], 0
	v_mov_b32_e32 v5, v4
.LBB111_129:                            ; =>This Inner Loop Header: Depth=1
	scratch_load_dwordx2 v[10:11], v8, off
	ds_read_b64 v[12:13], v7
	v_add_u32_e32 v3, 1, v3
	v_cmp_lt_u32_e32 vcc, 27, v3
	v_add_u32_e32 v7, 8, v7
	v_add_u32_e32 v8, 8, v8
	s_or_b64 s[4:5], vcc, s[4:5]
	s_waitcnt vmcnt(0) lgkmcnt(0)
	v_pk_mul_f32 v[14:15], v[12:13], v[10:11] op_sel:[1,1] op_sel_hi:[0,1]
	v_pk_fma_f32 v[16:17], v[12:13], v[10:11], v[14:15] neg_lo:[0,0,1] neg_hi:[0,0,1]
	v_pk_fma_f32 v[10:11], v[12:13], v[10:11], v[14:15] op_sel_hi:[1,0,1]
	s_nop 0
	v_mov_b32_e32 v17, v11
	v_pk_add_f32 v[4:5], v[4:5], v[16:17]
	s_andn2_b64 exec, exec, s[4:5]
	s_cbranch_execnz .LBB111_129
; %bb.130:
	s_or_b64 exec, exec, s[4:5]
	v_mov_b32_e32 v3, 0
	ds_read_b64 v[8:9], v3 offset:232
	s_waitcnt lgkmcnt(0)
	v_pk_mul_f32 v[10:11], v[4:5], v[8:9] op_sel:[1,1] op_sel_hi:[0,1]
	v_pk_fma_f32 v[12:13], v[4:5], v[8:9], v[10:11] neg_lo:[0,0,1] neg_hi:[0,0,1]
	v_pk_fma_f32 v[4:5], v[4:5], v[8:9], v[10:11] op_sel_hi:[1,0,1]
	s_nop 0
	v_mov_b32_e32 v13, v5
	scratch_store_dwordx2 off, v[12:13], off offset:232
.LBB111_131:
	s_or_b64 exec, exec, s[0:1]
	; wave barrier
	scratch_load_dwordx2 v[4:5], off, off offset:240
	v_cmp_gt_u32_e32 vcc, 30, v0
	s_waitcnt vmcnt(0)
	ds_write_b64 v1, v[4:5]
	s_waitcnt lgkmcnt(0)
	; wave barrier
	s_and_saveexec_b64 s[0:1], vcc
	s_cbranch_execz .LBB111_135
; %bb.132:
	v_mov_b32_e32 v4, 0
	v_add_u32_e32 v3, -1, v0
	v_add_u32_e32 v7, 0x180, v2
	v_mov_b32_e32 v8, v2
	s_mov_b64 s[4:5], 0
	v_mov_b32_e32 v5, v4
.LBB111_133:                            ; =>This Inner Loop Header: Depth=1
	scratch_load_dwordx2 v[10:11], v8, off
	ds_read_b64 v[12:13], v7
	v_add_u32_e32 v3, 1, v3
	v_cmp_lt_u32_e32 vcc, 28, v3
	v_add_u32_e32 v7, 8, v7
	v_add_u32_e32 v8, 8, v8
	s_or_b64 s[4:5], vcc, s[4:5]
	s_waitcnt vmcnt(0) lgkmcnt(0)
	v_pk_mul_f32 v[14:15], v[12:13], v[10:11] op_sel:[1,1] op_sel_hi:[0,1]
	v_pk_fma_f32 v[16:17], v[12:13], v[10:11], v[14:15] neg_lo:[0,0,1] neg_hi:[0,0,1]
	v_pk_fma_f32 v[10:11], v[12:13], v[10:11], v[14:15] op_sel_hi:[1,0,1]
	s_nop 0
	v_mov_b32_e32 v17, v11
	v_pk_add_f32 v[4:5], v[4:5], v[16:17]
	s_andn2_b64 exec, exec, s[4:5]
	s_cbranch_execnz .LBB111_133
; %bb.134:
	s_or_b64 exec, exec, s[4:5]
	v_mov_b32_e32 v3, 0
	ds_read_b64 v[8:9], v3 offset:240
	s_waitcnt lgkmcnt(0)
	v_pk_mul_f32 v[10:11], v[4:5], v[8:9] op_sel:[1,1] op_sel_hi:[0,1]
	v_pk_fma_f32 v[12:13], v[4:5], v[8:9], v[10:11] neg_lo:[0,0,1] neg_hi:[0,0,1]
	v_pk_fma_f32 v[4:5], v[4:5], v[8:9], v[10:11] op_sel_hi:[1,0,1]
	s_nop 0
	v_mov_b32_e32 v13, v5
	scratch_store_dwordx2 off, v[12:13], off offset:240
.LBB111_135:
	s_or_b64 exec, exec, s[0:1]
	; wave barrier
	scratch_load_dwordx2 v[4:5], off, off offset:248
	v_cmp_gt_u32_e32 vcc, 31, v0
	s_waitcnt vmcnt(0)
	ds_write_b64 v1, v[4:5]
	s_waitcnt lgkmcnt(0)
	; wave barrier
	s_and_saveexec_b64 s[0:1], vcc
	s_cbranch_execz .LBB111_139
; %bb.136:
	v_mov_b32_e32 v4, 0
	v_add_u32_e32 v3, -1, v0
	v_add_u32_e32 v7, 0x180, v2
	v_mov_b32_e32 v8, v2
	s_mov_b64 s[4:5], 0
	v_mov_b32_e32 v5, v4
.LBB111_137:                            ; =>This Inner Loop Header: Depth=1
	scratch_load_dwordx2 v[10:11], v8, off
	ds_read_b64 v[12:13], v7
	v_add_u32_e32 v3, 1, v3
	v_cmp_lt_u32_e32 vcc, 29, v3
	v_add_u32_e32 v7, 8, v7
	v_add_u32_e32 v8, 8, v8
	s_or_b64 s[4:5], vcc, s[4:5]
	s_waitcnt vmcnt(0) lgkmcnt(0)
	v_pk_mul_f32 v[14:15], v[12:13], v[10:11] op_sel:[1,1] op_sel_hi:[0,1]
	v_pk_fma_f32 v[16:17], v[12:13], v[10:11], v[14:15] neg_lo:[0,0,1] neg_hi:[0,0,1]
	v_pk_fma_f32 v[10:11], v[12:13], v[10:11], v[14:15] op_sel_hi:[1,0,1]
	s_nop 0
	v_mov_b32_e32 v17, v11
	v_pk_add_f32 v[4:5], v[4:5], v[16:17]
	s_andn2_b64 exec, exec, s[4:5]
	s_cbranch_execnz .LBB111_137
; %bb.138:
	s_or_b64 exec, exec, s[4:5]
	v_mov_b32_e32 v3, 0
	ds_read_b64 v[8:9], v3 offset:248
	s_waitcnt lgkmcnt(0)
	v_pk_mul_f32 v[10:11], v[4:5], v[8:9] op_sel:[1,1] op_sel_hi:[0,1]
	v_pk_fma_f32 v[12:13], v[4:5], v[8:9], v[10:11] neg_lo:[0,0,1] neg_hi:[0,0,1]
	v_pk_fma_f32 v[4:5], v[4:5], v[8:9], v[10:11] op_sel_hi:[1,0,1]
	s_nop 0
	v_mov_b32_e32 v13, v5
	scratch_store_dwordx2 off, v[12:13], off offset:248
.LBB111_139:
	s_or_b64 exec, exec, s[0:1]
	; wave barrier
	scratch_load_dwordx2 v[4:5], off, off offset:256
	v_cmp_gt_u32_e32 vcc, 32, v0
	s_waitcnt vmcnt(0)
	ds_write_b64 v1, v[4:5]
	s_waitcnt lgkmcnt(0)
	; wave barrier
	s_and_saveexec_b64 s[0:1], vcc
	s_cbranch_execz .LBB111_143
; %bb.140:
	v_mov_b32_e32 v4, 0
	v_add_u32_e32 v3, -1, v0
	v_add_u32_e32 v7, 0x180, v2
	v_mov_b32_e32 v8, v2
	s_mov_b64 s[4:5], 0
	v_mov_b32_e32 v5, v4
.LBB111_141:                            ; =>This Inner Loop Header: Depth=1
	scratch_load_dwordx2 v[10:11], v8, off
	ds_read_b64 v[12:13], v7
	v_add_u32_e32 v3, 1, v3
	v_cmp_lt_u32_e32 vcc, 30, v3
	v_add_u32_e32 v7, 8, v7
	v_add_u32_e32 v8, 8, v8
	s_or_b64 s[4:5], vcc, s[4:5]
	s_waitcnt vmcnt(0) lgkmcnt(0)
	v_pk_mul_f32 v[14:15], v[12:13], v[10:11] op_sel:[1,1] op_sel_hi:[0,1]
	v_pk_fma_f32 v[16:17], v[12:13], v[10:11], v[14:15] neg_lo:[0,0,1] neg_hi:[0,0,1]
	v_pk_fma_f32 v[10:11], v[12:13], v[10:11], v[14:15] op_sel_hi:[1,0,1]
	s_nop 0
	v_mov_b32_e32 v17, v11
	v_pk_add_f32 v[4:5], v[4:5], v[16:17]
	s_andn2_b64 exec, exec, s[4:5]
	s_cbranch_execnz .LBB111_141
; %bb.142:
	s_or_b64 exec, exec, s[4:5]
	v_mov_b32_e32 v3, 0
	ds_read_b64 v[8:9], v3 offset:256
	s_waitcnt lgkmcnt(0)
	v_pk_mul_f32 v[10:11], v[4:5], v[8:9] op_sel:[1,1] op_sel_hi:[0,1]
	v_pk_fma_f32 v[12:13], v[4:5], v[8:9], v[10:11] neg_lo:[0,0,1] neg_hi:[0,0,1]
	v_pk_fma_f32 v[4:5], v[4:5], v[8:9], v[10:11] op_sel_hi:[1,0,1]
	s_nop 0
	v_mov_b32_e32 v13, v5
	scratch_store_dwordx2 off, v[12:13], off offset:256
.LBB111_143:
	s_or_b64 exec, exec, s[0:1]
	; wave barrier
	scratch_load_dwordx2 v[4:5], off, off offset:264
	v_cmp_gt_u32_e32 vcc, 33, v0
	s_waitcnt vmcnt(0)
	ds_write_b64 v1, v[4:5]
	s_waitcnt lgkmcnt(0)
	; wave barrier
	s_and_saveexec_b64 s[0:1], vcc
	s_cbranch_execz .LBB111_147
; %bb.144:
	v_mov_b32_e32 v4, 0
	v_add_u32_e32 v3, -1, v0
	v_add_u32_e32 v7, 0x180, v2
	v_mov_b32_e32 v8, v2
	s_mov_b64 s[4:5], 0
	v_mov_b32_e32 v5, v4
.LBB111_145:                            ; =>This Inner Loop Header: Depth=1
	scratch_load_dwordx2 v[10:11], v8, off
	ds_read_b64 v[12:13], v7
	v_add_u32_e32 v3, 1, v3
	v_cmp_lt_u32_e32 vcc, 31, v3
	v_add_u32_e32 v7, 8, v7
	v_add_u32_e32 v8, 8, v8
	s_or_b64 s[4:5], vcc, s[4:5]
	s_waitcnt vmcnt(0) lgkmcnt(0)
	v_pk_mul_f32 v[14:15], v[12:13], v[10:11] op_sel:[1,1] op_sel_hi:[0,1]
	v_pk_fma_f32 v[16:17], v[12:13], v[10:11], v[14:15] neg_lo:[0,0,1] neg_hi:[0,0,1]
	v_pk_fma_f32 v[10:11], v[12:13], v[10:11], v[14:15] op_sel_hi:[1,0,1]
	s_nop 0
	v_mov_b32_e32 v17, v11
	v_pk_add_f32 v[4:5], v[4:5], v[16:17]
	s_andn2_b64 exec, exec, s[4:5]
	s_cbranch_execnz .LBB111_145
; %bb.146:
	s_or_b64 exec, exec, s[4:5]
	v_mov_b32_e32 v3, 0
	ds_read_b64 v[8:9], v3 offset:264
	s_waitcnt lgkmcnt(0)
	v_pk_mul_f32 v[10:11], v[4:5], v[8:9] op_sel:[1,1] op_sel_hi:[0,1]
	v_pk_fma_f32 v[12:13], v[4:5], v[8:9], v[10:11] neg_lo:[0,0,1] neg_hi:[0,0,1]
	v_pk_fma_f32 v[4:5], v[4:5], v[8:9], v[10:11] op_sel_hi:[1,0,1]
	s_nop 0
	v_mov_b32_e32 v13, v5
	scratch_store_dwordx2 off, v[12:13], off offset:264
.LBB111_147:
	s_or_b64 exec, exec, s[0:1]
	; wave barrier
	scratch_load_dwordx2 v[4:5], off, off offset:272
	v_cmp_gt_u32_e32 vcc, 34, v0
	s_waitcnt vmcnt(0)
	ds_write_b64 v1, v[4:5]
	s_waitcnt lgkmcnt(0)
	; wave barrier
	s_and_saveexec_b64 s[0:1], vcc
	s_cbranch_execz .LBB111_151
; %bb.148:
	v_mov_b32_e32 v4, 0
	v_add_u32_e32 v3, -1, v0
	v_add_u32_e32 v7, 0x180, v2
	v_mov_b32_e32 v8, v2
	s_mov_b64 s[4:5], 0
	v_mov_b32_e32 v5, v4
.LBB111_149:                            ; =>This Inner Loop Header: Depth=1
	scratch_load_dwordx2 v[10:11], v8, off
	ds_read_b64 v[12:13], v7
	v_add_u32_e32 v3, 1, v3
	v_cmp_lt_u32_e32 vcc, 32, v3
	v_add_u32_e32 v7, 8, v7
	v_add_u32_e32 v8, 8, v8
	s_or_b64 s[4:5], vcc, s[4:5]
	s_waitcnt vmcnt(0) lgkmcnt(0)
	v_pk_mul_f32 v[14:15], v[12:13], v[10:11] op_sel:[1,1] op_sel_hi:[0,1]
	v_pk_fma_f32 v[16:17], v[12:13], v[10:11], v[14:15] neg_lo:[0,0,1] neg_hi:[0,0,1]
	v_pk_fma_f32 v[10:11], v[12:13], v[10:11], v[14:15] op_sel_hi:[1,0,1]
	s_nop 0
	v_mov_b32_e32 v17, v11
	v_pk_add_f32 v[4:5], v[4:5], v[16:17]
	s_andn2_b64 exec, exec, s[4:5]
	s_cbranch_execnz .LBB111_149
; %bb.150:
	s_or_b64 exec, exec, s[4:5]
	v_mov_b32_e32 v3, 0
	ds_read_b64 v[8:9], v3 offset:272
	s_waitcnt lgkmcnt(0)
	v_pk_mul_f32 v[10:11], v[4:5], v[8:9] op_sel:[1,1] op_sel_hi:[0,1]
	v_pk_fma_f32 v[12:13], v[4:5], v[8:9], v[10:11] neg_lo:[0,0,1] neg_hi:[0,0,1]
	v_pk_fma_f32 v[4:5], v[4:5], v[8:9], v[10:11] op_sel_hi:[1,0,1]
	s_nop 0
	v_mov_b32_e32 v13, v5
	scratch_store_dwordx2 off, v[12:13], off offset:272
.LBB111_151:
	s_or_b64 exec, exec, s[0:1]
	; wave barrier
	scratch_load_dwordx2 v[4:5], off, off offset:280
	v_cmp_gt_u32_e32 vcc, 35, v0
	s_waitcnt vmcnt(0)
	ds_write_b64 v1, v[4:5]
	s_waitcnt lgkmcnt(0)
	; wave barrier
	s_and_saveexec_b64 s[0:1], vcc
	s_cbranch_execz .LBB111_155
; %bb.152:
	v_mov_b32_e32 v4, 0
	v_add_u32_e32 v3, -1, v0
	v_add_u32_e32 v7, 0x180, v2
	v_mov_b32_e32 v8, v2
	s_mov_b64 s[4:5], 0
	v_mov_b32_e32 v5, v4
.LBB111_153:                            ; =>This Inner Loop Header: Depth=1
	scratch_load_dwordx2 v[10:11], v8, off
	ds_read_b64 v[12:13], v7
	v_add_u32_e32 v3, 1, v3
	v_cmp_lt_u32_e32 vcc, 33, v3
	v_add_u32_e32 v7, 8, v7
	v_add_u32_e32 v8, 8, v8
	s_or_b64 s[4:5], vcc, s[4:5]
	s_waitcnt vmcnt(0) lgkmcnt(0)
	v_pk_mul_f32 v[14:15], v[12:13], v[10:11] op_sel:[1,1] op_sel_hi:[0,1]
	v_pk_fma_f32 v[16:17], v[12:13], v[10:11], v[14:15] neg_lo:[0,0,1] neg_hi:[0,0,1]
	v_pk_fma_f32 v[10:11], v[12:13], v[10:11], v[14:15] op_sel_hi:[1,0,1]
	s_nop 0
	v_mov_b32_e32 v17, v11
	v_pk_add_f32 v[4:5], v[4:5], v[16:17]
	s_andn2_b64 exec, exec, s[4:5]
	s_cbranch_execnz .LBB111_153
; %bb.154:
	s_or_b64 exec, exec, s[4:5]
	v_mov_b32_e32 v3, 0
	ds_read_b64 v[8:9], v3 offset:280
	s_waitcnt lgkmcnt(0)
	v_pk_mul_f32 v[10:11], v[4:5], v[8:9] op_sel:[1,1] op_sel_hi:[0,1]
	v_pk_fma_f32 v[12:13], v[4:5], v[8:9], v[10:11] neg_lo:[0,0,1] neg_hi:[0,0,1]
	v_pk_fma_f32 v[4:5], v[4:5], v[8:9], v[10:11] op_sel_hi:[1,0,1]
	s_nop 0
	v_mov_b32_e32 v13, v5
	scratch_store_dwordx2 off, v[12:13], off offset:280
.LBB111_155:
	s_or_b64 exec, exec, s[0:1]
	; wave barrier
	scratch_load_dwordx2 v[4:5], off, off offset:288
	v_cmp_gt_u32_e32 vcc, 36, v0
	s_waitcnt vmcnt(0)
	ds_write_b64 v1, v[4:5]
	s_waitcnt lgkmcnt(0)
	; wave barrier
	s_and_saveexec_b64 s[0:1], vcc
	s_cbranch_execz .LBB111_159
; %bb.156:
	v_mov_b32_e32 v4, 0
	v_add_u32_e32 v3, -1, v0
	v_add_u32_e32 v7, 0x180, v2
	v_mov_b32_e32 v8, v2
	s_mov_b64 s[4:5], 0
	v_mov_b32_e32 v5, v4
.LBB111_157:                            ; =>This Inner Loop Header: Depth=1
	scratch_load_dwordx2 v[10:11], v8, off
	ds_read_b64 v[12:13], v7
	v_add_u32_e32 v3, 1, v3
	v_cmp_lt_u32_e32 vcc, 34, v3
	v_add_u32_e32 v7, 8, v7
	v_add_u32_e32 v8, 8, v8
	s_or_b64 s[4:5], vcc, s[4:5]
	s_waitcnt vmcnt(0) lgkmcnt(0)
	v_pk_mul_f32 v[14:15], v[12:13], v[10:11] op_sel:[1,1] op_sel_hi:[0,1]
	v_pk_fma_f32 v[16:17], v[12:13], v[10:11], v[14:15] neg_lo:[0,0,1] neg_hi:[0,0,1]
	v_pk_fma_f32 v[10:11], v[12:13], v[10:11], v[14:15] op_sel_hi:[1,0,1]
	s_nop 0
	v_mov_b32_e32 v17, v11
	v_pk_add_f32 v[4:5], v[4:5], v[16:17]
	s_andn2_b64 exec, exec, s[4:5]
	s_cbranch_execnz .LBB111_157
; %bb.158:
	s_or_b64 exec, exec, s[4:5]
	v_mov_b32_e32 v3, 0
	ds_read_b64 v[8:9], v3 offset:288
	s_waitcnt lgkmcnt(0)
	v_pk_mul_f32 v[10:11], v[4:5], v[8:9] op_sel:[1,1] op_sel_hi:[0,1]
	v_pk_fma_f32 v[12:13], v[4:5], v[8:9], v[10:11] neg_lo:[0,0,1] neg_hi:[0,0,1]
	v_pk_fma_f32 v[4:5], v[4:5], v[8:9], v[10:11] op_sel_hi:[1,0,1]
	s_nop 0
	v_mov_b32_e32 v13, v5
	scratch_store_dwordx2 off, v[12:13], off offset:288
.LBB111_159:
	s_or_b64 exec, exec, s[0:1]
	; wave barrier
	scratch_load_dwordx2 v[4:5], off, off offset:296
	v_cmp_gt_u32_e32 vcc, 37, v0
	s_waitcnt vmcnt(0)
	ds_write_b64 v1, v[4:5]
	s_waitcnt lgkmcnt(0)
	; wave barrier
	s_and_saveexec_b64 s[0:1], vcc
	s_cbranch_execz .LBB111_163
; %bb.160:
	v_mov_b32_e32 v4, 0
	v_add_u32_e32 v3, -1, v0
	v_add_u32_e32 v7, 0x180, v2
	v_mov_b32_e32 v8, v2
	s_mov_b64 s[4:5], 0
	v_mov_b32_e32 v5, v4
.LBB111_161:                            ; =>This Inner Loop Header: Depth=1
	scratch_load_dwordx2 v[10:11], v8, off
	ds_read_b64 v[12:13], v7
	v_add_u32_e32 v3, 1, v3
	v_cmp_lt_u32_e32 vcc, 35, v3
	v_add_u32_e32 v7, 8, v7
	v_add_u32_e32 v8, 8, v8
	s_or_b64 s[4:5], vcc, s[4:5]
	s_waitcnt vmcnt(0) lgkmcnt(0)
	v_pk_mul_f32 v[14:15], v[12:13], v[10:11] op_sel:[1,1] op_sel_hi:[0,1]
	v_pk_fma_f32 v[16:17], v[12:13], v[10:11], v[14:15] neg_lo:[0,0,1] neg_hi:[0,0,1]
	v_pk_fma_f32 v[10:11], v[12:13], v[10:11], v[14:15] op_sel_hi:[1,0,1]
	s_nop 0
	v_mov_b32_e32 v17, v11
	v_pk_add_f32 v[4:5], v[4:5], v[16:17]
	s_andn2_b64 exec, exec, s[4:5]
	s_cbranch_execnz .LBB111_161
; %bb.162:
	s_or_b64 exec, exec, s[4:5]
	v_mov_b32_e32 v3, 0
	ds_read_b64 v[8:9], v3 offset:296
	s_waitcnt lgkmcnt(0)
	v_pk_mul_f32 v[10:11], v[4:5], v[8:9] op_sel:[1,1] op_sel_hi:[0,1]
	v_pk_fma_f32 v[12:13], v[4:5], v[8:9], v[10:11] neg_lo:[0,0,1] neg_hi:[0,0,1]
	v_pk_fma_f32 v[4:5], v[4:5], v[8:9], v[10:11] op_sel_hi:[1,0,1]
	s_nop 0
	v_mov_b32_e32 v13, v5
	scratch_store_dwordx2 off, v[12:13], off offset:296
.LBB111_163:
	s_or_b64 exec, exec, s[0:1]
	; wave barrier
	scratch_load_dwordx2 v[4:5], off, off offset:304
	v_cmp_gt_u32_e32 vcc, 38, v0
	s_waitcnt vmcnt(0)
	ds_write_b64 v1, v[4:5]
	s_waitcnt lgkmcnt(0)
	; wave barrier
	s_and_saveexec_b64 s[0:1], vcc
	s_cbranch_execz .LBB111_167
; %bb.164:
	v_mov_b32_e32 v4, 0
	v_add_u32_e32 v3, -1, v0
	v_add_u32_e32 v7, 0x180, v2
	v_mov_b32_e32 v8, v2
	s_mov_b64 s[4:5], 0
	v_mov_b32_e32 v5, v4
.LBB111_165:                            ; =>This Inner Loop Header: Depth=1
	scratch_load_dwordx2 v[10:11], v8, off
	ds_read_b64 v[12:13], v7
	v_add_u32_e32 v3, 1, v3
	v_cmp_lt_u32_e32 vcc, 36, v3
	v_add_u32_e32 v7, 8, v7
	v_add_u32_e32 v8, 8, v8
	s_or_b64 s[4:5], vcc, s[4:5]
	s_waitcnt vmcnt(0) lgkmcnt(0)
	v_pk_mul_f32 v[14:15], v[12:13], v[10:11] op_sel:[1,1] op_sel_hi:[0,1]
	v_pk_fma_f32 v[16:17], v[12:13], v[10:11], v[14:15] neg_lo:[0,0,1] neg_hi:[0,0,1]
	v_pk_fma_f32 v[10:11], v[12:13], v[10:11], v[14:15] op_sel_hi:[1,0,1]
	s_nop 0
	v_mov_b32_e32 v17, v11
	v_pk_add_f32 v[4:5], v[4:5], v[16:17]
	s_andn2_b64 exec, exec, s[4:5]
	s_cbranch_execnz .LBB111_165
; %bb.166:
	s_or_b64 exec, exec, s[4:5]
	v_mov_b32_e32 v3, 0
	ds_read_b64 v[8:9], v3 offset:304
	s_waitcnt lgkmcnt(0)
	v_pk_mul_f32 v[10:11], v[4:5], v[8:9] op_sel:[1,1] op_sel_hi:[0,1]
	v_pk_fma_f32 v[12:13], v[4:5], v[8:9], v[10:11] neg_lo:[0,0,1] neg_hi:[0,0,1]
	v_pk_fma_f32 v[4:5], v[4:5], v[8:9], v[10:11] op_sel_hi:[1,0,1]
	s_nop 0
	v_mov_b32_e32 v13, v5
	scratch_store_dwordx2 off, v[12:13], off offset:304
.LBB111_167:
	s_or_b64 exec, exec, s[0:1]
	; wave barrier
	scratch_load_dwordx2 v[4:5], off, off offset:312
	v_cmp_gt_u32_e32 vcc, 39, v0
	s_waitcnt vmcnt(0)
	ds_write_b64 v1, v[4:5]
	s_waitcnt lgkmcnt(0)
	; wave barrier
	s_and_saveexec_b64 s[0:1], vcc
	s_cbranch_execz .LBB111_171
; %bb.168:
	v_mov_b32_e32 v4, 0
	v_add_u32_e32 v3, -1, v0
	v_add_u32_e32 v7, 0x180, v2
	v_mov_b32_e32 v8, v2
	s_mov_b64 s[4:5], 0
	v_mov_b32_e32 v5, v4
.LBB111_169:                            ; =>This Inner Loop Header: Depth=1
	scratch_load_dwordx2 v[10:11], v8, off
	ds_read_b64 v[12:13], v7
	v_add_u32_e32 v3, 1, v3
	v_cmp_lt_u32_e32 vcc, 37, v3
	v_add_u32_e32 v7, 8, v7
	v_add_u32_e32 v8, 8, v8
	s_or_b64 s[4:5], vcc, s[4:5]
	s_waitcnt vmcnt(0) lgkmcnt(0)
	v_pk_mul_f32 v[14:15], v[12:13], v[10:11] op_sel:[1,1] op_sel_hi:[0,1]
	v_pk_fma_f32 v[16:17], v[12:13], v[10:11], v[14:15] neg_lo:[0,0,1] neg_hi:[0,0,1]
	v_pk_fma_f32 v[10:11], v[12:13], v[10:11], v[14:15] op_sel_hi:[1,0,1]
	s_nop 0
	v_mov_b32_e32 v17, v11
	v_pk_add_f32 v[4:5], v[4:5], v[16:17]
	s_andn2_b64 exec, exec, s[4:5]
	s_cbranch_execnz .LBB111_169
; %bb.170:
	s_or_b64 exec, exec, s[4:5]
	v_mov_b32_e32 v3, 0
	ds_read_b64 v[8:9], v3 offset:312
	s_waitcnt lgkmcnt(0)
	v_pk_mul_f32 v[10:11], v[4:5], v[8:9] op_sel:[1,1] op_sel_hi:[0,1]
	v_pk_fma_f32 v[12:13], v[4:5], v[8:9], v[10:11] neg_lo:[0,0,1] neg_hi:[0,0,1]
	v_pk_fma_f32 v[4:5], v[4:5], v[8:9], v[10:11] op_sel_hi:[1,0,1]
	s_nop 0
	v_mov_b32_e32 v13, v5
	scratch_store_dwordx2 off, v[12:13], off offset:312
.LBB111_171:
	s_or_b64 exec, exec, s[0:1]
	; wave barrier
	scratch_load_dwordx2 v[4:5], off, off offset:320
	v_cmp_gt_u32_e32 vcc, 40, v0
	s_waitcnt vmcnt(0)
	ds_write_b64 v1, v[4:5]
	s_waitcnt lgkmcnt(0)
	; wave barrier
	s_and_saveexec_b64 s[0:1], vcc
	s_cbranch_execz .LBB111_175
; %bb.172:
	v_mov_b32_e32 v4, 0
	v_add_u32_e32 v3, -1, v0
	v_add_u32_e32 v7, 0x180, v2
	v_mov_b32_e32 v8, v2
	s_mov_b64 s[4:5], 0
	v_mov_b32_e32 v5, v4
.LBB111_173:                            ; =>This Inner Loop Header: Depth=1
	scratch_load_dwordx2 v[10:11], v8, off
	ds_read_b64 v[12:13], v7
	v_add_u32_e32 v3, 1, v3
	v_cmp_lt_u32_e32 vcc, 38, v3
	v_add_u32_e32 v7, 8, v7
	v_add_u32_e32 v8, 8, v8
	s_or_b64 s[4:5], vcc, s[4:5]
	s_waitcnt vmcnt(0) lgkmcnt(0)
	v_pk_mul_f32 v[14:15], v[12:13], v[10:11] op_sel:[1,1] op_sel_hi:[0,1]
	v_pk_fma_f32 v[16:17], v[12:13], v[10:11], v[14:15] neg_lo:[0,0,1] neg_hi:[0,0,1]
	v_pk_fma_f32 v[10:11], v[12:13], v[10:11], v[14:15] op_sel_hi:[1,0,1]
	s_nop 0
	v_mov_b32_e32 v17, v11
	v_pk_add_f32 v[4:5], v[4:5], v[16:17]
	s_andn2_b64 exec, exec, s[4:5]
	s_cbranch_execnz .LBB111_173
; %bb.174:
	s_or_b64 exec, exec, s[4:5]
	v_mov_b32_e32 v3, 0
	ds_read_b64 v[8:9], v3 offset:320
	s_waitcnt lgkmcnt(0)
	v_pk_mul_f32 v[10:11], v[4:5], v[8:9] op_sel:[1,1] op_sel_hi:[0,1]
	v_pk_fma_f32 v[12:13], v[4:5], v[8:9], v[10:11] neg_lo:[0,0,1] neg_hi:[0,0,1]
	v_pk_fma_f32 v[4:5], v[4:5], v[8:9], v[10:11] op_sel_hi:[1,0,1]
	s_nop 0
	v_mov_b32_e32 v13, v5
	scratch_store_dwordx2 off, v[12:13], off offset:320
.LBB111_175:
	s_or_b64 exec, exec, s[0:1]
	; wave barrier
	scratch_load_dwordx2 v[4:5], off, off offset:328
	v_cmp_gt_u32_e32 vcc, 41, v0
	s_waitcnt vmcnt(0)
	ds_write_b64 v1, v[4:5]
	s_waitcnt lgkmcnt(0)
	; wave barrier
	s_and_saveexec_b64 s[0:1], vcc
	s_cbranch_execz .LBB111_179
; %bb.176:
	v_mov_b32_e32 v4, 0
	v_add_u32_e32 v3, -1, v0
	v_add_u32_e32 v7, 0x180, v2
	v_mov_b32_e32 v8, v2
	s_mov_b64 s[4:5], 0
	v_mov_b32_e32 v5, v4
.LBB111_177:                            ; =>This Inner Loop Header: Depth=1
	scratch_load_dwordx2 v[10:11], v8, off
	ds_read_b64 v[12:13], v7
	v_add_u32_e32 v3, 1, v3
	v_cmp_lt_u32_e32 vcc, 39, v3
	v_add_u32_e32 v7, 8, v7
	v_add_u32_e32 v8, 8, v8
	s_or_b64 s[4:5], vcc, s[4:5]
	s_waitcnt vmcnt(0) lgkmcnt(0)
	v_pk_mul_f32 v[14:15], v[12:13], v[10:11] op_sel:[1,1] op_sel_hi:[0,1]
	v_pk_fma_f32 v[16:17], v[12:13], v[10:11], v[14:15] neg_lo:[0,0,1] neg_hi:[0,0,1]
	v_pk_fma_f32 v[10:11], v[12:13], v[10:11], v[14:15] op_sel_hi:[1,0,1]
	s_nop 0
	v_mov_b32_e32 v17, v11
	v_pk_add_f32 v[4:5], v[4:5], v[16:17]
	s_andn2_b64 exec, exec, s[4:5]
	s_cbranch_execnz .LBB111_177
; %bb.178:
	s_or_b64 exec, exec, s[4:5]
	v_mov_b32_e32 v3, 0
	ds_read_b64 v[8:9], v3 offset:328
	s_waitcnt lgkmcnt(0)
	v_pk_mul_f32 v[10:11], v[4:5], v[8:9] op_sel:[1,1] op_sel_hi:[0,1]
	v_pk_fma_f32 v[12:13], v[4:5], v[8:9], v[10:11] neg_lo:[0,0,1] neg_hi:[0,0,1]
	v_pk_fma_f32 v[4:5], v[4:5], v[8:9], v[10:11] op_sel_hi:[1,0,1]
	s_nop 0
	v_mov_b32_e32 v13, v5
	scratch_store_dwordx2 off, v[12:13], off offset:328
.LBB111_179:
	s_or_b64 exec, exec, s[0:1]
	; wave barrier
	scratch_load_dwordx2 v[4:5], off, off offset:336
	v_cmp_gt_u32_e32 vcc, 42, v0
	s_waitcnt vmcnt(0)
	ds_write_b64 v1, v[4:5]
	s_waitcnt lgkmcnt(0)
	; wave barrier
	s_and_saveexec_b64 s[0:1], vcc
	s_cbranch_execz .LBB111_183
; %bb.180:
	v_mov_b32_e32 v4, 0
	v_add_u32_e32 v3, -1, v0
	v_add_u32_e32 v7, 0x180, v2
	v_mov_b32_e32 v8, v2
	s_mov_b64 s[4:5], 0
	v_mov_b32_e32 v5, v4
.LBB111_181:                            ; =>This Inner Loop Header: Depth=1
	scratch_load_dwordx2 v[10:11], v8, off
	ds_read_b64 v[12:13], v7
	v_add_u32_e32 v3, 1, v3
	v_cmp_lt_u32_e32 vcc, 40, v3
	v_add_u32_e32 v7, 8, v7
	v_add_u32_e32 v8, 8, v8
	s_or_b64 s[4:5], vcc, s[4:5]
	s_waitcnt vmcnt(0) lgkmcnt(0)
	v_pk_mul_f32 v[14:15], v[12:13], v[10:11] op_sel:[1,1] op_sel_hi:[0,1]
	v_pk_fma_f32 v[16:17], v[12:13], v[10:11], v[14:15] neg_lo:[0,0,1] neg_hi:[0,0,1]
	v_pk_fma_f32 v[10:11], v[12:13], v[10:11], v[14:15] op_sel_hi:[1,0,1]
	s_nop 0
	v_mov_b32_e32 v17, v11
	v_pk_add_f32 v[4:5], v[4:5], v[16:17]
	s_andn2_b64 exec, exec, s[4:5]
	s_cbranch_execnz .LBB111_181
; %bb.182:
	s_or_b64 exec, exec, s[4:5]
	v_mov_b32_e32 v3, 0
	ds_read_b64 v[8:9], v3 offset:336
	s_waitcnt lgkmcnt(0)
	v_pk_mul_f32 v[10:11], v[4:5], v[8:9] op_sel:[1,1] op_sel_hi:[0,1]
	v_pk_fma_f32 v[12:13], v[4:5], v[8:9], v[10:11] neg_lo:[0,0,1] neg_hi:[0,0,1]
	v_pk_fma_f32 v[4:5], v[4:5], v[8:9], v[10:11] op_sel_hi:[1,0,1]
	s_nop 0
	v_mov_b32_e32 v13, v5
	scratch_store_dwordx2 off, v[12:13], off offset:336
.LBB111_183:
	s_or_b64 exec, exec, s[0:1]
	; wave barrier
	scratch_load_dwordx2 v[4:5], off, off offset:344
	v_cmp_gt_u32_e32 vcc, 43, v0
	s_waitcnt vmcnt(0)
	ds_write_b64 v1, v[4:5]
	s_waitcnt lgkmcnt(0)
	; wave barrier
	s_and_saveexec_b64 s[0:1], vcc
	s_cbranch_execz .LBB111_187
; %bb.184:
	v_mov_b32_e32 v4, 0
	v_add_u32_e32 v3, -1, v0
	v_add_u32_e32 v7, 0x180, v2
	v_mov_b32_e32 v8, v2
	s_mov_b64 s[4:5], 0
	v_mov_b32_e32 v5, v4
.LBB111_185:                            ; =>This Inner Loop Header: Depth=1
	scratch_load_dwordx2 v[10:11], v8, off
	ds_read_b64 v[12:13], v7
	v_add_u32_e32 v3, 1, v3
	v_cmp_lt_u32_e32 vcc, 41, v3
	v_add_u32_e32 v7, 8, v7
	v_add_u32_e32 v8, 8, v8
	s_or_b64 s[4:5], vcc, s[4:5]
	s_waitcnt vmcnt(0) lgkmcnt(0)
	v_pk_mul_f32 v[14:15], v[12:13], v[10:11] op_sel:[1,1] op_sel_hi:[0,1]
	v_pk_fma_f32 v[16:17], v[12:13], v[10:11], v[14:15] neg_lo:[0,0,1] neg_hi:[0,0,1]
	v_pk_fma_f32 v[10:11], v[12:13], v[10:11], v[14:15] op_sel_hi:[1,0,1]
	s_nop 0
	v_mov_b32_e32 v17, v11
	v_pk_add_f32 v[4:5], v[4:5], v[16:17]
	s_andn2_b64 exec, exec, s[4:5]
	s_cbranch_execnz .LBB111_185
; %bb.186:
	s_or_b64 exec, exec, s[4:5]
	v_mov_b32_e32 v3, 0
	ds_read_b64 v[8:9], v3 offset:344
	s_waitcnt lgkmcnt(0)
	v_pk_mul_f32 v[10:11], v[4:5], v[8:9] op_sel:[1,1] op_sel_hi:[0,1]
	v_pk_fma_f32 v[12:13], v[4:5], v[8:9], v[10:11] neg_lo:[0,0,1] neg_hi:[0,0,1]
	v_pk_fma_f32 v[4:5], v[4:5], v[8:9], v[10:11] op_sel_hi:[1,0,1]
	s_nop 0
	v_mov_b32_e32 v13, v5
	scratch_store_dwordx2 off, v[12:13], off offset:344
.LBB111_187:
	s_or_b64 exec, exec, s[0:1]
	; wave barrier
	scratch_load_dwordx2 v[4:5], off, off offset:352
	v_cmp_gt_u32_e32 vcc, 44, v0
	s_waitcnt vmcnt(0)
	ds_write_b64 v1, v[4:5]
	s_waitcnt lgkmcnt(0)
	; wave barrier
	s_and_saveexec_b64 s[0:1], vcc
	s_cbranch_execz .LBB111_191
; %bb.188:
	v_mov_b32_e32 v4, 0
	v_add_u32_e32 v3, -1, v0
	v_add_u32_e32 v7, 0x180, v2
	v_mov_b32_e32 v8, v2
	s_mov_b64 s[4:5], 0
	v_mov_b32_e32 v5, v4
.LBB111_189:                            ; =>This Inner Loop Header: Depth=1
	scratch_load_dwordx2 v[10:11], v8, off
	ds_read_b64 v[12:13], v7
	v_add_u32_e32 v3, 1, v3
	v_cmp_lt_u32_e32 vcc, 42, v3
	v_add_u32_e32 v7, 8, v7
	v_add_u32_e32 v8, 8, v8
	s_or_b64 s[4:5], vcc, s[4:5]
	s_waitcnt vmcnt(0) lgkmcnt(0)
	v_pk_mul_f32 v[14:15], v[12:13], v[10:11] op_sel:[1,1] op_sel_hi:[0,1]
	v_pk_fma_f32 v[16:17], v[12:13], v[10:11], v[14:15] neg_lo:[0,0,1] neg_hi:[0,0,1]
	v_pk_fma_f32 v[10:11], v[12:13], v[10:11], v[14:15] op_sel_hi:[1,0,1]
	s_nop 0
	v_mov_b32_e32 v17, v11
	v_pk_add_f32 v[4:5], v[4:5], v[16:17]
	s_andn2_b64 exec, exec, s[4:5]
	s_cbranch_execnz .LBB111_189
; %bb.190:
	s_or_b64 exec, exec, s[4:5]
	v_mov_b32_e32 v3, 0
	ds_read_b64 v[8:9], v3 offset:352
	s_waitcnt lgkmcnt(0)
	v_pk_mul_f32 v[10:11], v[4:5], v[8:9] op_sel:[1,1] op_sel_hi:[0,1]
	v_pk_fma_f32 v[12:13], v[4:5], v[8:9], v[10:11] neg_lo:[0,0,1] neg_hi:[0,0,1]
	v_pk_fma_f32 v[4:5], v[4:5], v[8:9], v[10:11] op_sel_hi:[1,0,1]
	s_nop 0
	v_mov_b32_e32 v13, v5
	scratch_store_dwordx2 off, v[12:13], off offset:352
.LBB111_191:
	s_or_b64 exec, exec, s[0:1]
	; wave barrier
	scratch_load_dwordx2 v[4:5], off, off offset:360
	v_cmp_gt_u32_e32 vcc, 45, v0
	s_waitcnt vmcnt(0)
	ds_write_b64 v1, v[4:5]
	s_waitcnt lgkmcnt(0)
	; wave barrier
	s_and_saveexec_b64 s[0:1], vcc
	s_cbranch_execz .LBB111_195
; %bb.192:
	v_mov_b32_e32 v4, 0
	v_add_u32_e32 v3, -1, v0
	v_add_u32_e32 v7, 0x180, v2
	v_mov_b32_e32 v8, v2
	s_mov_b64 s[4:5], 0
	v_mov_b32_e32 v5, v4
.LBB111_193:                            ; =>This Inner Loop Header: Depth=1
	scratch_load_dwordx2 v[10:11], v8, off
	ds_read_b64 v[12:13], v7
	v_add_u32_e32 v3, 1, v3
	v_cmp_lt_u32_e32 vcc, 43, v3
	v_add_u32_e32 v7, 8, v7
	v_add_u32_e32 v8, 8, v8
	s_or_b64 s[4:5], vcc, s[4:5]
	s_waitcnt vmcnt(0) lgkmcnt(0)
	v_pk_mul_f32 v[14:15], v[12:13], v[10:11] op_sel:[1,1] op_sel_hi:[0,1]
	v_pk_fma_f32 v[16:17], v[12:13], v[10:11], v[14:15] neg_lo:[0,0,1] neg_hi:[0,0,1]
	v_pk_fma_f32 v[10:11], v[12:13], v[10:11], v[14:15] op_sel_hi:[1,0,1]
	s_nop 0
	v_mov_b32_e32 v17, v11
	v_pk_add_f32 v[4:5], v[4:5], v[16:17]
	s_andn2_b64 exec, exec, s[4:5]
	s_cbranch_execnz .LBB111_193
; %bb.194:
	s_or_b64 exec, exec, s[4:5]
	v_mov_b32_e32 v3, 0
	ds_read_b64 v[8:9], v3 offset:360
	s_waitcnt lgkmcnt(0)
	v_pk_mul_f32 v[10:11], v[4:5], v[8:9] op_sel:[1,1] op_sel_hi:[0,1]
	v_pk_fma_f32 v[12:13], v[4:5], v[8:9], v[10:11] neg_lo:[0,0,1] neg_hi:[0,0,1]
	v_pk_fma_f32 v[4:5], v[4:5], v[8:9], v[10:11] op_sel_hi:[1,0,1]
	s_nop 0
	v_mov_b32_e32 v13, v5
	scratch_store_dwordx2 off, v[12:13], off offset:360
.LBB111_195:
	s_or_b64 exec, exec, s[0:1]
	; wave barrier
	scratch_load_dwordx2 v[4:5], off, off offset:368
	v_cmp_gt_u32_e32 vcc, 46, v0
	s_waitcnt vmcnt(0)
	ds_write_b64 v1, v[4:5]
	s_waitcnt lgkmcnt(0)
	; wave barrier
	s_and_saveexec_b64 s[0:1], vcc
	s_cbranch_execz .LBB111_199
; %bb.196:
	v_mov_b32_e32 v4, 0
	v_add_u32_e32 v3, -1, v0
	v_add_u32_e32 v7, 0x180, v2
	v_mov_b32_e32 v8, v2
	s_mov_b64 s[4:5], 0
	v_mov_b32_e32 v5, v4
.LBB111_197:                            ; =>This Inner Loop Header: Depth=1
	scratch_load_dwordx2 v[10:11], v8, off
	ds_read_b64 v[12:13], v7
	v_add_u32_e32 v3, 1, v3
	v_cmp_lt_u32_e32 vcc, 44, v3
	v_add_u32_e32 v7, 8, v7
	v_add_u32_e32 v8, 8, v8
	s_or_b64 s[4:5], vcc, s[4:5]
	s_waitcnt vmcnt(0) lgkmcnt(0)
	v_pk_mul_f32 v[14:15], v[12:13], v[10:11] op_sel:[1,1] op_sel_hi:[0,1]
	v_pk_fma_f32 v[16:17], v[12:13], v[10:11], v[14:15] neg_lo:[0,0,1] neg_hi:[0,0,1]
	v_pk_fma_f32 v[10:11], v[12:13], v[10:11], v[14:15] op_sel_hi:[1,0,1]
	s_nop 0
	v_mov_b32_e32 v17, v11
	v_pk_add_f32 v[4:5], v[4:5], v[16:17]
	s_andn2_b64 exec, exec, s[4:5]
	s_cbranch_execnz .LBB111_197
; %bb.198:
	s_or_b64 exec, exec, s[4:5]
	v_mov_b32_e32 v3, 0
	ds_read_b64 v[8:9], v3 offset:368
	s_waitcnt lgkmcnt(0)
	v_pk_mul_f32 v[10:11], v[4:5], v[8:9] op_sel:[1,1] op_sel_hi:[0,1]
	v_pk_fma_f32 v[12:13], v[4:5], v[8:9], v[10:11] neg_lo:[0,0,1] neg_hi:[0,0,1]
	v_pk_fma_f32 v[4:5], v[4:5], v[8:9], v[10:11] op_sel_hi:[1,0,1]
	s_nop 0
	v_mov_b32_e32 v13, v5
	scratch_store_dwordx2 off, v[12:13], off offset:368
.LBB111_199:
	s_or_b64 exec, exec, s[0:1]
	; wave barrier
	scratch_load_dwordx2 v[4:5], off, off offset:376
	v_cmp_ne_u32_e32 vcc, 47, v0
	s_waitcnt vmcnt(0)
	ds_write_b64 v1, v[4:5]
	s_waitcnt lgkmcnt(0)
	; wave barrier
	s_and_saveexec_b64 s[0:1], vcc
	s_cbranch_execz .LBB111_203
; %bb.200:
	v_add_u32_e32 v1, 0x180, v2
	v_mov_b32_e32 v4, v2
	v_mov_b32_e32 v2, 0
	s_mov_b64 s[4:5], 0
	v_mov_b32_e32 v3, v2
.LBB111_201:                            ; =>This Inner Loop Header: Depth=1
	scratch_load_dwordx2 v[8:9], v4, off
	ds_read_b64 v[10:11], v1
	v_add_u32_e32 v6, 1, v6
	v_cmp_lt_u32_e32 vcc, 45, v6
	v_add_u32_e32 v1, 8, v1
	v_add_u32_e32 v4, 8, v4
	s_or_b64 s[4:5], vcc, s[4:5]
	s_waitcnt vmcnt(0) lgkmcnt(0)
	v_pk_mul_f32 v[12:13], v[10:11], v[8:9] op_sel:[1,1] op_sel_hi:[0,1]
	v_pk_fma_f32 v[14:15], v[10:11], v[8:9], v[12:13] neg_lo:[0,0,1] neg_hi:[0,0,1]
	v_pk_fma_f32 v[8:9], v[10:11], v[8:9], v[12:13] op_sel_hi:[1,0,1]
	s_nop 0
	v_mov_b32_e32 v15, v9
	v_pk_add_f32 v[2:3], v[2:3], v[14:15]
	s_andn2_b64 exec, exec, s[4:5]
	s_cbranch_execnz .LBB111_201
; %bb.202:
	s_or_b64 exec, exec, s[4:5]
	v_mov_b32_e32 v1, 0
	ds_read_b64 v[4:5], v1 offset:376
	s_waitcnt lgkmcnt(0)
	v_pk_mul_f32 v[6:7], v[2:3], v[4:5] op_sel:[1,1] op_sel_hi:[0,1]
	v_pk_fma_f32 v[8:9], v[2:3], v[4:5], v[6:7] neg_lo:[0,0,1] neg_hi:[0,0,1]
	v_pk_fma_f32 v[2:3], v[2:3], v[4:5], v[6:7] op_sel_hi:[1,0,1]
	s_nop 0
	v_mov_b32_e32 v9, v3
	scratch_store_dwordx2 off, v[8:9], off offset:376
.LBB111_203:
	s_or_b64 exec, exec, s[0:1]
	s_mov_b64 s[4:5], -1
	; wave barrier
.LBB111_204:
	s_and_b64 vcc, exec, s[4:5]
	s_cbranch_vccz .LBB111_206
; %bb.205:
	s_lshl_b64 s[0:1], s[2:3], 2
	s_add_u32 s0, s6, s0
	s_addc_u32 s1, s7, s1
	v_mov_b32_e32 v1, 0
	global_load_dword v1, v1, s[0:1]
	s_waitcnt vmcnt(0)
	v_cmp_ne_u32_e32 vcc, 0, v1
	s_cbranch_vccz .LBB111_207
.LBB111_206:
	s_endpgm
.LBB111_207:
	v_mov_b32_e32 v1, 0x180
	v_lshl_add_u32 v1, v0, 3, v1
	v_cmp_eq_u32_e32 vcc, 47, v0
	s_and_saveexec_b64 s[0:1], vcc
	s_cbranch_execz .LBB111_209
; %bb.208:
	scratch_load_dwordx2 v[2:3], off, off offset:368
	v_mov_b32_e32 v4, 0
	v_mov_b32_e32 v5, v4
	scratch_store_dwordx2 off, v[4:5], off offset:368
	s_waitcnt vmcnt(1)
	ds_write_b64 v1, v[2:3]
.LBB111_209:
	s_or_b64 exec, exec, s[0:1]
	s_waitcnt lgkmcnt(0)
	; wave barrier
	scratch_load_dwordx2 v[4:5], off, off offset:376
	scratch_load_dwordx2 v[6:7], off, off offset:368
	v_mov_b32_e32 v2, 0
	ds_read_b64 v[8:9], v2 offset:760
	v_cmp_lt_u32_e32 vcc, 45, v0
	s_waitcnt vmcnt(1) lgkmcnt(0)
	v_pk_mul_f32 v[10:11], v[8:9], v[4:5] op_sel:[1,1] op_sel_hi:[0,1]
	v_pk_fma_f32 v[12:13], v[8:9], v[4:5], v[10:11] neg_lo:[0,0,1] neg_hi:[0,0,1]
	v_pk_fma_f32 v[4:5], v[8:9], v[4:5], v[10:11] op_sel_hi:[1,0,1]
	s_nop 0
	v_mov_b32_e32 v13, v5
	v_pk_add_f32 v[4:5], v[12:13], 0 op_sel_hi:[1,0]
	s_waitcnt vmcnt(0)
	v_pk_add_f32 v[4:5], v[6:7], v[4:5] neg_lo:[0,1] neg_hi:[0,1]
	scratch_store_dwordx2 off, v[4:5], off offset:368
	s_and_saveexec_b64 s[0:1], vcc
	s_cbranch_execz .LBB111_211
; %bb.210:
	scratch_load_dwordx2 v[4:5], off, off offset:360
	v_mov_b32_e32 v3, v2
	scratch_store_dwordx2 off, v[2:3], off offset:360
	s_waitcnt vmcnt(1)
	ds_write_b64 v1, v[4:5]
.LBB111_211:
	s_or_b64 exec, exec, s[0:1]
	s_waitcnt lgkmcnt(0)
	; wave barrier
	scratch_load_dwordx4 v[4:7], off, off offset:368
	scratch_load_dwordx2 v[12:13], off, off offset:360
	ds_read_b128 v[8:11], v2 offset:752
	v_cmp_lt_u32_e32 vcc, 44, v0
	s_waitcnt vmcnt(1) lgkmcnt(0)
	v_pk_mul_f32 v[2:3], v[8:9], v[4:5] op_sel:[1,1] op_sel_hi:[0,1]
	v_mov_b32_e32 v14, v7
	v_pk_fma_f32 v[16:17], v[8:9], v[4:5], v[2:3] neg_lo:[0,0,1] neg_hi:[0,0,1]
	v_pk_fma_f32 v[2:3], v[8:9], v[4:5], v[2:3] op_sel_hi:[1,0,1]
	v_pk_mul_f32 v[4:5], v[10:11], v[14:15] op_sel:[1,0] op_sel_hi:[0,0]
	v_mov_b32_e32 v17, v3
	v_pk_fma_f32 v[2:3], v[10:11], v[6:7], v[4:5] neg_lo:[0,0,1] neg_hi:[0,0,1]
	v_pk_fma_f32 v[4:5], v[10:11], v[6:7], v[4:5] op_sel_hi:[1,0,1]
	v_pk_add_f32 v[6:7], v[16:17], 0 op_sel_hi:[1,0]
	v_mov_b32_e32 v3, v5
	v_pk_add_f32 v[2:3], v[6:7], v[2:3]
	s_waitcnt vmcnt(0)
	v_pk_add_f32 v[2:3], v[12:13], v[2:3] neg_lo:[0,1] neg_hi:[0,1]
	scratch_store_dwordx2 off, v[2:3], off offset:360
	s_and_saveexec_b64 s[0:1], vcc
	s_cbranch_execz .LBB111_213
; %bb.212:
	scratch_load_dwordx2 v[2:3], off, off offset:352
	v_mov_b32_e32 v4, 0
	v_mov_b32_e32 v5, v4
	scratch_store_dwordx2 off, v[4:5], off offset:352
	s_waitcnt vmcnt(1)
	ds_write_b64 v1, v[2:3]
.LBB111_213:
	s_or_b64 exec, exec, s[0:1]
	s_waitcnt lgkmcnt(0)
	; wave barrier
	scratch_load_dwordx4 v[4:7], off, off offset:360
	scratch_load_dwordx2 v[12:13], off, off offset:376
	scratch_load_dwordx2 v[14:15], off, off offset:352
	v_mov_b32_e32 v2, 0
	ds_read2_b64 v[8:11], v2 offset0:93 offset1:94
	ds_read_b64 v[16:17], v2 offset:760
	v_cmp_lt_u32_e32 vcc, 43, v0
	s_waitcnt vmcnt(2) lgkmcnt(1)
	v_pk_mul_f32 v[18:19], v[8:9], v[4:5] op_sel:[1,1] op_sel_hi:[0,1]
	v_mov_b32_e32 v20, v7
	v_pk_fma_f32 v[24:25], v[8:9], v[4:5], v[18:19] neg_lo:[0,0,1] neg_hi:[0,0,1]
	v_pk_fma_f32 v[4:5], v[8:9], v[4:5], v[18:19] op_sel_hi:[1,0,1]
	v_pk_mul_f32 v[8:9], v[10:11], v[20:21] op_sel:[1,0] op_sel_hi:[0,0]
	s_waitcnt vmcnt(1) lgkmcnt(0)
	v_pk_mul_f32 v[22:23], v[16:17], v[12:13] op_sel:[1,1] op_sel_hi:[0,1]
	v_mov_b32_e32 v25, v5
	v_pk_fma_f32 v[4:5], v[10:11], v[6:7], v[8:9] neg_lo:[0,0,1] neg_hi:[0,0,1]
	v_pk_fma_f32 v[6:7], v[10:11], v[6:7], v[8:9] op_sel_hi:[1,0,1]
	v_pk_fma_f32 v[18:19], v[16:17], v[12:13], v[22:23] neg_lo:[0,0,1] neg_hi:[0,0,1]
	v_pk_fma_f32 v[12:13], v[16:17], v[12:13], v[22:23] op_sel_hi:[1,0,1]
	v_pk_add_f32 v[8:9], v[24:25], 0 op_sel_hi:[1,0]
	v_mov_b32_e32 v5, v7
	v_mov_b32_e32 v19, v13
	v_pk_add_f32 v[4:5], v[8:9], v[4:5]
	s_nop 0
	v_pk_add_f32 v[4:5], v[4:5], v[18:19]
	s_waitcnt vmcnt(0)
	v_pk_add_f32 v[4:5], v[14:15], v[4:5] neg_lo:[0,1] neg_hi:[0,1]
	scratch_store_dwordx2 off, v[4:5], off offset:352
	s_and_saveexec_b64 s[0:1], vcc
	s_cbranch_execz .LBB111_215
; %bb.214:
	scratch_load_dwordx2 v[4:5], off, off offset:344
	v_mov_b32_e32 v3, v2
	scratch_store_dwordx2 off, v[2:3], off offset:344
	s_waitcnt vmcnt(1)
	ds_write_b64 v1, v[4:5]
.LBB111_215:
	s_or_b64 exec, exec, s[0:1]
	s_waitcnt lgkmcnt(0)
	; wave barrier
	scratch_load_dwordx4 v[4:7], off, off offset:352
	scratch_load_dwordx4 v[8:11], off, off offset:368
	scratch_load_dwordx2 v[20:21], off, off offset:344
	ds_read_b128 v[12:15], v2 offset:736
	ds_read_b128 v[16:19], v2 offset:752
	v_cmp_lt_u32_e32 vcc, 42, v0
	s_waitcnt vmcnt(2) lgkmcnt(1)
	v_pk_mul_f32 v[2:3], v[12:13], v[4:5] op_sel:[1,1] op_sel_hi:[0,1]
	v_mov_b32_e32 v22, v7
	s_waitcnt vmcnt(1) lgkmcnt(0)
	v_pk_mul_f32 v[24:25], v[16:17], v[8:9] op_sel:[1,1] op_sel_hi:[0,1]
	v_mov_b32_e32 v26, v11
	v_pk_fma_f32 v[28:29], v[12:13], v[4:5], v[2:3] neg_lo:[0,0,1] neg_hi:[0,0,1]
	v_pk_fma_f32 v[2:3], v[12:13], v[4:5], v[2:3] op_sel_hi:[1,0,1]
	v_pk_mul_f32 v[4:5], v[14:15], v[22:23] op_sel:[1,0] op_sel_hi:[0,0]
	v_pk_fma_f32 v[12:13], v[16:17], v[8:9], v[24:25] neg_lo:[0,0,1] neg_hi:[0,0,1]
	v_pk_fma_f32 v[8:9], v[16:17], v[8:9], v[24:25] op_sel_hi:[1,0,1]
	v_pk_mul_f32 v[16:17], v[18:19], v[26:27] op_sel:[1,0] op_sel_hi:[0,0]
	v_mov_b32_e32 v29, v3
	v_pk_fma_f32 v[2:3], v[14:15], v[6:7], v[4:5] neg_lo:[0,0,1] neg_hi:[0,0,1]
	v_pk_fma_f32 v[4:5], v[14:15], v[6:7], v[4:5] op_sel_hi:[1,0,1]
	v_mov_b32_e32 v13, v9
	v_pk_fma_f32 v[6:7], v[18:19], v[10:11], v[16:17] neg_lo:[0,0,1] neg_hi:[0,0,1]
	v_pk_fma_f32 v[8:9], v[18:19], v[10:11], v[16:17] op_sel_hi:[1,0,1]
	v_pk_add_f32 v[10:11], v[28:29], 0 op_sel_hi:[1,0]
	v_mov_b32_e32 v3, v5
	v_pk_add_f32 v[2:3], v[10:11], v[2:3]
	v_mov_b32_e32 v7, v9
	v_pk_add_f32 v[2:3], v[2:3], v[12:13]
	s_nop 0
	v_pk_add_f32 v[2:3], v[2:3], v[6:7]
	s_waitcnt vmcnt(0)
	v_pk_add_f32 v[2:3], v[20:21], v[2:3] neg_lo:[0,1] neg_hi:[0,1]
	scratch_store_dwordx2 off, v[2:3], off offset:344
	s_and_saveexec_b64 s[0:1], vcc
	s_cbranch_execz .LBB111_217
; %bb.216:
	scratch_load_dwordx2 v[2:3], off, off offset:336
	v_mov_b32_e32 v4, 0
	v_mov_b32_e32 v5, v4
	scratch_store_dwordx2 off, v[4:5], off offset:336
	s_waitcnt vmcnt(1)
	ds_write_b64 v1, v[2:3]
.LBB111_217:
	s_or_b64 exec, exec, s[0:1]
	s_waitcnt lgkmcnt(0)
	; wave barrier
	scratch_load_dwordx4 v[4:7], off, off offset:344
	scratch_load_dwordx4 v[8:11], off, off offset:360
	scratch_load_dwordx2 v[20:21], off, off offset:376
	v_mov_b32_e32 v2, 0
	ds_read2_b64 v[12:15], v2 offset0:91 offset1:92
	ds_read2_b64 v[16:19], v2 offset0:93 offset1:94
	ds_read_b64 v[22:23], v2 offset:760
	v_cmp_lt_u32_e32 vcc, 41, v0
	s_waitcnt vmcnt(2) lgkmcnt(2)
	v_pk_mul_f32 v[24:25], v[12:13], v[4:5] op_sel:[1,1] op_sel_hi:[0,1]
	v_pk_fma_f32 v[26:27], v[12:13], v[4:5], v[24:25] neg_lo:[0,0,1] neg_hi:[0,0,1]
	v_pk_fma_f32 v[4:5], v[12:13], v[4:5], v[24:25] op_sel_hi:[1,0,1]
	v_mov_b32_e32 v12, v7
	v_pk_mul_f32 v[12:13], v[14:15], v[12:13] op_sel:[1,0] op_sel_hi:[0,0]
	v_pk_fma_f32 v[24:25], v[14:15], v[6:7], v[12:13] neg_lo:[0,0,1] neg_hi:[0,0,1]
	v_pk_fma_f32 v[6:7], v[14:15], v[6:7], v[12:13] op_sel_hi:[1,0,1]
	v_mov_b32_e32 v27, v5
	v_mov_b32_e32 v25, v7
	s_waitcnt vmcnt(1) lgkmcnt(1)
	v_pk_mul_f32 v[6:7], v[16:17], v[8:9] op_sel:[1,1] op_sel_hi:[0,1]
	v_pk_fma_f32 v[12:13], v[16:17], v[8:9], v[6:7] neg_lo:[0,0,1] neg_hi:[0,0,1]
	v_pk_fma_f32 v[6:7], v[16:17], v[8:9], v[6:7] op_sel_hi:[1,0,1]
	v_pk_add_f32 v[4:5], v[26:27], 0 op_sel_hi:[1,0]
	v_mov_b32_e32 v6, v11
	v_mov_b32_e32 v13, v7
	v_pk_mul_f32 v[6:7], v[18:19], v[6:7] op_sel:[1,0] op_sel_hi:[0,0]
	v_pk_add_f32 v[4:5], v[4:5], v[24:25]
	v_pk_fma_f32 v[8:9], v[18:19], v[10:11], v[6:7] neg_lo:[0,0,1] neg_hi:[0,0,1]
	v_pk_fma_f32 v[6:7], v[18:19], v[10:11], v[6:7] op_sel_hi:[1,0,1]
	v_pk_add_f32 v[4:5], v[4:5], v[12:13]
	v_mov_b32_e32 v9, v7
	s_waitcnt vmcnt(0) lgkmcnt(0)
	v_pk_mul_f32 v[6:7], v[22:23], v[20:21] op_sel:[1,1] op_sel_hi:[0,1]
	v_pk_add_f32 v[4:5], v[4:5], v[8:9]
	v_pk_fma_f32 v[8:9], v[22:23], v[20:21], v[6:7] neg_lo:[0,0,1] neg_hi:[0,0,1]
	v_pk_fma_f32 v[6:7], v[22:23], v[20:21], v[6:7] op_sel_hi:[1,0,1]
	s_nop 0
	v_mov_b32_e32 v9, v7
	scratch_load_dwordx2 v[6:7], off, off offset:336
	v_pk_add_f32 v[4:5], v[4:5], v[8:9]
	s_waitcnt vmcnt(0)
	v_pk_add_f32 v[4:5], v[6:7], v[4:5] neg_lo:[0,1] neg_hi:[0,1]
	scratch_store_dwordx2 off, v[4:5], off offset:336
	s_and_saveexec_b64 s[0:1], vcc
	s_cbranch_execz .LBB111_219
; %bb.218:
	scratch_load_dwordx2 v[4:5], off, off offset:328
	v_mov_b32_e32 v3, v2
	scratch_store_dwordx2 off, v[2:3], off offset:328
	s_waitcnt vmcnt(1)
	ds_write_b64 v1, v[4:5]
.LBB111_219:
	s_or_b64 exec, exec, s[0:1]
	s_waitcnt lgkmcnt(0)
	; wave barrier
	scratch_load_dwordx4 v[4:7], off, off offset:336
	scratch_load_dwordx4 v[8:11], off, off offset:352
	;; [unrolled: 1-line block ×3, first 2 shown]
	ds_read_b128 v[16:19], v2 offset:720
	ds_read_b128 v[20:23], v2 offset:736
	;; [unrolled: 1-line block ×3, first 2 shown]
	v_cmp_lt_u32_e32 vcc, 40, v0
	s_waitcnt vmcnt(2) lgkmcnt(2)
	v_pk_mul_f32 v[2:3], v[16:17], v[4:5] op_sel:[1,1] op_sel_hi:[0,1]
	v_pk_fma_f32 v[28:29], v[16:17], v[4:5], v[2:3] neg_lo:[0,0,1] neg_hi:[0,0,1]
	v_pk_fma_f32 v[2:3], v[16:17], v[4:5], v[2:3] op_sel_hi:[1,0,1]
	v_mov_b32_e32 v4, v7
	v_pk_mul_f32 v[4:5], v[18:19], v[4:5] op_sel:[1,0] op_sel_hi:[0,0]
	v_pk_fma_f32 v[16:17], v[18:19], v[6:7], v[4:5] neg_lo:[0,0,1] neg_hi:[0,0,1]
	v_pk_fma_f32 v[4:5], v[18:19], v[6:7], v[4:5] op_sel_hi:[1,0,1]
	v_mov_b32_e32 v29, v3
	v_mov_b32_e32 v17, v5
	s_waitcnt vmcnt(1) lgkmcnt(1)
	v_pk_mul_f32 v[4:5], v[20:21], v[8:9] op_sel:[1,1] op_sel_hi:[0,1]
	v_pk_fma_f32 v[6:7], v[20:21], v[8:9], v[4:5] neg_lo:[0,0,1] neg_hi:[0,0,1]
	v_pk_fma_f32 v[4:5], v[20:21], v[8:9], v[4:5] op_sel_hi:[1,0,1]
	v_pk_add_f32 v[2:3], v[28:29], 0 op_sel_hi:[1,0]
	v_mov_b32_e32 v4, v11
	v_pk_add_f32 v[2:3], v[2:3], v[16:17]
	v_mov_b32_e32 v7, v5
	v_pk_mul_f32 v[4:5], v[22:23], v[4:5] op_sel:[1,0] op_sel_hi:[0,0]
	v_pk_add_f32 v[2:3], v[2:3], v[6:7]
	v_pk_fma_f32 v[6:7], v[22:23], v[10:11], v[4:5] neg_lo:[0,0,1] neg_hi:[0,0,1]
	v_pk_fma_f32 v[4:5], v[22:23], v[10:11], v[4:5] op_sel_hi:[1,0,1]
	s_nop 0
	v_mov_b32_e32 v7, v5
	s_waitcnt vmcnt(0) lgkmcnt(0)
	v_pk_mul_f32 v[4:5], v[24:25], v[12:13] op_sel:[1,1] op_sel_hi:[0,1]
	v_pk_add_f32 v[2:3], v[2:3], v[6:7]
	v_pk_fma_f32 v[6:7], v[24:25], v[12:13], v[4:5] neg_lo:[0,0,1] neg_hi:[0,0,1]
	v_pk_fma_f32 v[4:5], v[24:25], v[12:13], v[4:5] op_sel_hi:[1,0,1]
	s_nop 0
	v_mov_b32_e32 v4, v15
	v_mov_b32_e32 v7, v5
	v_pk_mul_f32 v[4:5], v[26:27], v[4:5] op_sel:[1,0] op_sel_hi:[0,0]
	v_pk_add_f32 v[2:3], v[2:3], v[6:7]
	v_pk_fma_f32 v[6:7], v[26:27], v[14:15], v[4:5] neg_lo:[0,0,1] neg_hi:[0,0,1]
	v_pk_fma_f32 v[4:5], v[26:27], v[14:15], v[4:5] op_sel_hi:[1,0,1]
	s_nop 0
	v_mov_b32_e32 v7, v5
	scratch_load_dwordx2 v[4:5], off, off offset:328
	v_pk_add_f32 v[2:3], v[2:3], v[6:7]
	s_waitcnt vmcnt(0)
	v_pk_add_f32 v[2:3], v[4:5], v[2:3] neg_lo:[0,1] neg_hi:[0,1]
	scratch_store_dwordx2 off, v[2:3], off offset:328
	s_and_saveexec_b64 s[0:1], vcc
	s_cbranch_execz .LBB111_221
; %bb.220:
	scratch_load_dwordx2 v[2:3], off, off offset:320
	v_mov_b32_e32 v4, 0
	v_mov_b32_e32 v5, v4
	scratch_store_dwordx2 off, v[4:5], off offset:320
	s_waitcnt vmcnt(1)
	ds_write_b64 v1, v[2:3]
.LBB111_221:
	s_or_b64 exec, exec, s[0:1]
	s_waitcnt lgkmcnt(0)
	; wave barrier
	scratch_load_dwordx4 v[4:7], off, off offset:328
	scratch_load_dwordx4 v[8:11], off, off offset:344
	scratch_load_dwordx4 v[12:15], off, off offset:360
	scratch_load_dwordx2 v[28:29], off, off offset:376
	scratch_load_dwordx2 v[30:31], off, off offset:320
	v_mov_b32_e32 v2, 0
	ds_read2_b64 v[16:19], v2 offset0:89 offset1:90
	ds_read2_b64 v[20:23], v2 offset0:91 offset1:92
	;; [unrolled: 1-line block ×3, first 2 shown]
	ds_read_b64 v[32:33], v2 offset:760
	v_cmp_lt_u32_e32 vcc, 39, v0
	s_waitcnt vmcnt(4) lgkmcnt(3)
	v_pk_mul_f32 v[34:35], v[16:17], v[4:5] op_sel:[1,1] op_sel_hi:[0,1]
	v_mov_b32_e32 v36, v7
	v_pk_fma_f32 v[48:49], v[16:17], v[4:5], v[34:35] neg_lo:[0,0,1] neg_hi:[0,0,1]
	v_pk_fma_f32 v[4:5], v[16:17], v[4:5], v[34:35] op_sel_hi:[1,0,1]
	v_pk_mul_f32 v[16:17], v[18:19], v[36:37] op_sel:[1,0] op_sel_hi:[0,0]
	s_waitcnt vmcnt(3) lgkmcnt(2)
	v_pk_mul_f32 v[38:39], v[20:21], v[8:9] op_sel:[1,1] op_sel_hi:[0,1]
	v_mov_b32_e32 v40, v11
	v_mov_b32_e32 v49, v5
	v_pk_fma_f32 v[4:5], v[18:19], v[6:7], v[16:17] neg_lo:[0,0,1] neg_hi:[0,0,1]
	v_pk_fma_f32 v[6:7], v[18:19], v[6:7], v[16:17] op_sel_hi:[1,0,1]
	v_pk_fma_f32 v[34:35], v[20:21], v[8:9], v[38:39] neg_lo:[0,0,1] neg_hi:[0,0,1]
	v_pk_fma_f32 v[8:9], v[20:21], v[8:9], v[38:39] op_sel_hi:[1,0,1]
	v_pk_mul_f32 v[20:21], v[22:23], v[40:41] op_sel:[1,0] op_sel_hi:[0,0]
	v_pk_add_f32 v[16:17], v[48:49], 0 op_sel_hi:[1,0]
	v_mov_b32_e32 v5, v7
	s_waitcnt vmcnt(2) lgkmcnt(1)
	v_pk_mul_f32 v[42:43], v[24:25], v[12:13] op_sel:[1,1] op_sel_hi:[0,1]
	v_mov_b32_e32 v44, v15
	v_mov_b32_e32 v35, v9
	v_pk_fma_f32 v[8:9], v[22:23], v[10:11], v[20:21] neg_lo:[0,0,1] neg_hi:[0,0,1]
	v_pk_fma_f32 v[10:11], v[22:23], v[10:11], v[20:21] op_sel_hi:[1,0,1]
	v_pk_add_f32 v[4:5], v[16:17], v[4:5]
	v_pk_fma_f32 v[36:37], v[24:25], v[12:13], v[42:43] neg_lo:[0,0,1] neg_hi:[0,0,1]
	v_pk_fma_f32 v[12:13], v[24:25], v[12:13], v[42:43] op_sel_hi:[1,0,1]
	v_pk_mul_f32 v[24:25], v[26:27], v[44:45] op_sel:[1,0] op_sel_hi:[0,0]
	v_mov_b32_e32 v9, v11
	v_pk_add_f32 v[4:5], v[4:5], v[34:35]
	s_waitcnt vmcnt(1) lgkmcnt(0)
	v_pk_mul_f32 v[46:47], v[32:33], v[28:29] op_sel:[1,1] op_sel_hi:[0,1]
	v_mov_b32_e32 v37, v13
	v_pk_fma_f32 v[12:13], v[26:27], v[14:15], v[24:25] neg_lo:[0,0,1] neg_hi:[0,0,1]
	v_pk_fma_f32 v[14:15], v[26:27], v[14:15], v[24:25] op_sel_hi:[1,0,1]
	v_pk_add_f32 v[4:5], v[4:5], v[8:9]
	v_pk_fma_f32 v[38:39], v[32:33], v[28:29], v[46:47] neg_lo:[0,0,1] neg_hi:[0,0,1]
	v_pk_fma_f32 v[28:29], v[32:33], v[28:29], v[46:47] op_sel_hi:[1,0,1]
	v_mov_b32_e32 v13, v15
	v_pk_add_f32 v[4:5], v[4:5], v[36:37]
	v_mov_b32_e32 v39, v29
	v_pk_add_f32 v[4:5], v[4:5], v[12:13]
	s_nop 0
	v_pk_add_f32 v[4:5], v[4:5], v[38:39]
	s_waitcnt vmcnt(0)
	v_pk_add_f32 v[4:5], v[30:31], v[4:5] neg_lo:[0,1] neg_hi:[0,1]
	scratch_store_dwordx2 off, v[4:5], off offset:320
	s_and_saveexec_b64 s[0:1], vcc
	s_cbranch_execz .LBB111_223
; %bb.222:
	scratch_load_dwordx2 v[4:5], off, off offset:312
	v_mov_b32_e32 v3, v2
	scratch_store_dwordx2 off, v[2:3], off offset:312
	s_waitcnt vmcnt(1)
	ds_write_b64 v1, v[4:5]
.LBB111_223:
	s_or_b64 exec, exec, s[0:1]
	s_waitcnt lgkmcnt(0)
	; wave barrier
	scratch_load_dwordx4 v[4:7], off, off offset:320
	scratch_load_dwordx4 v[8:11], off, off offset:336
	scratch_load_dwordx4 v[12:15], off, off offset:352
	scratch_load_dwordx4 v[16:19], off, off offset:368
	scratch_load_dwordx2 v[36:37], off, off offset:312
	ds_read_b128 v[20:23], v2 offset:704
	ds_read_b128 v[24:27], v2 offset:720
	;; [unrolled: 1-line block ×4, first 2 shown]
	v_cmp_lt_u32_e32 vcc, 38, v0
	s_waitcnt vmcnt(4) lgkmcnt(3)
	v_pk_mul_f32 v[2:3], v[20:21], v[4:5] op_sel:[1,1] op_sel_hi:[0,1]
	v_mov_b32_e32 v38, v7
	s_waitcnt vmcnt(3) lgkmcnt(2)
	v_pk_mul_f32 v[40:41], v[24:25], v[8:9] op_sel:[1,1] op_sel_hi:[0,1]
	v_mov_b32_e32 v42, v11
	s_waitcnt vmcnt(2) lgkmcnt(1)
	v_pk_mul_f32 v[44:45], v[28:29], v[12:13] op_sel:[1,1] op_sel_hi:[0,1]
	v_mov_b32_e32 v46, v15
	s_waitcnt vmcnt(1) lgkmcnt(0)
	v_pk_mul_f32 v[48:49], v[32:33], v[16:17] op_sel:[1,1] op_sel_hi:[0,1]
	v_mov_b32_e32 v50, v19
	v_pk_fma_f32 v[52:53], v[20:21], v[4:5], v[2:3] neg_lo:[0,0,1] neg_hi:[0,0,1]
	v_pk_fma_f32 v[2:3], v[20:21], v[4:5], v[2:3] op_sel_hi:[1,0,1]
	v_pk_mul_f32 v[4:5], v[22:23], v[38:39] op_sel:[1,0] op_sel_hi:[0,0]
	v_pk_fma_f32 v[20:21], v[24:25], v[8:9], v[40:41] neg_lo:[0,0,1] neg_hi:[0,0,1]
	v_pk_fma_f32 v[8:9], v[24:25], v[8:9], v[40:41] op_sel_hi:[1,0,1]
	v_pk_mul_f32 v[24:25], v[26:27], v[42:43] op_sel:[1,0] op_sel_hi:[0,0]
	;; [unrolled: 3-line block ×4, first 2 shown]
	v_mov_b32_e32 v53, v3
	v_pk_fma_f32 v[2:3], v[22:23], v[6:7], v[4:5] neg_lo:[0,0,1] neg_hi:[0,0,1]
	v_pk_fma_f32 v[4:5], v[22:23], v[6:7], v[4:5] op_sel_hi:[1,0,1]
	v_mov_b32_e32 v21, v9
	v_pk_fma_f32 v[6:7], v[26:27], v[10:11], v[24:25] neg_lo:[0,0,1] neg_hi:[0,0,1]
	v_pk_fma_f32 v[8:9], v[26:27], v[10:11], v[24:25] op_sel_hi:[1,0,1]
	;; [unrolled: 3-line block ×4, first 2 shown]
	v_pk_add_f32 v[18:19], v[52:53], 0 op_sel_hi:[1,0]
	v_mov_b32_e32 v3, v5
	v_pk_add_f32 v[2:3], v[18:19], v[2:3]
	v_mov_b32_e32 v7, v9
	v_pk_add_f32 v[2:3], v[2:3], v[20:21]
	;; [unrolled: 2-line block ×4, first 2 shown]
	s_nop 0
	v_pk_add_f32 v[2:3], v[2:3], v[10:11]
	s_nop 0
	v_pk_add_f32 v[2:3], v[2:3], v[40:41]
	s_nop 0
	v_pk_add_f32 v[2:3], v[2:3], v[14:15]
	s_waitcnt vmcnt(0)
	v_pk_add_f32 v[2:3], v[36:37], v[2:3] neg_lo:[0,1] neg_hi:[0,1]
	scratch_store_dwordx2 off, v[2:3], off offset:312
	s_and_saveexec_b64 s[0:1], vcc
	s_cbranch_execz .LBB111_225
; %bb.224:
	scratch_load_dwordx2 v[2:3], off, off offset:304
	v_mov_b32_e32 v4, 0
	v_mov_b32_e32 v5, v4
	scratch_store_dwordx2 off, v[4:5], off offset:304
	s_waitcnt vmcnt(1)
	ds_write_b64 v1, v[2:3]
.LBB111_225:
	s_or_b64 exec, exec, s[0:1]
	s_waitcnt lgkmcnt(0)
	; wave barrier
	scratch_load_dwordx4 v[4:7], off, off offset:312
	scratch_load_dwordx4 v[8:11], off, off offset:328
	;; [unrolled: 1-line block ×4, first 2 shown]
	scratch_load_dwordx2 v[36:37], off, off offset:376
	scratch_load_dwordx2 v[38:39], off, off offset:304
	v_mov_b32_e32 v2, 0
	ds_read2_b64 v[20:23], v2 offset0:87 offset1:88
	ds_read2_b64 v[24:27], v2 offset0:89 offset1:90
	ds_read2_b64 v[28:31], v2 offset0:91 offset1:92
	ds_read2_b64 v[32:35], v2 offset0:93 offset1:94
	ds_read_b64 v[40:41], v2 offset:760
	v_cmp_lt_u32_e32 vcc, 37, v0
	s_waitcnt vmcnt(5) lgkmcnt(4)
	v_mul_f32_e32 v43, v20, v5
	v_mul_f32_e32 v3, v21, v5
	v_mov_b32_e32 v44, v7
	s_waitcnt vmcnt(4) lgkmcnt(3)
	v_pk_mul_f32 v[46:47], v[24:25], v[8:9] op_sel:[1,1] op_sel_hi:[0,1]
	v_mov_b32_e32 v48, v11
	s_waitcnt vmcnt(1) lgkmcnt(0)
	v_pk_mul_f32 v[58:59], v[40:41], v[36:37] op_sel:[1,1] op_sel_hi:[0,1]
	v_fmac_f32_e32 v43, v21, v4
	v_fma_f32 v42, v20, v4, -v3
	v_pk_mul_f32 v[4:5], v[22:23], v[44:45] op_sel:[1,0] op_sel_hi:[0,0]
	v_pk_fma_f32 v[20:21], v[24:25], v[8:9], v[46:47] neg_lo:[0,0,1] neg_hi:[0,0,1]
	v_pk_fma_f32 v[8:9], v[24:25], v[8:9], v[46:47] op_sel_hi:[1,0,1]
	v_pk_mul_f32 v[24:25], v[26:27], v[48:49] op_sel:[1,0] op_sel_hi:[0,0]
	v_pk_fma_f32 v[48:49], v[40:41], v[36:37], v[58:59] neg_lo:[0,0,1] neg_hi:[0,0,1]
	v_pk_fma_f32 v[36:37], v[40:41], v[36:37], v[58:59] op_sel_hi:[1,0,1]
	v_pk_add_f32 v[40:41], v[42:43], 0 op_sel_hi:[1,0]
	v_pk_fma_f32 v[42:43], v[22:23], v[6:7], v[4:5] neg_lo:[0,0,1] neg_hi:[0,0,1]
	v_pk_fma_f32 v[4:5], v[22:23], v[6:7], v[4:5] op_sel_hi:[1,0,1]
	v_pk_mul_f32 v[50:51], v[28:29], v[12:13] op_sel:[1,1] op_sel_hi:[0,1]
	v_mov_b32_e32 v43, v5
	v_mov_b32_e32 v52, v15
	;; [unrolled: 1-line block ×3, first 2 shown]
	v_pk_fma_f32 v[6:7], v[26:27], v[10:11], v[24:25] neg_lo:[0,0,1] neg_hi:[0,0,1]
	v_pk_fma_f32 v[8:9], v[26:27], v[10:11], v[24:25] op_sel_hi:[1,0,1]
	v_pk_add_f32 v[4:5], v[40:41], v[42:43]
	v_pk_fma_f32 v[44:45], v[28:29], v[12:13], v[50:51] neg_lo:[0,0,1] neg_hi:[0,0,1]
	v_pk_fma_f32 v[12:13], v[28:29], v[12:13], v[50:51] op_sel_hi:[1,0,1]
	v_pk_mul_f32 v[28:29], v[30:31], v[52:53] op_sel:[1,0] op_sel_hi:[0,0]
	v_mov_b32_e32 v7, v9
	v_pk_add_f32 v[4:5], v[4:5], v[20:21]
	v_pk_mul_f32 v[54:55], v[32:33], v[16:17] op_sel:[1,1] op_sel_hi:[0,1]
	v_mov_b32_e32 v56, v19
	v_mov_b32_e32 v45, v13
	v_pk_fma_f32 v[10:11], v[30:31], v[14:15], v[28:29] neg_lo:[0,0,1] neg_hi:[0,0,1]
	v_pk_fma_f32 v[12:13], v[30:31], v[14:15], v[28:29] op_sel_hi:[1,0,1]
	v_pk_add_f32 v[4:5], v[4:5], v[6:7]
	v_pk_fma_f32 v[46:47], v[32:33], v[16:17], v[54:55] neg_lo:[0,0,1] neg_hi:[0,0,1]
	v_pk_fma_f32 v[16:17], v[32:33], v[16:17], v[54:55] op_sel_hi:[1,0,1]
	v_pk_mul_f32 v[32:33], v[34:35], v[56:57] op_sel:[1,0] op_sel_hi:[0,0]
	v_mov_b32_e32 v11, v13
	v_pk_add_f32 v[4:5], v[4:5], v[44:45]
	v_mov_b32_e32 v47, v17
	v_pk_fma_f32 v[14:15], v[34:35], v[18:19], v[32:33] neg_lo:[0,0,1] neg_hi:[0,0,1]
	v_pk_fma_f32 v[16:17], v[34:35], v[18:19], v[32:33] op_sel_hi:[1,0,1]
	v_pk_add_f32 v[4:5], v[4:5], v[10:11]
	v_mov_b32_e32 v15, v17
	v_pk_add_f32 v[4:5], v[4:5], v[46:47]
	v_mov_b32_e32 v49, v37
	v_pk_add_f32 v[4:5], v[4:5], v[14:15]
	s_nop 0
	v_pk_add_f32 v[4:5], v[4:5], v[48:49]
	s_waitcnt vmcnt(0)
	v_pk_add_f32 v[4:5], v[38:39], v[4:5] neg_lo:[0,1] neg_hi:[0,1]
	scratch_store_dwordx2 off, v[4:5], off offset:304
	s_and_saveexec_b64 s[0:1], vcc
	s_cbranch_execz .LBB111_227
; %bb.226:
	scratch_load_dwordx2 v[4:5], off, off offset:296
	v_mov_b32_e32 v3, v2
	scratch_store_dwordx2 off, v[2:3], off offset:296
	s_waitcnt vmcnt(1)
	ds_write_b64 v1, v[4:5]
.LBB111_227:
	s_or_b64 exec, exec, s[0:1]
	s_waitcnt lgkmcnt(0)
	; wave barrier
	scratch_load_dwordx4 v[4:7], off, off offset:304
	scratch_load_dwordx4 v[8:11], off, off offset:320
	;; [unrolled: 1-line block ×5, first 2 shown]
	scratch_load_dwordx2 v[44:45], off, off offset:296
	ds_read_b128 v[24:27], v2 offset:688
	ds_read_b128 v[28:31], v2 offset:704
	ds_read_b128 v[32:35], v2 offset:720
	ds_read_b128 v[36:39], v2 offset:736
	ds_read_b128 v[40:43], v2 offset:752
	v_cmp_lt_u32_e32 vcc, 36, v0
	s_waitcnt vmcnt(5) lgkmcnt(4)
	v_mul_f32_e32 v3, v24, v5
	v_mul_f32_e32 v2, v25, v5
	;; [unrolled: 1-line block ×4, first 2 shown]
	s_waitcnt vmcnt(4) lgkmcnt(3)
	v_pk_mul_f32 v[48:49], v[28:29], v[8:9] op_sel:[1,1] op_sel_hi:[0,1]
	v_mov_b32_e32 v50, v11
	v_fmac_f32_e32 v3, v25, v4
	v_fma_f32 v2, v24, v4, -v2
	v_fmac_f32_e32 v47, v27, v6
	v_fma_f32 v46, v26, v6, -v5
	v_pk_fma_f32 v[4:5], v[28:29], v[8:9], v[48:49] neg_lo:[0,0,1] neg_hi:[0,0,1]
	v_pk_fma_f32 v[6:7], v[28:29], v[8:9], v[48:49] op_sel_hi:[1,0,1]
	v_pk_mul_f32 v[8:9], v[30:31], v[50:51] op_sel:[1,0] op_sel_hi:[0,0]
	v_pk_add_f32 v[2:3], v[2:3], 0 op_sel_hi:[1,0]
	s_waitcnt vmcnt(3) lgkmcnt(2)
	v_pk_mul_f32 v[52:53], v[32:33], v[12:13] op_sel:[1,1] op_sel_hi:[0,1]
	v_mov_b32_e32 v54, v15
	v_mov_b32_e32 v5, v7
	v_pk_fma_f32 v[6:7], v[30:31], v[10:11], v[8:9] neg_lo:[0,0,1] neg_hi:[0,0,1]
	v_pk_fma_f32 v[8:9], v[30:31], v[10:11], v[8:9] op_sel_hi:[1,0,1]
	v_pk_add_f32 v[2:3], v[2:3], v[46:47]
	v_pk_fma_f32 v[24:25], v[32:33], v[12:13], v[52:53] neg_lo:[0,0,1] neg_hi:[0,0,1]
	v_pk_fma_f32 v[12:13], v[32:33], v[12:13], v[52:53] op_sel_hi:[1,0,1]
	v_pk_mul_f32 v[26:27], v[34:35], v[54:55] op_sel:[1,0] op_sel_hi:[0,0]
	v_mov_b32_e32 v7, v9
	v_pk_add_f32 v[2:3], v[2:3], v[4:5]
	s_waitcnt vmcnt(2) lgkmcnt(1)
	v_pk_mul_f32 v[56:57], v[36:37], v[16:17] op_sel:[1,1] op_sel_hi:[0,1]
	v_mov_b32_e32 v58, v19
	v_mov_b32_e32 v25, v13
	v_pk_fma_f32 v[10:11], v[34:35], v[14:15], v[26:27] neg_lo:[0,0,1] neg_hi:[0,0,1]
	v_pk_fma_f32 v[12:13], v[34:35], v[14:15], v[26:27] op_sel_hi:[1,0,1]
	v_pk_add_f32 v[2:3], v[2:3], v[6:7]
	v_pk_fma_f32 v[28:29], v[36:37], v[16:17], v[56:57] neg_lo:[0,0,1] neg_hi:[0,0,1]
	v_pk_fma_f32 v[16:17], v[36:37], v[16:17], v[56:57] op_sel_hi:[1,0,1]
	v_pk_mul_f32 v[32:33], v[38:39], v[58:59] op_sel:[1,0] op_sel_hi:[0,0]
	v_mov_b32_e32 v11, v13
	v_pk_add_f32 v[2:3], v[2:3], v[24:25]
	;; [unrolled: 12-line block ×3, first 2 shown]
	v_mov_b32_e32 v37, v21
	v_pk_fma_f32 v[18:19], v[42:43], v[22:23], v[40:41] neg_lo:[0,0,1] neg_hi:[0,0,1]
	v_pk_fma_f32 v[20:21], v[42:43], v[22:23], v[40:41] op_sel_hi:[1,0,1]
	v_pk_add_f32 v[2:3], v[2:3], v[14:15]
	v_mov_b32_e32 v19, v21
	v_pk_add_f32 v[2:3], v[2:3], v[36:37]
	s_nop 0
	v_pk_add_f32 v[2:3], v[2:3], v[18:19]
	s_waitcnt vmcnt(0)
	v_pk_add_f32 v[2:3], v[44:45], v[2:3] neg_lo:[0,1] neg_hi:[0,1]
	scratch_store_dwordx2 off, v[2:3], off offset:296
	s_and_saveexec_b64 s[0:1], vcc
	s_cbranch_execz .LBB111_229
; %bb.228:
	scratch_load_dwordx2 v[2:3], off, off offset:288
	v_mov_b32_e32 v4, 0
	v_mov_b32_e32 v5, v4
	scratch_store_dwordx2 off, v[4:5], off offset:288
	s_waitcnt vmcnt(1)
	ds_write_b64 v1, v[2:3]
.LBB111_229:
	s_or_b64 exec, exec, s[0:1]
	s_waitcnt lgkmcnt(0)
	; wave barrier
	scratch_load_dwordx4 v[4:7], off, off offset:296
	scratch_load_dwordx4 v[8:11], off, off offset:312
	;; [unrolled: 1-line block ×5, first 2 shown]
	scratch_load_dwordx2 v[44:45], off, off offset:376
	scratch_load_dwordx2 v[46:47], off, off offset:288
	v_mov_b32_e32 v2, 0
	ds_read2_b64 v[24:27], v2 offset0:85 offset1:86
	ds_read2_b64 v[28:31], v2 offset0:87 offset1:88
	;; [unrolled: 1-line block ×5, first 2 shown]
	ds_read_b64 v[48:49], v2 offset:760
	v_cmp_lt_u32_e32 vcc, 35, v0
	s_waitcnt vmcnt(6) lgkmcnt(5)
	v_mul_f32_e32 v3, v24, v5
	v_mul_f32_e32 v5, v25, v5
	;; [unrolled: 1-line block ×3, first 2 shown]
	s_waitcnt vmcnt(5) lgkmcnt(4)
	v_mul_f32_e32 v53, v28, v9
	v_mul_f32_e32 v7, v27, v7
	;; [unrolled: 1-line block ×3, first 2 shown]
	v_mov_b32_e32 v54, v11
	s_waitcnt vmcnt(3) lgkmcnt(2)
	v_pk_mul_f32 v[60:61], v[36:37], v[16:17] op_sel:[1,1] op_sel_hi:[0,1]
	s_waitcnt vmcnt(2) lgkmcnt(1)
	v_pk_mul_f32 v[64:65], v[40:41], v[20:21] op_sel:[1,1] op_sel_hi:[0,1]
	;; [unrolled: 2-line block ×3, first 2 shown]
	v_fmac_f32_e32 v3, v25, v4
	v_fma_f32 v55, v24, v4, -v5
	v_fmac_f32_e32 v51, v27, v6
	v_fmac_f32_e32 v53, v29, v8
	v_fma_f32 v50, v26, v6, -v7
	v_fma_f32 v52, v28, v8, -v9
	v_pk_mul_f32 v[4:5], v[30:31], v[54:55] op_sel:[1,0] op_sel_hi:[0,0]
	v_pk_fma_f32 v[24:25], v[36:37], v[16:17], v[60:61] neg_lo:[0,0,1] neg_hi:[0,0,1]
	v_pk_fma_f32 v[16:17], v[36:37], v[16:17], v[60:61] op_sel_hi:[1,0,1]
	v_pk_fma_f32 v[28:29], v[40:41], v[20:21], v[64:65] neg_lo:[0,0,1] neg_hi:[0,0,1]
	v_pk_fma_f32 v[20:21], v[40:41], v[20:21], v[64:65] op_sel_hi:[1,0,1]
	;; [unrolled: 2-line block ×3, first 2 shown]
	v_add_f32_e32 v45, 0, v3
	v_add_f32_e32 v44, 0, v55
	v_pk_mul_f32 v[56:57], v[32:33], v[12:13] op_sel:[1,1] op_sel_hi:[0,1]
	v_mov_b32_e32 v58, v15
	v_pk_fma_f32 v[48:49], v[30:31], v[10:11], v[4:5] neg_lo:[0,0,1] neg_hi:[0,0,1]
	v_pk_fma_f32 v[4:5], v[30:31], v[10:11], v[4:5] op_sel_hi:[1,0,1]
	v_mov_b32_e32 v29, v21
	v_pk_add_f32 v[20:21], v[44:45], v[50:51]
	v_pk_fma_f32 v[6:7], v[32:33], v[12:13], v[56:57] neg_lo:[0,0,1] neg_hi:[0,0,1]
	v_pk_fma_f32 v[8:9], v[32:33], v[12:13], v[56:57] op_sel_hi:[1,0,1]
	v_pk_mul_f32 v[12:13], v[34:35], v[58:59] op_sel:[1,0] op_sel_hi:[0,0]
	v_mov_b32_e32 v49, v5
	v_pk_add_f32 v[4:5], v[20:21], v[52:53]
	v_mov_b32_e32 v62, v19
	v_mov_b32_e32 v7, v9
	v_pk_fma_f32 v[8:9], v[34:35], v[14:15], v[12:13] neg_lo:[0,0,1] neg_hi:[0,0,1]
	v_pk_fma_f32 v[10:11], v[34:35], v[14:15], v[12:13] op_sel_hi:[1,0,1]
	v_pk_add_f32 v[4:5], v[4:5], v[48:49]
	v_pk_mul_f32 v[26:27], v[38:39], v[62:63] op_sel:[1,0] op_sel_hi:[0,0]
	v_mov_b32_e32 v9, v11
	v_pk_add_f32 v[4:5], v[4:5], v[6:7]
	v_mov_b32_e32 v66, v23
	v_mov_b32_e32 v25, v17
	v_pk_fma_f32 v[12:13], v[38:39], v[18:19], v[26:27] neg_lo:[0,0,1] neg_hi:[0,0,1]
	v_pk_fma_f32 v[14:15], v[38:39], v[18:19], v[26:27] op_sel_hi:[1,0,1]
	v_pk_add_f32 v[4:5], v[4:5], v[8:9]
	v_pk_mul_f32 v[32:33], v[42:43], v[66:67] op_sel:[1,0] op_sel_hi:[0,0]
	v_mov_b32_e32 v13, v15
	v_pk_add_f32 v[4:5], v[4:5], v[24:25]
	v_pk_fma_f32 v[16:17], v[42:43], v[22:23], v[32:33] neg_lo:[0,0,1] neg_hi:[0,0,1]
	v_pk_fma_f32 v[18:19], v[42:43], v[22:23], v[32:33] op_sel_hi:[1,0,1]
	v_pk_add_f32 v[4:5], v[4:5], v[12:13]
	v_mov_b32_e32 v17, v19
	v_pk_add_f32 v[4:5], v[4:5], v[28:29]
	v_mov_b32_e32 v37, v41
	v_pk_add_f32 v[4:5], v[4:5], v[16:17]
	s_nop 0
	v_pk_add_f32 v[4:5], v[4:5], v[36:37]
	s_waitcnt vmcnt(0)
	v_pk_add_f32 v[4:5], v[46:47], v[4:5] neg_lo:[0,1] neg_hi:[0,1]
	scratch_store_dwordx2 off, v[4:5], off offset:288
	s_and_saveexec_b64 s[0:1], vcc
	s_cbranch_execz .LBB111_231
; %bb.230:
	scratch_load_dwordx2 v[4:5], off, off offset:280
	v_mov_b32_e32 v3, v2
	scratch_store_dwordx2 off, v[2:3], off offset:280
	s_waitcnt vmcnt(1)
	ds_write_b64 v1, v[4:5]
.LBB111_231:
	s_or_b64 exec, exec, s[0:1]
	s_waitcnt lgkmcnt(0)
	; wave barrier
	scratch_load_dwordx4 v[4:7], off, off offset:288
	scratch_load_dwordx4 v[8:11], off, off offset:304
	;; [unrolled: 1-line block ×6, first 2 shown]
	scratch_load_dwordx2 v[52:53], off, off offset:280
	ds_read_b128 v[28:31], v2 offset:672
	ds_read_b128 v[32:35], v2 offset:688
	;; [unrolled: 1-line block ×6, first 2 shown]
	v_cmp_lt_u32_e32 vcc, 34, v0
	s_waitcnt vmcnt(6) lgkmcnt(5)
	v_mul_f32_e32 v59, v28, v5
	v_mul_f32_e32 v63, v30, v7
	s_waitcnt vmcnt(5) lgkmcnt(4)
	v_mul_f32_e32 v3, v32, v9
	v_mul_f32_e32 v2, v29, v5
	;; [unrolled: 1-line block ×4, first 2 shown]
	s_waitcnt vmcnt(1) lgkmcnt(0)
	v_pk_mul_f32 v[68:69], v[48:49], v[24:25] op_sel:[1,1] op_sel_hi:[0,1]
	v_pk_mul_f32 v[56:57], v[36:37], v[12:13] op_sel:[1,1] op_sel_hi:[0,1]
	v_fmac_f32_e32 v59, v29, v4
	v_fmac_f32_e32 v3, v33, v8
	v_fma_f32 v67, v28, v4, -v2
	v_fma_f32 v2, v32, v8, -v7
	v_pk_fma_f32 v[32:33], v[48:49], v[24:25], v[68:69] neg_lo:[0,0,1] neg_hi:[0,0,1]
	v_pk_fma_f32 v[24:25], v[48:49], v[24:25], v[68:69] op_sel_hi:[1,0,1]
	v_fmac_f32_e32 v63, v31, v6
	v_fma_f32 v71, v30, v6, -v5
	v_pk_fma_f32 v[4:5], v[36:37], v[12:13], v[56:57] neg_lo:[0,0,1] neg_hi:[0,0,1]
	v_pk_fma_f32 v[6:7], v[36:37], v[12:13], v[56:57] op_sel_hi:[1,0,1]
	v_add_f32_e32 v24, 0, v59
	v_add_f32_e32 v36, 0, v67
	v_mul_f32_e32 v55, v34, v11
	v_mul_f32_e32 v9, v35, v11
	v_mov_b32_e32 v58, v15
	v_mov_b32_e32 v33, v25
	v_add_f32_e32 v25, v24, v63
	v_add_f32_e32 v24, v36, v71
	v_fmac_f32_e32 v55, v35, v10
	v_fma_f32 v54, v34, v10, -v9
	v_pk_mul_f32 v[8:9], v[38:39], v[58:59] op_sel:[1,0] op_sel_hi:[0,0]
	v_pk_add_f32 v[2:3], v[24:25], v[2:3]
	v_pk_mul_f32 v[60:61], v[40:41], v[16:17] op_sel:[1,1] op_sel_hi:[0,1]
	v_mov_b32_e32 v62, v19
	v_mov_b32_e32 v5, v7
	v_pk_fma_f32 v[6:7], v[38:39], v[14:15], v[8:9] neg_lo:[0,0,1] neg_hi:[0,0,1]
	v_pk_fma_f32 v[8:9], v[38:39], v[14:15], v[8:9] op_sel_hi:[1,0,1]
	v_pk_add_f32 v[2:3], v[2:3], v[54:55]
	v_pk_fma_f32 v[10:11], v[40:41], v[16:17], v[60:61] neg_lo:[0,0,1] neg_hi:[0,0,1]
	v_pk_fma_f32 v[12:13], v[40:41], v[16:17], v[60:61] op_sel_hi:[1,0,1]
	v_pk_mul_f32 v[16:17], v[42:43], v[62:63] op_sel:[1,0] op_sel_hi:[0,0]
	v_mov_b32_e32 v7, v9
	v_pk_add_f32 v[2:3], v[2:3], v[4:5]
	v_pk_mul_f32 v[64:65], v[44:45], v[20:21] op_sel:[1,1] op_sel_hi:[0,1]
	v_mov_b32_e32 v66, v23
	v_mov_b32_e32 v11, v13
	v_pk_fma_f32 v[12:13], v[42:43], v[18:19], v[16:17] neg_lo:[0,0,1] neg_hi:[0,0,1]
	v_pk_fma_f32 v[14:15], v[42:43], v[18:19], v[16:17] op_sel_hi:[1,0,1]
	v_pk_add_f32 v[2:3], v[2:3], v[6:7]
	v_pk_fma_f32 v[28:29], v[44:45], v[20:21], v[64:65] neg_lo:[0,0,1] neg_hi:[0,0,1]
	v_pk_fma_f32 v[20:21], v[44:45], v[20:21], v[64:65] op_sel_hi:[1,0,1]
	v_pk_mul_f32 v[30:31], v[46:47], v[66:67] op_sel:[1,0] op_sel_hi:[0,0]
	v_mov_b32_e32 v13, v15
	v_pk_add_f32 v[2:3], v[2:3], v[10:11]
	v_mov_b32_e32 v70, v27
	v_mov_b32_e32 v29, v21
	v_pk_fma_f32 v[16:17], v[46:47], v[22:23], v[30:31] neg_lo:[0,0,1] neg_hi:[0,0,1]
	v_pk_fma_f32 v[18:19], v[46:47], v[22:23], v[30:31] op_sel_hi:[1,0,1]
	v_pk_add_f32 v[2:3], v[2:3], v[12:13]
	v_pk_mul_f32 v[34:35], v[50:51], v[70:71] op_sel:[1,0] op_sel_hi:[0,0]
	v_mov_b32_e32 v17, v19
	v_pk_add_f32 v[2:3], v[2:3], v[28:29]
	v_pk_fma_f32 v[20:21], v[50:51], v[26:27], v[34:35] neg_lo:[0,0,1] neg_hi:[0,0,1]
	v_pk_fma_f32 v[22:23], v[50:51], v[26:27], v[34:35] op_sel_hi:[1,0,1]
	v_pk_add_f32 v[2:3], v[2:3], v[16:17]
	v_mov_b32_e32 v21, v23
	v_pk_add_f32 v[2:3], v[2:3], v[32:33]
	s_nop 0
	v_pk_add_f32 v[2:3], v[2:3], v[20:21]
	s_waitcnt vmcnt(0)
	v_pk_add_f32 v[2:3], v[52:53], v[2:3] neg_lo:[0,1] neg_hi:[0,1]
	scratch_store_dwordx2 off, v[2:3], off offset:280
	s_and_saveexec_b64 s[0:1], vcc
	s_cbranch_execz .LBB111_233
; %bb.232:
	scratch_load_dwordx2 v[2:3], off, off offset:272
	v_mov_b32_e32 v4, 0
	v_mov_b32_e32 v5, v4
	scratch_store_dwordx2 off, v[4:5], off offset:272
	s_waitcnt vmcnt(1)
	ds_write_b64 v1, v[2:3]
.LBB111_233:
	s_or_b64 exec, exec, s[0:1]
	s_waitcnt lgkmcnt(0)
	; wave barrier
	scratch_load_dwordx4 v[8:11], off, off offset:280
	scratch_load_dwordx4 v[16:19], off, off offset:296
	v_mov_b32_e32 v2, 0
	ds_read2_b64 v[4:7], v2 offset0:83 offset1:84
	scratch_load_dwordx4 v[24:27], off, off offset:312
	v_cmp_lt_u32_e32 vcc, 33, v0
	s_waitcnt vmcnt(2) lgkmcnt(0)
	v_mul_f32_e32 v3, v4, v9
	v_fmac_f32_e32 v3, v5, v8
	v_mul_f32_e32 v12, v6, v11
	v_add_f32_e32 v3, 0, v3
	v_fmac_f32_e32 v12, v7, v10
	v_add_f32_e32 v3, v3, v12
	ds_read2_b64 v[12:15], v2 offset0:85 offset1:86
	s_waitcnt vmcnt(1) lgkmcnt(0)
	v_mul_f32_e32 v20, v12, v17
	v_fmac_f32_e32 v20, v13, v16
	v_add_f32_e32 v41, v3, v20
	ds_read2_b64 v[20:23], v2 offset0:87 offset1:88
	scratch_load_dwordx4 v[28:31], off, off offset:328
	scratch_load_dwordx4 v[32:35], off, off offset:344
	;; [unrolled: 1-line block ×3, first 2 shown]
	scratch_load_dwordx2 v[46:47], off, off offset:376
	v_mul_f32_e32 v3, v5, v9
	v_fma_f32 v3, v4, v8, -v3
	v_mul_f32_e32 v4, v7, v11
	v_add_f32_e32 v3, 0, v3
	v_fma_f32 v4, v6, v10, -v4
	v_add_f32_e32 v3, v3, v4
	v_mul_f32_e32 v4, v13, v17
	v_fma_f32 v4, v12, v16, -v4
	v_add_f32_e32 v40, v3, v4
	v_mul_f32_e32 v3, v15, v19
	v_fma_f32 v42, v14, v18, -v3
	s_waitcnt vmcnt(4) lgkmcnt(0)
	v_mul_f32_e32 v3, v21, v25
	v_mul_f32_e32 v43, v14, v19
	;; [unrolled: 1-line block ×3, first 2 shown]
	v_fma_f32 v44, v20, v24, -v3
	v_mov_b32_e32 v20, v27
	v_fmac_f32_e32 v43, v15, v18
	v_fmac_f32_e32 v45, v21, v24
	ds_read2_b64 v[4:7], v2 offset0:89 offset1:90
	ds_read2_b64 v[8:11], v2 offset0:91 offset1:92
	;; [unrolled: 1-line block ×3, first 2 shown]
	ds_read_b64 v[16:17], v2 offset:760
	v_pk_mul_f32 v[20:21], v[22:23], v[20:21] op_sel:[1,0] op_sel_hi:[0,0]
	v_pk_fma_f32 v[24:25], v[22:23], v[26:27], v[20:21] neg_lo:[0,0,1] neg_hi:[0,0,1]
	v_pk_fma_f32 v[20:21], v[22:23], v[26:27], v[20:21] op_sel_hi:[1,0,1]
	v_pk_add_f32 v[18:19], v[40:41], v[42:43]
	v_mov_b32_e32 v25, v21
	v_pk_add_f32 v[18:19], v[18:19], v[44:45]
	s_waitcnt vmcnt(3) lgkmcnt(3)
	v_pk_mul_f32 v[20:21], v[4:5], v[28:29] op_sel:[1,1] op_sel_hi:[0,1]
	v_pk_fma_f32 v[22:23], v[4:5], v[28:29], v[20:21] neg_lo:[0,0,1] neg_hi:[0,0,1]
	v_pk_fma_f32 v[4:5], v[4:5], v[28:29], v[20:21] op_sel_hi:[1,0,1]
	v_pk_add_f32 v[18:19], v[18:19], v[24:25]
	v_mov_b32_e32 v23, v5
	v_pk_add_f32 v[4:5], v[18:19], v[22:23]
	v_mov_b32_e32 v18, v31
	v_pk_mul_f32 v[18:19], v[6:7], v[18:19] op_sel:[1,0] op_sel_hi:[0,0]
	v_pk_fma_f32 v[20:21], v[6:7], v[30:31], v[18:19] neg_lo:[0,0,1] neg_hi:[0,0,1]
	v_pk_fma_f32 v[6:7], v[6:7], v[30:31], v[18:19] op_sel_hi:[1,0,1]
	s_nop 0
	v_mov_b32_e32 v21, v7
	s_waitcnt vmcnt(2) lgkmcnt(2)
	v_pk_mul_f32 v[6:7], v[8:9], v[32:33] op_sel:[1,1] op_sel_hi:[0,1]
	v_pk_fma_f32 v[18:19], v[8:9], v[32:33], v[6:7] neg_lo:[0,0,1] neg_hi:[0,0,1]
	v_pk_fma_f32 v[6:7], v[8:9], v[32:33], v[6:7] op_sel_hi:[1,0,1]
	v_pk_add_f32 v[4:5], v[4:5], v[20:21]
	v_mov_b32_e32 v6, v35
	v_mov_b32_e32 v19, v7
	v_pk_mul_f32 v[6:7], v[10:11], v[6:7] op_sel:[1,0] op_sel_hi:[0,0]
	v_pk_fma_f32 v[8:9], v[10:11], v[34:35], v[6:7] neg_lo:[0,0,1] neg_hi:[0,0,1]
	v_pk_fma_f32 v[6:7], v[10:11], v[34:35], v[6:7] op_sel_hi:[1,0,1]
	v_pk_add_f32 v[4:5], v[4:5], v[18:19]
	v_mov_b32_e32 v9, v7
	s_waitcnt vmcnt(1) lgkmcnt(1)
	v_pk_mul_f32 v[6:7], v[12:13], v[36:37] op_sel:[1,1] op_sel_hi:[0,1]
	v_pk_add_f32 v[4:5], v[4:5], v[8:9]
	v_pk_fma_f32 v[8:9], v[12:13], v[36:37], v[6:7] neg_lo:[0,0,1] neg_hi:[0,0,1]
	v_pk_fma_f32 v[6:7], v[12:13], v[36:37], v[6:7] op_sel_hi:[1,0,1]
	s_nop 0
	v_mov_b32_e32 v6, v39
	v_mov_b32_e32 v9, v7
	v_pk_mul_f32 v[6:7], v[14:15], v[6:7] op_sel:[1,0] op_sel_hi:[0,0]
	v_pk_add_f32 v[4:5], v[4:5], v[8:9]
	v_pk_fma_f32 v[8:9], v[14:15], v[38:39], v[6:7] neg_lo:[0,0,1] neg_hi:[0,0,1]
	v_pk_fma_f32 v[6:7], v[14:15], v[38:39], v[6:7] op_sel_hi:[1,0,1]
	s_nop 0
	v_mov_b32_e32 v9, v7
	s_waitcnt vmcnt(0) lgkmcnt(0)
	v_pk_mul_f32 v[6:7], v[16:17], v[46:47] op_sel:[1,1] op_sel_hi:[0,1]
	v_pk_add_f32 v[4:5], v[4:5], v[8:9]
	v_pk_fma_f32 v[8:9], v[16:17], v[46:47], v[6:7] neg_lo:[0,0,1] neg_hi:[0,0,1]
	v_pk_fma_f32 v[6:7], v[16:17], v[46:47], v[6:7] op_sel_hi:[1,0,1]
	s_nop 0
	v_mov_b32_e32 v9, v7
	scratch_load_dwordx2 v[6:7], off, off offset:272
	v_pk_add_f32 v[4:5], v[4:5], v[8:9]
	s_waitcnt vmcnt(0)
	v_pk_add_f32 v[4:5], v[6:7], v[4:5] neg_lo:[0,1] neg_hi:[0,1]
	scratch_store_dwordx2 off, v[4:5], off offset:272
	s_and_saveexec_b64 s[0:1], vcc
	s_cbranch_execz .LBB111_235
; %bb.234:
	scratch_load_dwordx2 v[4:5], off, off offset:264
	v_mov_b32_e32 v3, v2
	scratch_store_dwordx2 off, v[2:3], off offset:264
	s_waitcnt vmcnt(1)
	ds_write_b64 v1, v[4:5]
.LBB111_235:
	s_or_b64 exec, exec, s[0:1]
	s_waitcnt lgkmcnt(0)
	; wave barrier
	ds_read_b128 v[4:7], v2 offset:656
	ds_read_b128 v[8:11], v2 offset:672
	;; [unrolled: 1-line block ×4, first 2 shown]
	scratch_load_dwordx4 v[20:23], off, off offset:272
	v_cmp_lt_u32_e32 vcc, 32, v0
	s_waitcnt vmcnt(0) lgkmcnt(3)
	v_mul_f32_e32 v3, v4, v21
	v_fmac_f32_e32 v3, v5, v20
	v_mul_f32_e32 v24, v6, v23
	v_add_f32_e32 v3, 0, v3
	v_fmac_f32_e32 v24, v7, v22
	v_add_f32_e32 v3, v3, v24
	scratch_load_dwordx4 v[24:27], off, off offset:288
	s_waitcnt vmcnt(0) lgkmcnt(2)
	v_mul_f32_e32 v28, v8, v25
	v_fmac_f32_e32 v28, v9, v24
	v_add_f32_e32 v3, v3, v28
	v_mul_f32_e32 v28, v10, v27
	v_fmac_f32_e32 v28, v11, v26
	v_add_f32_e32 v49, v3, v28
	scratch_load_dwordx4 v[28:31], off, off offset:304
	scratch_load_dwordx4 v[32:35], off, off offset:320
	;; [unrolled: 1-line block ×5, first 2 shown]
	v_mul_f32_e32 v3, v5, v21
	v_fma_f32 v3, v4, v20, -v3
	v_mul_f32_e32 v4, v7, v23
	v_add_f32_e32 v3, 0, v3
	v_fma_f32 v4, v6, v22, -v4
	v_add_f32_e32 v3, v3, v4
	v_mul_f32_e32 v4, v9, v25
	v_fma_f32 v4, v8, v24, -v4
	v_add_f32_e32 v3, v3, v4
	v_mul_f32_e32 v4, v11, v27
	v_fma_f32 v4, v10, v26, -v4
	v_add_f32_e32 v48, v3, v4
	s_waitcnt vmcnt(3) lgkmcnt(0)
	v_pk_mul_f32 v[20:21], v[16:17], v[32:33] op_sel:[1,1] op_sel_hi:[0,1]
	v_pk_fma_f32 v[22:23], v[16:17], v[32:33], v[20:21] neg_lo:[0,0,1] neg_hi:[0,0,1]
	v_mul_f32_e32 v3, v13, v29
	v_mul_f32_e32 v51, v12, v29
	;; [unrolled: 1-line block ×3, first 2 shown]
	v_fma_f32 v50, v12, v28, -v3
	v_mul_f32_e32 v3, v15, v31
	v_pk_fma_f32 v[16:17], v[16:17], v[32:33], v[20:21] op_sel_hi:[1,0,1]
	v_fmac_f32_e32 v51, v13, v28
	v_fmac_f32_e32 v53, v15, v30
	v_fma_f32 v52, v14, v30, -v3
	ds_read_b128 v[4:7], v2 offset:720
	ds_read_b128 v[8:11], v2 offset:736
	;; [unrolled: 1-line block ×3, first 2 shown]
	v_mov_b32_e32 v16, v35
	v_mov_b32_e32 v23, v17
	v_pk_mul_f32 v[16:17], v[18:19], v[16:17] op_sel:[1,0] op_sel_hi:[0,0]
	v_pk_fma_f32 v[20:21], v[18:19], v[34:35], v[16:17] neg_lo:[0,0,1] neg_hi:[0,0,1]
	v_pk_fma_f32 v[16:17], v[18:19], v[34:35], v[16:17] op_sel_hi:[1,0,1]
	v_pk_add_f32 v[2:3], v[48:49], v[50:51]
	v_mov_b32_e32 v21, v17
	s_waitcnt vmcnt(2) lgkmcnt(2)
	v_pk_mul_f32 v[16:17], v[4:5], v[36:37] op_sel:[1,1] op_sel_hi:[0,1]
	v_pk_fma_f32 v[18:19], v[4:5], v[36:37], v[16:17] neg_lo:[0,0,1] neg_hi:[0,0,1]
	v_pk_fma_f32 v[4:5], v[4:5], v[36:37], v[16:17] op_sel_hi:[1,0,1]
	v_pk_add_f32 v[2:3], v[2:3], v[52:53]
	v_mov_b32_e32 v4, v39
	v_mov_b32_e32 v19, v5
	v_pk_mul_f32 v[4:5], v[6:7], v[4:5] op_sel:[1,0] op_sel_hi:[0,0]
	v_pk_fma_f32 v[16:17], v[6:7], v[38:39], v[4:5] neg_lo:[0,0,1] neg_hi:[0,0,1]
	v_pk_fma_f32 v[4:5], v[6:7], v[38:39], v[4:5] op_sel_hi:[1,0,1]
	v_pk_add_f32 v[2:3], v[2:3], v[22:23]
	v_mov_b32_e32 v17, v5
	s_waitcnt vmcnt(1) lgkmcnt(1)
	v_pk_mul_f32 v[4:5], v[8:9], v[40:41] op_sel:[1,1] op_sel_hi:[0,1]
	v_pk_add_f32 v[2:3], v[2:3], v[20:21]
	v_pk_fma_f32 v[6:7], v[8:9], v[40:41], v[4:5] neg_lo:[0,0,1] neg_hi:[0,0,1]
	v_pk_fma_f32 v[4:5], v[8:9], v[40:41], v[4:5] op_sel_hi:[1,0,1]
	v_pk_add_f32 v[2:3], v[2:3], v[18:19]
	v_mov_b32_e32 v4, v43
	v_pk_add_f32 v[2:3], v[2:3], v[16:17]
	v_mov_b32_e32 v7, v5
	v_pk_mul_f32 v[4:5], v[10:11], v[4:5] op_sel:[1,0] op_sel_hi:[0,0]
	v_pk_add_f32 v[2:3], v[2:3], v[6:7]
	v_pk_fma_f32 v[6:7], v[10:11], v[42:43], v[4:5] neg_lo:[0,0,1] neg_hi:[0,0,1]
	v_pk_fma_f32 v[4:5], v[10:11], v[42:43], v[4:5] op_sel_hi:[1,0,1]
	s_nop 0
	v_mov_b32_e32 v7, v5
	s_waitcnt vmcnt(0) lgkmcnt(0)
	v_pk_mul_f32 v[4:5], v[12:13], v[44:45] op_sel:[1,1] op_sel_hi:[0,1]
	v_pk_add_f32 v[2:3], v[2:3], v[6:7]
	v_pk_fma_f32 v[6:7], v[12:13], v[44:45], v[4:5] neg_lo:[0,0,1] neg_hi:[0,0,1]
	v_pk_fma_f32 v[4:5], v[12:13], v[44:45], v[4:5] op_sel_hi:[1,0,1]
	s_nop 0
	v_mov_b32_e32 v4, v47
	v_mov_b32_e32 v7, v5
	v_pk_mul_f32 v[4:5], v[14:15], v[4:5] op_sel:[1,0] op_sel_hi:[0,0]
	v_pk_add_f32 v[2:3], v[2:3], v[6:7]
	v_pk_fma_f32 v[6:7], v[14:15], v[46:47], v[4:5] neg_lo:[0,0,1] neg_hi:[0,0,1]
	v_pk_fma_f32 v[4:5], v[14:15], v[46:47], v[4:5] op_sel_hi:[1,0,1]
	s_nop 0
	v_mov_b32_e32 v7, v5
	scratch_load_dwordx2 v[4:5], off, off offset:264
	v_pk_add_f32 v[2:3], v[2:3], v[6:7]
	s_waitcnt vmcnt(0)
	v_pk_add_f32 v[2:3], v[4:5], v[2:3] neg_lo:[0,1] neg_hi:[0,1]
	scratch_store_dwordx2 off, v[2:3], off offset:264
	s_and_saveexec_b64 s[0:1], vcc
	s_cbranch_execz .LBB111_237
; %bb.236:
	scratch_load_dwordx2 v[2:3], off, off offset:256
	v_mov_b32_e32 v4, 0
	v_mov_b32_e32 v5, v4
	scratch_store_dwordx2 off, v[4:5], off offset:256
	s_waitcnt vmcnt(1)
	ds_write_b64 v1, v[2:3]
.LBB111_237:
	s_or_b64 exec, exec, s[0:1]
	s_waitcnt lgkmcnt(0)
	; wave barrier
	scratch_load_dwordx4 v[8:11], off, off offset:264
	scratch_load_dwordx4 v[16:19], off, off offset:280
	;; [unrolled: 1-line block ×4, first 2 shown]
	v_mov_b32_e32 v2, 0
	ds_read2_b64 v[4:7], v2 offset0:81 offset1:82
	v_cmp_lt_u32_e32 vcc, 31, v0
	s_waitcnt vmcnt(3) lgkmcnt(0)
	v_mul_f32_e32 v3, v4, v9
	v_fmac_f32_e32 v3, v5, v8
	v_mul_f32_e32 v12, v6, v11
	v_add_f32_e32 v3, 0, v3
	v_fmac_f32_e32 v12, v7, v10
	v_add_f32_e32 v3, v3, v12
	ds_read2_b64 v[12:15], v2 offset0:83 offset1:84
	s_waitcnt vmcnt(2) lgkmcnt(0)
	v_mul_f32_e32 v20, v12, v17
	v_fmac_f32_e32 v20, v13, v16
	v_add_f32_e32 v3, v3, v20
	v_mul_f32_e32 v20, v14, v19
	v_fmac_f32_e32 v20, v15, v18
	v_add_f32_e32 v3, v3, v20
	ds_read2_b64 v[20:23], v2 offset0:85 offset1:86
	s_waitcnt vmcnt(1) lgkmcnt(0)
	v_mul_f32_e32 v28, v20, v25
	v_fmac_f32_e32 v28, v21, v24
	v_add_f32_e32 v49, v3, v28
	ds_read2_b64 v[28:31], v2 offset0:87 offset1:88
	scratch_load_dwordx4 v[36:39], off, off offset:328
	scratch_load_dwordx4 v[40:43], off, off offset:344
	;; [unrolled: 1-line block ×3, first 2 shown]
	scratch_load_dwordx2 v[54:55], off, off offset:376
	v_mul_f32_e32 v3, v5, v9
	v_fma_f32 v3, v4, v8, -v3
	v_mul_f32_e32 v4, v7, v11
	v_add_f32_e32 v3, 0, v3
	v_fma_f32 v4, v6, v10, -v4
	v_add_f32_e32 v3, v3, v4
	v_mul_f32_e32 v4, v13, v17
	v_fma_f32 v4, v12, v16, -v4
	v_add_f32_e32 v3, v3, v4
	v_mul_f32_e32 v4, v15, v19
	;; [unrolled: 3-line block ×3, first 2 shown]
	v_fma_f32 v4, v20, v24, -v4
	v_mul_f32_e32 v51, v22, v27
	v_add_f32_e32 v48, v3, v4
	v_mul_f32_e32 v3, v23, v27
	s_waitcnt vmcnt(4)
	v_mov_b32_e32 v20, v35
	v_fmac_f32_e32 v51, v23, v26
	s_waitcnt lgkmcnt(0)
	v_mul_f32_e32 v53, v28, v33
	v_fma_f32 v50, v22, v26, -v3
	v_mul_f32_e32 v3, v29, v33
	ds_read2_b64 v[4:7], v2 offset0:89 offset1:90
	ds_read2_b64 v[8:11], v2 offset0:91 offset1:92
	;; [unrolled: 1-line block ×3, first 2 shown]
	ds_read_b64 v[16:17], v2 offset:760
	v_pk_mul_f32 v[20:21], v[30:31], v[20:21] op_sel:[1,0] op_sel_hi:[0,0]
	v_fmac_f32_e32 v53, v29, v32
	v_fma_f32 v52, v28, v32, -v3
	v_pk_add_f32 v[18:19], v[48:49], v[50:51]
	v_pk_fma_f32 v[22:23], v[30:31], v[34:35], v[20:21] neg_lo:[0,0,1] neg_hi:[0,0,1]
	v_pk_fma_f32 v[20:21], v[30:31], v[34:35], v[20:21] op_sel_hi:[1,0,1]
	v_pk_add_f32 v[18:19], v[18:19], v[52:53]
	v_mov_b32_e32 v23, v21
	v_pk_add_f32 v[18:19], v[18:19], v[22:23]
	s_waitcnt vmcnt(3) lgkmcnt(3)
	v_pk_mul_f32 v[20:21], v[4:5], v[36:37] op_sel:[1,1] op_sel_hi:[0,1]
	v_pk_fma_f32 v[22:23], v[4:5], v[36:37], v[20:21] neg_lo:[0,0,1] neg_hi:[0,0,1]
	v_pk_fma_f32 v[4:5], v[4:5], v[36:37], v[20:21] op_sel_hi:[1,0,1]
	s_nop 0
	v_mov_b32_e32 v23, v5
	v_pk_add_f32 v[4:5], v[18:19], v[22:23]
	v_mov_b32_e32 v18, v39
	v_pk_mul_f32 v[18:19], v[6:7], v[18:19] op_sel:[1,0] op_sel_hi:[0,0]
	v_pk_fma_f32 v[20:21], v[6:7], v[38:39], v[18:19] neg_lo:[0,0,1] neg_hi:[0,0,1]
	v_pk_fma_f32 v[6:7], v[6:7], v[38:39], v[18:19] op_sel_hi:[1,0,1]
	s_nop 0
	v_mov_b32_e32 v21, v7
	s_waitcnt vmcnt(2) lgkmcnt(2)
	v_pk_mul_f32 v[6:7], v[8:9], v[40:41] op_sel:[1,1] op_sel_hi:[0,1]
	v_pk_fma_f32 v[18:19], v[8:9], v[40:41], v[6:7] neg_lo:[0,0,1] neg_hi:[0,0,1]
	v_pk_fma_f32 v[6:7], v[8:9], v[40:41], v[6:7] op_sel_hi:[1,0,1]
	v_pk_add_f32 v[4:5], v[4:5], v[20:21]
	v_mov_b32_e32 v6, v43
	v_mov_b32_e32 v19, v7
	v_pk_mul_f32 v[6:7], v[10:11], v[6:7] op_sel:[1,0] op_sel_hi:[0,0]
	v_pk_fma_f32 v[8:9], v[10:11], v[42:43], v[6:7] neg_lo:[0,0,1] neg_hi:[0,0,1]
	v_pk_fma_f32 v[6:7], v[10:11], v[42:43], v[6:7] op_sel_hi:[1,0,1]
	v_pk_add_f32 v[4:5], v[4:5], v[18:19]
	v_mov_b32_e32 v9, v7
	s_waitcnt vmcnt(1) lgkmcnt(1)
	v_pk_mul_f32 v[6:7], v[12:13], v[44:45] op_sel:[1,1] op_sel_hi:[0,1]
	v_pk_add_f32 v[4:5], v[4:5], v[8:9]
	v_pk_fma_f32 v[8:9], v[12:13], v[44:45], v[6:7] neg_lo:[0,0,1] neg_hi:[0,0,1]
	v_pk_fma_f32 v[6:7], v[12:13], v[44:45], v[6:7] op_sel_hi:[1,0,1]
	s_nop 0
	v_mov_b32_e32 v6, v47
	v_mov_b32_e32 v9, v7
	v_pk_mul_f32 v[6:7], v[14:15], v[6:7] op_sel:[1,0] op_sel_hi:[0,0]
	v_pk_add_f32 v[4:5], v[4:5], v[8:9]
	v_pk_fma_f32 v[8:9], v[14:15], v[46:47], v[6:7] neg_lo:[0,0,1] neg_hi:[0,0,1]
	v_pk_fma_f32 v[6:7], v[14:15], v[46:47], v[6:7] op_sel_hi:[1,0,1]
	s_nop 0
	v_mov_b32_e32 v9, v7
	s_waitcnt vmcnt(0) lgkmcnt(0)
	v_pk_mul_f32 v[6:7], v[16:17], v[54:55] op_sel:[1,1] op_sel_hi:[0,1]
	v_pk_add_f32 v[4:5], v[4:5], v[8:9]
	v_pk_fma_f32 v[8:9], v[16:17], v[54:55], v[6:7] neg_lo:[0,0,1] neg_hi:[0,0,1]
	v_pk_fma_f32 v[6:7], v[16:17], v[54:55], v[6:7] op_sel_hi:[1,0,1]
	s_nop 0
	v_mov_b32_e32 v9, v7
	scratch_load_dwordx2 v[6:7], off, off offset:256
	v_pk_add_f32 v[4:5], v[4:5], v[8:9]
	s_waitcnt vmcnt(0)
	v_pk_add_f32 v[4:5], v[6:7], v[4:5] neg_lo:[0,1] neg_hi:[0,1]
	scratch_store_dwordx2 off, v[4:5], off offset:256
	s_and_saveexec_b64 s[0:1], vcc
	s_cbranch_execz .LBB111_239
; %bb.238:
	scratch_load_dwordx2 v[4:5], off, off offset:248
	v_mov_b32_e32 v3, v2
	scratch_store_dwordx2 off, v[2:3], off offset:248
	s_waitcnt vmcnt(1)
	ds_write_b64 v1, v[4:5]
.LBB111_239:
	s_or_b64 exec, exec, s[0:1]
	s_waitcnt lgkmcnt(0)
	; wave barrier
	ds_read_b128 v[4:7], v2 offset:640
	ds_read_b128 v[8:11], v2 offset:656
	;; [unrolled: 1-line block ×4, first 2 shown]
	scratch_load_dwordx4 v[20:23], off, off offset:256
	v_cmp_lt_u32_e32 vcc, 30, v0
	s_waitcnt vmcnt(0) lgkmcnt(3)
	v_mul_f32_e32 v3, v4, v21
	v_fmac_f32_e32 v3, v5, v20
	v_mul_f32_e32 v24, v6, v23
	v_add_f32_e32 v3, 0, v3
	v_fmac_f32_e32 v24, v7, v22
	v_add_f32_e32 v3, v3, v24
	scratch_load_dwordx4 v[24:27], off, off offset:272
	s_waitcnt vmcnt(0) lgkmcnt(2)
	v_mul_f32_e32 v28, v8, v25
	v_fmac_f32_e32 v28, v9, v24
	v_add_f32_e32 v3, v3, v28
	v_mul_f32_e32 v28, v10, v27
	v_fmac_f32_e32 v28, v11, v26
	v_add_f32_e32 v3, v3, v28
	scratch_load_dwordx4 v[28:31], off, off offset:288
	s_waitcnt vmcnt(0) lgkmcnt(1)
	v_mul_f32_e32 v32, v12, v29
	v_fmac_f32_e32 v32, v13, v28
	v_add_f32_e32 v3, v3, v32
	v_mul_f32_e32 v32, v14, v31
	v_fmac_f32_e32 v32, v15, v30
	v_add_f32_e32 v53, v3, v32
	scratch_load_dwordx4 v[32:35], off, off offset:304
	scratch_load_dwordx4 v[36:39], off, off offset:320
	;; [unrolled: 1-line block ×5, first 2 shown]
	v_mul_f32_e32 v3, v5, v21
	v_fma_f32 v3, v4, v20, -v3
	v_mul_f32_e32 v4, v7, v23
	v_add_f32_e32 v3, 0, v3
	v_fma_f32 v4, v6, v22, -v4
	v_add_f32_e32 v3, v3, v4
	v_mul_f32_e32 v4, v9, v25
	v_fma_f32 v4, v8, v24, -v4
	v_add_f32_e32 v3, v3, v4
	v_mul_f32_e32 v4, v11, v27
	;; [unrolled: 3-line block ×4, first 2 shown]
	v_fma_f32 v4, v14, v30, -v4
	v_add_f32_e32 v52, v3, v4
	s_waitcnt vmcnt(4) lgkmcnt(0)
	v_mul_f32_e32 v3, v17, v33
	v_mul_f32_e32 v55, v16, v33
	;; [unrolled: 1-line block ×3, first 2 shown]
	v_fma_f32 v54, v16, v32, -v3
	v_mul_f32_e32 v3, v19, v35
	v_fmac_f32_e32 v55, v17, v32
	v_fmac_f32_e32 v57, v19, v34
	v_fma_f32 v56, v18, v34, -v3
	ds_read_b128 v[4:7], v2 offset:704
	ds_read_b128 v[8:11], v2 offset:720
	ds_read_b128 v[12:15], v2 offset:736
	ds_read_b128 v[16:19], v2 offset:752
	v_pk_add_f32 v[2:3], v[52:53], v[54:55]
	s_waitcnt vmcnt(3) lgkmcnt(3)
	v_pk_mul_f32 v[20:21], v[4:5], v[36:37] op_sel:[1,1] op_sel_hi:[0,1]
	v_pk_fma_f32 v[22:23], v[4:5], v[36:37], v[20:21] neg_lo:[0,0,1] neg_hi:[0,0,1]
	v_pk_fma_f32 v[4:5], v[4:5], v[36:37], v[20:21] op_sel_hi:[1,0,1]
	v_pk_add_f32 v[2:3], v[2:3], v[56:57]
	v_mov_b32_e32 v4, v39
	v_mov_b32_e32 v23, v5
	v_pk_mul_f32 v[4:5], v[6:7], v[4:5] op_sel:[1,0] op_sel_hi:[0,0]
	v_pk_fma_f32 v[20:21], v[6:7], v[38:39], v[4:5] neg_lo:[0,0,1] neg_hi:[0,0,1]
	v_pk_fma_f32 v[4:5], v[6:7], v[38:39], v[4:5] op_sel_hi:[1,0,1]
	v_pk_add_f32 v[2:3], v[2:3], v[22:23]
	v_mov_b32_e32 v21, v5
	s_waitcnt vmcnt(2) lgkmcnt(2)
	v_pk_mul_f32 v[4:5], v[8:9], v[40:41] op_sel:[1,1] op_sel_hi:[0,1]
	v_pk_fma_f32 v[6:7], v[8:9], v[40:41], v[4:5] neg_lo:[0,0,1] neg_hi:[0,0,1]
	v_pk_fma_f32 v[4:5], v[8:9], v[40:41], v[4:5] op_sel_hi:[1,0,1]
	v_pk_add_f32 v[2:3], v[2:3], v[20:21]
	v_mov_b32_e32 v4, v43
	v_mov_b32_e32 v7, v5
	v_pk_mul_f32 v[4:5], v[10:11], v[4:5] op_sel:[1,0] op_sel_hi:[0,0]
	v_pk_add_f32 v[2:3], v[2:3], v[6:7]
	v_pk_fma_f32 v[6:7], v[10:11], v[42:43], v[4:5] neg_lo:[0,0,1] neg_hi:[0,0,1]
	v_pk_fma_f32 v[4:5], v[10:11], v[42:43], v[4:5] op_sel_hi:[1,0,1]
	s_nop 0
	v_mov_b32_e32 v7, v5
	s_waitcnt vmcnt(1) lgkmcnt(1)
	v_pk_mul_f32 v[4:5], v[12:13], v[44:45] op_sel:[1,1] op_sel_hi:[0,1]
	v_pk_add_f32 v[2:3], v[2:3], v[6:7]
	v_pk_fma_f32 v[6:7], v[12:13], v[44:45], v[4:5] neg_lo:[0,0,1] neg_hi:[0,0,1]
	v_pk_fma_f32 v[4:5], v[12:13], v[44:45], v[4:5] op_sel_hi:[1,0,1]
	s_nop 0
	v_mov_b32_e32 v4, v47
	v_mov_b32_e32 v7, v5
	v_pk_mul_f32 v[4:5], v[14:15], v[4:5] op_sel:[1,0] op_sel_hi:[0,0]
	v_pk_add_f32 v[2:3], v[2:3], v[6:7]
	v_pk_fma_f32 v[6:7], v[14:15], v[46:47], v[4:5] neg_lo:[0,0,1] neg_hi:[0,0,1]
	v_pk_fma_f32 v[4:5], v[14:15], v[46:47], v[4:5] op_sel_hi:[1,0,1]
	s_nop 0
	v_mov_b32_e32 v7, v5
	s_waitcnt vmcnt(0) lgkmcnt(0)
	v_pk_mul_f32 v[4:5], v[16:17], v[48:49] op_sel:[1,1] op_sel_hi:[0,1]
	v_pk_add_f32 v[2:3], v[2:3], v[6:7]
	v_pk_fma_f32 v[6:7], v[16:17], v[48:49], v[4:5] neg_lo:[0,0,1] neg_hi:[0,0,1]
	v_pk_fma_f32 v[4:5], v[16:17], v[48:49], v[4:5] op_sel_hi:[1,0,1]
	s_nop 0
	v_mov_b32_e32 v4, v51
	v_mov_b32_e32 v7, v5
	v_pk_mul_f32 v[4:5], v[18:19], v[4:5] op_sel:[1,0] op_sel_hi:[0,0]
	v_pk_add_f32 v[2:3], v[2:3], v[6:7]
	v_pk_fma_f32 v[6:7], v[18:19], v[50:51], v[4:5] neg_lo:[0,0,1] neg_hi:[0,0,1]
	v_pk_fma_f32 v[4:5], v[18:19], v[50:51], v[4:5] op_sel_hi:[1,0,1]
	s_nop 0
	v_mov_b32_e32 v7, v5
	scratch_load_dwordx2 v[4:5], off, off offset:248
	v_pk_add_f32 v[2:3], v[2:3], v[6:7]
	s_waitcnt vmcnt(0)
	v_pk_add_f32 v[2:3], v[4:5], v[2:3] neg_lo:[0,1] neg_hi:[0,1]
	scratch_store_dwordx2 off, v[2:3], off offset:248
	s_and_saveexec_b64 s[0:1], vcc
	s_cbranch_execz .LBB111_241
; %bb.240:
	scratch_load_dwordx2 v[2:3], off, off offset:240
	v_mov_b32_e32 v4, 0
	v_mov_b32_e32 v5, v4
	scratch_store_dwordx2 off, v[4:5], off offset:240
	s_waitcnt vmcnt(1)
	ds_write_b64 v1, v[2:3]
.LBB111_241:
	s_or_b64 exec, exec, s[0:1]
	s_waitcnt lgkmcnt(0)
	; wave barrier
	scratch_load_dwordx4 v[8:11], off, off offset:248
	scratch_load_dwordx4 v[16:19], off, off offset:264
	;; [unrolled: 1-line block ×4, first 2 shown]
	v_mov_b32_e32 v2, 0
	ds_read2_b64 v[4:7], v2 offset0:79 offset1:80
	scratch_load_dwordx4 v[40:43], off, off offset:312
	v_cmp_lt_u32_e32 vcc, 29, v0
	s_waitcnt vmcnt(4) lgkmcnt(0)
	v_mul_f32_e32 v3, v4, v9
	v_fmac_f32_e32 v3, v5, v8
	v_mul_f32_e32 v12, v6, v11
	v_add_f32_e32 v3, 0, v3
	v_fmac_f32_e32 v12, v7, v10
	v_add_f32_e32 v3, v3, v12
	ds_read2_b64 v[12:15], v2 offset0:81 offset1:82
	s_waitcnt vmcnt(3) lgkmcnt(0)
	v_mul_f32_e32 v20, v12, v17
	v_fmac_f32_e32 v20, v13, v16
	v_add_f32_e32 v3, v3, v20
	v_mul_f32_e32 v20, v14, v19
	v_fmac_f32_e32 v20, v15, v18
	v_add_f32_e32 v3, v3, v20
	ds_read2_b64 v[20:23], v2 offset0:83 offset1:84
	s_waitcnt vmcnt(2) lgkmcnt(0)
	v_mul_f32_e32 v28, v20, v25
	v_fmac_f32_e32 v28, v21, v24
	v_add_f32_e32 v3, v3, v28
	v_mul_f32_e32 v28, v22, v27
	v_fmac_f32_e32 v28, v23, v26
	v_add_f32_e32 v3, v3, v28
	ds_read2_b64 v[28:31], v2 offset0:85 offset1:86
	s_waitcnt vmcnt(1) lgkmcnt(0)
	v_mul_f32_e32 v36, v28, v33
	v_fmac_f32_e32 v36, v29, v32
	v_add_f32_e32 v57, v3, v36
	ds_read2_b64 v[36:39], v2 offset0:87 offset1:88
	scratch_load_dwordx4 v[44:47], off, off offset:328
	scratch_load_dwordx4 v[48:51], off, off offset:344
	;; [unrolled: 1-line block ×3, first 2 shown]
	scratch_load_dwordx2 v[62:63], off, off offset:376
	v_mul_f32_e32 v3, v5, v9
	v_fma_f32 v3, v4, v8, -v3
	v_mul_f32_e32 v4, v7, v11
	v_add_f32_e32 v3, 0, v3
	v_fma_f32 v4, v6, v10, -v4
	v_add_f32_e32 v3, v3, v4
	v_mul_f32_e32 v4, v13, v17
	v_fma_f32 v4, v12, v16, -v4
	v_add_f32_e32 v3, v3, v4
	v_mul_f32_e32 v4, v15, v19
	v_fma_f32 v4, v14, v18, -v4
	v_add_f32_e32 v3, v3, v4
	v_mul_f32_e32 v4, v21, v25
	v_fma_f32 v4, v20, v24, -v4
	v_add_f32_e32 v3, v3, v4
	v_mul_f32_e32 v4, v23, v27
	v_fma_f32 v4, v22, v26, -v4
	v_add_f32_e32 v3, v3, v4
	v_mul_f32_e32 v4, v29, v33
	v_fma_f32 v4, v28, v32, -v4
	v_mul_f32_e32 v59, v30, v35
	v_add_f32_e32 v56, v3, v4
	v_mul_f32_e32 v3, v31, v35
	s_waitcnt vmcnt(4)
	v_mov_b32_e32 v20, v43
	v_fmac_f32_e32 v59, v31, v34
	s_waitcnt lgkmcnt(0)
	v_mul_f32_e32 v61, v36, v41
	v_fma_f32 v58, v30, v34, -v3
	v_mul_f32_e32 v3, v37, v41
	ds_read2_b64 v[4:7], v2 offset0:89 offset1:90
	ds_read2_b64 v[8:11], v2 offset0:91 offset1:92
	;; [unrolled: 1-line block ×3, first 2 shown]
	ds_read_b64 v[16:17], v2 offset:760
	v_pk_mul_f32 v[20:21], v[38:39], v[20:21] op_sel:[1,0] op_sel_hi:[0,0]
	v_fmac_f32_e32 v61, v37, v40
	v_fma_f32 v60, v36, v40, -v3
	v_pk_add_f32 v[18:19], v[56:57], v[58:59]
	v_pk_fma_f32 v[22:23], v[38:39], v[42:43], v[20:21] neg_lo:[0,0,1] neg_hi:[0,0,1]
	v_pk_fma_f32 v[20:21], v[38:39], v[42:43], v[20:21] op_sel_hi:[1,0,1]
	v_pk_add_f32 v[18:19], v[18:19], v[60:61]
	v_mov_b32_e32 v23, v21
	v_pk_add_f32 v[18:19], v[18:19], v[22:23]
	s_waitcnt vmcnt(3) lgkmcnt(3)
	v_pk_mul_f32 v[20:21], v[4:5], v[44:45] op_sel:[1,1] op_sel_hi:[0,1]
	v_pk_fma_f32 v[22:23], v[4:5], v[44:45], v[20:21] neg_lo:[0,0,1] neg_hi:[0,0,1]
	v_pk_fma_f32 v[4:5], v[4:5], v[44:45], v[20:21] op_sel_hi:[1,0,1]
	s_nop 0
	v_mov_b32_e32 v23, v5
	v_pk_add_f32 v[4:5], v[18:19], v[22:23]
	v_mov_b32_e32 v18, v47
	v_pk_mul_f32 v[18:19], v[6:7], v[18:19] op_sel:[1,0] op_sel_hi:[0,0]
	v_pk_fma_f32 v[20:21], v[6:7], v[46:47], v[18:19] neg_lo:[0,0,1] neg_hi:[0,0,1]
	v_pk_fma_f32 v[6:7], v[6:7], v[46:47], v[18:19] op_sel_hi:[1,0,1]
	s_nop 0
	v_mov_b32_e32 v21, v7
	s_waitcnt vmcnt(2) lgkmcnt(2)
	v_pk_mul_f32 v[6:7], v[8:9], v[48:49] op_sel:[1,1] op_sel_hi:[0,1]
	v_pk_fma_f32 v[18:19], v[8:9], v[48:49], v[6:7] neg_lo:[0,0,1] neg_hi:[0,0,1]
	v_pk_fma_f32 v[6:7], v[8:9], v[48:49], v[6:7] op_sel_hi:[1,0,1]
	v_pk_add_f32 v[4:5], v[4:5], v[20:21]
	v_mov_b32_e32 v6, v51
	v_mov_b32_e32 v19, v7
	v_pk_mul_f32 v[6:7], v[10:11], v[6:7] op_sel:[1,0] op_sel_hi:[0,0]
	v_pk_fma_f32 v[8:9], v[10:11], v[50:51], v[6:7] neg_lo:[0,0,1] neg_hi:[0,0,1]
	v_pk_fma_f32 v[6:7], v[10:11], v[50:51], v[6:7] op_sel_hi:[1,0,1]
	v_pk_add_f32 v[4:5], v[4:5], v[18:19]
	v_mov_b32_e32 v9, v7
	s_waitcnt vmcnt(1) lgkmcnt(1)
	v_pk_mul_f32 v[6:7], v[12:13], v[52:53] op_sel:[1,1] op_sel_hi:[0,1]
	v_pk_add_f32 v[4:5], v[4:5], v[8:9]
	v_pk_fma_f32 v[8:9], v[12:13], v[52:53], v[6:7] neg_lo:[0,0,1] neg_hi:[0,0,1]
	v_pk_fma_f32 v[6:7], v[12:13], v[52:53], v[6:7] op_sel_hi:[1,0,1]
	s_nop 0
	v_mov_b32_e32 v6, v55
	v_mov_b32_e32 v9, v7
	v_pk_mul_f32 v[6:7], v[14:15], v[6:7] op_sel:[1,0] op_sel_hi:[0,0]
	v_pk_add_f32 v[4:5], v[4:5], v[8:9]
	v_pk_fma_f32 v[8:9], v[14:15], v[54:55], v[6:7] neg_lo:[0,0,1] neg_hi:[0,0,1]
	v_pk_fma_f32 v[6:7], v[14:15], v[54:55], v[6:7] op_sel_hi:[1,0,1]
	s_nop 0
	v_mov_b32_e32 v9, v7
	s_waitcnt vmcnt(0) lgkmcnt(0)
	v_pk_mul_f32 v[6:7], v[16:17], v[62:63] op_sel:[1,1] op_sel_hi:[0,1]
	v_pk_add_f32 v[4:5], v[4:5], v[8:9]
	v_pk_fma_f32 v[8:9], v[16:17], v[62:63], v[6:7] neg_lo:[0,0,1] neg_hi:[0,0,1]
	v_pk_fma_f32 v[6:7], v[16:17], v[62:63], v[6:7] op_sel_hi:[1,0,1]
	s_nop 0
	v_mov_b32_e32 v9, v7
	scratch_load_dwordx2 v[6:7], off, off offset:240
	v_pk_add_f32 v[4:5], v[4:5], v[8:9]
	s_waitcnt vmcnt(0)
	v_pk_add_f32 v[4:5], v[6:7], v[4:5] neg_lo:[0,1] neg_hi:[0,1]
	scratch_store_dwordx2 off, v[4:5], off offset:240
	s_and_saveexec_b64 s[0:1], vcc
	s_cbranch_execz .LBB111_243
; %bb.242:
	scratch_load_dwordx2 v[4:5], off, off offset:232
	v_mov_b32_e32 v3, v2
	scratch_store_dwordx2 off, v[2:3], off offset:232
	s_waitcnt vmcnt(1)
	ds_write_b64 v1, v[4:5]
.LBB111_243:
	s_or_b64 exec, exec, s[0:1]
	s_waitcnt lgkmcnt(0)
	; wave barrier
	ds_read_b128 v[4:7], v2 offset:624
	ds_read_b128 v[8:11], v2 offset:640
	;; [unrolled: 1-line block ×4, first 2 shown]
	scratch_load_dwordx4 v[20:23], off, off offset:240
	scratch_load_dwordx4 v[40:43], off, off offset:304
	v_cmp_lt_u32_e32 vcc, 28, v0
	s_waitcnt vmcnt(1) lgkmcnt(3)
	v_mul_f32_e32 v3, v4, v21
	v_fmac_f32_e32 v3, v5, v20
	v_mul_f32_e32 v24, v6, v23
	v_add_f32_e32 v3, 0, v3
	v_fmac_f32_e32 v24, v7, v22
	v_add_f32_e32 v3, v3, v24
	scratch_load_dwordx4 v[24:27], off, off offset:256
	s_waitcnt vmcnt(0) lgkmcnt(2)
	v_mul_f32_e32 v28, v8, v25
	v_fmac_f32_e32 v28, v9, v24
	v_add_f32_e32 v3, v3, v28
	v_mul_f32_e32 v28, v10, v27
	v_fmac_f32_e32 v28, v11, v26
	v_add_f32_e32 v3, v3, v28
	scratch_load_dwordx4 v[28:31], off, off offset:272
	s_waitcnt vmcnt(0) lgkmcnt(1)
	v_mul_f32_e32 v32, v12, v29
	v_fmac_f32_e32 v32, v13, v28
	v_add_f32_e32 v3, v3, v32
	v_mul_f32_e32 v32, v14, v31
	;; [unrolled: 8-line block ×3, first 2 shown]
	v_fmac_f32_e32 v36, v19, v34
	v_add_f32_e32 v61, v3, v36
	ds_read_b128 v[36:39], v2 offset:688
	scratch_load_dwordx4 v[44:47], off, off offset:320
	scratch_load_dwordx4 v[48:51], off, off offset:336
	;; [unrolled: 1-line block ×4, first 2 shown]
	v_mul_f32_e32 v3, v5, v21
	v_fma_f32 v3, v4, v20, -v3
	v_mul_f32_e32 v4, v7, v23
	v_add_f32_e32 v3, 0, v3
	v_fma_f32 v4, v6, v22, -v4
	v_add_f32_e32 v3, v3, v4
	v_mul_f32_e32 v4, v9, v25
	v_fma_f32 v4, v8, v24, -v4
	v_add_f32_e32 v3, v3, v4
	v_mul_f32_e32 v4, v11, v27
	;; [unrolled: 3-line block ×6, first 2 shown]
	v_fma_f32 v4, v18, v34, -v4
	v_add_f32_e32 v60, v3, v4
	ds_read_b128 v[4:7], v2 offset:704
	ds_read_b128 v[8:11], v2 offset:720
	;; [unrolled: 1-line block ×4, first 2 shown]
	s_waitcnt lgkmcnt(4)
	v_mul_f32_e32 v63, v36, v41
	v_mul_f32_e32 v3, v37, v41
	v_fmac_f32_e32 v63, v37, v40
	v_mul_f32_e32 v65, v38, v43
	v_fma_f32 v62, v36, v40, -v3
	v_mul_f32_e32 v3, v39, v43
	v_fmac_f32_e32 v65, v39, v42
	v_fma_f32 v64, v38, v42, -v3
	v_pk_add_f32 v[2:3], v[60:61], v[62:63]
	s_waitcnt vmcnt(3) lgkmcnt(3)
	v_pk_mul_f32 v[20:21], v[4:5], v[44:45] op_sel:[1,1] op_sel_hi:[0,1]
	v_pk_fma_f32 v[22:23], v[4:5], v[44:45], v[20:21] neg_lo:[0,0,1] neg_hi:[0,0,1]
	v_pk_fma_f32 v[4:5], v[4:5], v[44:45], v[20:21] op_sel_hi:[1,0,1]
	v_pk_add_f32 v[2:3], v[2:3], v[64:65]
	v_mov_b32_e32 v4, v47
	v_mov_b32_e32 v23, v5
	v_pk_mul_f32 v[4:5], v[6:7], v[4:5] op_sel:[1,0] op_sel_hi:[0,0]
	v_pk_fma_f32 v[20:21], v[6:7], v[46:47], v[4:5] neg_lo:[0,0,1] neg_hi:[0,0,1]
	v_pk_fma_f32 v[4:5], v[6:7], v[46:47], v[4:5] op_sel_hi:[1,0,1]
	v_pk_add_f32 v[2:3], v[2:3], v[22:23]
	v_mov_b32_e32 v21, v5
	s_waitcnt vmcnt(2) lgkmcnt(2)
	v_pk_mul_f32 v[4:5], v[8:9], v[48:49] op_sel:[1,1] op_sel_hi:[0,1]
	v_pk_fma_f32 v[6:7], v[8:9], v[48:49], v[4:5] neg_lo:[0,0,1] neg_hi:[0,0,1]
	v_pk_fma_f32 v[4:5], v[8:9], v[48:49], v[4:5] op_sel_hi:[1,0,1]
	v_pk_add_f32 v[2:3], v[2:3], v[20:21]
	v_mov_b32_e32 v4, v51
	v_mov_b32_e32 v7, v5
	v_pk_mul_f32 v[4:5], v[10:11], v[4:5] op_sel:[1,0] op_sel_hi:[0,0]
	v_pk_add_f32 v[2:3], v[2:3], v[6:7]
	v_pk_fma_f32 v[6:7], v[10:11], v[50:51], v[4:5] neg_lo:[0,0,1] neg_hi:[0,0,1]
	v_pk_fma_f32 v[4:5], v[10:11], v[50:51], v[4:5] op_sel_hi:[1,0,1]
	s_nop 0
	v_mov_b32_e32 v7, v5
	s_waitcnt vmcnt(1) lgkmcnt(1)
	v_pk_mul_f32 v[4:5], v[12:13], v[52:53] op_sel:[1,1] op_sel_hi:[0,1]
	v_pk_add_f32 v[2:3], v[2:3], v[6:7]
	v_pk_fma_f32 v[6:7], v[12:13], v[52:53], v[4:5] neg_lo:[0,0,1] neg_hi:[0,0,1]
	v_pk_fma_f32 v[4:5], v[12:13], v[52:53], v[4:5] op_sel_hi:[1,0,1]
	s_nop 0
	v_mov_b32_e32 v4, v55
	v_mov_b32_e32 v7, v5
	v_pk_mul_f32 v[4:5], v[14:15], v[4:5] op_sel:[1,0] op_sel_hi:[0,0]
	v_pk_add_f32 v[2:3], v[2:3], v[6:7]
	v_pk_fma_f32 v[6:7], v[14:15], v[54:55], v[4:5] neg_lo:[0,0,1] neg_hi:[0,0,1]
	v_pk_fma_f32 v[4:5], v[14:15], v[54:55], v[4:5] op_sel_hi:[1,0,1]
	s_nop 0
	v_mov_b32_e32 v7, v5
	s_waitcnt vmcnt(0) lgkmcnt(0)
	v_pk_mul_f32 v[4:5], v[16:17], v[56:57] op_sel:[1,1] op_sel_hi:[0,1]
	v_pk_add_f32 v[2:3], v[2:3], v[6:7]
	v_pk_fma_f32 v[6:7], v[16:17], v[56:57], v[4:5] neg_lo:[0,0,1] neg_hi:[0,0,1]
	v_pk_fma_f32 v[4:5], v[16:17], v[56:57], v[4:5] op_sel_hi:[1,0,1]
	s_nop 0
	v_mov_b32_e32 v4, v59
	v_mov_b32_e32 v7, v5
	v_pk_mul_f32 v[4:5], v[18:19], v[4:5] op_sel:[1,0] op_sel_hi:[0,0]
	v_pk_add_f32 v[2:3], v[2:3], v[6:7]
	v_pk_fma_f32 v[6:7], v[18:19], v[58:59], v[4:5] neg_lo:[0,0,1] neg_hi:[0,0,1]
	v_pk_fma_f32 v[4:5], v[18:19], v[58:59], v[4:5] op_sel_hi:[1,0,1]
	s_nop 0
	v_mov_b32_e32 v7, v5
	scratch_load_dwordx2 v[4:5], off, off offset:232
	v_pk_add_f32 v[2:3], v[2:3], v[6:7]
	s_waitcnt vmcnt(0)
	v_pk_add_f32 v[2:3], v[4:5], v[2:3] neg_lo:[0,1] neg_hi:[0,1]
	scratch_store_dwordx2 off, v[2:3], off offset:232
	s_and_saveexec_b64 s[0:1], vcc
	s_cbranch_execz .LBB111_245
; %bb.244:
	scratch_load_dwordx2 v[2:3], off, off offset:224
	v_mov_b32_e32 v4, 0
	v_mov_b32_e32 v5, v4
	scratch_store_dwordx2 off, v[4:5], off offset:224
	s_waitcnt vmcnt(1)
	ds_write_b64 v1, v[2:3]
.LBB111_245:
	s_or_b64 exec, exec, s[0:1]
	s_waitcnt lgkmcnt(0)
	; wave barrier
	scratch_load_dwordx4 v[8:11], off, off offset:232
	scratch_load_dwordx4 v[16:19], off, off offset:248
	;; [unrolled: 1-line block ×6, first 2 shown]
	v_mov_b32_e32 v2, 0
	ds_read2_b64 v[4:7], v2 offset0:77 offset1:78
	v_cmp_lt_u32_e32 vcc, 27, v0
	s_waitcnt vmcnt(5) lgkmcnt(0)
	v_mul_f32_e32 v3, v4, v9
	v_fmac_f32_e32 v3, v5, v8
	v_mul_f32_e32 v12, v6, v11
	v_add_f32_e32 v3, 0, v3
	v_fmac_f32_e32 v12, v7, v10
	v_add_f32_e32 v3, v3, v12
	ds_read2_b64 v[12:15], v2 offset0:79 offset1:80
	s_waitcnt vmcnt(4) lgkmcnt(0)
	v_mul_f32_e32 v20, v12, v17
	v_fmac_f32_e32 v20, v13, v16
	v_add_f32_e32 v3, v3, v20
	v_mul_f32_e32 v20, v14, v19
	v_fmac_f32_e32 v20, v15, v18
	v_add_f32_e32 v3, v3, v20
	ds_read2_b64 v[20:23], v2 offset0:81 offset1:82
	s_waitcnt vmcnt(3) lgkmcnt(0)
	v_mul_f32_e32 v28, v20, v25
	v_fmac_f32_e32 v28, v21, v24
	v_add_f32_e32 v3, v3, v28
	v_mul_f32_e32 v28, v22, v27
	;; [unrolled: 8-line block ×3, first 2 shown]
	v_fmac_f32_e32 v36, v31, v34
	v_add_f32_e32 v3, v3, v36
	ds_read2_b64 v[36:39], v2 offset0:85 offset1:86
	s_waitcnt vmcnt(1) lgkmcnt(0)
	v_mul_f32_e32 v44, v36, v41
	v_fmac_f32_e32 v44, v37, v40
	v_add_f32_e32 v65, v3, v44
	ds_read2_b64 v[44:47], v2 offset0:87 offset1:88
	scratch_load_dwordx4 v[52:55], off, off offset:328
	scratch_load_dwordx4 v[56:59], off, off offset:344
	;; [unrolled: 1-line block ×3, first 2 shown]
	scratch_load_dwordx2 v[70:71], off, off offset:376
	v_mul_f32_e32 v3, v5, v9
	v_fma_f32 v3, v4, v8, -v3
	v_mul_f32_e32 v4, v7, v11
	v_add_f32_e32 v3, 0, v3
	v_fma_f32 v4, v6, v10, -v4
	v_add_f32_e32 v3, v3, v4
	v_mul_f32_e32 v4, v13, v17
	v_fma_f32 v4, v12, v16, -v4
	v_add_f32_e32 v3, v3, v4
	v_mul_f32_e32 v4, v15, v19
	;; [unrolled: 3-line block ×7, first 2 shown]
	v_fma_f32 v4, v36, v40, -v4
	v_mul_f32_e32 v67, v38, v43
	v_add_f32_e32 v64, v3, v4
	v_mul_f32_e32 v3, v39, v43
	s_waitcnt vmcnt(4)
	v_mov_b32_e32 v20, v51
	v_fmac_f32_e32 v67, v39, v42
	s_waitcnt lgkmcnt(0)
	v_mul_f32_e32 v69, v44, v49
	v_fma_f32 v66, v38, v42, -v3
	v_mul_f32_e32 v3, v45, v49
	ds_read2_b64 v[4:7], v2 offset0:89 offset1:90
	ds_read2_b64 v[8:11], v2 offset0:91 offset1:92
	;; [unrolled: 1-line block ×3, first 2 shown]
	ds_read_b64 v[16:17], v2 offset:760
	v_pk_mul_f32 v[20:21], v[46:47], v[20:21] op_sel:[1,0] op_sel_hi:[0,0]
	v_fmac_f32_e32 v69, v45, v48
	v_fma_f32 v68, v44, v48, -v3
	v_pk_add_f32 v[18:19], v[64:65], v[66:67]
	v_pk_fma_f32 v[22:23], v[46:47], v[50:51], v[20:21] neg_lo:[0,0,1] neg_hi:[0,0,1]
	v_pk_fma_f32 v[20:21], v[46:47], v[50:51], v[20:21] op_sel_hi:[1,0,1]
	v_pk_add_f32 v[18:19], v[18:19], v[68:69]
	v_mov_b32_e32 v23, v21
	v_pk_add_f32 v[18:19], v[18:19], v[22:23]
	s_waitcnt vmcnt(3) lgkmcnt(3)
	v_pk_mul_f32 v[20:21], v[4:5], v[52:53] op_sel:[1,1] op_sel_hi:[0,1]
	v_pk_fma_f32 v[22:23], v[4:5], v[52:53], v[20:21] neg_lo:[0,0,1] neg_hi:[0,0,1]
	v_pk_fma_f32 v[4:5], v[4:5], v[52:53], v[20:21] op_sel_hi:[1,0,1]
	s_nop 0
	v_mov_b32_e32 v23, v5
	v_pk_add_f32 v[4:5], v[18:19], v[22:23]
	v_mov_b32_e32 v18, v55
	v_pk_mul_f32 v[18:19], v[6:7], v[18:19] op_sel:[1,0] op_sel_hi:[0,0]
	v_pk_fma_f32 v[20:21], v[6:7], v[54:55], v[18:19] neg_lo:[0,0,1] neg_hi:[0,0,1]
	v_pk_fma_f32 v[6:7], v[6:7], v[54:55], v[18:19] op_sel_hi:[1,0,1]
	s_nop 0
	v_mov_b32_e32 v21, v7
	s_waitcnt vmcnt(2) lgkmcnt(2)
	v_pk_mul_f32 v[6:7], v[8:9], v[56:57] op_sel:[1,1] op_sel_hi:[0,1]
	v_pk_fma_f32 v[18:19], v[8:9], v[56:57], v[6:7] neg_lo:[0,0,1] neg_hi:[0,0,1]
	v_pk_fma_f32 v[6:7], v[8:9], v[56:57], v[6:7] op_sel_hi:[1,0,1]
	v_pk_add_f32 v[4:5], v[4:5], v[20:21]
	v_mov_b32_e32 v6, v59
	v_mov_b32_e32 v19, v7
	v_pk_mul_f32 v[6:7], v[10:11], v[6:7] op_sel:[1,0] op_sel_hi:[0,0]
	v_pk_fma_f32 v[8:9], v[10:11], v[58:59], v[6:7] neg_lo:[0,0,1] neg_hi:[0,0,1]
	v_pk_fma_f32 v[6:7], v[10:11], v[58:59], v[6:7] op_sel_hi:[1,0,1]
	v_pk_add_f32 v[4:5], v[4:5], v[18:19]
	v_mov_b32_e32 v9, v7
	s_waitcnt vmcnt(1) lgkmcnt(1)
	v_pk_mul_f32 v[6:7], v[12:13], v[60:61] op_sel:[1,1] op_sel_hi:[0,1]
	v_pk_add_f32 v[4:5], v[4:5], v[8:9]
	v_pk_fma_f32 v[8:9], v[12:13], v[60:61], v[6:7] neg_lo:[0,0,1] neg_hi:[0,0,1]
	v_pk_fma_f32 v[6:7], v[12:13], v[60:61], v[6:7] op_sel_hi:[1,0,1]
	s_nop 0
	v_mov_b32_e32 v6, v63
	v_mov_b32_e32 v9, v7
	v_pk_mul_f32 v[6:7], v[14:15], v[6:7] op_sel:[1,0] op_sel_hi:[0,0]
	v_pk_add_f32 v[4:5], v[4:5], v[8:9]
	v_pk_fma_f32 v[8:9], v[14:15], v[62:63], v[6:7] neg_lo:[0,0,1] neg_hi:[0,0,1]
	v_pk_fma_f32 v[6:7], v[14:15], v[62:63], v[6:7] op_sel_hi:[1,0,1]
	s_nop 0
	v_mov_b32_e32 v9, v7
	s_waitcnt vmcnt(0) lgkmcnt(0)
	v_pk_mul_f32 v[6:7], v[16:17], v[70:71] op_sel:[1,1] op_sel_hi:[0,1]
	v_pk_add_f32 v[4:5], v[4:5], v[8:9]
	v_pk_fma_f32 v[8:9], v[16:17], v[70:71], v[6:7] neg_lo:[0,0,1] neg_hi:[0,0,1]
	v_pk_fma_f32 v[6:7], v[16:17], v[70:71], v[6:7] op_sel_hi:[1,0,1]
	s_nop 0
	v_mov_b32_e32 v9, v7
	scratch_load_dwordx2 v[6:7], off, off offset:224
	v_pk_add_f32 v[4:5], v[4:5], v[8:9]
	s_waitcnt vmcnt(0)
	v_pk_add_f32 v[4:5], v[6:7], v[4:5] neg_lo:[0,1] neg_hi:[0,1]
	scratch_store_dwordx2 off, v[4:5], off offset:224
	s_and_saveexec_b64 s[0:1], vcc
	s_cbranch_execz .LBB111_247
; %bb.246:
	scratch_load_dwordx2 v[4:5], off, off offset:216
	v_mov_b32_e32 v3, v2
	scratch_store_dwordx2 off, v[2:3], off offset:216
	s_waitcnt vmcnt(1)
	ds_write_b64 v1, v[4:5]
.LBB111_247:
	s_or_b64 exec, exec, s[0:1]
	s_waitcnt lgkmcnt(0)
	; wave barrier
	ds_read_b128 v[4:7], v2 offset:608
	ds_read_b128 v[8:11], v2 offset:624
	ds_read_b128 v[12:15], v2 offset:640
	ds_read_b128 v[16:19], v2 offset:656
	scratch_load_dwordx4 v[20:23], off, off offset:224
	scratch_load_dwordx4 v[40:43], off, off offset:288
	v_cmp_lt_u32_e32 vcc, 26, v0
	scratch_load_dwordx4 v[48:51], off, off offset:304
	s_waitcnt vmcnt(2) lgkmcnt(3)
	v_mul_f32_e32 v3, v4, v21
	v_fmac_f32_e32 v3, v5, v20
	v_mul_f32_e32 v24, v6, v23
	v_add_f32_e32 v3, 0, v3
	v_fmac_f32_e32 v24, v7, v22
	v_add_f32_e32 v3, v3, v24
	scratch_load_dwordx4 v[24:27], off, off offset:240
	s_waitcnt vmcnt(0) lgkmcnt(2)
	v_mul_f32_e32 v28, v8, v25
	v_fmac_f32_e32 v28, v9, v24
	v_add_f32_e32 v3, v3, v28
	v_mul_f32_e32 v28, v10, v27
	v_fmac_f32_e32 v28, v11, v26
	v_add_f32_e32 v3, v3, v28
	scratch_load_dwordx4 v[28:31], off, off offset:256
	s_waitcnt vmcnt(0) lgkmcnt(1)
	v_mul_f32_e32 v32, v12, v29
	v_fmac_f32_e32 v32, v13, v28
	v_add_f32_e32 v3, v3, v32
	v_mul_f32_e32 v32, v14, v31
	;; [unrolled: 8-line block ×3, first 2 shown]
	v_fmac_f32_e32 v36, v19, v34
	v_add_f32_e32 v3, v3, v36
	ds_read_b128 v[36:39], v2 offset:672
	s_waitcnt lgkmcnt(0)
	v_mul_f32_e32 v44, v36, v41
	v_fmac_f32_e32 v44, v37, v40
	v_add_f32_e32 v3, v3, v44
	v_mul_f32_e32 v44, v38, v43
	v_fmac_f32_e32 v44, v39, v42
	v_add_f32_e32 v69, v3, v44
	ds_read_b128 v[44:47], v2 offset:688
	scratch_load_dwordx4 v[52:55], off, off offset:320
	scratch_load_dwordx4 v[56:59], off, off offset:336
	;; [unrolled: 1-line block ×4, first 2 shown]
	v_mul_f32_e32 v3, v5, v21
	v_fma_f32 v3, v4, v20, -v3
	v_mul_f32_e32 v4, v7, v23
	v_add_f32_e32 v3, 0, v3
	v_fma_f32 v4, v6, v22, -v4
	v_add_f32_e32 v3, v3, v4
	v_mul_f32_e32 v4, v9, v25
	v_fma_f32 v4, v8, v24, -v4
	v_add_f32_e32 v3, v3, v4
	v_mul_f32_e32 v4, v11, v27
	;; [unrolled: 3-line block ×8, first 2 shown]
	v_fma_f32 v4, v38, v42, -v4
	v_add_f32_e32 v68, v3, v4
	ds_read_b128 v[4:7], v2 offset:704
	ds_read_b128 v[8:11], v2 offset:720
	;; [unrolled: 1-line block ×4, first 2 shown]
	s_waitcnt lgkmcnt(4)
	v_mul_f32_e32 v71, v44, v49
	v_mul_f32_e32 v3, v45, v49
	v_fmac_f32_e32 v71, v45, v48
	v_mul_f32_e32 v73, v46, v51
	v_fma_f32 v70, v44, v48, -v3
	v_mul_f32_e32 v3, v47, v51
	v_fmac_f32_e32 v73, v47, v50
	v_fma_f32 v72, v46, v50, -v3
	v_pk_add_f32 v[2:3], v[68:69], v[70:71]
	s_waitcnt vmcnt(3) lgkmcnt(3)
	v_pk_mul_f32 v[20:21], v[4:5], v[52:53] op_sel:[1,1] op_sel_hi:[0,1]
	v_pk_fma_f32 v[22:23], v[4:5], v[52:53], v[20:21] neg_lo:[0,0,1] neg_hi:[0,0,1]
	v_pk_fma_f32 v[4:5], v[4:5], v[52:53], v[20:21] op_sel_hi:[1,0,1]
	v_pk_add_f32 v[2:3], v[2:3], v[72:73]
	v_mov_b32_e32 v4, v55
	v_mov_b32_e32 v23, v5
	v_pk_mul_f32 v[4:5], v[6:7], v[4:5] op_sel:[1,0] op_sel_hi:[0,0]
	v_pk_fma_f32 v[20:21], v[6:7], v[54:55], v[4:5] neg_lo:[0,0,1] neg_hi:[0,0,1]
	v_pk_fma_f32 v[4:5], v[6:7], v[54:55], v[4:5] op_sel_hi:[1,0,1]
	v_pk_add_f32 v[2:3], v[2:3], v[22:23]
	v_mov_b32_e32 v21, v5
	s_waitcnt vmcnt(2) lgkmcnt(2)
	v_pk_mul_f32 v[4:5], v[8:9], v[56:57] op_sel:[1,1] op_sel_hi:[0,1]
	v_pk_fma_f32 v[6:7], v[8:9], v[56:57], v[4:5] neg_lo:[0,0,1] neg_hi:[0,0,1]
	v_pk_fma_f32 v[4:5], v[8:9], v[56:57], v[4:5] op_sel_hi:[1,0,1]
	v_pk_add_f32 v[2:3], v[2:3], v[20:21]
	v_mov_b32_e32 v4, v59
	v_mov_b32_e32 v7, v5
	v_pk_mul_f32 v[4:5], v[10:11], v[4:5] op_sel:[1,0] op_sel_hi:[0,0]
	v_pk_add_f32 v[2:3], v[2:3], v[6:7]
	v_pk_fma_f32 v[6:7], v[10:11], v[58:59], v[4:5] neg_lo:[0,0,1] neg_hi:[0,0,1]
	v_pk_fma_f32 v[4:5], v[10:11], v[58:59], v[4:5] op_sel_hi:[1,0,1]
	s_nop 0
	v_mov_b32_e32 v7, v5
	s_waitcnt vmcnt(1) lgkmcnt(1)
	v_pk_mul_f32 v[4:5], v[12:13], v[60:61] op_sel:[1,1] op_sel_hi:[0,1]
	v_pk_add_f32 v[2:3], v[2:3], v[6:7]
	v_pk_fma_f32 v[6:7], v[12:13], v[60:61], v[4:5] neg_lo:[0,0,1] neg_hi:[0,0,1]
	v_pk_fma_f32 v[4:5], v[12:13], v[60:61], v[4:5] op_sel_hi:[1,0,1]
	s_nop 0
	v_mov_b32_e32 v4, v63
	v_mov_b32_e32 v7, v5
	v_pk_mul_f32 v[4:5], v[14:15], v[4:5] op_sel:[1,0] op_sel_hi:[0,0]
	v_pk_add_f32 v[2:3], v[2:3], v[6:7]
	v_pk_fma_f32 v[6:7], v[14:15], v[62:63], v[4:5] neg_lo:[0,0,1] neg_hi:[0,0,1]
	v_pk_fma_f32 v[4:5], v[14:15], v[62:63], v[4:5] op_sel_hi:[1,0,1]
	s_nop 0
	v_mov_b32_e32 v7, v5
	s_waitcnt vmcnt(0) lgkmcnt(0)
	v_pk_mul_f32 v[4:5], v[16:17], v[64:65] op_sel:[1,1] op_sel_hi:[0,1]
	v_pk_add_f32 v[2:3], v[2:3], v[6:7]
	v_pk_fma_f32 v[6:7], v[16:17], v[64:65], v[4:5] neg_lo:[0,0,1] neg_hi:[0,0,1]
	v_pk_fma_f32 v[4:5], v[16:17], v[64:65], v[4:5] op_sel_hi:[1,0,1]
	s_nop 0
	v_mov_b32_e32 v4, v67
	v_mov_b32_e32 v7, v5
	v_pk_mul_f32 v[4:5], v[18:19], v[4:5] op_sel:[1,0] op_sel_hi:[0,0]
	v_pk_add_f32 v[2:3], v[2:3], v[6:7]
	v_pk_fma_f32 v[6:7], v[18:19], v[66:67], v[4:5] neg_lo:[0,0,1] neg_hi:[0,0,1]
	v_pk_fma_f32 v[4:5], v[18:19], v[66:67], v[4:5] op_sel_hi:[1,0,1]
	s_nop 0
	v_mov_b32_e32 v7, v5
	scratch_load_dwordx2 v[4:5], off, off offset:216
	v_pk_add_f32 v[2:3], v[2:3], v[6:7]
	s_waitcnt vmcnt(0)
	v_pk_add_f32 v[2:3], v[4:5], v[2:3] neg_lo:[0,1] neg_hi:[0,1]
	scratch_store_dwordx2 off, v[2:3], off offset:216
	s_and_saveexec_b64 s[0:1], vcc
	s_cbranch_execz .LBB111_249
; %bb.248:
	scratch_load_dwordx2 v[2:3], off, off offset:208
	v_mov_b32_e32 v4, 0
	v_mov_b32_e32 v5, v4
	scratch_store_dwordx2 off, v[4:5], off offset:208
	s_waitcnt vmcnt(1)
	ds_write_b64 v1, v[2:3]
.LBB111_249:
	s_or_b64 exec, exec, s[0:1]
	s_waitcnt lgkmcnt(0)
	; wave barrier
	scratch_load_dwordx4 v[2:5], off, off offset:216
	scratch_load_dwordx4 v[8:11], off, off offset:232
	;; [unrolled: 1-line block ×10, first 2 shown]
	scratch_load_dwordx2 v[76:77], off, off offset:376
	scratch_load_dwordx2 v[78:79], off, off offset:208
	v_mov_b32_e32 v6, 0
	ds_read2_b64 v[44:47], v6 offset0:75 offset1:76
	ds_read2_b64 v[48:51], v6 offset0:77 offset1:78
	;; [unrolled: 1-line block ×8, first 2 shown]
	v_cmp_lt_u32_e32 vcc, 25, v0
	s_waitcnt vmcnt(11) lgkmcnt(7)
	v_mul_f32_e32 v7, v44, v3
	v_mul_f32_e32 v3, v45, v3
	;; [unrolled: 1-line block ×4, first 2 shown]
	v_fmac_f32_e32 v7, v45, v2
	v_fma_f32 v2, v44, v2, -v3
	s_waitcnt vmcnt(10) lgkmcnt(6)
	v_mul_f32_e32 v82, v48, v9
	v_mul_f32_e32 v9, v49, v9
	v_fma_f32 v3, v46, v4, -v5
	v_add_f32_e32 v2, 0, v2
	v_mul_f32_e32 v84, v50, v11
	v_mul_f32_e32 v11, v51, v11
	v_fmac_f32_e32 v80, v47, v4
	v_fma_f32 v4, v48, v8, -v9
	v_add_f32_e32 v7, 0, v7
	v_add_f32_e32 v2, v2, v3
	s_waitcnt vmcnt(9) lgkmcnt(5)
	v_mul_f32_e32 v85, v52, v13
	v_mul_f32_e32 v13, v53, v13
	v_fmac_f32_e32 v82, v49, v8
	v_fma_f32 v5, v50, v10, -v11
	v_add_f32_e32 v7, v7, v80
	v_add_f32_e32 v2, v2, v4
	v_mul_f32_e32 v86, v54, v15
	v_mul_f32_e32 v15, v55, v15
	v_fmac_f32_e32 v84, v51, v10
	v_fma_f32 v8, v52, v12, -v13
	v_add_f32_e32 v3, v7, v82
	v_add_f32_e32 v2, v2, v5
	s_waitcnt vmcnt(8) lgkmcnt(4)
	v_mul_f32_e32 v87, v56, v17
	v_mul_f32_e32 v17, v57, v17
	v_fmac_f32_e32 v85, v53, v12
	v_fma_f32 v9, v54, v14, -v15
	v_add_f32_e32 v3, v3, v84
	;; [unrolled: 13-line block ×4, first 2 shown]
	v_add_f32_e32 v2, v2, v12
	v_fmac_f32_e32 v90, v63, v22
	v_fma_f32 v14, v64, v24, -v25
	v_add_f32_e32 v3, v3, v89
	v_add_f32_e32 v2, v2, v13
	v_mul_f32_e32 v81, v66, v27
	v_fmac_f32_e32 v91, v65, v24
	v_add_f32_e32 v3, v3, v90
	v_add_f32_e32 v12, v2, v14
	v_mul_f32_e32 v2, v67, v27
	s_waitcnt vmcnt(5)
	v_mov_b32_e32 v16, v31
	s_waitcnt lgkmcnt(1)
	v_mul_f32_e32 v83, v68, v29
	v_fmac_f32_e32 v81, v67, v26
	v_add_f32_e32 v13, v3, v91
	v_fma_f32 v80, v66, v26, -v2
	v_mul_f32_e32 v2, v69, v29
	v_pk_mul_f32 v[16:17], v[70:71], v[16:17] op_sel:[1,0] op_sel_hi:[0,0]
	v_fmac_f32_e32 v83, v69, v28
	v_fma_f32 v82, v68, v28, -v2
	v_pk_add_f32 v[12:13], v[12:13], v[80:81]
	v_pk_fma_f32 v[18:19], v[70:71], v[30:31], v[16:17] neg_lo:[0,0,1] neg_hi:[0,0,1]
	v_pk_fma_f32 v[16:17], v[70:71], v[30:31], v[16:17] op_sel_hi:[1,0,1]
	v_pk_add_f32 v[12:13], v[12:13], v[82:83]
	v_mov_b32_e32 v19, v17
	s_waitcnt vmcnt(4) lgkmcnt(0)
	v_pk_mul_f32 v[16:17], v[72:73], v[32:33] op_sel:[1,1] op_sel_hi:[0,1]
	v_pk_add_f32 v[12:13], v[12:13], v[18:19]
	v_pk_fma_f32 v[18:19], v[72:73], v[32:33], v[16:17] neg_lo:[0,0,1] neg_hi:[0,0,1]
	v_pk_fma_f32 v[16:17], v[72:73], v[32:33], v[16:17] op_sel_hi:[1,0,1]
	ds_read2_b64 v[2:5], v6 offset0:91 offset1:92
	ds_read2_b64 v[8:11], v6 offset0:93 offset1:94
	ds_read_b64 v[14:15], v6 offset:760
	v_mov_b32_e32 v16, v35
	v_mov_b32_e32 v19, v17
	v_pk_mul_f32 v[16:17], v[74:75], v[16:17] op_sel:[1,0] op_sel_hi:[0,0]
	v_pk_add_f32 v[12:13], v[12:13], v[18:19]
	v_pk_fma_f32 v[18:19], v[74:75], v[34:35], v[16:17] neg_lo:[0,0,1] neg_hi:[0,0,1]
	v_pk_fma_f32 v[16:17], v[74:75], v[34:35], v[16:17] op_sel_hi:[1,0,1]
	s_nop 0
	v_mov_b32_e32 v19, v17
	s_waitcnt vmcnt(3) lgkmcnt(2)
	v_pk_mul_f32 v[16:17], v[2:3], v[36:37] op_sel:[1,1] op_sel_hi:[0,1]
	v_pk_add_f32 v[12:13], v[12:13], v[18:19]
	v_pk_fma_f32 v[18:19], v[2:3], v[36:37], v[16:17] neg_lo:[0,0,1] neg_hi:[0,0,1]
	v_pk_fma_f32 v[2:3], v[2:3], v[36:37], v[16:17] op_sel_hi:[1,0,1]
	s_nop 0
	v_mov_b32_e32 v19, v3
	v_pk_add_f32 v[2:3], v[12:13], v[18:19]
	v_mov_b32_e32 v12, v39
	v_pk_mul_f32 v[12:13], v[4:5], v[12:13] op_sel:[1,0] op_sel_hi:[0,0]
	v_pk_fma_f32 v[16:17], v[4:5], v[38:39], v[12:13] neg_lo:[0,0,1] neg_hi:[0,0,1]
	v_pk_fma_f32 v[4:5], v[4:5], v[38:39], v[12:13] op_sel_hi:[1,0,1]
	s_nop 0
	v_mov_b32_e32 v17, v5
	s_waitcnt vmcnt(2) lgkmcnt(1)
	v_pk_mul_f32 v[4:5], v[8:9], v[40:41] op_sel:[1,1] op_sel_hi:[0,1]
	v_pk_fma_f32 v[12:13], v[8:9], v[40:41], v[4:5] neg_lo:[0,0,1] neg_hi:[0,0,1]
	v_pk_fma_f32 v[4:5], v[8:9], v[40:41], v[4:5] op_sel_hi:[1,0,1]
	v_pk_add_f32 v[2:3], v[2:3], v[16:17]
	v_mov_b32_e32 v4, v43
	v_mov_b32_e32 v13, v5
	v_pk_mul_f32 v[4:5], v[10:11], v[4:5] op_sel:[1,0] op_sel_hi:[0,0]
	v_pk_fma_f32 v[8:9], v[10:11], v[42:43], v[4:5] neg_lo:[0,0,1] neg_hi:[0,0,1]
	v_pk_fma_f32 v[4:5], v[10:11], v[42:43], v[4:5] op_sel_hi:[1,0,1]
	v_pk_add_f32 v[2:3], v[2:3], v[12:13]
	v_mov_b32_e32 v9, v5
	s_waitcnt vmcnt(1) lgkmcnt(0)
	v_pk_mul_f32 v[4:5], v[14:15], v[76:77] op_sel:[1,1] op_sel_hi:[0,1]
	v_pk_add_f32 v[2:3], v[2:3], v[8:9]
	v_pk_fma_f32 v[8:9], v[14:15], v[76:77], v[4:5] neg_lo:[0,0,1] neg_hi:[0,0,1]
	v_pk_fma_f32 v[4:5], v[14:15], v[76:77], v[4:5] op_sel_hi:[1,0,1]
	s_nop 0
	v_mov_b32_e32 v9, v5
	v_pk_add_f32 v[2:3], v[2:3], v[8:9]
	s_waitcnt vmcnt(0)
	v_pk_add_f32 v[2:3], v[78:79], v[2:3] neg_lo:[0,1] neg_hi:[0,1]
	scratch_store_dwordx2 off, v[2:3], off offset:208
	s_and_saveexec_b64 s[0:1], vcc
	s_cbranch_execz .LBB111_251
; %bb.250:
	scratch_load_dwordx2 v[2:3], off, off offset:200
	v_mov_b32_e32 v7, v6
	scratch_store_dwordx2 off, v[6:7], off offset:200
	s_waitcnt vmcnt(1)
	ds_write_b64 v1, v[2:3]
.LBB111_251:
	s_or_b64 exec, exec, s[0:1]
	s_waitcnt lgkmcnt(0)
	; wave barrier
	scratch_load_dwordx4 v[8:11], off, off offset:208
	scratch_load_dwordx4 v[12:15], off, off offset:224
	;; [unrolled: 1-line block ×7, first 2 shown]
	ds_read_b128 v[36:39], v6 offset:592
	ds_read_b128 v[40:43], v6 offset:608
	;; [unrolled: 1-line block ×6, first 2 shown]
	scratch_load_dwordx4 v[60:63], off, off offset:320
	scratch_load_dwordx4 v[64:67], off, off offset:336
	;; [unrolled: 1-line block ×4, first 2 shown]
	ds_read_b128 v[72:75], v6 offset:688
	ds_read_b128 v[76:79], v6 offset:704
	scratch_load_dwordx2 v[80:81], off, off offset:200
	v_cmp_lt_u32_e32 vcc, 24, v0
	s_waitcnt vmcnt(11) lgkmcnt(7)
	v_mul_f32_e32 v7, v36, v9
	v_mul_f32_e32 v82, v38, v11
	;; [unrolled: 1-line block ×3, first 2 shown]
	v_fmac_f32_e32 v7, v37, v8
	s_waitcnt vmcnt(10) lgkmcnt(6)
	v_mul_f32_e32 v84, v40, v13
	v_mul_f32_e32 v11, v39, v11
	v_fmac_f32_e32 v82, v39, v10
	v_fma_f32 v8, v36, v8, -v9
	v_add_f32_e32 v7, 0, v7
	v_mul_f32_e32 v86, v42, v15
	v_mul_f32_e32 v13, v41, v13
	v_fmac_f32_e32 v84, v41, v12
	v_fma_f32 v9, v38, v10, -v11
	v_add_f32_e32 v8, 0, v8
	v_add_f32_e32 v7, v7, v82
	s_waitcnt vmcnt(9) lgkmcnt(5)
	v_mul_f32_e32 v87, v44, v17
	v_mul_f32_e32 v15, v43, v15
	v_fmac_f32_e32 v86, v43, v14
	v_fma_f32 v10, v40, v12, -v13
	v_add_f32_e32 v8, v8, v9
	v_add_f32_e32 v7, v7, v84
	v_mul_f32_e32 v88, v46, v19
	v_mul_f32_e32 v17, v45, v17
	v_fmac_f32_e32 v87, v45, v16
	v_fma_f32 v11, v42, v14, -v15
	v_add_f32_e32 v8, v8, v10
	v_add_f32_e32 v7, v7, v86
	s_waitcnt vmcnt(8) lgkmcnt(4)
	v_mul_f32_e32 v89, v48, v21
	v_mul_f32_e32 v19, v47, v19
	v_fmac_f32_e32 v88, v47, v18
	v_fma_f32 v12, v44, v16, -v17
	v_add_f32_e32 v8, v8, v11
	;; [unrolled: 13-line block ×4, first 2 shown]
	v_add_f32_e32 v7, v7, v91
	v_mul_f32_e32 v94, v58, v31
	v_mul_f32_e32 v29, v57, v29
	v_fmac_f32_e32 v93, v57, v28
	v_fma_f32 v17, v54, v26, -v27
	v_add_f32_e32 v8, v8, v16
	v_add_f32_e32 v7, v7, v92
	v_fmac_f32_e32 v94, v59, v30
	v_fma_f32 v18, v56, v28, -v29
	v_add_f32_e32 v8, v8, v17
	v_add_f32_e32 v7, v7, v93
	;; [unrolled: 1-line block ×4, first 2 shown]
	v_mul_f32_e32 v8, v59, v31
	v_fma_f32 v8, v58, v30, -v8
	s_waitcnt vmcnt(5) lgkmcnt(1)
	v_mul_f32_e32 v83, v72, v33
	v_add_f32_e32 v20, v7, v8
	v_mul_f32_e32 v7, v73, v33
	v_fmac_f32_e32 v83, v73, v32
	v_fma_f32 v82, v72, v32, -v7
	v_mul_f32_e32 v7, v75, v35
	v_fma_f32 v84, v74, v34, -v7
	ds_read_b128 v[8:11], v6 offset:720
	ds_read_b128 v[12:15], v6 offset:736
	;; [unrolled: 1-line block ×3, first 2 shown]
	v_pk_add_f32 v[6:7], v[20:21], v[82:83]
	s_waitcnt vmcnt(4) lgkmcnt(3)
	v_pk_mul_f32 v[20:21], v[76:77], v[60:61] op_sel:[1,1] op_sel_hi:[0,1]
	v_mul_f32_e32 v85, v74, v35
	v_pk_fma_f32 v[22:23], v[76:77], v[60:61], v[20:21] neg_lo:[0,0,1] neg_hi:[0,0,1]
	v_pk_fma_f32 v[20:21], v[76:77], v[60:61], v[20:21] op_sel_hi:[1,0,1]
	v_fmac_f32_e32 v85, v75, v34
	v_mov_b32_e32 v20, v63
	v_pk_add_f32 v[6:7], v[6:7], v[84:85]
	v_mov_b32_e32 v23, v21
	v_pk_mul_f32 v[20:21], v[78:79], v[20:21] op_sel:[1,0] op_sel_hi:[0,0]
	v_pk_add_f32 v[6:7], v[6:7], v[22:23]
	v_pk_fma_f32 v[22:23], v[78:79], v[62:63], v[20:21] neg_lo:[0,0,1] neg_hi:[0,0,1]
	v_pk_fma_f32 v[20:21], v[78:79], v[62:63], v[20:21] op_sel_hi:[1,0,1]
	s_nop 0
	v_mov_b32_e32 v23, v21
	s_waitcnt vmcnt(3) lgkmcnt(2)
	v_pk_mul_f32 v[20:21], v[8:9], v[64:65] op_sel:[1,1] op_sel_hi:[0,1]
	v_pk_add_f32 v[6:7], v[6:7], v[22:23]
	v_pk_fma_f32 v[22:23], v[8:9], v[64:65], v[20:21] neg_lo:[0,0,1] neg_hi:[0,0,1]
	v_pk_fma_f32 v[8:9], v[8:9], v[64:65], v[20:21] op_sel_hi:[1,0,1]
	s_nop 0
	v_mov_b32_e32 v8, v67
	v_mov_b32_e32 v23, v9
	v_pk_mul_f32 v[8:9], v[10:11], v[8:9] op_sel:[1,0] op_sel_hi:[0,0]
	v_pk_fma_f32 v[20:21], v[10:11], v[66:67], v[8:9] neg_lo:[0,0,1] neg_hi:[0,0,1]
	v_pk_fma_f32 v[8:9], v[10:11], v[66:67], v[8:9] op_sel_hi:[1,0,1]
	v_pk_add_f32 v[6:7], v[6:7], v[22:23]
	v_mov_b32_e32 v21, v9
	s_waitcnt vmcnt(2) lgkmcnt(1)
	v_pk_mul_f32 v[8:9], v[12:13], v[68:69] op_sel:[1,1] op_sel_hi:[0,1]
	v_pk_fma_f32 v[10:11], v[12:13], v[68:69], v[8:9] neg_lo:[0,0,1] neg_hi:[0,0,1]
	v_pk_fma_f32 v[8:9], v[12:13], v[68:69], v[8:9] op_sel_hi:[1,0,1]
	v_pk_add_f32 v[6:7], v[6:7], v[20:21]
	v_mov_b32_e32 v8, v71
	v_mov_b32_e32 v11, v9
	v_pk_mul_f32 v[8:9], v[14:15], v[8:9] op_sel:[1,0] op_sel_hi:[0,0]
	v_pk_add_f32 v[6:7], v[6:7], v[10:11]
	v_pk_fma_f32 v[10:11], v[14:15], v[70:71], v[8:9] neg_lo:[0,0,1] neg_hi:[0,0,1]
	v_pk_fma_f32 v[8:9], v[14:15], v[70:71], v[8:9] op_sel_hi:[1,0,1]
	s_nop 0
	v_mov_b32_e32 v11, v9
	s_waitcnt vmcnt(1) lgkmcnt(0)
	v_pk_mul_f32 v[8:9], v[16:17], v[2:3] op_sel:[1,1] op_sel_hi:[0,1]
	v_pk_add_f32 v[6:7], v[6:7], v[10:11]
	v_pk_fma_f32 v[10:11], v[16:17], v[2:3], v[8:9] neg_lo:[0,0,1] neg_hi:[0,0,1]
	v_pk_fma_f32 v[2:3], v[16:17], v[2:3], v[8:9] op_sel_hi:[1,0,1]
	s_nop 0
	v_mov_b32_e32 v11, v3
	v_pk_add_f32 v[2:3], v[6:7], v[10:11]
	v_mov_b32_e32 v6, v5
	v_pk_mul_f32 v[6:7], v[18:19], v[6:7] op_sel:[1,0] op_sel_hi:[0,0]
	v_pk_fma_f32 v[8:9], v[18:19], v[4:5], v[6:7] neg_lo:[0,0,1] neg_hi:[0,0,1]
	v_pk_fma_f32 v[4:5], v[18:19], v[4:5], v[6:7] op_sel_hi:[1,0,1]
	s_nop 0
	v_mov_b32_e32 v9, v5
	v_pk_add_f32 v[2:3], v[2:3], v[8:9]
	s_waitcnt vmcnt(0)
	v_pk_add_f32 v[2:3], v[80:81], v[2:3] neg_lo:[0,1] neg_hi:[0,1]
	scratch_store_dwordx2 off, v[2:3], off offset:200
	s_and_saveexec_b64 s[0:1], vcc
	s_cbranch_execz .LBB111_253
; %bb.252:
	scratch_load_dwordx2 v[2:3], off, off offset:192
	v_mov_b32_e32 v4, 0
	v_mov_b32_e32 v5, v4
	scratch_store_dwordx2 off, v[4:5], off offset:192
	s_waitcnt vmcnt(1)
	ds_write_b64 v1, v[2:3]
.LBB111_253:
	s_or_b64 exec, exec, s[0:1]
	s_waitcnt lgkmcnt(0)
	; wave barrier
	scratch_load_dwordx4 v[2:5], off, off offset:200
	scratch_load_dwordx4 v[14:17], off, off offset:216
	;; [unrolled: 1-line block ×11, first 2 shown]
	scratch_load_dwordx2 v[22:23], off, off offset:376
	scratch_load_dwordx2 v[36:37], off, off offset:192
	v_mov_b32_e32 v38, 0
	ds_read2_b64 v[52:55], v38 offset0:73 offset1:74
	ds_read2_b64 v[56:59], v38 offset0:75 offset1:76
	;; [unrolled: 1-line block ×8, first 2 shown]
	v_cmp_lt_u32_e32 vcc, 23, v0
	s_waitcnt vmcnt(12) lgkmcnt(7)
	v_mul_f32_e32 v39, v52, v3
	v_mul_f32_e32 v84, v54, v5
	;; [unrolled: 1-line block ×3, first 2 shown]
	v_fmac_f32_e32 v39, v53, v2
	s_waitcnt vmcnt(8) lgkmcnt(3)
	v_mul_f32_e32 v93, v68, v19
	v_mul_f32_e32 v19, v69, v19
	;; [unrolled: 1-line block ×4, first 2 shown]
	v_fmac_f32_e32 v84, v55, v4
	v_fmac_f32_e32 v93, v69, v18
	v_fma_f32 v2, v52, v2, -v3
	v_fma_f32 v18, v68, v18, -v19
	v_add_f32_e32 v19, 0, v39
	v_mul_f32_e32 v88, v58, v17
	v_fmac_f32_e32 v86, v57, v14
	v_fma_f32 v3, v54, v4, -v5
	v_add_f32_e32 v2, 0, v2
	v_add_f32_e32 v19, v19, v84
	v_mul_f32_e32 v89, v60, v25
	v_fmac_f32_e32 v88, v59, v16
	v_add_f32_e32 v2, v2, v3
	v_add_f32_e32 v3, v19, v86
	v_mul_f32_e32 v90, v62, v27
	v_fmac_f32_e32 v89, v61, v24
	v_add_f32_e32 v3, v3, v88
	v_mul_f32_e32 v91, v64, v29
	v_mul_f32_e32 v15, v57, v15
	v_fmac_f32_e32 v90, v63, v26
	v_add_f32_e32 v3, v3, v89
	v_mul_f32_e32 v92, v66, v31
	v_mul_f32_e32 v17, v59, v17
	v_fmac_f32_e32 v91, v65, v28
	v_fma_f32 v4, v56, v14, -v15
	v_add_f32_e32 v3, v3, v90
	v_mul_f32_e32 v25, v61, v25
	v_fmac_f32_e32 v92, v67, v30
	v_fma_f32 v5, v58, v16, -v17
	v_add_f32_e32 v2, v2, v4
	v_add_f32_e32 v3, v3, v91
	v_mul_f32_e32 v94, v70, v21
	v_mul_f32_e32 v27, v63, v27
	v_fma_f32 v14, v60, v24, -v25
	v_add_f32_e32 v2, v2, v5
	v_add_f32_e32 v3, v3, v92
	s_waitcnt vmcnt(7) lgkmcnt(2)
	v_mul_f32_e32 v95, v72, v33
	v_mul_f32_e32 v29, v65, v29
	v_fmac_f32_e32 v94, v71, v20
	v_fma_f32 v15, v62, v26, -v27
	v_add_f32_e32 v2, v2, v14
	v_add_f32_e32 v3, v3, v93
	v_mul_f32_e32 v96, v74, v35
	v_mul_f32_e32 v31, v67, v31
	v_fmac_f32_e32 v95, v73, v32
	v_fma_f32 v16, v64, v28, -v29
	v_add_f32_e32 v2, v2, v15
	v_add_f32_e32 v3, v3, v94
	s_waitcnt vmcnt(6) lgkmcnt(1)
	v_mul_f32_e32 v97, v76, v41
	v_fmac_f32_e32 v96, v75, v34
	v_fma_f32 v17, v66, v30, -v31
	v_add_f32_e32 v2, v2, v16
	v_add_f32_e32 v3, v3, v95
	v_mul_f32_e32 v21, v71, v21
	v_fmac_f32_e32 v97, v77, v40
	v_add_f32_e32 v2, v2, v17
	v_add_f32_e32 v3, v3, v96
	;; [unrolled: 1-line block ×4, first 2 shown]
	v_fma_f32 v3, v70, v20, -v21
	v_add_f32_e32 v2, v2, v3
	v_mul_f32_e32 v3, v73, v33
	v_fma_f32 v3, v72, v32, -v3
	v_add_f32_e32 v2, v2, v3
	v_mul_f32_e32 v3, v75, v35
	;; [unrolled: 3-line block ×4, first 2 shown]
	v_mul_f32_e32 v85, v78, v43
	v_fma_f32 v84, v78, v42, -v2
	s_waitcnt vmcnt(5) lgkmcnt(0)
	v_mul_f32_e32 v2, v81, v45
	v_mov_b32_e32 v28, v47
	v_mul_f32_e32 v87, v80, v45
	v_fmac_f32_e32 v85, v79, v42
	v_fma_f32 v86, v80, v44, -v2
	ds_read2_b64 v[2:5], v38 offset0:89 offset1:90
	ds_read2_b64 v[14:17], v38 offset0:91 offset1:92
	;; [unrolled: 1-line block ×3, first 2 shown]
	ds_read_b64 v[26:27], v38 offset:760
	v_pk_mul_f32 v[28:29], v[82:83], v[28:29] op_sel:[1,0] op_sel_hi:[0,0]
	v_fmac_f32_e32 v87, v81, v44
	v_pk_add_f32 v[24:25], v[24:25], v[84:85]
	v_pk_fma_f32 v[30:31], v[82:83], v[46:47], v[28:29] neg_lo:[0,0,1] neg_hi:[0,0,1]
	v_pk_fma_f32 v[28:29], v[82:83], v[46:47], v[28:29] op_sel_hi:[1,0,1]
	v_pk_add_f32 v[24:25], v[24:25], v[86:87]
	v_mov_b32_e32 v31, v29
	s_waitcnt vmcnt(4) lgkmcnt(3)
	v_pk_mul_f32 v[28:29], v[2:3], v[48:49] op_sel:[1,1] op_sel_hi:[0,1]
	v_pk_add_f32 v[24:25], v[24:25], v[30:31]
	v_pk_fma_f32 v[30:31], v[2:3], v[48:49], v[28:29] neg_lo:[0,0,1] neg_hi:[0,0,1]
	v_pk_fma_f32 v[2:3], v[2:3], v[48:49], v[28:29] op_sel_hi:[1,0,1]
	s_nop 0
	v_mov_b32_e32 v31, v3
	v_pk_add_f32 v[2:3], v[24:25], v[30:31]
	v_mov_b32_e32 v24, v51
	v_pk_mul_f32 v[24:25], v[4:5], v[24:25] op_sel:[1,0] op_sel_hi:[0,0]
	v_pk_fma_f32 v[28:29], v[4:5], v[50:51], v[24:25] neg_lo:[0,0,1] neg_hi:[0,0,1]
	v_pk_fma_f32 v[4:5], v[4:5], v[50:51], v[24:25] op_sel_hi:[1,0,1]
	s_nop 0
	v_mov_b32_e32 v29, v5
	s_waitcnt vmcnt(3) lgkmcnt(2)
	v_pk_mul_f32 v[4:5], v[14:15], v[10:11] op_sel:[1,1] op_sel_hi:[0,1]
	v_pk_fma_f32 v[24:25], v[14:15], v[10:11], v[4:5] neg_lo:[0,0,1] neg_hi:[0,0,1]
	v_pk_fma_f32 v[4:5], v[14:15], v[10:11], v[4:5] op_sel_hi:[1,0,1]
	v_pk_add_f32 v[2:3], v[2:3], v[28:29]
	v_mov_b32_e32 v4, v13
	v_mov_b32_e32 v25, v5
	v_pk_mul_f32 v[4:5], v[16:17], v[4:5] op_sel:[1,0] op_sel_hi:[0,0]
	v_pk_fma_f32 v[10:11], v[16:17], v[12:13], v[4:5] neg_lo:[0,0,1] neg_hi:[0,0,1]
	v_pk_fma_f32 v[4:5], v[16:17], v[12:13], v[4:5] op_sel_hi:[1,0,1]
	v_pk_add_f32 v[2:3], v[2:3], v[24:25]
	v_mov_b32_e32 v11, v5
	s_waitcnt vmcnt(2) lgkmcnt(1)
	v_pk_mul_f32 v[4:5], v[18:19], v[6:7] op_sel:[1,1] op_sel_hi:[0,1]
	v_pk_add_f32 v[2:3], v[2:3], v[10:11]
	v_pk_fma_f32 v[10:11], v[18:19], v[6:7], v[4:5] neg_lo:[0,0,1] neg_hi:[0,0,1]
	v_pk_fma_f32 v[4:5], v[18:19], v[6:7], v[4:5] op_sel_hi:[1,0,1]
	s_nop 0
	v_mov_b32_e32 v4, v9
	v_mov_b32_e32 v11, v5
	v_pk_mul_f32 v[4:5], v[20:21], v[4:5] op_sel:[1,0] op_sel_hi:[0,0]
	v_pk_fma_f32 v[6:7], v[20:21], v[8:9], v[4:5] neg_lo:[0,0,1] neg_hi:[0,0,1]
	v_pk_fma_f32 v[4:5], v[20:21], v[8:9], v[4:5] op_sel_hi:[1,0,1]
	v_pk_add_f32 v[2:3], v[2:3], v[10:11]
	v_mov_b32_e32 v7, v5
	s_waitcnt vmcnt(1) lgkmcnt(0)
	v_pk_mul_f32 v[4:5], v[26:27], v[22:23] op_sel:[1,1] op_sel_hi:[0,1]
	v_pk_add_f32 v[2:3], v[2:3], v[6:7]
	v_pk_fma_f32 v[6:7], v[26:27], v[22:23], v[4:5] neg_lo:[0,0,1] neg_hi:[0,0,1]
	v_pk_fma_f32 v[4:5], v[26:27], v[22:23], v[4:5] op_sel_hi:[1,0,1]
	s_nop 0
	v_mov_b32_e32 v7, v5
	v_pk_add_f32 v[2:3], v[2:3], v[6:7]
	s_waitcnt vmcnt(0)
	v_pk_add_f32 v[2:3], v[36:37], v[2:3] neg_lo:[0,1] neg_hi:[0,1]
	scratch_store_dwordx2 off, v[2:3], off offset:192
	s_and_saveexec_b64 s[0:1], vcc
	s_cbranch_execz .LBB111_255
; %bb.254:
	scratch_load_dwordx2 v[2:3], off, off offset:184
	v_mov_b32_e32 v39, v38
	scratch_store_dwordx2 off, v[38:39], off offset:184
	s_waitcnt vmcnt(1)
	ds_write_b64 v1, v[2:3]
.LBB111_255:
	s_or_b64 exec, exec, s[0:1]
	s_waitcnt lgkmcnt(0)
	; wave barrier
	scratch_load_dwordx4 v[6:9], off, off offset:192
	scratch_load_dwordx4 v[18:21], off, off offset:208
	;; [unrolled: 1-line block ×8, first 2 shown]
	ds_read_b128 v[48:51], v38 offset:576
	ds_read_b128 v[52:55], v38 offset:592
	;; [unrolled: 1-line block ×8, first 2 shown]
	scratch_load_dwordx4 v[80:83], off, off offset:320
	scratch_load_dwordx4 v[26:29], off, off offset:336
	;; [unrolled: 1-line block ×4, first 2 shown]
	scratch_load_dwordx2 v[84:85], off, off offset:184
	v_cmp_lt_u32_e32 vcc, 22, v0
	s_waitcnt vmcnt(12) lgkmcnt(7)
	v_mul_f32_e32 v39, v48, v7
	v_mul_f32_e32 v86, v50, v9
	;; [unrolled: 1-line block ×3, first 2 shown]
	v_fmac_f32_e32 v39, v49, v6
	s_waitcnt vmcnt(8) lgkmcnt(3)
	v_mul_f32_e32 v95, v64, v15
	v_mul_f32_e32 v15, v65, v15
	;; [unrolled: 1-line block ×4, first 2 shown]
	v_fmac_f32_e32 v86, v51, v8
	v_fmac_f32_e32 v95, v65, v14
	v_fma_f32 v6, v48, v6, -v7
	v_fma_f32 v14, v64, v14, -v15
	v_add_f32_e32 v15, 0, v39
	v_mul_f32_e32 v90, v54, v21
	v_fmac_f32_e32 v88, v53, v18
	v_fma_f32 v7, v50, v8, -v9
	v_add_f32_e32 v6, 0, v6
	v_add_f32_e32 v15, v15, v86
	v_mul_f32_e32 v91, v56, v35
	v_fmac_f32_e32 v90, v55, v20
	v_add_f32_e32 v6, v6, v7
	v_add_f32_e32 v7, v15, v88
	v_mul_f32_e32 v92, v58, v37
	v_fmac_f32_e32 v91, v57, v34
	v_add_f32_e32 v7, v7, v90
	v_mul_f32_e32 v93, v60, v41
	v_fmac_f32_e32 v92, v59, v36
	;; [unrolled: 3-line block ×4, first 2 shown]
	v_add_f32_e32 v7, v7, v93
	v_mul_f32_e32 v96, v66, v17
	v_mul_f32_e32 v21, v55, v21
	v_fma_f32 v8, v52, v18, -v19
	v_add_f32_e32 v7, v7, v94
	s_waitcnt vmcnt(7) lgkmcnt(2)
	v_mul_f32_e32 v97, v68, v23
	v_mul_f32_e32 v35, v57, v35
	v_fmac_f32_e32 v96, v67, v16
	v_fma_f32 v9, v54, v20, -v21
	v_add_f32_e32 v6, v6, v8
	v_add_f32_e32 v7, v7, v95
	v_mul_f32_e32 v98, v70, v25
	v_mul_f32_e32 v37, v59, v37
	v_fmac_f32_e32 v97, v69, v22
	v_fma_f32 v18, v56, v34, -v35
	v_add_f32_e32 v6, v6, v9
	v_add_f32_e32 v7, v7, v96
	s_waitcnt vmcnt(6) lgkmcnt(1)
	v_mul_f32_e32 v99, v72, v31
	v_mul_f32_e32 v41, v61, v41
	v_fmac_f32_e32 v98, v71, v24
	v_fma_f32 v19, v58, v36, -v37
	v_add_f32_e32 v6, v6, v18
	v_add_f32_e32 v7, v7, v97
	v_mul_f32_e32 v100, v74, v33
	v_mul_f32_e32 v43, v63, v43
	v_fmac_f32_e32 v99, v73, v30
	v_fma_f32 v20, v60, v40, -v41
	v_add_f32_e32 v6, v6, v19
	v_add_f32_e32 v7, v7, v98
	v_fmac_f32_e32 v100, v75, v32
	v_fma_f32 v21, v62, v42, -v43
	v_add_f32_e32 v6, v6, v20
	v_add_f32_e32 v7, v7, v99
	;; [unrolled: 1-line block ×4, first 2 shown]
	v_mul_f32_e32 v7, v67, v17
	v_add_f32_e32 v6, v6, v14
	v_fma_f32 v7, v66, v16, -v7
	v_add_f32_e32 v6, v6, v7
	v_mul_f32_e32 v7, v69, v23
	v_fma_f32 v7, v68, v22, -v7
	v_add_f32_e32 v6, v6, v7
	v_mul_f32_e32 v7, v71, v25
	;; [unrolled: 3-line block ×4, first 2 shown]
	v_fma_f32 v7, v74, v32, -v7
	v_add_f32_e32 v34, v6, v7
	s_waitcnt vmcnt(5) lgkmcnt(0)
	v_mul_f32_e32 v6, v77, v45
	v_fma_f32 v86, v76, v44, -v6
	v_mul_f32_e32 v6, v79, v47
	v_fma_f32 v88, v78, v46, -v6
	ds_read_b128 v[6:9], v38 offset:704
	ds_read_b128 v[14:17], v38 offset:720
	;; [unrolled: 1-line block ×4, first 2 shown]
	v_mul_f32_e32 v87, v76, v45
	v_mul_f32_e32 v89, v78, v47
	v_fmac_f32_e32 v87, v77, v44
	s_waitcnt vmcnt(4) lgkmcnt(3)
	v_pk_mul_f32 v[32:33], v[6:7], v[80:81] op_sel:[1,1] op_sel_hi:[0,1]
	v_fmac_f32_e32 v89, v79, v46
	v_pk_add_f32 v[30:31], v[34:35], v[86:87]
	v_pk_fma_f32 v[34:35], v[6:7], v[80:81], v[32:33] neg_lo:[0,0,1] neg_hi:[0,0,1]
	v_pk_fma_f32 v[6:7], v[6:7], v[80:81], v[32:33] op_sel_hi:[1,0,1]
	v_pk_add_f32 v[30:31], v[30:31], v[88:89]
	v_mov_b32_e32 v35, v7
	v_pk_add_f32 v[6:7], v[30:31], v[34:35]
	v_mov_b32_e32 v30, v83
	v_pk_mul_f32 v[30:31], v[8:9], v[30:31] op_sel:[1,0] op_sel_hi:[0,0]
	v_pk_fma_f32 v[32:33], v[8:9], v[82:83], v[30:31] neg_lo:[0,0,1] neg_hi:[0,0,1]
	v_pk_fma_f32 v[8:9], v[8:9], v[82:83], v[30:31] op_sel_hi:[1,0,1]
	s_nop 0
	v_mov_b32_e32 v33, v9
	s_waitcnt vmcnt(3) lgkmcnt(2)
	v_pk_mul_f32 v[8:9], v[14:15], v[26:27] op_sel:[1,1] op_sel_hi:[0,1]
	v_pk_fma_f32 v[30:31], v[14:15], v[26:27], v[8:9] neg_lo:[0,0,1] neg_hi:[0,0,1]
	v_pk_fma_f32 v[8:9], v[14:15], v[26:27], v[8:9] op_sel_hi:[1,0,1]
	v_pk_add_f32 v[6:7], v[6:7], v[32:33]
	v_mov_b32_e32 v8, v29
	v_mov_b32_e32 v31, v9
	v_pk_mul_f32 v[8:9], v[16:17], v[8:9] op_sel:[1,0] op_sel_hi:[0,0]
	v_pk_fma_f32 v[14:15], v[16:17], v[28:29], v[8:9] neg_lo:[0,0,1] neg_hi:[0,0,1]
	v_pk_fma_f32 v[8:9], v[16:17], v[28:29], v[8:9] op_sel_hi:[1,0,1]
	v_pk_add_f32 v[6:7], v[6:7], v[30:31]
	v_mov_b32_e32 v15, v9
	s_waitcnt vmcnt(2) lgkmcnt(1)
	v_pk_mul_f32 v[8:9], v[18:19], v[10:11] op_sel:[1,1] op_sel_hi:[0,1]
	v_pk_add_f32 v[6:7], v[6:7], v[14:15]
	v_pk_fma_f32 v[14:15], v[18:19], v[10:11], v[8:9] neg_lo:[0,0,1] neg_hi:[0,0,1]
	v_pk_fma_f32 v[8:9], v[18:19], v[10:11], v[8:9] op_sel_hi:[1,0,1]
	s_nop 0
	v_mov_b32_e32 v8, v13
	v_mov_b32_e32 v15, v9
	v_pk_mul_f32 v[8:9], v[20:21], v[8:9] op_sel:[1,0] op_sel_hi:[0,0]
	v_pk_fma_f32 v[10:11], v[20:21], v[12:13], v[8:9] neg_lo:[0,0,1] neg_hi:[0,0,1]
	v_pk_fma_f32 v[8:9], v[20:21], v[12:13], v[8:9] op_sel_hi:[1,0,1]
	v_pk_add_f32 v[6:7], v[6:7], v[14:15]
	v_mov_b32_e32 v11, v9
	s_waitcnt vmcnt(1) lgkmcnt(0)
	v_pk_mul_f32 v[8:9], v[22:23], v[2:3] op_sel:[1,1] op_sel_hi:[0,1]
	v_pk_add_f32 v[6:7], v[6:7], v[10:11]
	v_pk_fma_f32 v[10:11], v[22:23], v[2:3], v[8:9] neg_lo:[0,0,1] neg_hi:[0,0,1]
	v_pk_fma_f32 v[2:3], v[22:23], v[2:3], v[8:9] op_sel_hi:[1,0,1]
	s_nop 0
	v_mov_b32_e32 v11, v3
	v_pk_add_f32 v[2:3], v[6:7], v[10:11]
	v_mov_b32_e32 v6, v5
	v_pk_mul_f32 v[6:7], v[24:25], v[6:7] op_sel:[1,0] op_sel_hi:[0,0]
	v_pk_fma_f32 v[8:9], v[24:25], v[4:5], v[6:7] neg_lo:[0,0,1] neg_hi:[0,0,1]
	v_pk_fma_f32 v[4:5], v[24:25], v[4:5], v[6:7] op_sel_hi:[1,0,1]
	s_nop 0
	v_mov_b32_e32 v9, v5
	v_pk_add_f32 v[2:3], v[2:3], v[8:9]
	s_waitcnt vmcnt(0)
	v_pk_add_f32 v[2:3], v[84:85], v[2:3] neg_lo:[0,1] neg_hi:[0,1]
	scratch_store_dwordx2 off, v[2:3], off offset:184
	s_and_saveexec_b64 s[0:1], vcc
	s_cbranch_execz .LBB111_257
; %bb.256:
	scratch_load_dwordx2 v[2:3], off, off offset:176
	v_mov_b32_e32 v4, 0
	v_mov_b32_e32 v5, v4
	scratch_store_dwordx2 off, v[4:5], off offset:176
	s_waitcnt vmcnt(1)
	ds_write_b64 v1, v[2:3]
.LBB111_257:
	s_or_b64 exec, exec, s[0:1]
	s_waitcnt lgkmcnt(0)
	; wave barrier
	scratch_load_dwordx4 v[2:5], off, off offset:184
	scratch_load_dwordx4 v[22:25], off, off offset:200
	scratch_load_dwordx4 v[38:41], off, off offset:216
	scratch_load_dwordx4 v[10:13], off, off offset:232
	scratch_load_dwordx4 v[14:17], off, off offset:248
	scratch_load_dwordx4 v[26:29], off, off offset:264
	scratch_load_dwordx4 v[30:33], off, off offset:280
	scratch_load_dwordx4 v[42:45], off, off offset:296
	scratch_load_dwordx4 v[46:49], off, off offset:312
	scratch_load_dwordx4 v[34:37], off, off offset:328
	scratch_load_dwordx4 v[18:21], off, off offset:344
	scratch_load_dwordx4 v[6:9], off, off offset:360
	scratch_load_dwordx2 v[50:51], off, off offset:376
	scratch_load_dwordx2 v[56:57], off, off offset:176
	v_mov_b32_e32 v58, 0
	ds_read2_b64 v[52:55], v58 offset0:71 offset1:72
	ds_read2_b64 v[60:63], v58 offset0:73 offset1:74
	;; [unrolled: 1-line block ×10, first 2 shown]
	v_cmp_lt_u32_e32 vcc, 21, v0
	s_waitcnt vmcnt(13) lgkmcnt(9)
	v_mul_f32_e32 v59, v52, v3
	v_mul_f32_e32 v96, v54, v5
	v_mul_f32_e32 v3, v53, v3
	s_waitcnt vmcnt(10) lgkmcnt(6)
	v_mul_f32_e32 v103, v68, v11
	v_mul_f32_e32 v11, v69, v11
	v_fmac_f32_e32 v59, v53, v2
	v_mul_f32_e32 v98, v60, v23
	v_mul_f32_e32 v5, v55, v5
	v_fmac_f32_e32 v96, v55, v4
	v_fmac_f32_e32 v103, v69, v10
	v_fma_f32 v2, v52, v2, -v3
	v_fma_f32 v10, v68, v10, -v11
	v_add_f32_e32 v11, 0, v59
	v_mul_f32_e32 v100, v62, v25
	v_fmac_f32_e32 v98, v61, v22
	v_fma_f32 v3, v54, v4, -v5
	v_add_f32_e32 v2, 0, v2
	v_add_f32_e32 v11, v11, v96
	v_mul_f32_e32 v101, v64, v39
	v_fmac_f32_e32 v100, v63, v24
	v_add_f32_e32 v2, v2, v3
	v_add_f32_e32 v3, v11, v98
	v_mul_f32_e32 v102, v66, v41
	v_fmac_f32_e32 v101, v65, v38
	v_add_f32_e32 v3, v3, v100
	v_fmac_f32_e32 v102, v67, v40
	v_add_f32_e32 v3, v3, v101
	v_mul_f32_e32 v104, v70, v13
	v_add_f32_e32 v3, v3, v102
	s_waitcnt vmcnt(9) lgkmcnt(5)
	v_mul_f32_e32 v105, v72, v15
	v_fmac_f32_e32 v104, v71, v12
	v_add_f32_e32 v3, v3, v103
	v_mul_f32_e32 v106, v74, v17
	v_fmac_f32_e32 v105, v73, v14
	v_add_f32_e32 v3, v3, v104
	s_waitcnt vmcnt(8) lgkmcnt(4)
	v_mul_f32_e32 v107, v76, v27
	v_fmac_f32_e32 v106, v75, v16
	v_add_f32_e32 v3, v3, v105
	v_mul_f32_e32 v108, v78, v29
	v_mul_f32_e32 v23, v61, v23
	v_fmac_f32_e32 v107, v77, v26
	v_add_f32_e32 v3, v3, v106
	s_waitcnt vmcnt(7) lgkmcnt(3)
	v_mul_f32_e32 v109, v80, v31
	v_mul_f32_e32 v25, v63, v25
	v_fmac_f32_e32 v108, v79, v28
	v_fma_f32 v4, v60, v22, -v23
	v_add_f32_e32 v3, v3, v107
	v_mul_f32_e32 v110, v82, v33
	v_mul_f32_e32 v39, v65, v39
	v_fmac_f32_e32 v109, v81, v30
	v_fma_f32 v5, v62, v24, -v25
	v_add_f32_e32 v2, v2, v4
	v_add_f32_e32 v3, v3, v108
	s_waitcnt vmcnt(6) lgkmcnt(2)
	v_mul_f32_e32 v111, v84, v43
	v_mul_f32_e32 v41, v67, v41
	v_fmac_f32_e32 v110, v83, v32
	v_fma_f32 v22, v64, v38, -v39
	v_add_f32_e32 v2, v2, v5
	v_add_f32_e32 v3, v3, v109
	v_fmac_f32_e32 v111, v85, v42
	v_fma_f32 v23, v66, v40, -v41
	v_add_f32_e32 v2, v2, v22
	v_add_f32_e32 v3, v3, v110
	v_add_f32_e32 v2, v2, v23
	v_add_f32_e32 v23, v3, v111
	v_mul_f32_e32 v3, v71, v13
	v_add_f32_e32 v2, v2, v10
	v_fma_f32 v3, v70, v12, -v3
	v_add_f32_e32 v2, v2, v3
	v_mul_f32_e32 v3, v73, v15
	v_fma_f32 v3, v72, v14, -v3
	v_add_f32_e32 v2, v2, v3
	v_mul_f32_e32 v3, v75, v17
	;; [unrolled: 3-line block ×7, first 2 shown]
	v_fma_f32 v3, v84, v42, -v3
	v_mul_f32_e32 v97, v86, v45
	v_add_f32_e32 v22, v2, v3
	v_mul_f32_e32 v2, v87, v45
	v_fmac_f32_e32 v97, v87, v44
	v_fma_f32 v96, v86, v44, -v2
	v_pk_add_f32 v[16:17], v[22:23], v[96:97]
	s_waitcnt vmcnt(5)
	v_mov_b32_e32 v22, v49
	s_waitcnt lgkmcnt(1)
	v_mul_f32_e32 v99, v88, v47
	v_mul_f32_e32 v2, v89, v47
	v_pk_mul_f32 v[22:23], v[90:91], v[22:23] op_sel:[1,0] op_sel_hi:[0,0]
	v_fmac_f32_e32 v99, v89, v46
	v_fma_f32 v98, v88, v46, -v2
	v_pk_fma_f32 v[24:25], v[90:91], v[48:49], v[22:23] neg_lo:[0,0,1] neg_hi:[0,0,1]
	v_pk_fma_f32 v[22:23], v[90:91], v[48:49], v[22:23] op_sel_hi:[1,0,1]
	v_pk_add_f32 v[16:17], v[16:17], v[98:99]
	v_mov_b32_e32 v25, v23
	s_waitcnt vmcnt(4) lgkmcnt(0)
	v_pk_mul_f32 v[22:23], v[92:93], v[34:35] op_sel:[1,1] op_sel_hi:[0,1]
	v_pk_add_f32 v[16:17], v[16:17], v[24:25]
	v_pk_fma_f32 v[24:25], v[92:93], v[34:35], v[22:23] neg_lo:[0,0,1] neg_hi:[0,0,1]
	v_pk_fma_f32 v[22:23], v[92:93], v[34:35], v[22:23] op_sel_hi:[1,0,1]
	ds_read2_b64 v[2:5], v58 offset0:91 offset1:92
	ds_read2_b64 v[10:13], v58 offset0:93 offset1:94
	ds_read_b64 v[14:15], v58 offset:760
	v_mov_b32_e32 v22, v37
	v_mov_b32_e32 v25, v23
	v_pk_mul_f32 v[22:23], v[94:95], v[22:23] op_sel:[1,0] op_sel_hi:[0,0]
	v_pk_add_f32 v[16:17], v[16:17], v[24:25]
	v_pk_fma_f32 v[24:25], v[94:95], v[36:37], v[22:23] neg_lo:[0,0,1] neg_hi:[0,0,1]
	v_pk_fma_f32 v[22:23], v[94:95], v[36:37], v[22:23] op_sel_hi:[1,0,1]
	s_nop 0
	v_mov_b32_e32 v25, v23
	s_waitcnt vmcnt(3) lgkmcnt(2)
	v_pk_mul_f32 v[22:23], v[2:3], v[18:19] op_sel:[1,1] op_sel_hi:[0,1]
	v_pk_add_f32 v[16:17], v[16:17], v[24:25]
	v_pk_fma_f32 v[24:25], v[2:3], v[18:19], v[22:23] neg_lo:[0,0,1] neg_hi:[0,0,1]
	v_pk_fma_f32 v[2:3], v[2:3], v[18:19], v[22:23] op_sel_hi:[1,0,1]
	s_nop 0
	v_mov_b32_e32 v25, v3
	v_pk_add_f32 v[2:3], v[16:17], v[24:25]
	v_mov_b32_e32 v16, v21
	v_pk_mul_f32 v[16:17], v[4:5], v[16:17] op_sel:[1,0] op_sel_hi:[0,0]
	v_pk_fma_f32 v[18:19], v[4:5], v[20:21], v[16:17] neg_lo:[0,0,1] neg_hi:[0,0,1]
	v_pk_fma_f32 v[4:5], v[4:5], v[20:21], v[16:17] op_sel_hi:[1,0,1]
	s_nop 0
	v_mov_b32_e32 v19, v5
	s_waitcnt vmcnt(2) lgkmcnt(1)
	v_pk_mul_f32 v[4:5], v[10:11], v[6:7] op_sel:[1,1] op_sel_hi:[0,1]
	v_pk_fma_f32 v[16:17], v[10:11], v[6:7], v[4:5] neg_lo:[0,0,1] neg_hi:[0,0,1]
	v_pk_fma_f32 v[4:5], v[10:11], v[6:7], v[4:5] op_sel_hi:[1,0,1]
	v_pk_add_f32 v[2:3], v[2:3], v[18:19]
	v_mov_b32_e32 v4, v9
	v_mov_b32_e32 v17, v5
	v_pk_mul_f32 v[4:5], v[12:13], v[4:5] op_sel:[1,0] op_sel_hi:[0,0]
	v_pk_fma_f32 v[6:7], v[12:13], v[8:9], v[4:5] neg_lo:[0,0,1] neg_hi:[0,0,1]
	v_pk_fma_f32 v[4:5], v[12:13], v[8:9], v[4:5] op_sel_hi:[1,0,1]
	v_pk_add_f32 v[2:3], v[2:3], v[16:17]
	v_mov_b32_e32 v7, v5
	s_waitcnt vmcnt(1) lgkmcnt(0)
	v_pk_mul_f32 v[4:5], v[14:15], v[50:51] op_sel:[1,1] op_sel_hi:[0,1]
	v_pk_add_f32 v[2:3], v[2:3], v[6:7]
	v_pk_fma_f32 v[6:7], v[14:15], v[50:51], v[4:5] neg_lo:[0,0,1] neg_hi:[0,0,1]
	v_pk_fma_f32 v[4:5], v[14:15], v[50:51], v[4:5] op_sel_hi:[1,0,1]
	s_nop 0
	v_mov_b32_e32 v7, v5
	v_pk_add_f32 v[2:3], v[2:3], v[6:7]
	s_waitcnt vmcnt(0)
	v_pk_add_f32 v[2:3], v[56:57], v[2:3] neg_lo:[0,1] neg_hi:[0,1]
	scratch_store_dwordx2 off, v[2:3], off offset:176
	s_and_saveexec_b64 s[0:1], vcc
	s_cbranch_execz .LBB111_259
; %bb.258:
	scratch_load_dwordx2 v[2:3], off, off offset:168
	v_mov_b32_e32 v59, v58
	scratch_store_dwordx2 off, v[58:59], off offset:168
	s_waitcnt vmcnt(1)
	ds_write_b64 v1, v[2:3]
.LBB111_259:
	s_or_b64 exec, exec, s[0:1]
	s_waitcnt lgkmcnt(0)
	; wave barrier
	scratch_load_dwordx4 v[10:13], off, off offset:176
	scratch_load_dwordx4 v[26:29], off, off offset:192
	scratch_load_dwordx4 v[42:45], off, off offset:208
	scratch_load_dwordx4 v[2:5], off, off offset:224
	scratch_load_dwordx4 v[14:17], off, off offset:240
	scratch_load_dwordx4 v[18:21], off, off offset:256
	scratch_load_dwordx4 v[30:33], off, off offset:272
	scratch_load_dwordx4 v[38:41], off, off offset:288
	scratch_load_dwordx4 v[46:49], off, off offset:304
	ds_read_b128 v[60:63], v58 offset:560
	ds_read_b128 v[64:67], v58 offset:576
	ds_read_b128 v[68:71], v58 offset:592
	ds_read_b128 v[72:75], v58 offset:608
	ds_read_b128 v[76:79], v58 offset:624
	ds_read_b128 v[80:83], v58 offset:640
	ds_read_b128 v[84:87], v58 offset:656
	ds_read_b128 v[54:57], v58 offset:672
	scratch_load_dwordx4 v[50:53], off, off offset:320
	scratch_load_dwordx4 v[34:37], off, off offset:336
	;; [unrolled: 1-line block ×4, first 2 shown]
	ds_read_b128 v[88:91], v58 offset:688
	ds_read_b128 v[92:95], v58 offset:704
	scratch_load_dwordx2 v[96:97], off, off offset:168
	v_cmp_lt_u32_e32 vcc, 20, v0
	s_waitcnt vmcnt(13) lgkmcnt(9)
	v_mul_f32_e32 v59, v60, v11
	v_mul_f32_e32 v98, v62, v13
	v_fmac_f32_e32 v59, v61, v10
	s_waitcnt vmcnt(10) lgkmcnt(6)
	v_mul_f32_e32 v105, v72, v3
	v_mul_f32_e32 v3, v73, v3
	;; [unrolled: 1-line block ×3, first 2 shown]
	v_fmac_f32_e32 v98, v63, v12
	v_fmac_f32_e32 v105, v73, v2
	v_fma_f32 v2, v72, v2, -v3
	v_add_f32_e32 v3, 0, v59
	v_mul_f32_e32 v102, v66, v29
	v_fmac_f32_e32 v100, v65, v26
	v_add_f32_e32 v3, v3, v98
	v_mul_f32_e32 v103, v68, v43
	v_fmac_f32_e32 v102, v67, v28
	;; [unrolled: 3-line block ×3, first 2 shown]
	v_add_f32_e32 v3, v3, v102
	v_fmac_f32_e32 v104, v71, v44
	v_add_f32_e32 v3, v3, v103
	v_mul_f32_e32 v106, v74, v5
	v_add_f32_e32 v3, v3, v104
	s_waitcnt vmcnt(9) lgkmcnt(5)
	v_mul_f32_e32 v107, v76, v15
	v_fmac_f32_e32 v106, v75, v4
	v_add_f32_e32 v3, v3, v105
	v_mul_f32_e32 v108, v78, v17
	v_fmac_f32_e32 v107, v77, v14
	v_add_f32_e32 v3, v3, v106
	s_waitcnt vmcnt(8) lgkmcnt(4)
	v_mul_f32_e32 v109, v80, v19
	v_mul_f32_e32 v11, v61, v11
	v_fmac_f32_e32 v108, v79, v16
	v_add_f32_e32 v3, v3, v107
	v_mul_f32_e32 v110, v82, v21
	v_mul_f32_e32 v13, v63, v13
	v_fmac_f32_e32 v109, v81, v18
	v_fma_f32 v10, v60, v10, -v11
	v_add_f32_e32 v3, v3, v108
	s_waitcnt vmcnt(7) lgkmcnt(3)
	v_mul_f32_e32 v111, v84, v31
	v_mul_f32_e32 v27, v65, v27
	v_fmac_f32_e32 v110, v83, v20
	v_fma_f32 v11, v62, v12, -v13
	v_add_f32_e32 v10, 0, v10
	v_add_f32_e32 v3, v3, v109
	v_mul_f32_e32 v112, v86, v33
	v_mul_f32_e32 v29, v67, v29
	v_fmac_f32_e32 v111, v85, v30
	v_fma_f32 v12, v64, v26, -v27
	v_add_f32_e32 v10, v10, v11
	v_add_f32_e32 v3, v3, v110
	s_waitcnt vmcnt(6) lgkmcnt(2)
	v_mul_f32_e32 v113, v54, v39
	v_mul_f32_e32 v43, v69, v43
	v_fmac_f32_e32 v112, v87, v32
	v_fma_f32 v13, v66, v28, -v29
	v_add_f32_e32 v10, v10, v12
	v_add_f32_e32 v3, v3, v111
	v_mul_f32_e32 v114, v56, v41
	v_mul_f32_e32 v45, v71, v45
	v_fmac_f32_e32 v113, v55, v38
	v_fma_f32 v26, v68, v42, -v43
	v_add_f32_e32 v10, v10, v13
	v_add_f32_e32 v3, v3, v112
	v_fmac_f32_e32 v114, v57, v40
	v_fma_f32 v27, v70, v44, -v45
	v_add_f32_e32 v10, v10, v26
	v_add_f32_e32 v3, v3, v113
	;; [unrolled: 1-line block ×4, first 2 shown]
	v_mul_f32_e32 v3, v75, v5
	v_add_f32_e32 v2, v10, v2
	v_fma_f32 v3, v74, v4, -v3
	v_add_f32_e32 v2, v2, v3
	v_mul_f32_e32 v3, v77, v15
	v_fma_f32 v3, v76, v14, -v3
	v_add_f32_e32 v2, v2, v3
	v_mul_f32_e32 v3, v79, v17
	;; [unrolled: 3-line block ×8, first 2 shown]
	v_fma_f32 v3, v56, v40, -v3
	s_waitcnt vmcnt(5) lgkmcnt(1)
	v_mul_f32_e32 v99, v88, v47
	v_add_f32_e32 v26, v2, v3
	v_mul_f32_e32 v2, v89, v47
	v_fmac_f32_e32 v99, v89, v46
	v_fma_f32 v98, v88, v46, -v2
	s_waitcnt vmcnt(4) lgkmcnt(0)
	v_pk_mul_f32 v[20:21], v[92:93], v[50:51] op_sel:[1,1] op_sel_hi:[0,1]
	v_mul_f32_e32 v101, v90, v49
	v_mul_f32_e32 v2, v91, v49
	v_pk_add_f32 v[18:19], v[26:27], v[98:99]
	v_pk_fma_f32 v[26:27], v[92:93], v[50:51], v[20:21] neg_lo:[0,0,1] neg_hi:[0,0,1]
	v_pk_fma_f32 v[20:21], v[92:93], v[50:51], v[20:21] op_sel_hi:[1,0,1]
	v_fmac_f32_e32 v101, v91, v48
	v_fma_f32 v100, v90, v48, -v2
	ds_read_b128 v[2:5], v58 offset:720
	ds_read_b128 v[10:13], v58 offset:736
	ds_read_b128 v[14:17], v58 offset:752
	v_mov_b32_e32 v20, v53
	v_pk_add_f32 v[18:19], v[18:19], v[100:101]
	v_mov_b32_e32 v27, v21
	v_pk_mul_f32 v[20:21], v[94:95], v[20:21] op_sel:[1,0] op_sel_hi:[0,0]
	v_pk_add_f32 v[18:19], v[18:19], v[26:27]
	v_pk_fma_f32 v[26:27], v[94:95], v[52:53], v[20:21] neg_lo:[0,0,1] neg_hi:[0,0,1]
	v_pk_fma_f32 v[20:21], v[94:95], v[52:53], v[20:21] op_sel_hi:[1,0,1]
	s_nop 0
	v_mov_b32_e32 v27, v21
	s_waitcnt vmcnt(3) lgkmcnt(2)
	v_pk_mul_f32 v[20:21], v[2:3], v[34:35] op_sel:[1,1] op_sel_hi:[0,1]
	v_pk_add_f32 v[18:19], v[18:19], v[26:27]
	v_pk_fma_f32 v[26:27], v[2:3], v[34:35], v[20:21] neg_lo:[0,0,1] neg_hi:[0,0,1]
	v_pk_fma_f32 v[2:3], v[2:3], v[34:35], v[20:21] op_sel_hi:[1,0,1]
	s_nop 0
	v_mov_b32_e32 v27, v3
	v_pk_add_f32 v[2:3], v[18:19], v[26:27]
	v_mov_b32_e32 v18, v37
	v_pk_mul_f32 v[18:19], v[4:5], v[18:19] op_sel:[1,0] op_sel_hi:[0,0]
	v_pk_fma_f32 v[20:21], v[4:5], v[36:37], v[18:19] neg_lo:[0,0,1] neg_hi:[0,0,1]
	v_pk_fma_f32 v[4:5], v[4:5], v[36:37], v[18:19] op_sel_hi:[1,0,1]
	s_nop 0
	v_mov_b32_e32 v21, v5
	s_waitcnt vmcnt(2) lgkmcnt(1)
	v_pk_mul_f32 v[4:5], v[10:11], v[22:23] op_sel:[1,1] op_sel_hi:[0,1]
	v_pk_fma_f32 v[18:19], v[10:11], v[22:23], v[4:5] neg_lo:[0,0,1] neg_hi:[0,0,1]
	v_pk_fma_f32 v[4:5], v[10:11], v[22:23], v[4:5] op_sel_hi:[1,0,1]
	v_pk_add_f32 v[2:3], v[2:3], v[20:21]
	v_mov_b32_e32 v4, v25
	v_mov_b32_e32 v19, v5
	v_pk_mul_f32 v[4:5], v[12:13], v[4:5] op_sel:[1,0] op_sel_hi:[0,0]
	v_pk_fma_f32 v[10:11], v[12:13], v[24:25], v[4:5] neg_lo:[0,0,1] neg_hi:[0,0,1]
	v_pk_fma_f32 v[4:5], v[12:13], v[24:25], v[4:5] op_sel_hi:[1,0,1]
	v_pk_add_f32 v[2:3], v[2:3], v[18:19]
	v_mov_b32_e32 v11, v5
	s_waitcnt vmcnt(1) lgkmcnt(0)
	v_pk_mul_f32 v[4:5], v[14:15], v[6:7] op_sel:[1,1] op_sel_hi:[0,1]
	v_pk_add_f32 v[2:3], v[2:3], v[10:11]
	v_pk_fma_f32 v[10:11], v[14:15], v[6:7], v[4:5] neg_lo:[0,0,1] neg_hi:[0,0,1]
	v_pk_fma_f32 v[4:5], v[14:15], v[6:7], v[4:5] op_sel_hi:[1,0,1]
	s_nop 0
	v_mov_b32_e32 v4, v9
	v_mov_b32_e32 v11, v5
	v_pk_mul_f32 v[4:5], v[16:17], v[4:5] op_sel:[1,0] op_sel_hi:[0,0]
	v_pk_fma_f32 v[6:7], v[16:17], v[8:9], v[4:5] neg_lo:[0,0,1] neg_hi:[0,0,1]
	v_pk_fma_f32 v[4:5], v[16:17], v[8:9], v[4:5] op_sel_hi:[1,0,1]
	v_pk_add_f32 v[2:3], v[2:3], v[10:11]
	v_mov_b32_e32 v7, v5
	v_pk_add_f32 v[2:3], v[2:3], v[6:7]
	s_waitcnt vmcnt(0)
	v_pk_add_f32 v[2:3], v[96:97], v[2:3] neg_lo:[0,1] neg_hi:[0,1]
	scratch_store_dwordx2 off, v[2:3], off offset:168
	s_and_saveexec_b64 s[0:1], vcc
	s_cbranch_execz .LBB111_261
; %bb.260:
	scratch_load_dwordx2 v[2:3], off, off offset:160
	v_mov_b32_e32 v4, 0
	v_mov_b32_e32 v5, v4
	scratch_store_dwordx2 off, v[4:5], off offset:160
	s_waitcnt vmcnt(1)
	ds_write_b64 v1, v[2:3]
.LBB111_261:
	s_or_b64 exec, exec, s[0:1]
	s_waitcnt lgkmcnt(0)
	; wave barrier
	scratch_load_dwordx4 v[10:13], off, off offset:168
	scratch_load_dwordx4 v[30:33], off, off offset:184
	;; [unrolled: 1-line block ×13, first 2 shown]
	scratch_load_dwordx2 v[54:55], off, off offset:376
	scratch_load_dwordx2 v[80:81], off, off offset:160
	v_mov_b32_e32 v82, 0
	ds_read2_b64 v[56:59], v82 offset0:69 offset1:70
	ds_read2_b64 v[60:63], v82 offset0:71 offset1:72
	ds_read2_b64 v[64:67], v82 offset0:73 offset1:74
	ds_read2_b64 v[68:71], v82 offset0:75 offset1:76
	ds_read2_b64 v[72:75], v82 offset0:77 offset1:78
	ds_read2_b64 v[76:79], v82 offset0:79 offset1:80
	ds_read2_b64 v[84:87], v82 offset0:81 offset1:82
	ds_read2_b64 v[88:91], v82 offset0:83 offset1:84
	ds_read2_b64 v[92:95], v82 offset0:85 offset1:86
	ds_read2_b64 v[96:99], v82 offset0:87 offset1:88
	v_cmp_lt_u32_e32 vcc, 19, v0
	s_waitcnt vmcnt(14) lgkmcnt(9)
	v_mul_f32_e32 v83, v56, v11
	v_mul_f32_e32 v100, v58, v13
	s_waitcnt vmcnt(12) lgkmcnt(7)
	v_mul_f32_e32 v105, v64, v3
	v_mul_f32_e32 v3, v65, v3
	v_fmac_f32_e32 v83, v57, v10
	v_mul_f32_e32 v102, v60, v31
	v_fmac_f32_e32 v100, v59, v12
	v_fmac_f32_e32 v105, v65, v2
	v_fma_f32 v2, v64, v2, -v3
	v_add_f32_e32 v3, 0, v83
	v_mul_f32_e32 v104, v62, v33
	v_fmac_f32_e32 v102, v61, v30
	v_add_f32_e32 v3, v3, v100
	v_fmac_f32_e32 v104, v63, v32
	v_add_f32_e32 v3, v3, v102
	v_mul_f32_e32 v106, v66, v5
	v_add_f32_e32 v3, v3, v104
	s_waitcnt vmcnt(11) lgkmcnt(6)
	v_mul_f32_e32 v107, v68, v7
	v_fmac_f32_e32 v106, v67, v4
	v_add_f32_e32 v3, v3, v105
	v_mul_f32_e32 v108, v70, v9
	v_fmac_f32_e32 v107, v69, v6
	v_add_f32_e32 v3, v3, v106
	s_waitcnt vmcnt(10) lgkmcnt(5)
	v_mul_f32_e32 v109, v72, v19
	v_fmac_f32_e32 v108, v71, v8
	v_add_f32_e32 v3, v3, v107
	v_mul_f32_e32 v110, v74, v21
	v_fmac_f32_e32 v109, v73, v18
	;; [unrolled: 7-line block ×3, first 2 shown]
	v_add_f32_e32 v3, v3, v110
	s_waitcnt vmcnt(8) lgkmcnt(3)
	v_mul_f32_e32 v113, v84, v35
	v_mul_f32_e32 v11, v57, v11
	v_fmac_f32_e32 v112, v79, v24
	v_add_f32_e32 v3, v3, v111
	v_mul_f32_e32 v114, v86, v37
	v_mul_f32_e32 v13, v59, v13
	v_fmac_f32_e32 v113, v85, v34
	v_fma_f32 v10, v56, v10, -v11
	v_add_f32_e32 v3, v3, v112
	s_waitcnt vmcnt(7) lgkmcnt(2)
	v_mul_f32_e32 v115, v88, v39
	v_mul_f32_e32 v31, v61, v31
	v_fmac_f32_e32 v114, v87, v36
	v_fma_f32 v11, v58, v12, -v13
	v_add_f32_e32 v10, 0, v10
	v_add_f32_e32 v3, v3, v113
	v_mul_f32_e32 v116, v90, v41
	v_mul_f32_e32 v33, v63, v33
	v_fmac_f32_e32 v115, v89, v38
	v_fma_f32 v12, v60, v30, -v31
	v_add_f32_e32 v10, v10, v11
	v_add_f32_e32 v3, v3, v114
	s_waitcnt vmcnt(6) lgkmcnt(1)
	v_mul_f32_e32 v117, v92, v51
	v_fmac_f32_e32 v116, v91, v40
	v_fma_f32 v13, v62, v32, -v33
	v_add_f32_e32 v10, v10, v12
	v_add_f32_e32 v3, v3, v115
	v_mul_f32_e32 v5, v67, v5
	v_fmac_f32_e32 v117, v93, v50
	v_add_f32_e32 v10, v10, v13
	v_add_f32_e32 v3, v3, v116
	;; [unrolled: 1-line block ×4, first 2 shown]
	v_fma_f32 v3, v66, v4, -v5
	v_add_f32_e32 v2, v2, v3
	v_mul_f32_e32 v3, v69, v7
	v_fma_f32 v3, v68, v6, -v3
	v_add_f32_e32 v2, v2, v3
	v_mul_f32_e32 v3, v71, v9
	;; [unrolled: 3-line block ×12, first 2 shown]
	v_mul_f32_e32 v101, v94, v53
	v_fma_f32 v100, v94, v52, -v2
	s_waitcnt vmcnt(5) lgkmcnt(0)
	v_mul_f32_e32 v2, v97, v47
	v_mov_b32_e32 v22, v49
	v_mul_f32_e32 v103, v96, v47
	v_fmac_f32_e32 v101, v95, v52
	v_fma_f32 v102, v96, v46, -v2
	ds_read2_b64 v[2:5], v82 offset0:89 offset1:90
	ds_read2_b64 v[6:9], v82 offset0:91 offset1:92
	;; [unrolled: 1-line block ×3, first 2 shown]
	ds_read_b64 v[18:19], v82 offset:760
	v_pk_mul_f32 v[22:23], v[98:99], v[22:23] op_sel:[1,0] op_sel_hi:[0,0]
	v_fmac_f32_e32 v103, v97, v46
	v_pk_add_f32 v[20:21], v[30:31], v[100:101]
	v_pk_fma_f32 v[24:25], v[98:99], v[48:49], v[22:23] neg_lo:[0,0,1] neg_hi:[0,0,1]
	v_pk_fma_f32 v[22:23], v[98:99], v[48:49], v[22:23] op_sel_hi:[1,0,1]
	v_pk_add_f32 v[20:21], v[20:21], v[102:103]
	v_mov_b32_e32 v25, v23
	s_waitcnt vmcnt(4) lgkmcnt(3)
	v_pk_mul_f32 v[22:23], v[2:3], v[42:43] op_sel:[1,1] op_sel_hi:[0,1]
	v_pk_add_f32 v[20:21], v[20:21], v[24:25]
	v_pk_fma_f32 v[24:25], v[2:3], v[42:43], v[22:23] neg_lo:[0,0,1] neg_hi:[0,0,1]
	v_pk_fma_f32 v[2:3], v[2:3], v[42:43], v[22:23] op_sel_hi:[1,0,1]
	s_nop 0
	v_mov_b32_e32 v25, v3
	v_pk_add_f32 v[2:3], v[20:21], v[24:25]
	v_mov_b32_e32 v20, v45
	v_pk_mul_f32 v[20:21], v[4:5], v[20:21] op_sel:[1,0] op_sel_hi:[0,0]
	v_pk_fma_f32 v[22:23], v[4:5], v[44:45], v[20:21] neg_lo:[0,0,1] neg_hi:[0,0,1]
	v_pk_fma_f32 v[4:5], v[4:5], v[44:45], v[20:21] op_sel_hi:[1,0,1]
	s_nop 0
	v_mov_b32_e32 v23, v5
	s_waitcnt vmcnt(3) lgkmcnt(2)
	v_pk_mul_f32 v[4:5], v[6:7], v[26:27] op_sel:[1,1] op_sel_hi:[0,1]
	v_pk_fma_f32 v[20:21], v[6:7], v[26:27], v[4:5] neg_lo:[0,0,1] neg_hi:[0,0,1]
	v_pk_fma_f32 v[4:5], v[6:7], v[26:27], v[4:5] op_sel_hi:[1,0,1]
	v_pk_add_f32 v[2:3], v[2:3], v[22:23]
	v_mov_b32_e32 v4, v29
	v_mov_b32_e32 v21, v5
	v_pk_mul_f32 v[4:5], v[8:9], v[4:5] op_sel:[1,0] op_sel_hi:[0,0]
	v_pk_fma_f32 v[6:7], v[8:9], v[28:29], v[4:5] neg_lo:[0,0,1] neg_hi:[0,0,1]
	v_pk_fma_f32 v[4:5], v[8:9], v[28:29], v[4:5] op_sel_hi:[1,0,1]
	v_pk_add_f32 v[2:3], v[2:3], v[20:21]
	v_mov_b32_e32 v7, v5
	s_waitcnt vmcnt(2) lgkmcnt(1)
	v_pk_mul_f32 v[4:5], v[10:11], v[14:15] op_sel:[1,1] op_sel_hi:[0,1]
	v_pk_add_f32 v[2:3], v[2:3], v[6:7]
	v_pk_fma_f32 v[6:7], v[10:11], v[14:15], v[4:5] neg_lo:[0,0,1] neg_hi:[0,0,1]
	v_pk_fma_f32 v[4:5], v[10:11], v[14:15], v[4:5] op_sel_hi:[1,0,1]
	s_nop 0
	v_mov_b32_e32 v4, v17
	v_mov_b32_e32 v7, v5
	v_pk_mul_f32 v[4:5], v[12:13], v[4:5] op_sel:[1,0] op_sel_hi:[0,0]
	v_pk_add_f32 v[2:3], v[2:3], v[6:7]
	v_pk_fma_f32 v[6:7], v[12:13], v[16:17], v[4:5] neg_lo:[0,0,1] neg_hi:[0,0,1]
	v_pk_fma_f32 v[4:5], v[12:13], v[16:17], v[4:5] op_sel_hi:[1,0,1]
	s_nop 0
	v_mov_b32_e32 v7, v5
	s_waitcnt vmcnt(1) lgkmcnt(0)
	v_pk_mul_f32 v[4:5], v[18:19], v[54:55] op_sel:[1,1] op_sel_hi:[0,1]
	v_pk_add_f32 v[2:3], v[2:3], v[6:7]
	v_pk_fma_f32 v[6:7], v[18:19], v[54:55], v[4:5] neg_lo:[0,0,1] neg_hi:[0,0,1]
	v_pk_fma_f32 v[4:5], v[18:19], v[54:55], v[4:5] op_sel_hi:[1,0,1]
	s_nop 0
	v_mov_b32_e32 v7, v5
	v_pk_add_f32 v[2:3], v[2:3], v[6:7]
	s_waitcnt vmcnt(0)
	v_pk_add_f32 v[2:3], v[80:81], v[2:3] neg_lo:[0,1] neg_hi:[0,1]
	scratch_store_dwordx2 off, v[2:3], off offset:160
	s_and_saveexec_b64 s[0:1], vcc
	s_cbranch_execz .LBB111_263
; %bb.262:
	scratch_load_dwordx2 v[2:3], off, off offset:152
	v_mov_b32_e32 v83, v82
	scratch_store_dwordx2 off, v[82:83], off offset:152
	s_waitcnt vmcnt(1)
	ds_write_b64 v1, v[2:3]
.LBB111_263:
	s_or_b64 exec, exec, s[0:1]
	s_waitcnt lgkmcnt(0)
	; wave barrier
	scratch_load_dwordx4 v[18:21], off, off offset:160
	scratch_load_dwordx4 v[34:37], off, off offset:176
	scratch_load_dwordx4 v[2:5], off, off offset:192
	scratch_load_dwordx4 v[6:9], off, off offset:208
	scratch_load_dwordx4 v[10:13], off, off offset:224
	scratch_load_dwordx4 v[22:25], off, off offset:240
	scratch_load_dwordx4 v[26:29], off, off offset:256
	scratch_load_dwordx4 v[38:41], off, off offset:272
	scratch_load_dwordx4 v[42:45], off, off offset:288
	scratch_load_dwordx4 v[50:53], off, off offset:304
	ds_read_b128 v[84:87], v82 offset:544
	ds_read_b128 v[88:91], v82 offset:560
	;; [unrolled: 1-line block ×10, first 2 shown]
	scratch_load_dwordx4 v[54:57], off, off offset:320
	scratch_load_dwordx4 v[46:49], off, off offset:336
	;; [unrolled: 1-line block ×4, first 2 shown]
	scratch_load_dwordx2 v[100:101], off, off offset:152
	v_cmp_lt_u32_e32 vcc, 18, v0
	s_waitcnt vmcnt(14) lgkmcnt(9)
	v_mul_f32_e32 v83, v84, v19
	v_mul_f32_e32 v102, v86, v21
	s_waitcnt vmcnt(12) lgkmcnt(7)
	v_mul_f32_e32 v107, v92, v3
	v_mul_f32_e32 v3, v93, v3
	v_fmac_f32_e32 v83, v85, v18
	v_mul_f32_e32 v104, v88, v35
	v_fmac_f32_e32 v102, v87, v20
	v_fmac_f32_e32 v107, v93, v2
	v_fma_f32 v2, v92, v2, -v3
	v_add_f32_e32 v3, 0, v83
	v_mul_f32_e32 v106, v90, v37
	v_fmac_f32_e32 v104, v89, v34
	v_add_f32_e32 v3, v3, v102
	v_fmac_f32_e32 v106, v91, v36
	v_add_f32_e32 v3, v3, v104
	v_mul_f32_e32 v108, v94, v5
	v_add_f32_e32 v3, v3, v106
	s_waitcnt vmcnt(11) lgkmcnt(6)
	v_mul_f32_e32 v109, v96, v7
	v_fmac_f32_e32 v108, v95, v4
	v_add_f32_e32 v3, v3, v107
	v_mul_f32_e32 v110, v98, v9
	v_fmac_f32_e32 v109, v97, v6
	v_add_f32_e32 v3, v3, v108
	s_waitcnt vmcnt(10) lgkmcnt(5)
	v_mul_f32_e32 v111, v78, v11
	v_fmac_f32_e32 v110, v99, v8
	v_add_f32_e32 v3, v3, v109
	v_mul_f32_e32 v112, v80, v13
	v_fmac_f32_e32 v111, v79, v10
	;; [unrolled: 7-line block ×4, first 2 shown]
	v_add_f32_e32 v3, v3, v114
	s_waitcnt vmcnt(7) lgkmcnt(2)
	v_mul_f32_e32 v117, v66, v39
	v_mul_f32_e32 v19, v85, v19
	v_fmac_f32_e32 v116, v73, v28
	v_add_f32_e32 v3, v3, v115
	v_mul_f32_e32 v118, v68, v41
	v_mul_f32_e32 v21, v87, v21
	v_fmac_f32_e32 v117, v67, v38
	v_fma_f32 v18, v84, v18, -v19
	v_add_f32_e32 v3, v3, v116
	s_waitcnt vmcnt(6) lgkmcnt(1)
	v_mul_f32_e32 v119, v62, v43
	v_mul_f32_e32 v35, v89, v35
	v_fmac_f32_e32 v118, v69, v40
	v_fma_f32 v19, v86, v20, -v21
	v_add_f32_e32 v18, 0, v18
	v_add_f32_e32 v3, v3, v117
	v_mul_f32_e32 v120, v64, v45
	v_mul_f32_e32 v37, v91, v37
	v_fmac_f32_e32 v119, v63, v42
	v_fma_f32 v20, v88, v34, -v35
	v_add_f32_e32 v18, v18, v19
	v_add_f32_e32 v3, v3, v118
	v_fmac_f32_e32 v120, v65, v44
	v_fma_f32 v21, v90, v36, -v37
	v_add_f32_e32 v18, v18, v20
	v_add_f32_e32 v3, v3, v119
	;; [unrolled: 1-line block ×4, first 2 shown]
	v_mul_f32_e32 v3, v95, v5
	v_add_f32_e32 v2, v18, v2
	v_fma_f32 v3, v94, v4, -v3
	v_add_f32_e32 v2, v2, v3
	v_mul_f32_e32 v3, v97, v7
	v_fma_f32 v3, v96, v6, -v3
	v_add_f32_e32 v2, v2, v3
	v_mul_f32_e32 v3, v99, v9
	;; [unrolled: 3-line block ×12, first 2 shown]
	v_fma_f32 v3, v64, v44, -v3
	v_add_f32_e32 v34, v2, v3
	s_waitcnt vmcnt(5) lgkmcnt(0)
	v_mul_f32_e32 v2, v59, v51
	v_fma_f32 v102, v58, v50, -v2
	v_mul_f32_e32 v2, v61, v53
	v_fma_f32 v104, v60, v52, -v2
	ds_read_b128 v[2:5], v82 offset:704
	ds_read_b128 v[6:9], v82 offset:720
	;; [unrolled: 1-line block ×4, first 2 shown]
	v_mul_f32_e32 v103, v58, v51
	v_mul_f32_e32 v105, v60, v53
	v_fmac_f32_e32 v103, v59, v50
	s_waitcnt vmcnt(4) lgkmcnt(3)
	v_pk_mul_f32 v[24:25], v[2:3], v[54:55] op_sel:[1,1] op_sel_hi:[0,1]
	v_fmac_f32_e32 v105, v61, v52
	v_pk_add_f32 v[22:23], v[34:35], v[102:103]
	v_pk_fma_f32 v[26:27], v[2:3], v[54:55], v[24:25] neg_lo:[0,0,1] neg_hi:[0,0,1]
	v_pk_fma_f32 v[2:3], v[2:3], v[54:55], v[24:25] op_sel_hi:[1,0,1]
	v_pk_add_f32 v[22:23], v[22:23], v[104:105]
	v_mov_b32_e32 v27, v3
	v_pk_add_f32 v[2:3], v[22:23], v[26:27]
	v_mov_b32_e32 v22, v57
	v_pk_mul_f32 v[22:23], v[4:5], v[22:23] op_sel:[1,0] op_sel_hi:[0,0]
	v_pk_fma_f32 v[24:25], v[4:5], v[56:57], v[22:23] neg_lo:[0,0,1] neg_hi:[0,0,1]
	v_pk_fma_f32 v[4:5], v[4:5], v[56:57], v[22:23] op_sel_hi:[1,0,1]
	s_nop 0
	v_mov_b32_e32 v25, v5
	s_waitcnt vmcnt(3) lgkmcnt(2)
	v_pk_mul_f32 v[4:5], v[6:7], v[46:47] op_sel:[1,1] op_sel_hi:[0,1]
	v_pk_fma_f32 v[22:23], v[6:7], v[46:47], v[4:5] neg_lo:[0,0,1] neg_hi:[0,0,1]
	v_pk_fma_f32 v[4:5], v[6:7], v[46:47], v[4:5] op_sel_hi:[1,0,1]
	v_pk_add_f32 v[2:3], v[2:3], v[24:25]
	v_mov_b32_e32 v4, v49
	v_mov_b32_e32 v23, v5
	v_pk_mul_f32 v[4:5], v[8:9], v[4:5] op_sel:[1,0] op_sel_hi:[0,0]
	v_pk_fma_f32 v[6:7], v[8:9], v[48:49], v[4:5] neg_lo:[0,0,1] neg_hi:[0,0,1]
	v_pk_fma_f32 v[4:5], v[8:9], v[48:49], v[4:5] op_sel_hi:[1,0,1]
	v_pk_add_f32 v[2:3], v[2:3], v[22:23]
	v_mov_b32_e32 v7, v5
	s_waitcnt vmcnt(2) lgkmcnt(1)
	v_pk_mul_f32 v[4:5], v[10:11], v[30:31] op_sel:[1,1] op_sel_hi:[0,1]
	v_pk_add_f32 v[2:3], v[2:3], v[6:7]
	v_pk_fma_f32 v[6:7], v[10:11], v[30:31], v[4:5] neg_lo:[0,0,1] neg_hi:[0,0,1]
	v_pk_fma_f32 v[4:5], v[10:11], v[30:31], v[4:5] op_sel_hi:[1,0,1]
	s_nop 0
	v_mov_b32_e32 v4, v33
	v_mov_b32_e32 v7, v5
	v_pk_mul_f32 v[4:5], v[12:13], v[4:5] op_sel:[1,0] op_sel_hi:[0,0]
	v_pk_add_f32 v[2:3], v[2:3], v[6:7]
	v_pk_fma_f32 v[6:7], v[12:13], v[32:33], v[4:5] neg_lo:[0,0,1] neg_hi:[0,0,1]
	v_pk_fma_f32 v[4:5], v[12:13], v[32:33], v[4:5] op_sel_hi:[1,0,1]
	s_nop 0
	v_mov_b32_e32 v7, v5
	s_waitcnt vmcnt(1) lgkmcnt(0)
	v_pk_mul_f32 v[4:5], v[18:19], v[14:15] op_sel:[1,1] op_sel_hi:[0,1]
	v_pk_add_f32 v[2:3], v[2:3], v[6:7]
	v_pk_fma_f32 v[6:7], v[18:19], v[14:15], v[4:5] neg_lo:[0,0,1] neg_hi:[0,0,1]
	v_pk_fma_f32 v[4:5], v[18:19], v[14:15], v[4:5] op_sel_hi:[1,0,1]
	s_nop 0
	v_mov_b32_e32 v4, v17
	v_mov_b32_e32 v7, v5
	v_pk_mul_f32 v[4:5], v[20:21], v[4:5] op_sel:[1,0] op_sel_hi:[0,0]
	v_pk_add_f32 v[2:3], v[2:3], v[6:7]
	v_pk_fma_f32 v[6:7], v[20:21], v[16:17], v[4:5] neg_lo:[0,0,1] neg_hi:[0,0,1]
	v_pk_fma_f32 v[4:5], v[20:21], v[16:17], v[4:5] op_sel_hi:[1,0,1]
	s_nop 0
	v_mov_b32_e32 v7, v5
	v_pk_add_f32 v[2:3], v[2:3], v[6:7]
	s_waitcnt vmcnt(0)
	v_pk_add_f32 v[2:3], v[100:101], v[2:3] neg_lo:[0,1] neg_hi:[0,1]
	scratch_store_dwordx2 off, v[2:3], off offset:152
	s_and_saveexec_b64 s[0:1], vcc
	s_cbranch_execz .LBB111_265
; %bb.264:
	scratch_load_dwordx2 v[2:3], off, off offset:144
	v_mov_b32_e32 v4, 0
	v_mov_b32_e32 v5, v4
	scratch_store_dwordx2 off, v[4:5], off offset:144
	s_waitcnt vmcnt(1)
	ds_write_b64 v1, v[2:3]
.LBB111_265:
	s_or_b64 exec, exec, s[0:1]
	s_waitcnt lgkmcnt(0)
	; wave barrier
	scratch_load_dwordx4 v[18:21], off, off offset:152
	scratch_load_dwordx4 v[2:5], off, off offset:168
	;; [unrolled: 1-line block ×14, first 2 shown]
	scratch_load_dwordx2 v[58:59], off, off offset:376
	scratch_load_dwordx2 v[100:101], off, off offset:144
	v_mov_b32_e32 v102, 0
	ds_read2_b64 v[60:63], v102 offset0:67 offset1:68
	ds_read2_b64 v[64:67], v102 offset0:69 offset1:70
	;; [unrolled: 1-line block ×12, first 2 shown]
	v_cmp_lt_u32_e32 vcc, 17, v0
	s_waitcnt vmcnt(15) lgkmcnt(11)
	v_mul_f32_e32 v103, v60, v19
	v_mul_f32_e32 v112, v62, v21
	s_waitcnt vmcnt(14) lgkmcnt(10)
	v_mul_f32_e32 v114, v64, v3
	v_mul_f32_e32 v3, v65, v3
	v_fmac_f32_e32 v103, v61, v18
	v_fmac_f32_e32 v112, v63, v20
	;; [unrolled: 1-line block ×3, first 2 shown]
	v_fma_f32 v2, v64, v2, -v3
	v_add_f32_e32 v3, 0, v103
	v_mul_f32_e32 v116, v66, v5
	v_add_f32_e32 v3, v3, v112
	s_waitcnt vmcnt(13) lgkmcnt(9)
	v_mul_f32_e32 v117, v68, v7
	v_fmac_f32_e32 v116, v67, v4
	v_add_f32_e32 v3, v3, v114
	v_mul_f32_e32 v118, v70, v9
	v_fmac_f32_e32 v117, v69, v6
	v_add_f32_e32 v3, v3, v116
	s_waitcnt vmcnt(12) lgkmcnt(8)
	v_mul_f32_e32 v119, v72, v11
	v_fmac_f32_e32 v118, v71, v8
	v_add_f32_e32 v3, v3, v117
	v_mul_f32_e32 v120, v74, v13
	v_fmac_f32_e32 v119, v73, v10
	;; [unrolled: 7-line block ×6, first 2 shown]
	v_add_f32_e32 v3, v3, v126
	s_waitcnt vmcnt(7) lgkmcnt(3)
	v_mul_f32_e32 v129, v92, v43
	v_fmac_f32_e32 v128, v91, v40
	v_add_f32_e32 v3, v3, v127
	v_mul_f32_e32 v130, v94, v45
	v_mul_f32_e32 v19, v61, v19
	v_fmac_f32_e32 v129, v93, v42
	v_add_f32_e32 v3, v3, v128
	s_waitcnt vmcnt(6) lgkmcnt(2)
	v_mul_f32_e32 v131, v96, v51
	v_mul_f32_e32 v21, v63, v21
	v_fmac_f32_e32 v130, v95, v44
	v_fma_f32 v18, v60, v18, -v19
	v_add_f32_e32 v3, v3, v129
	v_fmac_f32_e32 v131, v97, v50
	v_fma_f32 v19, v62, v20, -v21
	v_add_f32_e32 v18, 0, v18
	v_add_f32_e32 v3, v3, v130
	;; [unrolled: 1-line block ×4, first 2 shown]
	v_mul_f32_e32 v3, v67, v5
	v_add_f32_e32 v2, v18, v2
	v_fma_f32 v3, v66, v4, -v3
	v_add_f32_e32 v2, v2, v3
	v_mul_f32_e32 v3, v69, v7
	v_fma_f32 v3, v68, v6, -v3
	v_add_f32_e32 v2, v2, v3
	v_mul_f32_e32 v3, v71, v9
	v_fma_f32 v3, v70, v8, -v3
	v_add_f32_e32 v2, v2, v3
	v_mul_f32_e32 v3, v73, v11
	v_fma_f32 v3, v72, v10, -v3
	v_add_f32_e32 v2, v2, v3
	v_mul_f32_e32 v3, v75, v13
	v_fma_f32 v3, v74, v12, -v3
	v_add_f32_e32 v2, v2, v3
	v_mul_f32_e32 v3, v77, v15
	v_fma_f32 v3, v76, v14, -v3
	v_add_f32_e32 v2, v2, v3
	v_mul_f32_e32 v3, v79, v17
	v_fma_f32 v3, v78, v16, -v3
	v_add_f32_e32 v2, v2, v3
	v_mul_f32_e32 v3, v81, v27
	v_fma_f32 v3, v80, v26, -v3
	v_add_f32_e32 v2, v2, v3
	v_mul_f32_e32 v3, v83, v29
	v_fma_f32 v3, v82, v28, -v3
	v_add_f32_e32 v2, v2, v3
	v_mul_f32_e32 v3, v85, v31
	v_fma_f32 v3, v84, v30, -v3
	v_add_f32_e32 v2, v2, v3
	v_mul_f32_e32 v3, v87, v33
	v_fma_f32 v3, v86, v32, -v3
	v_add_f32_e32 v2, v2, v3
	v_mul_f32_e32 v3, v89, v39
	v_fma_f32 v3, v88, v38, -v3
	v_add_f32_e32 v2, v2, v3
	v_mul_f32_e32 v3, v91, v41
	v_fma_f32 v3, v90, v40, -v3
	v_add_f32_e32 v2, v2, v3
	v_mul_f32_e32 v3, v93, v43
	v_fma_f32 v3, v92, v42, -v3
	v_add_f32_e32 v2, v2, v3
	v_mul_f32_e32 v3, v95, v45
	v_fma_f32 v3, v94, v44, -v3
	v_add_f32_e32 v2, v2, v3
	v_mul_f32_e32 v3, v97, v51
	v_fma_f32 v3, v96, v50, -v3
	v_mul_f32_e32 v113, v98, v53
	v_add_f32_e32 v18, v2, v3
	v_mul_f32_e32 v2, v99, v53
	s_waitcnt vmcnt(5)
	v_mov_b32_e32 v14, v57
	s_waitcnt lgkmcnt(1)
	v_mul_f32_e32 v115, v104, v55
	v_fmac_f32_e32 v113, v99, v52
	v_fma_f32 v112, v98, v52, -v2
	v_mul_f32_e32 v2, v105, v55
	v_pk_mul_f32 v[14:15], v[106:107], v[14:15] op_sel:[1,0] op_sel_hi:[0,0]
	v_fmac_f32_e32 v115, v105, v54
	v_fma_f32 v114, v104, v54, -v2
	v_pk_add_f32 v[12:13], v[18:19], v[112:113]
	v_pk_fma_f32 v[16:17], v[106:107], v[56:57], v[14:15] neg_lo:[0,0,1] neg_hi:[0,0,1]
	v_pk_fma_f32 v[14:15], v[106:107], v[56:57], v[14:15] op_sel_hi:[1,0,1]
	v_pk_add_f32 v[12:13], v[12:13], v[114:115]
	v_mov_b32_e32 v17, v15
	s_waitcnt vmcnt(4) lgkmcnt(0)
	v_pk_mul_f32 v[14:15], v[108:109], v[46:47] op_sel:[1,1] op_sel_hi:[0,1]
	v_pk_add_f32 v[12:13], v[12:13], v[16:17]
	v_pk_fma_f32 v[16:17], v[108:109], v[46:47], v[14:15] neg_lo:[0,0,1] neg_hi:[0,0,1]
	v_pk_fma_f32 v[14:15], v[108:109], v[46:47], v[14:15] op_sel_hi:[1,0,1]
	ds_read2_b64 v[2:5], v102 offset0:91 offset1:92
	ds_read2_b64 v[6:9], v102 offset0:93 offset1:94
	ds_read_b64 v[10:11], v102 offset:760
	v_mov_b32_e32 v14, v49
	v_mov_b32_e32 v17, v15
	v_pk_mul_f32 v[14:15], v[110:111], v[14:15] op_sel:[1,0] op_sel_hi:[0,0]
	v_pk_add_f32 v[12:13], v[12:13], v[16:17]
	v_pk_fma_f32 v[16:17], v[110:111], v[48:49], v[14:15] neg_lo:[0,0,1] neg_hi:[0,0,1]
	v_pk_fma_f32 v[14:15], v[110:111], v[48:49], v[14:15] op_sel_hi:[1,0,1]
	s_nop 0
	v_mov_b32_e32 v17, v15
	s_waitcnt vmcnt(3) lgkmcnt(2)
	v_pk_mul_f32 v[14:15], v[2:3], v[34:35] op_sel:[1,1] op_sel_hi:[0,1]
	v_pk_add_f32 v[12:13], v[12:13], v[16:17]
	v_pk_fma_f32 v[16:17], v[2:3], v[34:35], v[14:15] neg_lo:[0,0,1] neg_hi:[0,0,1]
	v_pk_fma_f32 v[2:3], v[2:3], v[34:35], v[14:15] op_sel_hi:[1,0,1]
	s_nop 0
	v_mov_b32_e32 v17, v3
	v_pk_add_f32 v[2:3], v[12:13], v[16:17]
	v_mov_b32_e32 v12, v37
	v_pk_mul_f32 v[12:13], v[4:5], v[12:13] op_sel:[1,0] op_sel_hi:[0,0]
	v_pk_fma_f32 v[14:15], v[4:5], v[36:37], v[12:13] neg_lo:[0,0,1] neg_hi:[0,0,1]
	v_pk_fma_f32 v[4:5], v[4:5], v[36:37], v[12:13] op_sel_hi:[1,0,1]
	s_nop 0
	v_mov_b32_e32 v15, v5
	s_waitcnt vmcnt(2) lgkmcnt(1)
	v_pk_mul_f32 v[4:5], v[6:7], v[22:23] op_sel:[1,1] op_sel_hi:[0,1]
	v_pk_fma_f32 v[12:13], v[6:7], v[22:23], v[4:5] neg_lo:[0,0,1] neg_hi:[0,0,1]
	v_pk_fma_f32 v[4:5], v[6:7], v[22:23], v[4:5] op_sel_hi:[1,0,1]
	v_pk_add_f32 v[2:3], v[2:3], v[14:15]
	v_mov_b32_e32 v4, v25
	v_mov_b32_e32 v13, v5
	v_pk_mul_f32 v[4:5], v[8:9], v[4:5] op_sel:[1,0] op_sel_hi:[0,0]
	v_pk_fma_f32 v[6:7], v[8:9], v[24:25], v[4:5] neg_lo:[0,0,1] neg_hi:[0,0,1]
	v_pk_fma_f32 v[4:5], v[8:9], v[24:25], v[4:5] op_sel_hi:[1,0,1]
	v_pk_add_f32 v[2:3], v[2:3], v[12:13]
	v_mov_b32_e32 v7, v5
	s_waitcnt vmcnt(1) lgkmcnt(0)
	v_pk_mul_f32 v[4:5], v[10:11], v[58:59] op_sel:[1,1] op_sel_hi:[0,1]
	v_pk_add_f32 v[2:3], v[2:3], v[6:7]
	v_pk_fma_f32 v[6:7], v[10:11], v[58:59], v[4:5] neg_lo:[0,0,1] neg_hi:[0,0,1]
	v_pk_fma_f32 v[4:5], v[10:11], v[58:59], v[4:5] op_sel_hi:[1,0,1]
	s_nop 0
	v_mov_b32_e32 v7, v5
	v_pk_add_f32 v[2:3], v[2:3], v[6:7]
	s_waitcnt vmcnt(0)
	v_pk_add_f32 v[2:3], v[100:101], v[2:3] neg_lo:[0,1] neg_hi:[0,1]
	scratch_store_dwordx2 off, v[2:3], off offset:144
	s_and_saveexec_b64 s[0:1], vcc
	s_cbranch_execz .LBB111_267
; %bb.266:
	scratch_load_dwordx2 v[2:3], off, off offset:136
	v_mov_b32_e32 v103, v102
	scratch_store_dwordx2 off, v[102:103], off offset:136
	s_waitcnt vmcnt(1)
	ds_write_b64 v1, v[2:3]
.LBB111_267:
	s_or_b64 exec, exec, s[0:1]
	s_waitcnt lgkmcnt(0)
	; wave barrier
	scratch_load_dwordx4 v[22:25], off, off offset:144
	scratch_load_dwordx4 v[2:5], off, off offset:160
	;; [unrolled: 1-line block ×11, first 2 shown]
	ds_read_b128 v[104:107], v102 offset:528
	ds_read_b128 v[98:101], v102 offset:544
	;; [unrolled: 1-line block ×10, first 2 shown]
	scratch_load_dwordx4 v[58:61], off, off offset:320
	scratch_load_dwordx4 v[50:53], off, off offset:336
	;; [unrolled: 1-line block ×4, first 2 shown]
	ds_read_b128 v[78:81], v102 offset:688
	ds_read_b128 v[108:111], v102 offset:704
	scratch_load_dwordx2 v[112:113], off, off offset:136
	v_cmp_lt_u32_e32 vcc, 16, v0
	s_waitcnt vmcnt(15) lgkmcnt(11)
	v_mul_f32_e32 v103, v104, v23
	v_mul_f32_e32 v114, v106, v25
	s_waitcnt vmcnt(14) lgkmcnt(10)
	v_mul_f32_e32 v116, v98, v3
	v_mul_f32_e32 v3, v99, v3
	v_fmac_f32_e32 v103, v105, v22
	v_fmac_f32_e32 v114, v107, v24
	;; [unrolled: 1-line block ×3, first 2 shown]
	v_fma_f32 v2, v98, v2, -v3
	v_add_f32_e32 v3, 0, v103
	v_mul_f32_e32 v118, v100, v5
	v_add_f32_e32 v3, v3, v114
	s_waitcnt vmcnt(13) lgkmcnt(9)
	v_mul_f32_e32 v119, v94, v7
	v_fmac_f32_e32 v118, v101, v4
	v_add_f32_e32 v3, v3, v116
	v_mul_f32_e32 v120, v96, v9
	v_fmac_f32_e32 v119, v95, v6
	v_add_f32_e32 v3, v3, v118
	s_waitcnt vmcnt(12) lgkmcnt(8)
	v_mul_f32_e32 v121, v90, v11
	v_fmac_f32_e32 v120, v97, v8
	v_add_f32_e32 v3, v3, v119
	v_mul_f32_e32 v122, v92, v13
	v_fmac_f32_e32 v121, v91, v10
	;; [unrolled: 7-line block ×7, first 2 shown]
	v_add_f32_e32 v3, v3, v130
	s_waitcnt vmcnt(6) lgkmcnt(2)
	v_mul_f32_e32 v133, v62, v47
	v_mul_f32_e32 v23, v105, v23
	v_fmac_f32_e32 v132, v69, v44
	v_add_f32_e32 v3, v3, v131
	v_mul_f32_e32 v134, v64, v49
	v_mul_f32_e32 v25, v107, v25
	v_fmac_f32_e32 v133, v63, v46
	v_fma_f32 v22, v104, v22, -v23
	v_add_f32_e32 v3, v3, v132
	v_fmac_f32_e32 v134, v65, v48
	v_fma_f32 v23, v106, v24, -v25
	v_add_f32_e32 v22, 0, v22
	v_add_f32_e32 v3, v3, v133
	;; [unrolled: 1-line block ×4, first 2 shown]
	v_mul_f32_e32 v3, v101, v5
	v_add_f32_e32 v2, v22, v2
	v_fma_f32 v3, v100, v4, -v3
	v_add_f32_e32 v2, v2, v3
	v_mul_f32_e32 v3, v95, v7
	v_fma_f32 v3, v94, v6, -v3
	v_add_f32_e32 v2, v2, v3
	v_mul_f32_e32 v3, v97, v9
	;; [unrolled: 3-line block ×16, first 2 shown]
	v_fma_f32 v3, v64, v48, -v3
	s_waitcnt vmcnt(5) lgkmcnt(1)
	v_mul_f32_e32 v115, v78, v55
	v_add_f32_e32 v22, v2, v3
	v_mul_f32_e32 v2, v79, v55
	s_waitcnt vmcnt(4) lgkmcnt(0)
	v_pk_mul_f32 v[16:17], v[108:109], v[58:59] op_sel:[1,1] op_sel_hi:[0,1]
	v_mul_f32_e32 v117, v80, v57
	v_fmac_f32_e32 v115, v79, v54
	v_fma_f32 v114, v78, v54, -v2
	v_mul_f32_e32 v2, v81, v57
	v_pk_fma_f32 v[18:19], v[108:109], v[58:59], v[16:17] neg_lo:[0,0,1] neg_hi:[0,0,1]
	v_pk_fma_f32 v[16:17], v[108:109], v[58:59], v[16:17] op_sel_hi:[1,0,1]
	v_fmac_f32_e32 v117, v81, v56
	v_fma_f32 v116, v80, v56, -v2
	ds_read_b128 v[2:5], v102 offset:720
	ds_read_b128 v[6:9], v102 offset:736
	;; [unrolled: 1-line block ×3, first 2 shown]
	v_pk_add_f32 v[14:15], v[22:23], v[114:115]
	v_mov_b32_e32 v16, v61
	v_pk_add_f32 v[14:15], v[14:15], v[116:117]
	v_mov_b32_e32 v19, v17
	v_pk_mul_f32 v[16:17], v[110:111], v[16:17] op_sel:[1,0] op_sel_hi:[0,0]
	v_pk_add_f32 v[14:15], v[14:15], v[18:19]
	v_pk_fma_f32 v[18:19], v[110:111], v[60:61], v[16:17] neg_lo:[0,0,1] neg_hi:[0,0,1]
	v_pk_fma_f32 v[16:17], v[110:111], v[60:61], v[16:17] op_sel_hi:[1,0,1]
	s_nop 0
	v_mov_b32_e32 v19, v17
	s_waitcnt vmcnt(3) lgkmcnt(2)
	v_pk_mul_f32 v[16:17], v[2:3], v[50:51] op_sel:[1,1] op_sel_hi:[0,1]
	v_pk_add_f32 v[14:15], v[14:15], v[18:19]
	v_pk_fma_f32 v[18:19], v[2:3], v[50:51], v[16:17] neg_lo:[0,0,1] neg_hi:[0,0,1]
	v_pk_fma_f32 v[2:3], v[2:3], v[50:51], v[16:17] op_sel_hi:[1,0,1]
	s_nop 0
	v_mov_b32_e32 v19, v3
	v_pk_add_f32 v[2:3], v[14:15], v[18:19]
	v_mov_b32_e32 v14, v53
	v_pk_mul_f32 v[14:15], v[4:5], v[14:15] op_sel:[1,0] op_sel_hi:[0,0]
	v_pk_fma_f32 v[16:17], v[4:5], v[52:53], v[14:15] neg_lo:[0,0,1] neg_hi:[0,0,1]
	v_pk_fma_f32 v[4:5], v[4:5], v[52:53], v[14:15] op_sel_hi:[1,0,1]
	s_nop 0
	v_mov_b32_e32 v17, v5
	s_waitcnt vmcnt(2) lgkmcnt(1)
	v_pk_mul_f32 v[4:5], v[6:7], v[38:39] op_sel:[1,1] op_sel_hi:[0,1]
	v_pk_fma_f32 v[14:15], v[6:7], v[38:39], v[4:5] neg_lo:[0,0,1] neg_hi:[0,0,1]
	v_pk_fma_f32 v[4:5], v[6:7], v[38:39], v[4:5] op_sel_hi:[1,0,1]
	v_pk_add_f32 v[2:3], v[2:3], v[16:17]
	v_mov_b32_e32 v4, v41
	v_mov_b32_e32 v15, v5
	v_pk_mul_f32 v[4:5], v[8:9], v[4:5] op_sel:[1,0] op_sel_hi:[0,0]
	v_pk_fma_f32 v[6:7], v[8:9], v[40:41], v[4:5] neg_lo:[0,0,1] neg_hi:[0,0,1]
	v_pk_fma_f32 v[4:5], v[8:9], v[40:41], v[4:5] op_sel_hi:[1,0,1]
	v_pk_add_f32 v[2:3], v[2:3], v[14:15]
	v_mov_b32_e32 v7, v5
	s_waitcnt vmcnt(1) lgkmcnt(0)
	v_pk_mul_f32 v[4:5], v[10:11], v[26:27] op_sel:[1,1] op_sel_hi:[0,1]
	v_pk_add_f32 v[2:3], v[2:3], v[6:7]
	v_pk_fma_f32 v[6:7], v[10:11], v[26:27], v[4:5] neg_lo:[0,0,1] neg_hi:[0,0,1]
	v_pk_fma_f32 v[4:5], v[10:11], v[26:27], v[4:5] op_sel_hi:[1,0,1]
	s_nop 0
	v_mov_b32_e32 v4, v29
	v_mov_b32_e32 v7, v5
	v_pk_mul_f32 v[4:5], v[12:13], v[4:5] op_sel:[1,0] op_sel_hi:[0,0]
	v_pk_add_f32 v[2:3], v[2:3], v[6:7]
	v_pk_fma_f32 v[6:7], v[12:13], v[28:29], v[4:5] neg_lo:[0,0,1] neg_hi:[0,0,1]
	v_pk_fma_f32 v[4:5], v[12:13], v[28:29], v[4:5] op_sel_hi:[1,0,1]
	s_nop 0
	v_mov_b32_e32 v7, v5
	v_pk_add_f32 v[2:3], v[2:3], v[6:7]
	s_waitcnt vmcnt(0)
	v_pk_add_f32 v[2:3], v[112:113], v[2:3] neg_lo:[0,1] neg_hi:[0,1]
	scratch_store_dwordx2 off, v[2:3], off offset:136
	s_and_saveexec_b64 s[0:1], vcc
	s_cbranch_execz .LBB111_269
; %bb.268:
	scratch_load_dwordx2 v[2:3], off, off offset:128
	v_mov_b32_e32 v4, 0
	v_mov_b32_e32 v5, v4
	scratch_store_dwordx2 off, v[4:5], off offset:128
	s_waitcnt vmcnt(1)
	ds_write_b64 v1, v[2:3]
.LBB111_269:
	s_or_b64 exec, exec, s[0:1]
	s_waitcnt lgkmcnt(0)
	; wave barrier
	scratch_load_dwordx4 v[2:5], off, off offset:136
	scratch_load_dwordx4 v[6:9], off, off offset:152
	;; [unrolled: 1-line block ×15, first 2 shown]
	scratch_load_dwordx2 v[62:63], off, off offset:376
	scratch_load_dwordx2 v[112:113], off, off offset:128
	v_mov_b32_e32 v114, 0
	ds_read2_b64 v[64:67], v114 offset0:65 offset1:66
	ds_read2_b64 v[68:71], v114 offset0:67 offset1:68
	;; [unrolled: 1-line block ×12, first 2 shown]
	v_cmp_lt_u32_e32 vcc, 15, v0
	s_waitcnt vmcnt(16) lgkmcnt(11)
	v_mul_f32_e32 v115, v64, v3
	v_mul_f32_e32 v116, v66, v5
	;; [unrolled: 1-line block ×3, first 2 shown]
	v_fmac_f32_e32 v115, v65, v2
	s_waitcnt vmcnt(15) lgkmcnt(10)
	v_mul_f32_e32 v118, v68, v7
	v_fmac_f32_e32 v116, v67, v4
	v_fma_f32 v2, v64, v2, -v3
	v_add_f32_e32 v3, 0, v115
	v_mul_f32_e32 v120, v70, v9
	v_fmac_f32_e32 v118, v69, v6
	v_add_f32_e32 v3, v3, v116
	s_waitcnt vmcnt(14) lgkmcnt(9)
	v_mul_f32_e32 v121, v72, v11
	v_fmac_f32_e32 v120, v71, v8
	v_add_f32_e32 v3, v3, v118
	v_mul_f32_e32 v122, v74, v13
	v_fmac_f32_e32 v121, v73, v10
	v_add_f32_e32 v3, v3, v120
	s_waitcnt vmcnt(13) lgkmcnt(8)
	v_mul_f32_e32 v123, v76, v15
	v_fmac_f32_e32 v122, v75, v12
	;; [unrolled: 7-line block ×9, first 2 shown]
	v_add_f32_e32 v3, v3, v135
	v_mul_f32_e32 v5, v67, v5
	v_fmac_f32_e32 v137, v105, v58
	v_add_f32_e32 v3, v3, v136
	v_add_f32_e32 v2, 0, v2
	;; [unrolled: 1-line block ×3, first 2 shown]
	v_fma_f32 v3, v66, v4, -v5
	v_add_f32_e32 v2, v2, v3
	v_mul_f32_e32 v3, v69, v7
	v_fma_f32 v3, v68, v6, -v3
	v_add_f32_e32 v2, v2, v3
	v_mul_f32_e32 v3, v71, v9
	;; [unrolled: 3-line block ×20, first 2 shown]
	v_mul_f32_e32 v117, v106, v61
	v_fma_f32 v116, v106, v60, -v2
	s_waitcnt vmcnt(5) lgkmcnt(0)
	v_mul_f32_e32 v2, v109, v55
	v_mov_b32_e32 v18, v57
	v_mul_f32_e32 v119, v108, v55
	v_fmac_f32_e32 v117, v107, v60
	v_fma_f32 v118, v108, v54, -v2
	ds_read2_b64 v[2:5], v114 offset0:89 offset1:90
	ds_read2_b64 v[6:9], v114 offset0:91 offset1:92
	;; [unrolled: 1-line block ×3, first 2 shown]
	ds_read_b64 v[14:15], v114 offset:760
	v_pk_mul_f32 v[18:19], v[110:111], v[18:19] op_sel:[1,0] op_sel_hi:[0,0]
	v_fmac_f32_e32 v119, v109, v54
	v_pk_add_f32 v[16:17], v[64:65], v[116:117]
	v_pk_fma_f32 v[20:21], v[110:111], v[56:57], v[18:19] neg_lo:[0,0,1] neg_hi:[0,0,1]
	v_pk_fma_f32 v[18:19], v[110:111], v[56:57], v[18:19] op_sel_hi:[1,0,1]
	v_pk_add_f32 v[16:17], v[16:17], v[118:119]
	v_mov_b32_e32 v21, v19
	s_waitcnt vmcnt(4) lgkmcnt(3)
	v_pk_mul_f32 v[18:19], v[2:3], v[50:51] op_sel:[1,1] op_sel_hi:[0,1]
	v_pk_add_f32 v[16:17], v[16:17], v[20:21]
	v_pk_fma_f32 v[20:21], v[2:3], v[50:51], v[18:19] neg_lo:[0,0,1] neg_hi:[0,0,1]
	v_pk_fma_f32 v[2:3], v[2:3], v[50:51], v[18:19] op_sel_hi:[1,0,1]
	s_nop 0
	v_mov_b32_e32 v21, v3
	v_pk_add_f32 v[2:3], v[16:17], v[20:21]
	v_mov_b32_e32 v16, v53
	v_pk_mul_f32 v[16:17], v[4:5], v[16:17] op_sel:[1,0] op_sel_hi:[0,0]
	v_pk_fma_f32 v[18:19], v[4:5], v[52:53], v[16:17] neg_lo:[0,0,1] neg_hi:[0,0,1]
	v_pk_fma_f32 v[4:5], v[4:5], v[52:53], v[16:17] op_sel_hi:[1,0,1]
	s_nop 0
	v_mov_b32_e32 v19, v5
	s_waitcnt vmcnt(3) lgkmcnt(2)
	v_pk_mul_f32 v[4:5], v[6:7], v[38:39] op_sel:[1,1] op_sel_hi:[0,1]
	v_pk_fma_f32 v[16:17], v[6:7], v[38:39], v[4:5] neg_lo:[0,0,1] neg_hi:[0,0,1]
	v_pk_fma_f32 v[4:5], v[6:7], v[38:39], v[4:5] op_sel_hi:[1,0,1]
	v_pk_add_f32 v[2:3], v[2:3], v[18:19]
	v_mov_b32_e32 v4, v41
	v_mov_b32_e32 v17, v5
	v_pk_mul_f32 v[4:5], v[8:9], v[4:5] op_sel:[1,0] op_sel_hi:[0,0]
	v_pk_fma_f32 v[6:7], v[8:9], v[40:41], v[4:5] neg_lo:[0,0,1] neg_hi:[0,0,1]
	v_pk_fma_f32 v[4:5], v[8:9], v[40:41], v[4:5] op_sel_hi:[1,0,1]
	v_pk_add_f32 v[2:3], v[2:3], v[16:17]
	v_mov_b32_e32 v7, v5
	s_waitcnt vmcnt(2) lgkmcnt(1)
	v_pk_mul_f32 v[4:5], v[10:11], v[26:27] op_sel:[1,1] op_sel_hi:[0,1]
	v_pk_add_f32 v[2:3], v[2:3], v[6:7]
	v_pk_fma_f32 v[6:7], v[10:11], v[26:27], v[4:5] neg_lo:[0,0,1] neg_hi:[0,0,1]
	v_pk_fma_f32 v[4:5], v[10:11], v[26:27], v[4:5] op_sel_hi:[1,0,1]
	s_nop 0
	v_mov_b32_e32 v4, v29
	v_mov_b32_e32 v7, v5
	v_pk_mul_f32 v[4:5], v[12:13], v[4:5] op_sel:[1,0] op_sel_hi:[0,0]
	v_pk_add_f32 v[2:3], v[2:3], v[6:7]
	v_pk_fma_f32 v[6:7], v[12:13], v[28:29], v[4:5] neg_lo:[0,0,1] neg_hi:[0,0,1]
	v_pk_fma_f32 v[4:5], v[12:13], v[28:29], v[4:5] op_sel_hi:[1,0,1]
	s_nop 0
	v_mov_b32_e32 v7, v5
	s_waitcnt vmcnt(1) lgkmcnt(0)
	v_pk_mul_f32 v[4:5], v[14:15], v[62:63] op_sel:[1,1] op_sel_hi:[0,1]
	v_pk_add_f32 v[2:3], v[2:3], v[6:7]
	v_pk_fma_f32 v[6:7], v[14:15], v[62:63], v[4:5] neg_lo:[0,0,1] neg_hi:[0,0,1]
	v_pk_fma_f32 v[4:5], v[14:15], v[62:63], v[4:5] op_sel_hi:[1,0,1]
	s_nop 0
	v_mov_b32_e32 v7, v5
	v_pk_add_f32 v[2:3], v[2:3], v[6:7]
	s_waitcnt vmcnt(0)
	v_pk_add_f32 v[2:3], v[112:113], v[2:3] neg_lo:[0,1] neg_hi:[0,1]
	scratch_store_dwordx2 off, v[2:3], off offset:128
	s_and_saveexec_b64 s[0:1], vcc
	s_cbranch_execz .LBB111_271
; %bb.270:
	scratch_load_dwordx2 v[2:3], off, off offset:120
	v_mov_b32_e32 v115, v114
	scratch_store_dwordx2 off, v[114:115], off offset:120
	s_waitcnt vmcnt(1)
	ds_write_b64 v1, v[2:3]
.LBB111_271:
	s_or_b64 exec, exec, s[0:1]
	s_waitcnt lgkmcnt(0)
	; wave barrier
	scratch_load_dwordx4 v[2:5], off, off offset:128
	scratch_load_dwordx4 v[6:9], off, off offset:144
	scratch_load_dwordx4 v[10:13], off, off offset:160
	scratch_load_dwordx4 v[14:17], off, off offset:176
	scratch_load_dwordx4 v[18:21], off, off offset:192
	scratch_load_dwordx4 v[22:25], off, off offset:208
	scratch_load_dwordx4 v[26:29], off, off offset:224
	scratch_load_dwordx4 v[30:33], off, off offset:240
	scratch_load_dwordx4 v[38:41], off, off offset:256
	scratch_load_dwordx4 v[46:49], off, off offset:272
	scratch_load_dwordx4 v[50:53], off, off offset:288
	scratch_load_dwordx4 v[58:61], off, off offset:304
	ds_read_b128 v[110:113], v114 offset:512
	ds_read_b128 v[106:109], v114 offset:528
	;; [unrolled: 1-line block ×12, first 2 shown]
	scratch_load_dwordx4 v[62:65], off, off offset:320
	scratch_load_dwordx4 v[54:57], off, off offset:336
	scratch_load_dwordx4 v[42:45], off, off offset:352
	scratch_load_dwordx4 v[34:37], off, off offset:368
	scratch_load_dwordx2 v[116:117], off, off offset:120
	v_cmp_lt_u32_e32 vcc, 14, v0
	s_waitcnt vmcnt(16) lgkmcnt(11)
	v_mul_f32_e32 v115, v110, v3
	v_mul_f32_e32 v118, v112, v5
	v_mul_f32_e32 v3, v111, v3
	v_fmac_f32_e32 v115, v111, v2
	s_waitcnt vmcnt(15) lgkmcnt(10)
	v_mul_f32_e32 v120, v106, v7
	v_fmac_f32_e32 v118, v113, v4
	v_fma_f32 v2, v110, v2, -v3
	v_add_f32_e32 v3, 0, v115
	v_mul_f32_e32 v122, v108, v9
	v_fmac_f32_e32 v120, v107, v6
	v_add_f32_e32 v3, v3, v118
	s_waitcnt vmcnt(14) lgkmcnt(9)
	v_mul_f32_e32 v123, v102, v11
	v_fmac_f32_e32 v122, v109, v8
	v_add_f32_e32 v3, v3, v120
	v_mul_f32_e32 v124, v104, v13
	v_fmac_f32_e32 v123, v103, v10
	v_add_f32_e32 v3, v3, v122
	s_waitcnt vmcnt(13) lgkmcnt(8)
	v_mul_f32_e32 v125, v98, v15
	v_fmac_f32_e32 v124, v105, v12
	;; [unrolled: 7-line block ×9, first 2 shown]
	v_add_f32_e32 v3, v3, v137
	v_mul_f32_e32 v140, v72, v53
	v_fmac_f32_e32 v139, v71, v50
	v_add_f32_e32 v3, v3, v138
	v_fmac_f32_e32 v140, v73, v52
	v_add_f32_e32 v3, v3, v139
	v_add_f32_e32 v111, v3, v140
	v_mul_f32_e32 v3, v113, v5
	v_add_f32_e32 v2, 0, v2
	v_fma_f32 v3, v112, v4, -v3
	v_add_f32_e32 v2, v2, v3
	v_mul_f32_e32 v3, v107, v7
	v_fma_f32 v3, v106, v6, -v3
	v_add_f32_e32 v2, v2, v3
	v_mul_f32_e32 v3, v109, v9
	;; [unrolled: 3-line block ×20, first 2 shown]
	v_fma_f32 v3, v72, v52, -v3
	v_add_f32_e32 v110, v2, v3
	s_waitcnt vmcnt(5) lgkmcnt(0)
	v_mul_f32_e32 v2, v67, v59
	v_fma_f32 v118, v66, v58, -v2
	v_mul_f32_e32 v2, v69, v61
	v_fma_f32 v120, v68, v60, -v2
	ds_read_b128 v[2:5], v114 offset:704
	ds_read_b128 v[6:9], v114 offset:720
	;; [unrolled: 1-line block ×4, first 2 shown]
	v_mul_f32_e32 v119, v66, v59
	v_mul_f32_e32 v121, v68, v61
	v_fmac_f32_e32 v119, v67, v58
	s_waitcnt vmcnt(4) lgkmcnt(3)
	v_pk_mul_f32 v[20:21], v[2:3], v[62:63] op_sel:[1,1] op_sel_hi:[0,1]
	v_fmac_f32_e32 v121, v69, v60
	v_pk_add_f32 v[18:19], v[110:111], v[118:119]
	v_pk_fma_f32 v[22:23], v[2:3], v[62:63], v[20:21] neg_lo:[0,0,1] neg_hi:[0,0,1]
	v_pk_fma_f32 v[2:3], v[2:3], v[62:63], v[20:21] op_sel_hi:[1,0,1]
	v_pk_add_f32 v[18:19], v[18:19], v[120:121]
	v_mov_b32_e32 v23, v3
	v_pk_add_f32 v[2:3], v[18:19], v[22:23]
	v_mov_b32_e32 v18, v65
	v_pk_mul_f32 v[18:19], v[4:5], v[18:19] op_sel:[1,0] op_sel_hi:[0,0]
	v_pk_fma_f32 v[20:21], v[4:5], v[64:65], v[18:19] neg_lo:[0,0,1] neg_hi:[0,0,1]
	v_pk_fma_f32 v[4:5], v[4:5], v[64:65], v[18:19] op_sel_hi:[1,0,1]
	s_nop 0
	v_mov_b32_e32 v21, v5
	s_waitcnt vmcnt(3) lgkmcnt(2)
	v_pk_mul_f32 v[4:5], v[6:7], v[54:55] op_sel:[1,1] op_sel_hi:[0,1]
	v_pk_fma_f32 v[18:19], v[6:7], v[54:55], v[4:5] neg_lo:[0,0,1] neg_hi:[0,0,1]
	v_pk_fma_f32 v[4:5], v[6:7], v[54:55], v[4:5] op_sel_hi:[1,0,1]
	v_pk_add_f32 v[2:3], v[2:3], v[20:21]
	v_mov_b32_e32 v4, v57
	v_mov_b32_e32 v19, v5
	v_pk_mul_f32 v[4:5], v[8:9], v[4:5] op_sel:[1,0] op_sel_hi:[0,0]
	v_pk_fma_f32 v[6:7], v[8:9], v[56:57], v[4:5] neg_lo:[0,0,1] neg_hi:[0,0,1]
	v_pk_fma_f32 v[4:5], v[8:9], v[56:57], v[4:5] op_sel_hi:[1,0,1]
	v_pk_add_f32 v[2:3], v[2:3], v[18:19]
	v_mov_b32_e32 v7, v5
	s_waitcnt vmcnt(2) lgkmcnt(1)
	v_pk_mul_f32 v[4:5], v[10:11], v[42:43] op_sel:[1,1] op_sel_hi:[0,1]
	v_pk_add_f32 v[2:3], v[2:3], v[6:7]
	v_pk_fma_f32 v[6:7], v[10:11], v[42:43], v[4:5] neg_lo:[0,0,1] neg_hi:[0,0,1]
	v_pk_fma_f32 v[4:5], v[10:11], v[42:43], v[4:5] op_sel_hi:[1,0,1]
	s_nop 0
	v_mov_b32_e32 v4, v45
	v_mov_b32_e32 v7, v5
	v_pk_mul_f32 v[4:5], v[12:13], v[4:5] op_sel:[1,0] op_sel_hi:[0,0]
	v_pk_add_f32 v[2:3], v[2:3], v[6:7]
	v_pk_fma_f32 v[6:7], v[12:13], v[44:45], v[4:5] neg_lo:[0,0,1] neg_hi:[0,0,1]
	v_pk_fma_f32 v[4:5], v[12:13], v[44:45], v[4:5] op_sel_hi:[1,0,1]
	s_nop 0
	v_mov_b32_e32 v7, v5
	s_waitcnt vmcnt(1) lgkmcnt(0)
	v_pk_mul_f32 v[4:5], v[14:15], v[34:35] op_sel:[1,1] op_sel_hi:[0,1]
	v_pk_add_f32 v[2:3], v[2:3], v[6:7]
	v_pk_fma_f32 v[6:7], v[14:15], v[34:35], v[4:5] neg_lo:[0,0,1] neg_hi:[0,0,1]
	v_pk_fma_f32 v[4:5], v[14:15], v[34:35], v[4:5] op_sel_hi:[1,0,1]
	s_nop 0
	v_mov_b32_e32 v4, v37
	v_mov_b32_e32 v7, v5
	v_pk_mul_f32 v[4:5], v[16:17], v[4:5] op_sel:[1,0] op_sel_hi:[0,0]
	v_pk_add_f32 v[2:3], v[2:3], v[6:7]
	v_pk_fma_f32 v[6:7], v[16:17], v[36:37], v[4:5] neg_lo:[0,0,1] neg_hi:[0,0,1]
	v_pk_fma_f32 v[4:5], v[16:17], v[36:37], v[4:5] op_sel_hi:[1,0,1]
	s_nop 0
	v_mov_b32_e32 v7, v5
	v_pk_add_f32 v[2:3], v[2:3], v[6:7]
	s_waitcnt vmcnt(0)
	v_pk_add_f32 v[2:3], v[116:117], v[2:3] neg_lo:[0,1] neg_hi:[0,1]
	scratch_store_dwordx2 off, v[2:3], off offset:120
	s_and_saveexec_b64 s[0:1], vcc
	s_cbranch_execz .LBB111_273
; %bb.272:
	scratch_load_dwordx2 v[2:3], off, off offset:112
	v_mov_b32_e32 v4, 0
	v_mov_b32_e32 v5, v4
	scratch_store_dwordx2 off, v[4:5], off offset:112
	s_waitcnt vmcnt(1)
	ds_write_b64 v1, v[2:3]
.LBB111_273:
	s_or_b64 exec, exec, s[0:1]
	s_waitcnt lgkmcnt(0)
	; wave barrier
	scratch_load_dwordx4 v[2:5], off, off offset:120
	scratch_load_dwordx4 v[6:9], off, off offset:136
	;; [unrolled: 1-line block ×13, first 2 shown]
	v_mov_b32_e32 v106, 0
	scratch_load_dwordx2 v[124:125], off, off offset:112
	ds_read2_b64 v[54:57], v106 offset0:63 offset1:64
	ds_read2_b64 v[58:61], v106 offset0:65 offset1:66
	;; [unrolled: 1-line block ×14, first 2 shown]
	v_cmp_lt_u32_e32 vcc, 13, v0
	s_waitcnt vmcnt(13) lgkmcnt(13)
	v_mul_f32_e32 v107, v54, v3
	v_mul_f32_e32 v112, v56, v5
	v_fmac_f32_e32 v107, v55, v2
	s_waitcnt vmcnt(12) lgkmcnt(12)
	v_mul_f32_e32 v113, v58, v7
	v_fmac_f32_e32 v112, v57, v4
	v_add_f32_e32 v107, 0, v107
	v_mul_f32_e32 v114, v60, v9
	v_fmac_f32_e32 v113, v59, v6
	v_add_f32_e32 v107, v107, v112
	s_waitcnt vmcnt(11) lgkmcnt(11)
	v_mul_f32_e32 v115, v62, v11
	v_fmac_f32_e32 v114, v61, v8
	v_add_f32_e32 v107, v107, v113
	v_mul_f32_e32 v116, v64, v13
	v_fmac_f32_e32 v115, v63, v10
	v_add_f32_e32 v107, v107, v114
	s_waitcnt vmcnt(10) lgkmcnt(10)
	v_mul_f32_e32 v117, v66, v15
	v_fmac_f32_e32 v116, v65, v12
	v_add_f32_e32 v107, v107, v115
	v_mul_f32_e32 v118, v68, v17
	v_fmac_f32_e32 v117, v67, v14
	v_add_f32_e32 v107, v107, v116
	s_waitcnt vmcnt(9) lgkmcnt(9)
	v_mul_f32_e32 v119, v70, v19
	v_fmac_f32_e32 v118, v69, v16
	v_add_f32_e32 v107, v107, v117
	v_mul_f32_e32 v120, v72, v21
	v_fmac_f32_e32 v119, v71, v18
	v_add_f32_e32 v107, v107, v118
	s_waitcnt vmcnt(8) lgkmcnt(8)
	v_mul_f32_e32 v121, v74, v23
	v_fmac_f32_e32 v120, v73, v20
	v_add_f32_e32 v107, v107, v119
	v_mul_f32_e32 v122, v76, v25
	v_fmac_f32_e32 v121, v75, v22
	v_add_f32_e32 v107, v107, v120
	s_waitcnt vmcnt(7) lgkmcnt(7)
	v_mul_f32_e32 v123, v78, v27
	v_fmac_f32_e32 v122, v77, v24
	v_add_f32_e32 v107, v107, v121
	v_mul_f32_e32 v126, v80, v29
	v_fmac_f32_e32 v123, v79, v26
	v_add_f32_e32 v107, v107, v122
	s_waitcnt vmcnt(6) lgkmcnt(6)
	v_mul_f32_e32 v128, v82, v31
	v_fmac_f32_e32 v126, v81, v28
	v_add_f32_e32 v107, v107, v123
	v_mul_f32_e32 v130, v84, v33
	v_fmac_f32_e32 v128, v83, v30
	v_add_f32_e32 v107, v107, v126
	s_waitcnt vmcnt(5) lgkmcnt(5)
	v_mul_f32_e32 v131, v86, v35
	v_fmac_f32_e32 v130, v85, v32
	v_add_f32_e32 v107, v107, v128
	v_mul_f32_e32 v132, v88, v37
	v_fmac_f32_e32 v131, v87, v34
	v_add_f32_e32 v107, v107, v130
	s_waitcnt vmcnt(4) lgkmcnt(4)
	v_mul_f32_e32 v133, v90, v39
	v_fmac_f32_e32 v132, v89, v36
	v_add_f32_e32 v107, v107, v131
	v_fmac_f32_e32 v133, v91, v38
	v_add_f32_e32 v107, v107, v132
	v_add_f32_e32 v107, v107, v133
	scratch_load_dwordx4 v[112:115], off, off offset:328
	scratch_load_dwordx4 v[116:119], off, off offset:344
	scratch_load_dwordx4 v[120:123], off, off offset:360
	scratch_load_dwordx2 v[132:133], off, off offset:376
	v_mul_f32_e32 v3, v55, v3
	v_fma_f32 v2, v54, v2, -v3
	v_mul_f32_e32 v3, v57, v5
	v_add_f32_e32 v2, 0, v2
	v_fma_f32 v3, v56, v4, -v3
	v_add_f32_e32 v2, v2, v3
	v_mul_f32_e32 v3, v59, v7
	v_fma_f32 v3, v58, v6, -v3
	v_add_f32_e32 v2, v2, v3
	v_mul_f32_e32 v3, v61, v9
	;; [unrolled: 3-line block ×18, first 2 shown]
	v_fma_f32 v3, v92, v40, -v3
	v_add_f32_e32 v2, v2, v3
	s_waitcnt vmcnt(7) lgkmcnt(3)
	v_mul_f32_e32 v3, v95, v43
	v_fma_f32 v3, v94, v42, -v3
	v_mul_f32_e32 v134, v92, v41
	v_add_f32_e32 v2, v2, v3
	v_mul_f32_e32 v3, v97, v45
	v_mul_f32_e32 v135, v94, v43
	v_fmac_f32_e32 v134, v93, v40
	v_fma_f32 v3, v96, v44, -v3
	v_mul_f32_e32 v136, v96, v45
	v_fmac_f32_e32 v135, v95, v42
	v_add_f32_e32 v107, v107, v134
	v_add_f32_e32 v2, v2, v3
	s_waitcnt vmcnt(6) lgkmcnt(2)
	v_mul_f32_e32 v3, v99, v47
	v_mul_f32_e32 v137, v98, v47
	v_fmac_f32_e32 v136, v97, v44
	v_add_f32_e32 v107, v107, v135
	v_fma_f32 v3, v98, v46, -v3
	v_mul_f32_e32 v127, v100, v49
	v_fmac_f32_e32 v137, v99, v46
	v_add_f32_e32 v107, v107, v136
	v_add_f32_e32 v130, v2, v3
	v_mul_f32_e32 v2, v101, v49
	s_waitcnt vmcnt(5)
	v_mov_b32_e32 v14, v53
	s_waitcnt lgkmcnt(1)
	v_mul_f32_e32 v129, v102, v51
	v_fmac_f32_e32 v127, v101, v48
	v_add_f32_e32 v131, v107, v137
	v_fma_f32 v126, v100, v48, -v2
	v_mul_f32_e32 v2, v103, v51
	v_pk_mul_f32 v[14:15], v[104:105], v[14:15] op_sel:[1,0] op_sel_hi:[0,0]
	v_fmac_f32_e32 v129, v103, v50
	v_fma_f32 v128, v102, v50, -v2
	v_pk_add_f32 v[12:13], v[130:131], v[126:127]
	v_pk_fma_f32 v[16:17], v[104:105], v[52:53], v[14:15] neg_lo:[0,0,1] neg_hi:[0,0,1]
	v_pk_fma_f32 v[14:15], v[104:105], v[52:53], v[14:15] op_sel_hi:[1,0,1]
	v_pk_add_f32 v[12:13], v[12:13], v[128:129]
	v_mov_b32_e32 v17, v15
	s_waitcnt vmcnt(3) lgkmcnt(0)
	v_pk_mul_f32 v[14:15], v[108:109], v[112:113] op_sel:[1,1] op_sel_hi:[0,1]
	v_pk_add_f32 v[12:13], v[12:13], v[16:17]
	v_pk_fma_f32 v[16:17], v[108:109], v[112:113], v[14:15] neg_lo:[0,0,1] neg_hi:[0,0,1]
	v_pk_fma_f32 v[14:15], v[108:109], v[112:113], v[14:15] op_sel_hi:[1,0,1]
	ds_read2_b64 v[2:5], v106 offset0:91 offset1:92
	ds_read2_b64 v[6:9], v106 offset0:93 offset1:94
	ds_read_b64 v[10:11], v106 offset:760
	v_mov_b32_e32 v14, v115
	v_mov_b32_e32 v17, v15
	v_pk_mul_f32 v[14:15], v[110:111], v[14:15] op_sel:[1,0] op_sel_hi:[0,0]
	v_pk_add_f32 v[12:13], v[12:13], v[16:17]
	v_pk_fma_f32 v[16:17], v[110:111], v[114:115], v[14:15] neg_lo:[0,0,1] neg_hi:[0,0,1]
	v_pk_fma_f32 v[14:15], v[110:111], v[114:115], v[14:15] op_sel_hi:[1,0,1]
	s_nop 0
	v_mov_b32_e32 v17, v15
	s_waitcnt vmcnt(2) lgkmcnt(2)
	v_pk_mul_f32 v[14:15], v[2:3], v[116:117] op_sel:[1,1] op_sel_hi:[0,1]
	v_pk_add_f32 v[12:13], v[12:13], v[16:17]
	v_pk_fma_f32 v[16:17], v[2:3], v[116:117], v[14:15] neg_lo:[0,0,1] neg_hi:[0,0,1]
	v_pk_fma_f32 v[2:3], v[2:3], v[116:117], v[14:15] op_sel_hi:[1,0,1]
	s_nop 0
	v_mov_b32_e32 v17, v3
	v_pk_add_f32 v[2:3], v[12:13], v[16:17]
	v_mov_b32_e32 v12, v119
	v_pk_mul_f32 v[12:13], v[4:5], v[12:13] op_sel:[1,0] op_sel_hi:[0,0]
	v_pk_fma_f32 v[14:15], v[4:5], v[118:119], v[12:13] neg_lo:[0,0,1] neg_hi:[0,0,1]
	v_pk_fma_f32 v[4:5], v[4:5], v[118:119], v[12:13] op_sel_hi:[1,0,1]
	s_nop 0
	v_mov_b32_e32 v15, v5
	s_waitcnt vmcnt(1) lgkmcnt(1)
	v_pk_mul_f32 v[4:5], v[6:7], v[120:121] op_sel:[1,1] op_sel_hi:[0,1]
	v_pk_fma_f32 v[12:13], v[6:7], v[120:121], v[4:5] neg_lo:[0,0,1] neg_hi:[0,0,1]
	v_pk_fma_f32 v[4:5], v[6:7], v[120:121], v[4:5] op_sel_hi:[1,0,1]
	v_pk_add_f32 v[2:3], v[2:3], v[14:15]
	v_mov_b32_e32 v4, v123
	v_mov_b32_e32 v13, v5
	v_pk_mul_f32 v[4:5], v[8:9], v[4:5] op_sel:[1,0] op_sel_hi:[0,0]
	v_pk_fma_f32 v[6:7], v[8:9], v[122:123], v[4:5] neg_lo:[0,0,1] neg_hi:[0,0,1]
	v_pk_fma_f32 v[4:5], v[8:9], v[122:123], v[4:5] op_sel_hi:[1,0,1]
	v_pk_add_f32 v[2:3], v[2:3], v[12:13]
	v_mov_b32_e32 v7, v5
	s_waitcnt vmcnt(0) lgkmcnt(0)
	v_pk_mul_f32 v[4:5], v[10:11], v[132:133] op_sel:[1,1] op_sel_hi:[0,1]
	v_pk_add_f32 v[2:3], v[2:3], v[6:7]
	v_pk_fma_f32 v[6:7], v[10:11], v[132:133], v[4:5] neg_lo:[0,0,1] neg_hi:[0,0,1]
	v_pk_fma_f32 v[4:5], v[10:11], v[132:133], v[4:5] op_sel_hi:[1,0,1]
	s_nop 0
	v_mov_b32_e32 v7, v5
	v_pk_add_f32 v[2:3], v[2:3], v[6:7]
	s_nop 0
	v_pk_add_f32 v[2:3], v[124:125], v[2:3] neg_lo:[0,1] neg_hi:[0,1]
	scratch_store_dwordx2 off, v[2:3], off offset:112
	s_and_saveexec_b64 s[0:1], vcc
	s_cbranch_execz .LBB111_275
; %bb.274:
	scratch_load_dwordx2 v[2:3], off, off offset:104
	v_mov_b32_e32 v107, v106
	scratch_store_dwordx2 off, v[106:107], off offset:104
	s_waitcnt vmcnt(1)
	ds_write_b64 v1, v[2:3]
.LBB111_275:
	s_or_b64 exec, exec, s[0:1]
	s_waitcnt lgkmcnt(0)
	; wave barrier
	scratch_load_dwordx4 v[2:5], off, off offset:112
	scratch_load_dwordx4 v[6:9], off, off offset:128
	;; [unrolled: 1-line block ×13, first 2 shown]
	ds_read_b128 v[102:105], v106 offset:496
	ds_read_b128 v[98:101], v106 offset:512
	;; [unrolled: 1-line block ×14, first 2 shown]
	scratch_load_dwordx2 v[128:129], off, off offset:104
	v_cmp_lt_u32_e32 vcc, 12, v0
	s_waitcnt vmcnt(13) lgkmcnt(13)
	v_mul_f32_e32 v107, v102, v3
	v_mul_f32_e32 v112, v104, v5
	v_fmac_f32_e32 v107, v103, v2
	s_waitcnt vmcnt(12) lgkmcnt(12)
	v_mul_f32_e32 v113, v98, v7
	v_fmac_f32_e32 v112, v105, v4
	v_add_f32_e32 v107, 0, v107
	v_mul_f32_e32 v114, v100, v9
	v_fmac_f32_e32 v113, v99, v6
	v_add_f32_e32 v107, v107, v112
	s_waitcnt vmcnt(11) lgkmcnt(11)
	v_mul_f32_e32 v115, v94, v11
	v_fmac_f32_e32 v114, v101, v8
	v_add_f32_e32 v107, v107, v113
	v_mul_f32_e32 v116, v96, v13
	v_fmac_f32_e32 v115, v95, v10
	v_add_f32_e32 v107, v107, v114
	;; [unrolled: 7-line block ×7, first 2 shown]
	s_waitcnt vmcnt(5) lgkmcnt(5)
	v_mul_f32_e32 v127, v70, v35
	v_fmac_f32_e32 v126, v77, v32
	v_add_f32_e32 v107, v107, v125
	v_fmac_f32_e32 v127, v71, v34
	v_add_f32_e32 v107, v107, v126
	v_add_f32_e32 v107, v107, v127
	scratch_load_dwordx4 v[112:115], off, off offset:320
	scratch_load_dwordx4 v[116:119], off, off offset:336
	;; [unrolled: 1-line block ×4, first 2 shown]
	v_mul_f32_e32 v3, v103, v3
	v_fma_f32 v2, v102, v2, -v3
	v_mul_f32_e32 v3, v105, v5
	v_add_f32_e32 v2, 0, v2
	v_fma_f32 v3, v104, v4, -v3
	v_add_f32_e32 v2, v2, v3
	v_mul_f32_e32 v3, v99, v7
	v_fma_f32 v3, v98, v6, -v3
	v_add_f32_e32 v2, v2, v3
	v_mul_f32_e32 v3, v101, v9
	;; [unrolled: 3-line block ×16, first 2 shown]
	v_fma_f32 v3, v72, v36, -v3
	v_add_f32_e32 v2, v2, v3
	s_waitcnt vmcnt(8) lgkmcnt(4)
	v_mul_f32_e32 v3, v67, v39
	v_fma_f32 v3, v66, v38, -v3
	v_add_f32_e32 v2, v2, v3
	v_mul_f32_e32 v3, v69, v41
	v_fma_f32 v3, v68, v40, -v3
	v_add_f32_e32 v2, v2, v3
	s_waitcnt vmcnt(7) lgkmcnt(3)
	v_mul_f32_e32 v3, v63, v43
	v_mul_f32_e32 v130, v72, v37
	v_fma_f32 v3, v62, v42, -v3
	v_mul_f32_e32 v132, v66, v39
	v_fmac_f32_e32 v130, v73, v36
	v_add_f32_e32 v2, v2, v3
	v_mul_f32_e32 v3, v65, v45
	v_mul_f32_e32 v134, v68, v41
	v_fmac_f32_e32 v132, v67, v38
	v_add_f32_e32 v107, v107, v130
	v_fma_f32 v3, v64, v44, -v3
	v_mul_f32_e32 v135, v62, v43
	v_fmac_f32_e32 v134, v69, v40
	v_add_f32_e32 v107, v107, v132
	v_add_f32_e32 v2, v2, v3
	s_waitcnt vmcnt(6) lgkmcnt(2)
	v_mul_f32_e32 v3, v59, v47
	v_mul_f32_e32 v136, v64, v45
	v_fmac_f32_e32 v135, v63, v42
	v_add_f32_e32 v107, v107, v134
	v_fma_f32 v3, v58, v46, -v3
	v_mul_f32_e32 v137, v58, v47
	v_fmac_f32_e32 v136, v65, v44
	v_add_f32_e32 v107, v107, v135
	v_add_f32_e32 v2, v2, v3
	v_mul_f32_e32 v3, v61, v49
	v_mul_f32_e32 v138, v60, v49
	v_fmac_f32_e32 v137, v59, v46
	v_add_f32_e32 v107, v107, v136
	v_fma_f32 v3, v60, v48, -v3
	s_waitcnt vmcnt(5) lgkmcnt(1)
	v_mul_f32_e32 v131, v54, v51
	v_fmac_f32_e32 v138, v61, v48
	v_add_f32_e32 v107, v107, v137
	v_add_f32_e32 v134, v2, v3
	v_mul_f32_e32 v2, v55, v51
	s_waitcnt vmcnt(3) lgkmcnt(0)
	v_pk_mul_f32 v[16:17], v[108:109], v[112:113] op_sel:[1,1] op_sel_hi:[0,1]
	v_mul_f32_e32 v133, v56, v53
	v_fmac_f32_e32 v131, v55, v50
	v_add_f32_e32 v135, v107, v138
	v_fma_f32 v130, v54, v50, -v2
	v_mul_f32_e32 v2, v57, v53
	v_pk_fma_f32 v[18:19], v[108:109], v[112:113], v[16:17] neg_lo:[0,0,1] neg_hi:[0,0,1]
	v_pk_fma_f32 v[16:17], v[108:109], v[112:113], v[16:17] op_sel_hi:[1,0,1]
	v_fmac_f32_e32 v133, v57, v52
	v_fma_f32 v132, v56, v52, -v2
	ds_read_b128 v[2:5], v106 offset:720
	ds_read_b128 v[6:9], v106 offset:736
	;; [unrolled: 1-line block ×3, first 2 shown]
	v_pk_add_f32 v[14:15], v[134:135], v[130:131]
	v_mov_b32_e32 v16, v115
	v_pk_add_f32 v[14:15], v[14:15], v[132:133]
	v_mov_b32_e32 v19, v17
	v_pk_mul_f32 v[16:17], v[110:111], v[16:17] op_sel:[1,0] op_sel_hi:[0,0]
	v_pk_add_f32 v[14:15], v[14:15], v[18:19]
	v_pk_fma_f32 v[18:19], v[110:111], v[114:115], v[16:17] neg_lo:[0,0,1] neg_hi:[0,0,1]
	v_pk_fma_f32 v[16:17], v[110:111], v[114:115], v[16:17] op_sel_hi:[1,0,1]
	s_nop 0
	v_mov_b32_e32 v19, v17
	s_waitcnt vmcnt(2) lgkmcnt(2)
	v_pk_mul_f32 v[16:17], v[2:3], v[116:117] op_sel:[1,1] op_sel_hi:[0,1]
	v_pk_add_f32 v[14:15], v[14:15], v[18:19]
	v_pk_fma_f32 v[18:19], v[2:3], v[116:117], v[16:17] neg_lo:[0,0,1] neg_hi:[0,0,1]
	v_pk_fma_f32 v[2:3], v[2:3], v[116:117], v[16:17] op_sel_hi:[1,0,1]
	s_nop 0
	v_mov_b32_e32 v19, v3
	v_pk_add_f32 v[2:3], v[14:15], v[18:19]
	v_mov_b32_e32 v14, v119
	v_pk_mul_f32 v[14:15], v[4:5], v[14:15] op_sel:[1,0] op_sel_hi:[0,0]
	v_pk_fma_f32 v[16:17], v[4:5], v[118:119], v[14:15] neg_lo:[0,0,1] neg_hi:[0,0,1]
	v_pk_fma_f32 v[4:5], v[4:5], v[118:119], v[14:15] op_sel_hi:[1,0,1]
	s_nop 0
	v_mov_b32_e32 v17, v5
	s_waitcnt vmcnt(1) lgkmcnt(1)
	v_pk_mul_f32 v[4:5], v[6:7], v[120:121] op_sel:[1,1] op_sel_hi:[0,1]
	v_pk_fma_f32 v[14:15], v[6:7], v[120:121], v[4:5] neg_lo:[0,0,1] neg_hi:[0,0,1]
	v_pk_fma_f32 v[4:5], v[6:7], v[120:121], v[4:5] op_sel_hi:[1,0,1]
	v_pk_add_f32 v[2:3], v[2:3], v[16:17]
	v_mov_b32_e32 v4, v123
	v_mov_b32_e32 v15, v5
	v_pk_mul_f32 v[4:5], v[8:9], v[4:5] op_sel:[1,0] op_sel_hi:[0,0]
	v_pk_fma_f32 v[6:7], v[8:9], v[122:123], v[4:5] neg_lo:[0,0,1] neg_hi:[0,0,1]
	v_pk_fma_f32 v[4:5], v[8:9], v[122:123], v[4:5] op_sel_hi:[1,0,1]
	v_pk_add_f32 v[2:3], v[2:3], v[14:15]
	v_mov_b32_e32 v7, v5
	s_waitcnt vmcnt(0) lgkmcnt(0)
	v_pk_mul_f32 v[4:5], v[10:11], v[124:125] op_sel:[1,1] op_sel_hi:[0,1]
	v_pk_add_f32 v[2:3], v[2:3], v[6:7]
	v_pk_fma_f32 v[6:7], v[10:11], v[124:125], v[4:5] neg_lo:[0,0,1] neg_hi:[0,0,1]
	v_pk_fma_f32 v[4:5], v[10:11], v[124:125], v[4:5] op_sel_hi:[1,0,1]
	s_nop 0
	v_mov_b32_e32 v4, v127
	v_mov_b32_e32 v7, v5
	v_pk_mul_f32 v[4:5], v[12:13], v[4:5] op_sel:[1,0] op_sel_hi:[0,0]
	v_pk_add_f32 v[2:3], v[2:3], v[6:7]
	v_pk_fma_f32 v[6:7], v[12:13], v[126:127], v[4:5] neg_lo:[0,0,1] neg_hi:[0,0,1]
	v_pk_fma_f32 v[4:5], v[12:13], v[126:127], v[4:5] op_sel_hi:[1,0,1]
	s_nop 0
	v_mov_b32_e32 v7, v5
	v_pk_add_f32 v[2:3], v[2:3], v[6:7]
	s_nop 0
	v_pk_add_f32 v[2:3], v[128:129], v[2:3] neg_lo:[0,1] neg_hi:[0,1]
	scratch_store_dwordx2 off, v[2:3], off offset:104
	s_and_saveexec_b64 s[0:1], vcc
	s_cbranch_execz .LBB111_277
; %bb.276:
	scratch_load_dwordx2 v[2:3], off, off offset:96
	v_mov_b32_e32 v4, 0
	v_mov_b32_e32 v5, v4
	scratch_store_dwordx2 off, v[4:5], off offset:96
	s_waitcnt vmcnt(1)
	ds_write_b64 v1, v[2:3]
.LBB111_277:
	s_or_b64 exec, exec, s[0:1]
	s_waitcnt lgkmcnt(0)
	; wave barrier
	scratch_load_dwordx4 v[2:5], off, off offset:104
	scratch_load_dwordx4 v[6:9], off, off offset:120
	;; [unrolled: 1-line block ×13, first 2 shown]
	v_mov_b32_e32 v114, 0
	scratch_load_dwordx4 v[54:57], off, off offset:312
	scratch_load_dwordx2 v[128:129], off, off offset:96
	ds_read2_b64 v[58:61], v114 offset0:61 offset1:62
	ds_read2_b64 v[62:65], v114 offset0:63 offset1:64
	;; [unrolled: 1-line block ×14, first 2 shown]
	v_cmp_lt_u32_e32 vcc, 11, v0
	s_waitcnt vmcnt(14) lgkmcnt(13)
	v_mul_f32_e32 v115, v58, v3
	v_mul_f32_e32 v116, v60, v5
	v_fmac_f32_e32 v115, v59, v2
	s_waitcnt vmcnt(13) lgkmcnt(12)
	v_mul_f32_e32 v117, v62, v7
	v_fmac_f32_e32 v116, v61, v4
	v_add_f32_e32 v115, 0, v115
	v_mul_f32_e32 v118, v64, v9
	v_fmac_f32_e32 v117, v63, v6
	v_add_f32_e32 v115, v115, v116
	s_waitcnt vmcnt(12) lgkmcnt(11)
	v_mul_f32_e32 v119, v66, v11
	v_fmac_f32_e32 v118, v65, v8
	v_add_f32_e32 v115, v115, v117
	v_mul_f32_e32 v120, v68, v13
	v_fmac_f32_e32 v119, v67, v10
	v_add_f32_e32 v115, v115, v118
	;; [unrolled: 7-line block ×6, first 2 shown]
	s_waitcnt vmcnt(7) lgkmcnt(6)
	v_mul_f32_e32 v131, v86, v31
	v_fmac_f32_e32 v130, v85, v28
	v_add_f32_e32 v115, v115, v127
	scratch_load_dwordx4 v[116:119], off, off offset:328
	v_mul_f32_e32 v132, v88, v33
	v_fmac_f32_e32 v131, v87, v30
	v_add_f32_e32 v115, v115, v130
	s_waitcnt vmcnt(7) lgkmcnt(5)
	v_mul_f32_e32 v133, v90, v35
	v_fmac_f32_e32 v132, v89, v32
	v_add_f32_e32 v115, v115, v131
	v_mul_f32_e32 v134, v92, v37
	v_fmac_f32_e32 v133, v91, v34
	v_add_f32_e32 v115, v115, v132
	s_waitcnt vmcnt(6) lgkmcnt(4)
	v_mul_f32_e32 v135, v94, v39
	v_fmac_f32_e32 v134, v93, v36
	v_add_f32_e32 v115, v115, v133
	;; [unrolled: 7-line block ×3, first 2 shown]
	v_fmac_f32_e32 v137, v99, v42
	v_add_f32_e32 v115, v115, v136
	v_add_f32_e32 v115, v115, v137
	scratch_load_dwordx4 v[120:123], off, off offset:344
	scratch_load_dwordx4 v[124:127], off, off offset:360
	scratch_load_dwordx2 v[136:137], off, off offset:376
	v_mul_f32_e32 v3, v59, v3
	v_fma_f32 v2, v58, v2, -v3
	v_mul_f32_e32 v3, v61, v5
	v_add_f32_e32 v2, 0, v2
	v_fma_f32 v3, v60, v4, -v3
	v_add_f32_e32 v2, v2, v3
	v_mul_f32_e32 v3, v63, v7
	v_fma_f32 v3, v62, v6, -v3
	v_add_f32_e32 v2, v2, v3
	v_mul_f32_e32 v3, v65, v9
	v_fma_f32 v3, v64, v8, -v3
	v_add_f32_e32 v2, v2, v3
	v_mul_f32_e32 v3, v67, v11
	v_fma_f32 v3, v66, v10, -v3
	v_add_f32_e32 v2, v2, v3
	v_mul_f32_e32 v3, v69, v13
	v_fma_f32 v3, v68, v12, -v3
	v_add_f32_e32 v2, v2, v3
	v_mul_f32_e32 v3, v71, v15
	v_fma_f32 v3, v70, v14, -v3
	v_add_f32_e32 v2, v2, v3
	v_mul_f32_e32 v3, v73, v17
	v_fma_f32 v3, v72, v16, -v3
	v_add_f32_e32 v2, v2, v3
	v_mul_f32_e32 v3, v75, v19
	v_fma_f32 v3, v74, v18, -v3
	v_add_f32_e32 v2, v2, v3
	v_mul_f32_e32 v3, v77, v21
	v_fma_f32 v3, v76, v20, -v3
	v_add_f32_e32 v2, v2, v3
	v_mul_f32_e32 v3, v79, v23
	v_fma_f32 v3, v78, v22, -v3
	v_add_f32_e32 v2, v2, v3
	v_mul_f32_e32 v3, v81, v25
	v_fma_f32 v3, v80, v24, -v3
	v_add_f32_e32 v2, v2, v3
	v_mul_f32_e32 v3, v83, v27
	v_fma_f32 v3, v82, v26, -v3
	v_add_f32_e32 v2, v2, v3
	v_mul_f32_e32 v3, v85, v29
	v_fma_f32 v3, v84, v28, -v3
	v_add_f32_e32 v2, v2, v3
	v_mul_f32_e32 v3, v87, v31
	v_fma_f32 v3, v86, v30, -v3
	v_add_f32_e32 v2, v2, v3
	v_mul_f32_e32 v3, v89, v33
	v_fma_f32 v3, v88, v32, -v3
	v_add_f32_e32 v2, v2, v3
	v_mul_f32_e32 v3, v91, v35
	v_fma_f32 v3, v90, v34, -v3
	v_add_f32_e32 v2, v2, v3
	v_mul_f32_e32 v3, v93, v37
	v_fma_f32 v3, v92, v36, -v3
	v_add_f32_e32 v2, v2, v3
	v_mul_f32_e32 v3, v95, v39
	v_fma_f32 v3, v94, v38, -v3
	v_add_f32_e32 v2, v2, v3
	v_mul_f32_e32 v3, v97, v41
	v_fma_f32 v3, v96, v40, -v3
	v_add_f32_e32 v2, v2, v3
	v_mul_f32_e32 v3, v99, v43
	v_fma_f32 v3, v98, v42, -v3
	v_add_f32_e32 v2, v2, v3
	v_mul_f32_e32 v3, v101, v45
	v_fma_f32 v3, v100, v44, -v3
	v_add_f32_e32 v2, v2, v3
	s_waitcnt vmcnt(7) lgkmcnt(2)
	v_mul_f32_e32 v3, v103, v47
	v_fma_f32 v3, v102, v46, -v3
	v_add_f32_e32 v2, v2, v3
	v_mul_f32_e32 v3, v105, v49
	v_mul_f32_e32 v138, v100, v45
	v_fma_f32 v3, v104, v48, -v3
	v_mul_f32_e32 v139, v102, v47
	v_fmac_f32_e32 v138, v101, v44
	v_add_f32_e32 v2, v2, v3
	s_waitcnt vmcnt(6) lgkmcnt(1)
	v_mul_f32_e32 v3, v107, v51
	v_mul_f32_e32 v140, v104, v49
	v_fmac_f32_e32 v139, v103, v46
	v_add_f32_e32 v115, v115, v138
	v_fma_f32 v3, v106, v50, -v3
	v_mul_f32_e32 v141, v106, v51
	v_fmac_f32_e32 v140, v105, v48
	v_add_f32_e32 v115, v115, v139
	v_add_f32_e32 v130, v2, v3
	v_mul_f32_e32 v2, v109, v53
	v_fmac_f32_e32 v141, v107, v50
	v_add_f32_e32 v115, v115, v140
	v_mul_f32_e32 v133, v108, v53
	v_fma_f32 v132, v108, v52, -v2
	s_waitcnt vmcnt(5) lgkmcnt(0)
	v_mul_f32_e32 v2, v111, v55
	v_mov_b32_e32 v18, v57
	v_add_f32_e32 v131, v115, v141
	v_fmac_f32_e32 v133, v109, v52
	v_mul_f32_e32 v135, v110, v55
	v_fma_f32 v134, v110, v54, -v2
	ds_read2_b64 v[2:5], v114 offset0:89 offset1:90
	ds_read2_b64 v[6:9], v114 offset0:91 offset1:92
	;; [unrolled: 1-line block ×3, first 2 shown]
	ds_read_b64 v[14:15], v114 offset:760
	v_pk_mul_f32 v[18:19], v[112:113], v[18:19] op_sel:[1,0] op_sel_hi:[0,0]
	v_fmac_f32_e32 v135, v111, v54
	v_pk_add_f32 v[16:17], v[130:131], v[132:133]
	v_pk_fma_f32 v[20:21], v[112:113], v[56:57], v[18:19] neg_lo:[0,0,1] neg_hi:[0,0,1]
	v_pk_fma_f32 v[18:19], v[112:113], v[56:57], v[18:19] op_sel_hi:[1,0,1]
	v_pk_add_f32 v[16:17], v[16:17], v[134:135]
	v_mov_b32_e32 v21, v19
	s_waitcnt vmcnt(3) lgkmcnt(3)
	v_pk_mul_f32 v[18:19], v[2:3], v[116:117] op_sel:[1,1] op_sel_hi:[0,1]
	v_pk_add_f32 v[16:17], v[16:17], v[20:21]
	v_pk_fma_f32 v[20:21], v[2:3], v[116:117], v[18:19] neg_lo:[0,0,1] neg_hi:[0,0,1]
	v_pk_fma_f32 v[2:3], v[2:3], v[116:117], v[18:19] op_sel_hi:[1,0,1]
	s_nop 0
	v_mov_b32_e32 v21, v3
	v_pk_add_f32 v[2:3], v[16:17], v[20:21]
	v_mov_b32_e32 v16, v119
	v_pk_mul_f32 v[16:17], v[4:5], v[16:17] op_sel:[1,0] op_sel_hi:[0,0]
	v_pk_fma_f32 v[18:19], v[4:5], v[118:119], v[16:17] neg_lo:[0,0,1] neg_hi:[0,0,1]
	v_pk_fma_f32 v[4:5], v[4:5], v[118:119], v[16:17] op_sel_hi:[1,0,1]
	s_nop 0
	v_mov_b32_e32 v19, v5
	s_waitcnt vmcnt(2) lgkmcnt(2)
	v_pk_mul_f32 v[4:5], v[6:7], v[120:121] op_sel:[1,1] op_sel_hi:[0,1]
	v_pk_fma_f32 v[16:17], v[6:7], v[120:121], v[4:5] neg_lo:[0,0,1] neg_hi:[0,0,1]
	v_pk_fma_f32 v[4:5], v[6:7], v[120:121], v[4:5] op_sel_hi:[1,0,1]
	v_pk_add_f32 v[2:3], v[2:3], v[18:19]
	v_mov_b32_e32 v4, v123
	v_mov_b32_e32 v17, v5
	v_pk_mul_f32 v[4:5], v[8:9], v[4:5] op_sel:[1,0] op_sel_hi:[0,0]
	v_pk_fma_f32 v[6:7], v[8:9], v[122:123], v[4:5] neg_lo:[0,0,1] neg_hi:[0,0,1]
	v_pk_fma_f32 v[4:5], v[8:9], v[122:123], v[4:5] op_sel_hi:[1,0,1]
	v_pk_add_f32 v[2:3], v[2:3], v[16:17]
	v_mov_b32_e32 v7, v5
	s_waitcnt vmcnt(1) lgkmcnt(1)
	v_pk_mul_f32 v[4:5], v[10:11], v[124:125] op_sel:[1,1] op_sel_hi:[0,1]
	v_pk_add_f32 v[2:3], v[2:3], v[6:7]
	v_pk_fma_f32 v[6:7], v[10:11], v[124:125], v[4:5] neg_lo:[0,0,1] neg_hi:[0,0,1]
	v_pk_fma_f32 v[4:5], v[10:11], v[124:125], v[4:5] op_sel_hi:[1,0,1]
	s_nop 0
	v_mov_b32_e32 v4, v127
	v_mov_b32_e32 v7, v5
	v_pk_mul_f32 v[4:5], v[12:13], v[4:5] op_sel:[1,0] op_sel_hi:[0,0]
	v_pk_add_f32 v[2:3], v[2:3], v[6:7]
	v_pk_fma_f32 v[6:7], v[12:13], v[126:127], v[4:5] neg_lo:[0,0,1] neg_hi:[0,0,1]
	v_pk_fma_f32 v[4:5], v[12:13], v[126:127], v[4:5] op_sel_hi:[1,0,1]
	s_nop 0
	v_mov_b32_e32 v7, v5
	s_waitcnt vmcnt(0) lgkmcnt(0)
	v_pk_mul_f32 v[4:5], v[14:15], v[136:137] op_sel:[1,1] op_sel_hi:[0,1]
	v_pk_add_f32 v[2:3], v[2:3], v[6:7]
	v_pk_fma_f32 v[6:7], v[14:15], v[136:137], v[4:5] neg_lo:[0,0,1] neg_hi:[0,0,1]
	v_pk_fma_f32 v[4:5], v[14:15], v[136:137], v[4:5] op_sel_hi:[1,0,1]
	s_nop 0
	v_mov_b32_e32 v7, v5
	v_pk_add_f32 v[2:3], v[2:3], v[6:7]
	s_nop 0
	v_pk_add_f32 v[2:3], v[128:129], v[2:3] neg_lo:[0,1] neg_hi:[0,1]
	scratch_store_dwordx2 off, v[2:3], off offset:96
	s_and_saveexec_b64 s[0:1], vcc
	s_cbranch_execz .LBB111_279
; %bb.278:
	scratch_load_dwordx2 v[2:3], off, off offset:88
	v_mov_b32_e32 v115, v114
	scratch_store_dwordx2 off, v[114:115], off offset:88
	s_waitcnt vmcnt(1)
	ds_write_b64 v1, v[2:3]
.LBB111_279:
	s_or_b64 exec, exec, s[0:1]
	s_waitcnt lgkmcnt(0)
	; wave barrier
	scratch_load_dwordx4 v[2:5], off, off offset:96
	scratch_load_dwordx4 v[6:9], off, off offset:112
	;; [unrolled: 1-line block ×13, first 2 shown]
	ds_read_b128 v[110:113], v114 offset:480
	ds_read_b128 v[106:109], v114 offset:496
	ds_read_b128 v[102:105], v114 offset:512
	ds_read_b128 v[98:101], v114 offset:528
	ds_read_b128 v[94:97], v114 offset:544
	ds_read_b128 v[90:93], v114 offset:560
	ds_read_b128 v[86:89], v114 offset:576
	ds_read_b128 v[82:85], v114 offset:592
	ds_read_b128 v[78:81], v114 offset:608
	ds_read_b128 v[74:77], v114 offset:624
	ds_read_b128 v[70:73], v114 offset:640
	ds_read_b128 v[62:65], v114 offset:656
	ds_read_b128 v[54:57], v114 offset:672
	ds_read_b128 v[58:61], v114 offset:688
	scratch_load_dwordx4 v[66:69], off, off offset:304
	scratch_load_dwordx2 v[132:133], off, off offset:88
	v_cmp_lt_u32_e32 vcc, 10, v0
	s_waitcnt vmcnt(14) lgkmcnt(13)
	v_mul_f32_e32 v115, v110, v3
	v_mul_f32_e32 v116, v112, v5
	v_fmac_f32_e32 v115, v111, v2
	s_waitcnt vmcnt(13) lgkmcnt(12)
	v_mul_f32_e32 v117, v106, v7
	v_fmac_f32_e32 v116, v113, v4
	v_add_f32_e32 v115, 0, v115
	v_mul_f32_e32 v118, v108, v9
	v_fmac_f32_e32 v117, v107, v6
	v_add_f32_e32 v115, v115, v116
	s_waitcnt vmcnt(12) lgkmcnt(11)
	v_mul_f32_e32 v119, v102, v11
	v_fmac_f32_e32 v118, v109, v8
	v_add_f32_e32 v115, v115, v117
	v_mul_f32_e32 v120, v104, v13
	v_fmac_f32_e32 v119, v103, v10
	v_add_f32_e32 v115, v115, v118
	;; [unrolled: 7-line block ×4, first 2 shown]
	s_waitcnt vmcnt(9) lgkmcnt(8)
	v_mul_f32_e32 v125, v90, v23
	v_fmac_f32_e32 v124, v97, v20
	v_add_f32_e32 v115, v115, v123
	scratch_load_dwordx4 v[116:119], off, off offset:320
	v_mul_f32_e32 v126, v92, v25
	v_fmac_f32_e32 v125, v91, v22
	v_add_f32_e32 v115, v115, v124
	s_waitcnt vmcnt(9) lgkmcnt(7)
	v_mul_f32_e32 v127, v86, v27
	v_fmac_f32_e32 v126, v93, v24
	v_add_f32_e32 v115, v115, v125
	v_mul_f32_e32 v128, v88, v29
	v_fmac_f32_e32 v127, v87, v26
	v_add_f32_e32 v115, v115, v126
	s_waitcnt vmcnt(8) lgkmcnt(6)
	v_mul_f32_e32 v129, v82, v31
	v_fmac_f32_e32 v128, v89, v28
	v_add_f32_e32 v115, v115, v127
	;; [unrolled: 7-line block ×3, first 2 shown]
	v_fmac_f32_e32 v131, v79, v34
	v_add_f32_e32 v115, v115, v130
	v_add_f32_e32 v115, v115, v131
	scratch_load_dwordx4 v[120:123], off, off offset:336
	scratch_load_dwordx4 v[124:127], off, off offset:352
	scratch_load_dwordx4 v[128:131], off, off offset:368
	v_mul_f32_e32 v3, v111, v3
	v_fma_f32 v2, v110, v2, -v3
	v_mul_f32_e32 v3, v113, v5
	v_add_f32_e32 v2, 0, v2
	v_fma_f32 v3, v112, v4, -v3
	v_add_f32_e32 v2, v2, v3
	v_mul_f32_e32 v3, v107, v7
	v_fma_f32 v3, v106, v6, -v3
	v_add_f32_e32 v2, v2, v3
	v_mul_f32_e32 v3, v109, v9
	;; [unrolled: 3-line block ×16, first 2 shown]
	v_fma_f32 v3, v80, v36, -v3
	v_add_f32_e32 v2, v2, v3
	s_waitcnt vmcnt(9) lgkmcnt(4)
	v_mul_f32_e32 v3, v75, v39
	v_fma_f32 v3, v74, v38, -v3
	v_add_f32_e32 v2, v2, v3
	v_mul_f32_e32 v3, v77, v41
	v_fma_f32 v3, v76, v40, -v3
	v_add_f32_e32 v2, v2, v3
	s_waitcnt vmcnt(8) lgkmcnt(3)
	v_mul_f32_e32 v3, v71, v43
	v_fma_f32 v3, v70, v42, -v3
	v_add_f32_e32 v2, v2, v3
	v_mul_f32_e32 v3, v73, v45
	v_fma_f32 v3, v72, v44, -v3
	v_add_f32_e32 v2, v2, v3
	s_waitcnt vmcnt(7) lgkmcnt(2)
	v_mul_f32_e32 v3, v63, v47
	v_fma_f32 v3, v62, v46, -v3
	v_mul_f32_e32 v134, v80, v37
	v_add_f32_e32 v2, v2, v3
	v_mul_f32_e32 v3, v65, v49
	v_mul_f32_e32 v135, v74, v39
	v_fmac_f32_e32 v134, v81, v36
	v_fma_f32 v3, v64, v48, -v3
	v_mul_f32_e32 v136, v76, v41
	v_fmac_f32_e32 v135, v75, v38
	v_add_f32_e32 v115, v115, v134
	v_add_f32_e32 v2, v2, v3
	s_waitcnt vmcnt(6) lgkmcnt(1)
	v_mul_f32_e32 v3, v55, v51
	v_mul_f32_e32 v137, v70, v43
	v_fmac_f32_e32 v136, v77, v40
	v_add_f32_e32 v115, v115, v135
	v_fma_f32 v3, v54, v50, -v3
	v_mul_f32_e32 v138, v72, v45
	v_fmac_f32_e32 v137, v71, v42
	v_add_f32_e32 v115, v115, v136
	v_add_f32_e32 v2, v2, v3
	v_mul_f32_e32 v3, v57, v53
	v_mul_f32_e32 v139, v62, v47
	v_fmac_f32_e32 v138, v73, v44
	v_add_f32_e32 v115, v115, v137
	v_fma_f32 v3, v56, v52, -v3
	v_mul_f32_e32 v140, v64, v49
	v_fmac_f32_e32 v139, v63, v46
	v_add_f32_e32 v115, v115, v138
	v_add_f32_e32 v134, v2, v3
	s_waitcnt vmcnt(5) lgkmcnt(0)
	v_mul_f32_e32 v2, v59, v67
	v_mul_f32_e32 v141, v54, v51
	v_fmac_f32_e32 v140, v65, v48
	v_add_f32_e32 v115, v115, v139
	v_fma_f32 v136, v58, v66, -v2
	v_mul_f32_e32 v2, v61, v69
	v_mul_f32_e32 v142, v56, v53
	v_fmac_f32_e32 v141, v55, v50
	v_add_f32_e32 v115, v115, v140
	v_fma_f32 v138, v60, v68, -v2
	ds_read_b128 v[2:5], v114 offset:704
	ds_read_b128 v[6:9], v114 offset:720
	;; [unrolled: 1-line block ×4, first 2 shown]
	v_add_f32_e32 v115, v115, v141
	v_fmac_f32_e32 v142, v57, v52
	v_mul_f32_e32 v137, v58, v67
	v_add_f32_e32 v135, v115, v142
	v_fmac_f32_e32 v137, v59, v66
	v_mul_f32_e32 v139, v60, v69
	s_waitcnt vmcnt(3) lgkmcnt(3)
	v_pk_mul_f32 v[20:21], v[2:3], v[116:117] op_sel:[1,1] op_sel_hi:[0,1]
	v_fmac_f32_e32 v139, v61, v68
	v_pk_add_f32 v[18:19], v[134:135], v[136:137]
	v_pk_fma_f32 v[22:23], v[2:3], v[116:117], v[20:21] neg_lo:[0,0,1] neg_hi:[0,0,1]
	v_pk_fma_f32 v[2:3], v[2:3], v[116:117], v[20:21] op_sel_hi:[1,0,1]
	v_pk_add_f32 v[18:19], v[18:19], v[138:139]
	v_mov_b32_e32 v23, v3
	v_pk_add_f32 v[2:3], v[18:19], v[22:23]
	v_mov_b32_e32 v18, v119
	v_pk_mul_f32 v[18:19], v[4:5], v[18:19] op_sel:[1,0] op_sel_hi:[0,0]
	v_pk_fma_f32 v[20:21], v[4:5], v[118:119], v[18:19] neg_lo:[0,0,1] neg_hi:[0,0,1]
	v_pk_fma_f32 v[4:5], v[4:5], v[118:119], v[18:19] op_sel_hi:[1,0,1]
	s_nop 0
	v_mov_b32_e32 v21, v5
	s_waitcnt vmcnt(2) lgkmcnt(2)
	v_pk_mul_f32 v[4:5], v[6:7], v[120:121] op_sel:[1,1] op_sel_hi:[0,1]
	v_pk_fma_f32 v[18:19], v[6:7], v[120:121], v[4:5] neg_lo:[0,0,1] neg_hi:[0,0,1]
	v_pk_fma_f32 v[4:5], v[6:7], v[120:121], v[4:5] op_sel_hi:[1,0,1]
	v_pk_add_f32 v[2:3], v[2:3], v[20:21]
	v_mov_b32_e32 v4, v123
	v_mov_b32_e32 v19, v5
	v_pk_mul_f32 v[4:5], v[8:9], v[4:5] op_sel:[1,0] op_sel_hi:[0,0]
	v_pk_fma_f32 v[6:7], v[8:9], v[122:123], v[4:5] neg_lo:[0,0,1] neg_hi:[0,0,1]
	v_pk_fma_f32 v[4:5], v[8:9], v[122:123], v[4:5] op_sel_hi:[1,0,1]
	v_pk_add_f32 v[2:3], v[2:3], v[18:19]
	v_mov_b32_e32 v7, v5
	s_waitcnt vmcnt(1) lgkmcnt(1)
	v_pk_mul_f32 v[4:5], v[10:11], v[124:125] op_sel:[1,1] op_sel_hi:[0,1]
	v_pk_add_f32 v[2:3], v[2:3], v[6:7]
	v_pk_fma_f32 v[6:7], v[10:11], v[124:125], v[4:5] neg_lo:[0,0,1] neg_hi:[0,0,1]
	v_pk_fma_f32 v[4:5], v[10:11], v[124:125], v[4:5] op_sel_hi:[1,0,1]
	s_nop 0
	v_mov_b32_e32 v4, v127
	v_mov_b32_e32 v7, v5
	v_pk_mul_f32 v[4:5], v[12:13], v[4:5] op_sel:[1,0] op_sel_hi:[0,0]
	v_pk_add_f32 v[2:3], v[2:3], v[6:7]
	v_pk_fma_f32 v[6:7], v[12:13], v[126:127], v[4:5] neg_lo:[0,0,1] neg_hi:[0,0,1]
	v_pk_fma_f32 v[4:5], v[12:13], v[126:127], v[4:5] op_sel_hi:[1,0,1]
	s_nop 0
	v_mov_b32_e32 v7, v5
	s_waitcnt vmcnt(0) lgkmcnt(0)
	v_pk_mul_f32 v[4:5], v[14:15], v[128:129] op_sel:[1,1] op_sel_hi:[0,1]
	v_pk_add_f32 v[2:3], v[2:3], v[6:7]
	v_pk_fma_f32 v[6:7], v[14:15], v[128:129], v[4:5] neg_lo:[0,0,1] neg_hi:[0,0,1]
	v_pk_fma_f32 v[4:5], v[14:15], v[128:129], v[4:5] op_sel_hi:[1,0,1]
	s_nop 0
	v_mov_b32_e32 v4, v131
	v_mov_b32_e32 v7, v5
	v_pk_mul_f32 v[4:5], v[16:17], v[4:5] op_sel:[1,0] op_sel_hi:[0,0]
	v_pk_add_f32 v[2:3], v[2:3], v[6:7]
	v_pk_fma_f32 v[6:7], v[16:17], v[130:131], v[4:5] neg_lo:[0,0,1] neg_hi:[0,0,1]
	v_pk_fma_f32 v[4:5], v[16:17], v[130:131], v[4:5] op_sel_hi:[1,0,1]
	s_nop 0
	v_mov_b32_e32 v7, v5
	v_pk_add_f32 v[2:3], v[2:3], v[6:7]
	s_nop 0
	v_pk_add_f32 v[2:3], v[132:133], v[2:3] neg_lo:[0,1] neg_hi:[0,1]
	scratch_store_dwordx2 off, v[2:3], off offset:88
	s_and_saveexec_b64 s[0:1], vcc
	s_cbranch_execz .LBB111_281
; %bb.280:
	scratch_load_dwordx2 v[2:3], off, off offset:80
	v_mov_b32_e32 v4, 0
	v_mov_b32_e32 v5, v4
	scratch_store_dwordx2 off, v[4:5], off offset:80
	s_waitcnt vmcnt(1)
	ds_write_b64 v1, v[2:3]
.LBB111_281:
	s_or_b64 exec, exec, s[0:1]
	s_waitcnt lgkmcnt(0)
	; wave barrier
	scratch_load_dwordx4 v[2:5], off, off offset:88
	scratch_load_dwordx4 v[6:9], off, off offset:104
	;; [unrolled: 1-line block ×15, first 2 shown]
	scratch_load_dwordx2 v[140:141], off, off offset:80
	v_mov_b32_e32 v118, 0
	ds_read2_b64 v[62:65], v118 offset0:59 offset1:60
	ds_read2_b64 v[66:69], v118 offset0:61 offset1:62
	;; [unrolled: 1-line block ×14, first 2 shown]
	v_cmp_lt_u32_e32 vcc, 9, v0
	s_waitcnt vmcnt(15) lgkmcnt(13)
	v_mul_f32_e32 v119, v62, v3
	v_mul_f32_e32 v120, v64, v5
	v_fmac_f32_e32 v119, v63, v2
	s_waitcnt vmcnt(14) lgkmcnt(12)
	v_mul_f32_e32 v121, v66, v7
	v_fmac_f32_e32 v120, v65, v4
	v_add_f32_e32 v119, 0, v119
	v_mul_f32_e32 v122, v68, v9
	v_fmac_f32_e32 v121, v67, v6
	v_add_f32_e32 v119, v119, v120
	s_waitcnt vmcnt(13) lgkmcnt(11)
	v_mul_f32_e32 v123, v70, v11
	v_fmac_f32_e32 v122, v69, v8
	v_add_f32_e32 v119, v119, v121
	v_mul_f32_e32 v124, v72, v13
	v_fmac_f32_e32 v123, v71, v10
	v_add_f32_e32 v119, v119, v122
	;; [unrolled: 7-line block ×11, first 2 shown]
	s_waitcnt vmcnt(3) lgkmcnt(1)
	v_mul_f32_e32 v145, v110, v51
	v_fmac_f32_e32 v144, v109, v48
	v_add_f32_e32 v119, v119, v143
	v_add_f32_e32 v119, v119, v144
	v_fmac_f32_e32 v145, v111, v50
	v_mul_f32_e32 v120, v112, v53
	v_add_f32_e32 v119, v119, v145
	v_fmac_f32_e32 v120, v113, v52
	s_waitcnt vmcnt(2) lgkmcnt(0)
	v_mul_f32_e32 v124, v114, v55
	v_add_f32_e32 v119, v119, v120
	v_fmac_f32_e32 v124, v115, v54
	ds_read2_b64 v[120:123], v118 offset0:87 offset1:88
	v_add_f32_e32 v143, v119, v124
	ds_read2_b64 v[124:127], v118 offset0:89 offset1:90
	scratch_load_dwordx4 v[128:131], off, off offset:328
	scratch_load_dwordx4 v[132:135], off, off offset:344
	;; [unrolled: 1-line block ×3, first 2 shown]
	scratch_load_dwordx2 v[148:149], off, off offset:376
	v_mul_f32_e32 v3, v63, v3
	v_fma_f32 v2, v62, v2, -v3
	v_mul_f32_e32 v3, v65, v5
	v_add_f32_e32 v2, 0, v2
	v_fma_f32 v3, v64, v4, -v3
	v_add_f32_e32 v2, v2, v3
	v_mul_f32_e32 v3, v67, v7
	v_fma_f32 v3, v66, v6, -v3
	v_add_f32_e32 v2, v2, v3
	v_mul_f32_e32 v3, v69, v9
	;; [unrolled: 3-line block ×25, first 2 shown]
	v_fma_f32 v3, v114, v54, -v3
	v_mul_f32_e32 v145, v116, v57
	v_add_f32_e32 v142, v2, v3
	v_mul_f32_e32 v2, v117, v57
	s_waitcnt vmcnt(5)
	v_mov_b32_e32 v14, v61
	v_fmac_f32_e32 v145, v117, v56
	s_waitcnt lgkmcnt(1)
	v_mul_f32_e32 v147, v120, v59
	v_fma_f32 v144, v116, v56, -v2
	v_mul_f32_e32 v2, v121, v59
	v_pk_mul_f32 v[14:15], v[122:123], v[14:15] op_sel:[1,0] op_sel_hi:[0,0]
	v_fmac_f32_e32 v147, v121, v58
	v_fma_f32 v146, v120, v58, -v2
	v_pk_add_f32 v[12:13], v[142:143], v[144:145]
	v_pk_fma_f32 v[16:17], v[122:123], v[60:61], v[14:15] neg_lo:[0,0,1] neg_hi:[0,0,1]
	v_pk_fma_f32 v[14:15], v[122:123], v[60:61], v[14:15] op_sel_hi:[1,0,1]
	v_pk_add_f32 v[12:13], v[12:13], v[146:147]
	v_mov_b32_e32 v17, v15
	s_waitcnt vmcnt(3) lgkmcnt(0)
	v_pk_mul_f32 v[14:15], v[124:125], v[128:129] op_sel:[1,1] op_sel_hi:[0,1]
	v_pk_add_f32 v[12:13], v[12:13], v[16:17]
	v_pk_fma_f32 v[16:17], v[124:125], v[128:129], v[14:15] neg_lo:[0,0,1] neg_hi:[0,0,1]
	v_pk_fma_f32 v[14:15], v[124:125], v[128:129], v[14:15] op_sel_hi:[1,0,1]
	ds_read2_b64 v[2:5], v118 offset0:91 offset1:92
	ds_read2_b64 v[6:9], v118 offset0:93 offset1:94
	ds_read_b64 v[10:11], v118 offset:760
	v_mov_b32_e32 v14, v131
	v_mov_b32_e32 v17, v15
	v_pk_mul_f32 v[14:15], v[126:127], v[14:15] op_sel:[1,0] op_sel_hi:[0,0]
	v_pk_add_f32 v[12:13], v[12:13], v[16:17]
	v_pk_fma_f32 v[16:17], v[126:127], v[130:131], v[14:15] neg_lo:[0,0,1] neg_hi:[0,0,1]
	v_pk_fma_f32 v[14:15], v[126:127], v[130:131], v[14:15] op_sel_hi:[1,0,1]
	s_nop 0
	v_mov_b32_e32 v17, v15
	s_waitcnt vmcnt(2) lgkmcnt(2)
	v_pk_mul_f32 v[14:15], v[2:3], v[132:133] op_sel:[1,1] op_sel_hi:[0,1]
	v_pk_add_f32 v[12:13], v[12:13], v[16:17]
	v_pk_fma_f32 v[16:17], v[2:3], v[132:133], v[14:15] neg_lo:[0,0,1] neg_hi:[0,0,1]
	v_pk_fma_f32 v[2:3], v[2:3], v[132:133], v[14:15] op_sel_hi:[1,0,1]
	s_nop 0
	v_mov_b32_e32 v17, v3
	v_pk_add_f32 v[2:3], v[12:13], v[16:17]
	v_mov_b32_e32 v12, v135
	v_pk_mul_f32 v[12:13], v[4:5], v[12:13] op_sel:[1,0] op_sel_hi:[0,0]
	v_pk_fma_f32 v[14:15], v[4:5], v[134:135], v[12:13] neg_lo:[0,0,1] neg_hi:[0,0,1]
	v_pk_fma_f32 v[4:5], v[4:5], v[134:135], v[12:13] op_sel_hi:[1,0,1]
	s_nop 0
	v_mov_b32_e32 v15, v5
	s_waitcnt vmcnt(1) lgkmcnt(1)
	v_pk_mul_f32 v[4:5], v[6:7], v[136:137] op_sel:[1,1] op_sel_hi:[0,1]
	v_pk_fma_f32 v[12:13], v[6:7], v[136:137], v[4:5] neg_lo:[0,0,1] neg_hi:[0,0,1]
	v_pk_fma_f32 v[4:5], v[6:7], v[136:137], v[4:5] op_sel_hi:[1,0,1]
	v_pk_add_f32 v[2:3], v[2:3], v[14:15]
	v_mov_b32_e32 v4, v139
	v_mov_b32_e32 v13, v5
	v_pk_mul_f32 v[4:5], v[8:9], v[4:5] op_sel:[1,0] op_sel_hi:[0,0]
	v_pk_fma_f32 v[6:7], v[8:9], v[138:139], v[4:5] neg_lo:[0,0,1] neg_hi:[0,0,1]
	v_pk_fma_f32 v[4:5], v[8:9], v[138:139], v[4:5] op_sel_hi:[1,0,1]
	v_pk_add_f32 v[2:3], v[2:3], v[12:13]
	v_mov_b32_e32 v7, v5
	s_waitcnt vmcnt(0) lgkmcnt(0)
	v_pk_mul_f32 v[4:5], v[10:11], v[148:149] op_sel:[1,1] op_sel_hi:[0,1]
	v_pk_add_f32 v[2:3], v[2:3], v[6:7]
	v_pk_fma_f32 v[6:7], v[10:11], v[148:149], v[4:5] neg_lo:[0,0,1] neg_hi:[0,0,1]
	v_pk_fma_f32 v[4:5], v[10:11], v[148:149], v[4:5] op_sel_hi:[1,0,1]
	s_nop 0
	v_mov_b32_e32 v7, v5
	v_pk_add_f32 v[2:3], v[2:3], v[6:7]
	s_nop 0
	v_pk_add_f32 v[2:3], v[140:141], v[2:3] neg_lo:[0,1] neg_hi:[0,1]
	scratch_store_dwordx2 off, v[2:3], off offset:80
	s_and_saveexec_b64 s[0:1], vcc
	s_cbranch_execz .LBB111_283
; %bb.282:
	scratch_load_dwordx2 v[2:3], off, off offset:72
	v_mov_b32_e32 v119, v118
	scratch_store_dwordx2 off, v[118:119], off offset:72
	s_waitcnt vmcnt(1)
	ds_write_b64 v1, v[2:3]
.LBB111_283:
	s_or_b64 exec, exec, s[0:1]
	s_waitcnt lgkmcnt(0)
	; wave barrier
	scratch_load_dwordx4 v[2:5], off, off offset:80
	scratch_load_dwordx4 v[6:9], off, off offset:96
	;; [unrolled: 1-line block ×13, first 2 shown]
	ds_read_b128 v[114:117], v118 offset:464
	ds_read_b128 v[110:113], v118 offset:480
	;; [unrolled: 1-line block ×14, first 2 shown]
	scratch_load_dwordx4 v[62:65], off, off offset:288
	scratch_load_dwordx4 v[70:73], off, off offset:304
	scratch_load_dwordx2 v[144:145], off, off offset:72
	v_cmp_lt_u32_e32 vcc, 8, v0
	s_waitcnt vmcnt(15) lgkmcnt(13)
	v_mul_f32_e32 v119, v114, v3
	v_mul_f32_e32 v120, v116, v5
	v_fmac_f32_e32 v119, v115, v2
	s_waitcnt vmcnt(14) lgkmcnt(12)
	v_mul_f32_e32 v121, v110, v7
	v_fmac_f32_e32 v120, v117, v4
	v_add_f32_e32 v119, 0, v119
	v_mul_f32_e32 v122, v112, v9
	v_fmac_f32_e32 v121, v111, v6
	v_add_f32_e32 v119, v119, v120
	s_waitcnt vmcnt(13) lgkmcnt(11)
	v_mul_f32_e32 v123, v106, v11
	v_fmac_f32_e32 v122, v113, v8
	v_add_f32_e32 v119, v119, v121
	v_mul_f32_e32 v124, v108, v13
	v_fmac_f32_e32 v123, v107, v10
	v_add_f32_e32 v119, v119, v122
	;; [unrolled: 7-line block ×11, first 2 shown]
	s_waitcnt vmcnt(3) lgkmcnt(1)
	v_mul_f32_e32 v143, v54, v51
	v_fmac_f32_e32 v142, v69, v48
	v_add_f32_e32 v119, v119, v141
	v_fmac_f32_e32 v143, v55, v50
	v_add_f32_e32 v119, v119, v142
	v_mul_f32_e32 v120, v56, v53
	v_add_f32_e32 v119, v119, v143
	v_fmac_f32_e32 v120, v57, v52
	v_add_f32_e32 v119, v119, v120
	s_waitcnt vmcnt(2) lgkmcnt(0)
	v_mul_f32_e32 v120, v58, v63
	v_fmac_f32_e32 v120, v59, v62
	v_mul_f32_e32 v124, v60, v65
	v_add_f32_e32 v119, v119, v120
	v_fmac_f32_e32 v124, v61, v64
	ds_read_b128 v[120:123], v118 offset:688
	v_add_f32_e32 v147, v119, v124
	ds_read_b128 v[124:127], v118 offset:704
	scratch_load_dwordx4 v[128:131], off, off offset:320
	scratch_load_dwordx4 v[132:135], off, off offset:336
	;; [unrolled: 1-line block ×4, first 2 shown]
	v_mul_f32_e32 v3, v115, v3
	v_fma_f32 v2, v114, v2, -v3
	v_mul_f32_e32 v3, v117, v5
	v_add_f32_e32 v2, 0, v2
	v_fma_f32 v3, v116, v4, -v3
	v_add_f32_e32 v2, v2, v3
	v_mul_f32_e32 v3, v111, v7
	v_fma_f32 v3, v110, v6, -v3
	v_add_f32_e32 v2, v2, v3
	v_mul_f32_e32 v3, v113, v9
	v_fma_f32 v3, v112, v8, -v3
	v_add_f32_e32 v2, v2, v3
	v_mul_f32_e32 v3, v107, v11
	v_fma_f32 v3, v106, v10, -v3
	v_add_f32_e32 v2, v2, v3
	v_mul_f32_e32 v3, v109, v13
	v_fma_f32 v3, v108, v12, -v3
	v_add_f32_e32 v2, v2, v3
	v_mul_f32_e32 v3, v103, v15
	v_fma_f32 v3, v102, v14, -v3
	v_add_f32_e32 v2, v2, v3
	v_mul_f32_e32 v3, v105, v17
	v_fma_f32 v3, v104, v16, -v3
	v_add_f32_e32 v2, v2, v3
	v_mul_f32_e32 v3, v99, v19
	v_fma_f32 v3, v98, v18, -v3
	v_add_f32_e32 v2, v2, v3
	v_mul_f32_e32 v3, v101, v21
	v_fma_f32 v3, v100, v20, -v3
	v_add_f32_e32 v2, v2, v3
	v_mul_f32_e32 v3, v95, v23
	v_fma_f32 v3, v94, v22, -v3
	v_add_f32_e32 v2, v2, v3
	v_mul_f32_e32 v3, v97, v25
	v_fma_f32 v3, v96, v24, -v3
	v_add_f32_e32 v2, v2, v3
	v_mul_f32_e32 v3, v91, v27
	v_fma_f32 v3, v90, v26, -v3
	v_add_f32_e32 v2, v2, v3
	v_mul_f32_e32 v3, v93, v29
	v_fma_f32 v3, v92, v28, -v3
	v_add_f32_e32 v2, v2, v3
	v_mul_f32_e32 v3, v87, v31
	v_fma_f32 v3, v86, v30, -v3
	v_add_f32_e32 v2, v2, v3
	v_mul_f32_e32 v3, v89, v33
	v_fma_f32 v3, v88, v32, -v3
	v_add_f32_e32 v2, v2, v3
	v_mul_f32_e32 v3, v83, v35
	v_fma_f32 v3, v82, v34, -v3
	v_add_f32_e32 v2, v2, v3
	v_mul_f32_e32 v3, v85, v37
	v_fma_f32 v3, v84, v36, -v3
	v_add_f32_e32 v2, v2, v3
	v_mul_f32_e32 v3, v79, v39
	v_fma_f32 v3, v78, v38, -v3
	v_add_f32_e32 v2, v2, v3
	v_mul_f32_e32 v3, v81, v41
	v_fma_f32 v3, v80, v40, -v3
	v_add_f32_e32 v2, v2, v3
	v_mul_f32_e32 v3, v75, v43
	v_fma_f32 v3, v74, v42, -v3
	v_add_f32_e32 v2, v2, v3
	v_mul_f32_e32 v3, v77, v45
	v_fma_f32 v3, v76, v44, -v3
	v_add_f32_e32 v2, v2, v3
	v_mul_f32_e32 v3, v67, v47
	v_fma_f32 v3, v66, v46, -v3
	v_add_f32_e32 v2, v2, v3
	v_mul_f32_e32 v3, v69, v49
	v_fma_f32 v3, v68, v48, -v3
	v_add_f32_e32 v2, v2, v3
	v_mul_f32_e32 v3, v55, v51
	v_fma_f32 v3, v54, v50, -v3
	v_add_f32_e32 v2, v2, v3
	v_mul_f32_e32 v3, v57, v53
	v_fma_f32 v3, v56, v52, -v3
	v_add_f32_e32 v2, v2, v3
	v_mul_f32_e32 v3, v59, v63
	v_fma_f32 v3, v58, v62, -v3
	v_add_f32_e32 v2, v2, v3
	v_mul_f32_e32 v3, v61, v65
	v_fma_f32 v3, v60, v64, -v3
	s_waitcnt vmcnt(5) lgkmcnt(1)
	v_mul_f32_e32 v149, v120, v71
	v_add_f32_e32 v146, v2, v3
	v_mul_f32_e32 v2, v121, v71
	s_waitcnt vmcnt(3) lgkmcnt(0)
	v_pk_mul_f32 v[16:17], v[124:125], v[128:129] op_sel:[1,1] op_sel_hi:[0,1]
	v_fmac_f32_e32 v149, v121, v70
	v_mul_f32_e32 v151, v122, v73
	v_fma_f32 v148, v120, v70, -v2
	v_mul_f32_e32 v2, v123, v73
	v_pk_fma_f32 v[18:19], v[124:125], v[128:129], v[16:17] neg_lo:[0,0,1] neg_hi:[0,0,1]
	v_pk_fma_f32 v[16:17], v[124:125], v[128:129], v[16:17] op_sel_hi:[1,0,1]
	v_fmac_f32_e32 v151, v123, v72
	v_fma_f32 v150, v122, v72, -v2
	ds_read_b128 v[2:5], v118 offset:720
	ds_read_b128 v[6:9], v118 offset:736
	ds_read_b128 v[10:13], v118 offset:752
	v_pk_add_f32 v[14:15], v[146:147], v[148:149]
	v_mov_b32_e32 v16, v131
	v_pk_add_f32 v[14:15], v[14:15], v[150:151]
	v_mov_b32_e32 v19, v17
	v_pk_mul_f32 v[16:17], v[126:127], v[16:17] op_sel:[1,0] op_sel_hi:[0,0]
	v_pk_add_f32 v[14:15], v[14:15], v[18:19]
	v_pk_fma_f32 v[18:19], v[126:127], v[130:131], v[16:17] neg_lo:[0,0,1] neg_hi:[0,0,1]
	v_pk_fma_f32 v[16:17], v[126:127], v[130:131], v[16:17] op_sel_hi:[1,0,1]
	s_nop 0
	v_mov_b32_e32 v19, v17
	s_waitcnt vmcnt(2) lgkmcnt(2)
	v_pk_mul_f32 v[16:17], v[2:3], v[132:133] op_sel:[1,1] op_sel_hi:[0,1]
	v_pk_add_f32 v[14:15], v[14:15], v[18:19]
	v_pk_fma_f32 v[18:19], v[2:3], v[132:133], v[16:17] neg_lo:[0,0,1] neg_hi:[0,0,1]
	v_pk_fma_f32 v[2:3], v[2:3], v[132:133], v[16:17] op_sel_hi:[1,0,1]
	s_nop 0
	v_mov_b32_e32 v19, v3
	v_pk_add_f32 v[2:3], v[14:15], v[18:19]
	v_mov_b32_e32 v14, v135
	v_pk_mul_f32 v[14:15], v[4:5], v[14:15] op_sel:[1,0] op_sel_hi:[0,0]
	v_pk_fma_f32 v[16:17], v[4:5], v[134:135], v[14:15] neg_lo:[0,0,1] neg_hi:[0,0,1]
	v_pk_fma_f32 v[4:5], v[4:5], v[134:135], v[14:15] op_sel_hi:[1,0,1]
	s_nop 0
	v_mov_b32_e32 v17, v5
	s_waitcnt vmcnt(1) lgkmcnt(1)
	v_pk_mul_f32 v[4:5], v[6:7], v[136:137] op_sel:[1,1] op_sel_hi:[0,1]
	v_pk_fma_f32 v[14:15], v[6:7], v[136:137], v[4:5] neg_lo:[0,0,1] neg_hi:[0,0,1]
	v_pk_fma_f32 v[4:5], v[6:7], v[136:137], v[4:5] op_sel_hi:[1,0,1]
	v_pk_add_f32 v[2:3], v[2:3], v[16:17]
	v_mov_b32_e32 v4, v139
	v_mov_b32_e32 v15, v5
	v_pk_mul_f32 v[4:5], v[8:9], v[4:5] op_sel:[1,0] op_sel_hi:[0,0]
	v_pk_fma_f32 v[6:7], v[8:9], v[138:139], v[4:5] neg_lo:[0,0,1] neg_hi:[0,0,1]
	v_pk_fma_f32 v[4:5], v[8:9], v[138:139], v[4:5] op_sel_hi:[1,0,1]
	v_pk_add_f32 v[2:3], v[2:3], v[14:15]
	v_mov_b32_e32 v7, v5
	s_waitcnt vmcnt(0) lgkmcnt(0)
	v_pk_mul_f32 v[4:5], v[10:11], v[140:141] op_sel:[1,1] op_sel_hi:[0,1]
	v_pk_add_f32 v[2:3], v[2:3], v[6:7]
	v_pk_fma_f32 v[6:7], v[10:11], v[140:141], v[4:5] neg_lo:[0,0,1] neg_hi:[0,0,1]
	v_pk_fma_f32 v[4:5], v[10:11], v[140:141], v[4:5] op_sel_hi:[1,0,1]
	s_nop 0
	v_mov_b32_e32 v4, v143
	v_mov_b32_e32 v7, v5
	v_pk_mul_f32 v[4:5], v[12:13], v[4:5] op_sel:[1,0] op_sel_hi:[0,0]
	v_pk_add_f32 v[2:3], v[2:3], v[6:7]
	v_pk_fma_f32 v[6:7], v[12:13], v[142:143], v[4:5] neg_lo:[0,0,1] neg_hi:[0,0,1]
	v_pk_fma_f32 v[4:5], v[12:13], v[142:143], v[4:5] op_sel_hi:[1,0,1]
	s_nop 0
	v_mov_b32_e32 v7, v5
	v_pk_add_f32 v[2:3], v[2:3], v[6:7]
	s_nop 0
	v_pk_add_f32 v[2:3], v[144:145], v[2:3] neg_lo:[0,1] neg_hi:[0,1]
	scratch_store_dwordx2 off, v[2:3], off offset:72
	s_and_saveexec_b64 s[0:1], vcc
	s_cbranch_execz .LBB111_285
; %bb.284:
	scratch_load_dwordx2 v[2:3], off, off offset:64
	v_mov_b32_e32 v4, 0
	v_mov_b32_e32 v5, v4
	scratch_store_dwordx2 off, v[4:5], off offset:64
	s_waitcnt vmcnt(1)
	ds_write_b64 v1, v[2:3]
.LBB111_285:
	s_or_b64 exec, exec, s[0:1]
	s_waitcnt lgkmcnt(0)
	; wave barrier
	scratch_load_dwordx4 v[2:5], off, off offset:72
	scratch_load_dwordx4 v[6:9], off, off offset:88
	;; [unrolled: 1-line block ×16, first 2 shown]
	scratch_load_dwordx2 v[144:145], off, off offset:64
	v_mov_b32_e32 v122, 0
	ds_read2_b64 v[66:69], v122 offset0:57 offset1:58
	ds_read2_b64 v[70:73], v122 offset0:59 offset1:60
	;; [unrolled: 1-line block ×14, first 2 shown]
	v_cmp_lt_u32_e32 vcc, 7, v0
	s_waitcnt vmcnt(16) lgkmcnt(13)
	v_mul_f32_e32 v123, v66, v3
	v_mul_f32_e32 v124, v68, v5
	v_fmac_f32_e32 v123, v67, v2
	s_waitcnt vmcnt(15) lgkmcnt(12)
	v_mul_f32_e32 v125, v70, v7
	v_fmac_f32_e32 v124, v69, v4
	v_add_f32_e32 v123, 0, v123
	v_mul_f32_e32 v126, v72, v9
	v_fmac_f32_e32 v125, v71, v6
	v_add_f32_e32 v123, v123, v124
	s_waitcnt vmcnt(14) lgkmcnt(11)
	v_mul_f32_e32 v127, v74, v11
	v_fmac_f32_e32 v126, v73, v8
	v_add_f32_e32 v123, v123, v125
	v_mul_f32_e32 v128, v76, v13
	v_fmac_f32_e32 v127, v75, v10
	v_add_f32_e32 v123, v123, v126
	;; [unrolled: 7-line block ×11, first 2 shown]
	v_fmac_f32_e32 v148, v113, v48
	v_add_f32_e32 v123, v123, v147
	s_waitcnt vmcnt(4) lgkmcnt(1)
	v_mul_f32_e32 v124, v114, v51
	v_add_f32_e32 v123, v123, v148
	v_fmac_f32_e32 v124, v115, v50
	v_add_f32_e32 v123, v123, v124
	v_mul_f32_e32 v124, v116, v53
	v_fmac_f32_e32 v124, v117, v52
	v_add_f32_e32 v123, v123, v124
	s_waitcnt vmcnt(3) lgkmcnt(0)
	v_mul_f32_e32 v124, v118, v55
	v_fmac_f32_e32 v124, v119, v54
	v_add_f32_e32 v123, v123, v124
	ds_read2_b64 v[124:127], v122 offset0:85 offset1:86
	v_mul_f32_e32 v128, v120, v57
	v_fmac_f32_e32 v128, v121, v56
	v_add_f32_e32 v123, v123, v128
	ds_read2_b64 v[128:131], v122 offset0:87 offset1:88
	s_waitcnt vmcnt(2) lgkmcnt(1)
	v_mul_f32_e32 v132, v124, v63
	v_fmac_f32_e32 v132, v125, v62
	v_add_f32_e32 v147, v123, v132
	scratch_load_dwordx4 v[132:135], off, off offset:328
	scratch_load_dwordx4 v[136:139], off, off offset:344
	;; [unrolled: 1-line block ×3, first 2 shown]
	scratch_load_dwordx2 v[152:153], off, off offset:376
	v_mul_f32_e32 v3, v67, v3
	v_fma_f32 v2, v66, v2, -v3
	v_mul_f32_e32 v3, v69, v5
	v_add_f32_e32 v2, 0, v2
	v_fma_f32 v3, v68, v4, -v3
	v_add_f32_e32 v2, v2, v3
	v_mul_f32_e32 v3, v71, v7
	v_fma_f32 v3, v70, v6, -v3
	v_add_f32_e32 v2, v2, v3
	v_mul_f32_e32 v3, v73, v9
	;; [unrolled: 3-line block ×28, first 2 shown]
	v_mul_f32_e32 v149, v126, v65
	v_fma_f32 v148, v126, v64, -v2
	s_waitcnt vmcnt(5) lgkmcnt(0)
	v_mul_f32_e32 v2, v129, v59
	v_mov_b32_e32 v18, v61
	v_fmac_f32_e32 v149, v127, v64
	v_mul_f32_e32 v151, v128, v59
	v_fma_f32 v150, v128, v58, -v2
	ds_read2_b64 v[2:5], v122 offset0:89 offset1:90
	ds_read2_b64 v[6:9], v122 offset0:91 offset1:92
	;; [unrolled: 1-line block ×3, first 2 shown]
	ds_read_b64 v[14:15], v122 offset:760
	v_pk_mul_f32 v[18:19], v[130:131], v[18:19] op_sel:[1,0] op_sel_hi:[0,0]
	v_fmac_f32_e32 v151, v129, v58
	v_pk_add_f32 v[16:17], v[146:147], v[148:149]
	v_pk_fma_f32 v[20:21], v[130:131], v[60:61], v[18:19] neg_lo:[0,0,1] neg_hi:[0,0,1]
	v_pk_fma_f32 v[18:19], v[130:131], v[60:61], v[18:19] op_sel_hi:[1,0,1]
	v_pk_add_f32 v[16:17], v[16:17], v[150:151]
	v_mov_b32_e32 v21, v19
	s_waitcnt vmcnt(3) lgkmcnt(3)
	v_pk_mul_f32 v[18:19], v[2:3], v[132:133] op_sel:[1,1] op_sel_hi:[0,1]
	v_pk_add_f32 v[16:17], v[16:17], v[20:21]
	v_pk_fma_f32 v[20:21], v[2:3], v[132:133], v[18:19] neg_lo:[0,0,1] neg_hi:[0,0,1]
	v_pk_fma_f32 v[2:3], v[2:3], v[132:133], v[18:19] op_sel_hi:[1,0,1]
	s_nop 0
	v_mov_b32_e32 v21, v3
	v_pk_add_f32 v[2:3], v[16:17], v[20:21]
	v_mov_b32_e32 v16, v135
	v_pk_mul_f32 v[16:17], v[4:5], v[16:17] op_sel:[1,0] op_sel_hi:[0,0]
	v_pk_fma_f32 v[18:19], v[4:5], v[134:135], v[16:17] neg_lo:[0,0,1] neg_hi:[0,0,1]
	v_pk_fma_f32 v[4:5], v[4:5], v[134:135], v[16:17] op_sel_hi:[1,0,1]
	s_nop 0
	v_mov_b32_e32 v19, v5
	s_waitcnt vmcnt(2) lgkmcnt(2)
	v_pk_mul_f32 v[4:5], v[6:7], v[136:137] op_sel:[1,1] op_sel_hi:[0,1]
	v_pk_fma_f32 v[16:17], v[6:7], v[136:137], v[4:5] neg_lo:[0,0,1] neg_hi:[0,0,1]
	v_pk_fma_f32 v[4:5], v[6:7], v[136:137], v[4:5] op_sel_hi:[1,0,1]
	v_pk_add_f32 v[2:3], v[2:3], v[18:19]
	v_mov_b32_e32 v4, v139
	v_mov_b32_e32 v17, v5
	v_pk_mul_f32 v[4:5], v[8:9], v[4:5] op_sel:[1,0] op_sel_hi:[0,0]
	v_pk_fma_f32 v[6:7], v[8:9], v[138:139], v[4:5] neg_lo:[0,0,1] neg_hi:[0,0,1]
	v_pk_fma_f32 v[4:5], v[8:9], v[138:139], v[4:5] op_sel_hi:[1,0,1]
	v_pk_add_f32 v[2:3], v[2:3], v[16:17]
	v_mov_b32_e32 v7, v5
	s_waitcnt vmcnt(1) lgkmcnt(1)
	v_pk_mul_f32 v[4:5], v[10:11], v[140:141] op_sel:[1,1] op_sel_hi:[0,1]
	v_pk_add_f32 v[2:3], v[2:3], v[6:7]
	v_pk_fma_f32 v[6:7], v[10:11], v[140:141], v[4:5] neg_lo:[0,0,1] neg_hi:[0,0,1]
	v_pk_fma_f32 v[4:5], v[10:11], v[140:141], v[4:5] op_sel_hi:[1,0,1]
	s_nop 0
	v_mov_b32_e32 v4, v143
	v_mov_b32_e32 v7, v5
	v_pk_mul_f32 v[4:5], v[12:13], v[4:5] op_sel:[1,0] op_sel_hi:[0,0]
	v_pk_add_f32 v[2:3], v[2:3], v[6:7]
	v_pk_fma_f32 v[6:7], v[12:13], v[142:143], v[4:5] neg_lo:[0,0,1] neg_hi:[0,0,1]
	v_pk_fma_f32 v[4:5], v[12:13], v[142:143], v[4:5] op_sel_hi:[1,0,1]
	s_nop 0
	v_mov_b32_e32 v7, v5
	s_waitcnt vmcnt(0) lgkmcnt(0)
	v_pk_mul_f32 v[4:5], v[14:15], v[152:153] op_sel:[1,1] op_sel_hi:[0,1]
	v_pk_add_f32 v[2:3], v[2:3], v[6:7]
	v_pk_fma_f32 v[6:7], v[14:15], v[152:153], v[4:5] neg_lo:[0,0,1] neg_hi:[0,0,1]
	v_pk_fma_f32 v[4:5], v[14:15], v[152:153], v[4:5] op_sel_hi:[1,0,1]
	s_nop 0
	v_mov_b32_e32 v7, v5
	v_pk_add_f32 v[2:3], v[2:3], v[6:7]
	s_nop 0
	v_pk_add_f32 v[2:3], v[144:145], v[2:3] neg_lo:[0,1] neg_hi:[0,1]
	scratch_store_dwordx2 off, v[2:3], off offset:64
	s_and_saveexec_b64 s[0:1], vcc
	s_cbranch_execz .LBB111_287
; %bb.286:
	scratch_load_dwordx2 v[2:3], off, off offset:56
	v_mov_b32_e32 v123, v122
	scratch_store_dwordx2 off, v[122:123], off offset:56
	s_waitcnt vmcnt(1)
	ds_write_b64 v1, v[2:3]
.LBB111_287:
	s_or_b64 exec, exec, s[0:1]
	s_waitcnt lgkmcnt(0)
	; wave barrier
	scratch_load_dwordx4 v[2:5], off, off offset:64
	scratch_load_dwordx4 v[6:9], off, off offset:80
	;; [unrolled: 1-line block ×13, first 2 shown]
	ds_read_b128 v[118:121], v122 offset:448
	ds_read_b128 v[114:117], v122 offset:464
	;; [unrolled: 1-line block ×14, first 2 shown]
	scratch_load_dwordx4 v[62:65], off, off offset:272
	scratch_load_dwordx4 v[70:73], off, off offset:288
	;; [unrolled: 1-line block ×3, first 2 shown]
	scratch_load_dwordx2 v[148:149], off, off offset:56
	v_cmp_lt_u32_e32 vcc, 6, v0
	s_waitcnt vmcnt(16) lgkmcnt(13)
	v_mul_f32_e32 v123, v118, v3
	v_mul_f32_e32 v124, v120, v5
	v_fmac_f32_e32 v123, v119, v2
	s_waitcnt vmcnt(15) lgkmcnt(12)
	v_mul_f32_e32 v125, v114, v7
	v_fmac_f32_e32 v124, v121, v4
	v_add_f32_e32 v123, 0, v123
	v_mul_f32_e32 v126, v116, v9
	v_fmac_f32_e32 v125, v115, v6
	v_add_f32_e32 v123, v123, v124
	s_waitcnt vmcnt(14) lgkmcnt(11)
	v_mul_f32_e32 v127, v110, v11
	v_fmac_f32_e32 v126, v117, v8
	v_add_f32_e32 v123, v123, v125
	v_mul_f32_e32 v128, v112, v13
	v_fmac_f32_e32 v127, v111, v10
	v_add_f32_e32 v123, v123, v126
	;; [unrolled: 7-line block ×11, first 2 shown]
	s_waitcnt vmcnt(4) lgkmcnt(1)
	v_mul_f32_e32 v147, v54, v51
	v_fmac_f32_e32 v146, v69, v48
	v_add_f32_e32 v123, v123, v145
	v_add_f32_e32 v123, v123, v146
	v_fmac_f32_e32 v147, v55, v50
	v_mul_f32_e32 v124, v56, v53
	v_add_f32_e32 v123, v123, v147
	v_fmac_f32_e32 v124, v57, v52
	v_add_f32_e32 v123, v123, v124
	s_waitcnt vmcnt(3) lgkmcnt(0)
	v_mul_f32_e32 v124, v58, v63
	v_fmac_f32_e32 v124, v59, v62
	v_add_f32_e32 v123, v123, v124
	ds_read_b128 v[124:127], v122 offset:672
	v_mul_f32_e32 v128, v60, v65
	v_fmac_f32_e32 v128, v61, v64
	v_add_f32_e32 v123, v123, v128
	ds_read_b128 v[128:131], v122 offset:688
	s_waitcnt vmcnt(2) lgkmcnt(1)
	v_mul_f32_e32 v132, v124, v71
	v_fmac_f32_e32 v132, v125, v70
	v_add_f32_e32 v123, v123, v132
	v_mul_f32_e32 v132, v126, v73
	v_fmac_f32_e32 v132, v127, v72
	v_add_f32_e32 v151, v123, v132
	scratch_load_dwordx4 v[132:135], off, off offset:320
	scratch_load_dwordx4 v[136:139], off, off offset:336
	;; [unrolled: 1-line block ×4, first 2 shown]
	v_mul_f32_e32 v3, v119, v3
	v_fma_f32 v2, v118, v2, -v3
	v_mul_f32_e32 v3, v121, v5
	v_add_f32_e32 v2, 0, v2
	v_fma_f32 v3, v120, v4, -v3
	v_add_f32_e32 v2, v2, v3
	v_mul_f32_e32 v3, v115, v7
	v_fma_f32 v3, v114, v6, -v3
	v_add_f32_e32 v2, v2, v3
	v_mul_f32_e32 v3, v117, v9
	;; [unrolled: 3-line block ×28, first 2 shown]
	v_fma_f32 v3, v126, v72, -v3
	v_add_f32_e32 v150, v2, v3
	s_waitcnt vmcnt(5) lgkmcnt(0)
	v_mul_f32_e32 v2, v129, v79
	v_fma_f32 v152, v128, v78, -v2
	v_mul_f32_e32 v2, v131, v81
	v_fma_f32 v156, v130, v80, -v2
	ds_read_b128 v[2:5], v122 offset:704
	ds_read_b128 v[6:9], v122 offset:720
	;; [unrolled: 1-line block ×4, first 2 shown]
	v_mul_f32_e32 v153, v128, v79
	v_fmac_f32_e32 v153, v129, v78
	v_mul_f32_e32 v157, v130, v81
	s_waitcnt vmcnt(3) lgkmcnt(3)
	v_pk_mul_f32 v[20:21], v[2:3], v[132:133] op_sel:[1,1] op_sel_hi:[0,1]
	v_fmac_f32_e32 v157, v131, v80
	v_pk_add_f32 v[18:19], v[150:151], v[152:153]
	v_pk_fma_f32 v[22:23], v[2:3], v[132:133], v[20:21] neg_lo:[0,0,1] neg_hi:[0,0,1]
	v_pk_fma_f32 v[2:3], v[2:3], v[132:133], v[20:21] op_sel_hi:[1,0,1]
	v_pk_add_f32 v[18:19], v[18:19], v[156:157]
	v_mov_b32_e32 v23, v3
	v_pk_add_f32 v[2:3], v[18:19], v[22:23]
	v_mov_b32_e32 v18, v135
	v_pk_mul_f32 v[18:19], v[4:5], v[18:19] op_sel:[1,0] op_sel_hi:[0,0]
	v_pk_fma_f32 v[20:21], v[4:5], v[134:135], v[18:19] neg_lo:[0,0,1] neg_hi:[0,0,1]
	v_pk_fma_f32 v[4:5], v[4:5], v[134:135], v[18:19] op_sel_hi:[1,0,1]
	s_nop 0
	v_mov_b32_e32 v21, v5
	s_waitcnt vmcnt(2) lgkmcnt(2)
	v_pk_mul_f32 v[4:5], v[6:7], v[136:137] op_sel:[1,1] op_sel_hi:[0,1]
	v_pk_fma_f32 v[18:19], v[6:7], v[136:137], v[4:5] neg_lo:[0,0,1] neg_hi:[0,0,1]
	v_pk_fma_f32 v[4:5], v[6:7], v[136:137], v[4:5] op_sel_hi:[1,0,1]
	v_pk_add_f32 v[2:3], v[2:3], v[20:21]
	v_mov_b32_e32 v4, v139
	v_mov_b32_e32 v19, v5
	v_pk_mul_f32 v[4:5], v[8:9], v[4:5] op_sel:[1,0] op_sel_hi:[0,0]
	v_pk_fma_f32 v[6:7], v[8:9], v[138:139], v[4:5] neg_lo:[0,0,1] neg_hi:[0,0,1]
	v_pk_fma_f32 v[4:5], v[8:9], v[138:139], v[4:5] op_sel_hi:[1,0,1]
	v_pk_add_f32 v[2:3], v[2:3], v[18:19]
	v_mov_b32_e32 v7, v5
	s_waitcnt vmcnt(1) lgkmcnt(1)
	v_pk_mul_f32 v[4:5], v[10:11], v[140:141] op_sel:[1,1] op_sel_hi:[0,1]
	v_pk_add_f32 v[2:3], v[2:3], v[6:7]
	v_pk_fma_f32 v[6:7], v[10:11], v[140:141], v[4:5] neg_lo:[0,0,1] neg_hi:[0,0,1]
	v_pk_fma_f32 v[4:5], v[10:11], v[140:141], v[4:5] op_sel_hi:[1,0,1]
	s_nop 0
	v_mov_b32_e32 v4, v143
	v_mov_b32_e32 v7, v5
	v_pk_mul_f32 v[4:5], v[12:13], v[4:5] op_sel:[1,0] op_sel_hi:[0,0]
	v_pk_add_f32 v[2:3], v[2:3], v[6:7]
	v_pk_fma_f32 v[6:7], v[12:13], v[142:143], v[4:5] neg_lo:[0,0,1] neg_hi:[0,0,1]
	v_pk_fma_f32 v[4:5], v[12:13], v[142:143], v[4:5] op_sel_hi:[1,0,1]
	s_nop 0
	v_mov_b32_e32 v7, v5
	s_waitcnt vmcnt(0) lgkmcnt(0)
	v_pk_mul_f32 v[4:5], v[14:15], v[144:145] op_sel:[1,1] op_sel_hi:[0,1]
	v_pk_add_f32 v[2:3], v[2:3], v[6:7]
	v_pk_fma_f32 v[6:7], v[14:15], v[144:145], v[4:5] neg_lo:[0,0,1] neg_hi:[0,0,1]
	v_pk_fma_f32 v[4:5], v[14:15], v[144:145], v[4:5] op_sel_hi:[1,0,1]
	s_nop 0
	v_mov_b32_e32 v4, v147
	v_mov_b32_e32 v7, v5
	v_pk_mul_f32 v[4:5], v[16:17], v[4:5] op_sel:[1,0] op_sel_hi:[0,0]
	v_pk_add_f32 v[2:3], v[2:3], v[6:7]
	v_pk_fma_f32 v[6:7], v[16:17], v[146:147], v[4:5] neg_lo:[0,0,1] neg_hi:[0,0,1]
	v_pk_fma_f32 v[4:5], v[16:17], v[146:147], v[4:5] op_sel_hi:[1,0,1]
	s_nop 0
	v_mov_b32_e32 v7, v5
	v_pk_add_f32 v[2:3], v[2:3], v[6:7]
	s_nop 0
	v_pk_add_f32 v[2:3], v[148:149], v[2:3] neg_lo:[0,1] neg_hi:[0,1]
	scratch_store_dwordx2 off, v[2:3], off offset:56
	s_and_saveexec_b64 s[0:1], vcc
	s_cbranch_execz .LBB111_289
; %bb.288:
	scratch_load_dwordx2 v[2:3], off, off offset:48
	v_mov_b32_e32 v4, 0
	v_mov_b32_e32 v5, v4
	scratch_store_dwordx2 off, v[4:5], off offset:48
	s_waitcnt vmcnt(1)
	ds_write_b64 v1, v[2:3]
.LBB111_289:
	s_or_b64 exec, exec, s[0:1]
	s_waitcnt lgkmcnt(0)
	; wave barrier
	scratch_load_dwordx4 v[62:65], off, off offset:56
	scratch_load_dwordx4 v[66:69], off, off offset:72
	;; [unrolled: 1-line block ×17, first 2 shown]
	v_mov_b32_e32 v250, 0
	ds_read2_b64 v[114:117], v250 offset0:55 offset1:56
	ds_read2_b64 v[118:121], v250 offset0:57 offset1:58
	;; [unrolled: 1-line block ×13, first 2 shown]
	v_cmp_lt_u32_e32 vcc, 5, v0
	s_waitcnt vmcnt(16) lgkmcnt(12)
	v_mul_f32_e32 v6, v114, v63
	v_mul_f32_e32 v7, v116, v65
	v_fmac_f32_e32 v6, v115, v62
	s_waitcnt vmcnt(15) lgkmcnt(11)
	v_mul_f32_e32 v8, v118, v67
	v_fmac_f32_e32 v7, v117, v64
	v_add_f32_e32 v6, 0, v6
	v_mul_f32_e32 v9, v120, v69
	v_fmac_f32_e32 v8, v119, v66
	v_add_f32_e32 v6, v6, v7
	s_waitcnt vmcnt(14) lgkmcnt(10)
	v_mul_f32_e32 v10, v122, v71
	v_fmac_f32_e32 v9, v121, v68
	v_add_f32_e32 v6, v6, v8
	v_mul_f32_e32 v11, v124, v73
	v_fmac_f32_e32 v10, v123, v70
	v_add_f32_e32 v6, v6, v9
	;; [unrolled: 7-line block ×10, first 2 shown]
	s_waitcnt vmcnt(5) lgkmcnt(1)
	v_mul_f32_e32 v56, v46, v23
	v_fmac_f32_e32 v55, v255, v104
	v_add_f32_e32 v6, v6, v54
	ds_read2_b64 v[50:53], v250 offset0:81 offset1:82
	v_mul_f32_e32 v57, v48, v25
	v_fmac_f32_e32 v56, v47, v22
	v_add_f32_e32 v6, v6, v55
	s_waitcnt vmcnt(4) lgkmcnt(1)
	v_mul_f32_e32 v58, v42, v27
	v_fmac_f32_e32 v57, v49, v24
	v_add_f32_e32 v6, v6, v56
	v_add_f32_e32 v6, v6, v57
	v_fmac_f32_e32 v58, v43, v26
	v_mul_f32_e32 v7, v44, v29
	v_add_f32_e32 v6, v6, v58
	v_fmac_f32_e32 v7, v45, v28
	ds_read2_b64 v[54:57], v250 offset0:83 offset1:84
	v_add_f32_e32 v6, v6, v7
	s_waitcnt vmcnt(3) lgkmcnt(1)
	v_mul_f32_e32 v7, v50, v31
	v_fmac_f32_e32 v7, v51, v30
	v_add_f32_e32 v6, v6, v7
	v_mul_f32_e32 v7, v52, v33
	v_fmac_f32_e32 v7, v53, v32
	ds_read2_b64 v[58:61], v250 offset0:85 offset1:86
	ds_read2_b64 v[18:21], v250 offset0:87 offset1:88
	v_add_f32_e32 v6, v6, v7
	s_waitcnt vmcnt(2) lgkmcnt(2)
	v_mul_f32_e32 v7, v54, v35
	v_fmac_f32_e32 v7, v55, v34
	v_add_f32_e32 v6, v6, v7
	v_mul_f32_e32 v7, v56, v37
	v_fmac_f32_e32 v7, v57, v36
	v_add_f32_e32 v6, v6, v7
	s_waitcnt vmcnt(1) lgkmcnt(1)
	v_mul_f32_e32 v7, v58, v39
	v_fmac_f32_e32 v7, v59, v38
	v_add_f32_e32 v109, v6, v7
	scratch_load_dwordx4 v[14:17], off, off offset:328
	scratch_load_dwordx4 v[10:13], off, off offset:344
	;; [unrolled: 1-line block ×3, first 2 shown]
	scratch_load_dwordx2 v[106:107], off, off offset:376
	v_mul_f32_e32 v63, v115, v63
	v_mul_f32_e32 v23, v47, v23
	v_fma_f32 v62, v114, v62, -v63
	v_mul_f32_e32 v63, v117, v65
	v_fma_f32 v46, v46, v22, -v23
	scratch_load_dwordx2 v[22:23], off, off offset:48
	v_add_f32_e32 v62, 0, v62
	v_fma_f32 v63, v116, v64, -v63
	v_add_f32_e32 v62, v62, v63
	v_mul_f32_e32 v63, v119, v67
	v_fma_f32 v63, v118, v66, -v63
	v_add_f32_e32 v62, v62, v63
	v_mul_f32_e32 v63, v121, v69
	;; [unrolled: 3-line block ×21, first 2 shown]
	v_add_f32_e32 v46, v62, v46
	v_fma_f32 v24, v48, v24, -v25
	v_mul_f32_e32 v25, v43, v27
	v_add_f32_e32 v24, v46, v24
	v_fma_f32 v25, v42, v26, -v25
	v_add_f32_e32 v24, v24, v25
	v_mul_f32_e32 v25, v45, v29
	v_fma_f32 v25, v44, v28, -v25
	v_add_f32_e32 v24, v24, v25
	v_mul_f32_e32 v25, v51, v31
	;; [unrolled: 3-line block ×6, first 2 shown]
	v_fma_f32 v25, v58, v38, -v25
	v_mul_f32_e32 v111, v60, v41
	v_add_f32_e32 v108, v24, v25
	v_mul_f32_e32 v24, v61, v41
	s_waitcnt vmcnt(5)
	v_mov_b32_e32 v36, v5
	v_fmac_f32_e32 v111, v61, v40
	s_waitcnt lgkmcnt(0)
	v_mul_f32_e32 v113, v18, v3
	v_fma_f32 v110, v60, v40, -v24
	v_mul_f32_e32 v3, v19, v3
	v_pk_mul_f32 v[36:37], v[20:21], v[36:37] op_sel:[1,0] op_sel_hi:[0,0]
	v_fmac_f32_e32 v113, v19, v2
	v_fma_f32 v112, v18, v2, -v3
	ds_read2_b64 v[24:27], v250 offset0:89 offset1:90
	ds_read2_b64 v[28:31], v250 offset0:91 offset1:92
	;; [unrolled: 1-line block ×3, first 2 shown]
	ds_read_b64 v[2:3], v250 offset:760
	v_pk_add_f32 v[18:19], v[108:109], v[110:111]
	v_pk_fma_f32 v[38:39], v[20:21], v[4:5], v[36:37] neg_lo:[0,0,1] neg_hi:[0,0,1]
	v_pk_fma_f32 v[4:5], v[20:21], v[4:5], v[36:37] op_sel_hi:[1,0,1]
	v_pk_add_f32 v[18:19], v[18:19], v[112:113]
	v_mov_b32_e32 v39, v5
	v_pk_add_f32 v[4:5], v[18:19], v[38:39]
	s_waitcnt vmcnt(4) lgkmcnt(3)
	v_pk_mul_f32 v[18:19], v[24:25], v[14:15] op_sel:[1,1] op_sel_hi:[0,1]
	v_pk_fma_f32 v[20:21], v[24:25], v[14:15], v[18:19] neg_lo:[0,0,1] neg_hi:[0,0,1]
	v_pk_fma_f32 v[14:15], v[24:25], v[14:15], v[18:19] op_sel_hi:[1,0,1]
	s_nop 0
	v_mov_b32_e32 v14, v17
	v_mov_b32_e32 v21, v15
	v_pk_mul_f32 v[14:15], v[26:27], v[14:15] op_sel:[1,0] op_sel_hi:[0,0]
	v_pk_fma_f32 v[18:19], v[26:27], v[16:17], v[14:15] neg_lo:[0,0,1] neg_hi:[0,0,1]
	v_pk_fma_f32 v[14:15], v[26:27], v[16:17], v[14:15] op_sel_hi:[1,0,1]
	v_pk_add_f32 v[4:5], v[4:5], v[20:21]
	v_mov_b32_e32 v19, v15
	s_waitcnt vmcnt(3) lgkmcnt(2)
	v_pk_mul_f32 v[14:15], v[28:29], v[10:11] op_sel:[1,1] op_sel_hi:[0,1]
	v_pk_fma_f32 v[16:17], v[28:29], v[10:11], v[14:15] neg_lo:[0,0,1] neg_hi:[0,0,1]
	v_pk_fma_f32 v[10:11], v[28:29], v[10:11], v[14:15] op_sel_hi:[1,0,1]
	v_pk_add_f32 v[4:5], v[4:5], v[18:19]
	v_mov_b32_e32 v10, v13
	v_mov_b32_e32 v17, v11
	v_pk_mul_f32 v[10:11], v[30:31], v[10:11] op_sel:[1,0] op_sel_hi:[0,0]
	v_pk_fma_f32 v[14:15], v[30:31], v[12:13], v[10:11] neg_lo:[0,0,1] neg_hi:[0,0,1]
	v_pk_fma_f32 v[10:11], v[30:31], v[12:13], v[10:11] op_sel_hi:[1,0,1]
	v_pk_add_f32 v[4:5], v[4:5], v[16:17]
	v_mov_b32_e32 v15, v11
	s_waitcnt vmcnt(2) lgkmcnt(1)
	v_pk_mul_f32 v[10:11], v[32:33], v[6:7] op_sel:[1,1] op_sel_hi:[0,1]
	v_pk_fma_f32 v[12:13], v[32:33], v[6:7], v[10:11] neg_lo:[0,0,1] neg_hi:[0,0,1]
	v_pk_fma_f32 v[6:7], v[32:33], v[6:7], v[10:11] op_sel_hi:[1,0,1]
	v_pk_add_f32 v[4:5], v[4:5], v[14:15]
	;; [unrolled: 12-line block ×3, first 2 shown]
	v_mov_b32_e32 v9, v3
	v_pk_add_f32 v[2:3], v[4:5], v[8:9]
	s_waitcnt vmcnt(0)
	v_pk_add_f32 v[2:3], v[22:23], v[2:3] neg_lo:[0,1] neg_hi:[0,1]
	scratch_store_dwordx2 off, v[2:3], off offset:48
	s_and_saveexec_b64 s[0:1], vcc
	s_cbranch_execz .LBB111_291
; %bb.290:
	scratch_load_dwordx2 v[2:3], off, off offset:40
	v_mov_b32_e32 v251, v250
	scratch_store_dwordx2 off, v[250:251], off offset:40
	s_waitcnt vmcnt(1)
	ds_write_b64 v1, v[2:3]
.LBB111_291:
	s_or_b64 exec, exec, s[0:1]
	s_waitcnt lgkmcnt(0)
	; wave barrier
	scratch_load_dwordx4 v[58:61], off, off offset:48
	scratch_load_dwordx4 v[62:65], off, off offset:64
	;; [unrolled: 1-line block ×13, first 2 shown]
	ds_read_b128 v[150:153], v250 offset:432
	ds_read_b128 v[146:149], v250 offset:448
	;; [unrolled: 1-line block ×13, first 2 shown]
	scratch_load_dwordx4 v[26:29], off, off offset:256
	scratch_load_dwordx4 v[30:33], off, off offset:272
	;; [unrolled: 1-line block ×4, first 2 shown]
	v_cmp_lt_u32_e32 vcc, 4, v0
	ds_read_b128 v[54:57], v250 offset:688
	s_waitcnt vmcnt(16) lgkmcnt(13)
	v_mul_f32_e32 v2, v150, v59
	v_mul_f32_e32 v3, v152, v61
	v_fmac_f32_e32 v2, v151, v58
	s_waitcnt vmcnt(15) lgkmcnt(12)
	v_mul_f32_e32 v4, v146, v63
	v_fmac_f32_e32 v3, v153, v60
	v_add_f32_e32 v2, 0, v2
	v_mul_f32_e32 v5, v148, v65
	v_fmac_f32_e32 v4, v147, v62
	v_add_f32_e32 v2, v2, v3
	s_waitcnt vmcnt(14) lgkmcnt(11)
	v_mul_f32_e32 v6, v142, v67
	v_fmac_f32_e32 v5, v149, v64
	v_add_f32_e32 v2, v2, v4
	v_mul_f32_e32 v7, v144, v69
	v_fmac_f32_e32 v6, v143, v66
	v_add_f32_e32 v2, v2, v5
	;; [unrolled: 7-line block ×6, first 2 shown]
	s_waitcnt vmcnt(9) lgkmcnt(6)
	v_mul_f32_e32 v16, v122, v87
	v_fmac_f32_e32 v15, v129, v84
	v_add_f32_e32 v2, v2, v14
	v_mul_f32_e32 v59, v151, v59
	v_mul_f32_e32 v17, v124, v89
	v_fmac_f32_e32 v16, v123, v86
	v_add_f32_e32 v2, v2, v15
	v_fma_f32 v58, v150, v58, -v59
	v_mul_f32_e32 v59, v153, v61
	s_waitcnt vmcnt(8) lgkmcnt(5)
	v_mul_f32_e32 v42, v118, v91
	v_fmac_f32_e32 v17, v125, v88
	v_add_f32_e32 v2, v2, v16
	v_add_f32_e32 v58, 0, v58
	v_fma_f32 v59, v152, v60, -v59
	v_mul_f32_e32 v43, v120, v93
	v_fmac_f32_e32 v42, v119, v90
	v_add_f32_e32 v2, v2, v17
	v_add_f32_e32 v58, v58, v59
	v_mul_f32_e32 v59, v147, v63
	s_waitcnt vmcnt(7) lgkmcnt(4)
	v_mul_f32_e32 v44, v114, v95
	v_fmac_f32_e32 v43, v121, v92
	v_add_f32_e32 v2, v2, v42
	v_fma_f32 v59, v146, v62, -v59
	v_mul_f32_e32 v45, v116, v97
	v_fmac_f32_e32 v44, v115, v94
	v_add_f32_e32 v2, v2, v43
	v_add_f32_e32 v58, v58, v59
	v_mul_f32_e32 v59, v149, v65
	s_waitcnt vmcnt(6) lgkmcnt(3)
	v_mul_f32_e32 v46, v110, v99
	v_fmac_f32_e32 v45, v117, v96
	;; [unrolled: 10-line block ×3, first 2 shown]
	v_add_f32_e32 v2, v2, v46
	ds_read_b128 v[42:45], v250 offset:640
	v_fma_f32 v59, v142, v66, -v59
	v_mul_f32_e32 v49, v108, v105
	v_fmac_f32_e32 v48, v107, v102
	v_add_f32_e32 v2, v2, v47
	v_add_f32_e32 v58, v58, v59
	v_mul_f32_e32 v59, v145, v69
	s_waitcnt vmcnt(4) lgkmcnt(2)
	v_mul_f32_e32 v50, v22, v19
	v_fmac_f32_e32 v49, v109, v104
	v_add_f32_e32 v2, v2, v48
	v_fma_f32 v59, v144, v68, -v59
	v_fmac_f32_e32 v50, v23, v18
	v_add_f32_e32 v2, v2, v49
	v_mul_f32_e32 v3, v24, v21
	v_add_f32_e32 v58, v58, v59
	v_mul_f32_e32 v59, v139, v71
	v_add_f32_e32 v2, v2, v50
	v_fmac_f32_e32 v3, v25, v20
	ds_read_b128 v[46:49], v250 offset:656
	v_fma_f32 v59, v138, v70, -v59
	v_add_f32_e32 v2, v2, v3
	s_waitcnt vmcnt(3) lgkmcnt(1)
	v_mul_f32_e32 v3, v42, v27
	v_add_f32_e32 v58, v58, v59
	v_mul_f32_e32 v59, v141, v73
	v_fmac_f32_e32 v3, v43, v26
	v_fma_f32 v59, v140, v72, -v59
	v_add_f32_e32 v2, v2, v3
	v_mul_f32_e32 v3, v44, v29
	v_add_f32_e32 v58, v58, v59
	v_mul_f32_e32 v59, v135, v75
	v_fmac_f32_e32 v3, v45, v28
	ds_read_b128 v[50:53], v250 offset:672
	v_fma_f32 v59, v134, v74, -v59
	v_add_f32_e32 v2, v2, v3
	s_waitcnt vmcnt(2) lgkmcnt(1)
	v_mul_f32_e32 v3, v46, v31
	v_add_f32_e32 v58, v58, v59
	v_mul_f32_e32 v59, v137, v77
	v_fmac_f32_e32 v3, v47, v30
	v_fma_f32 v59, v136, v76, -v59
	v_add_f32_e32 v2, v2, v3
	v_mul_f32_e32 v3, v48, v33
	v_add_f32_e32 v58, v58, v59
	v_mul_f32_e32 v59, v131, v79
	v_fmac_f32_e32 v3, v49, v32
	v_fma_f32 v59, v130, v78, -v59
	v_add_f32_e32 v2, v2, v3
	s_waitcnt vmcnt(1) lgkmcnt(0)
	v_mul_f32_e32 v3, v50, v35
	v_add_f32_e32 v58, v58, v59
	v_mul_f32_e32 v59, v133, v81
	v_fmac_f32_e32 v3, v51, v34
	v_fma_f32 v59, v132, v80, -v59
	v_add_f32_e32 v2, v2, v3
	v_mul_f32_e32 v3, v52, v37
	v_add_f32_e32 v58, v58, v59
	v_mul_f32_e32 v59, v127, v83
	v_fmac_f32_e32 v3, v53, v36
	v_fma_f32 v59, v126, v82, -v59
	v_add_f32_e32 v253, v2, v3
	scratch_load_dwordx4 v[14:17], off, off offset:320
	scratch_load_dwordx4 v[10:13], off, off offset:336
	;; [unrolled: 1-line block ×4, first 2 shown]
	v_add_f32_e32 v58, v58, v59
	v_mul_f32_e32 v59, v129, v85
	v_fma_f32 v59, v128, v84, -v59
	v_add_f32_e32 v58, v58, v59
	v_mul_f32_e32 v59, v123, v87
	v_fma_f32 v59, v122, v86, -v59
	;; [unrolled: 3-line block ×11, first 2 shown]
	scratch_load_dwordx2 v[58:59], off, off offset:40
	v_mul_f32_e32 v19, v23, v19
	v_add_f32_e32 v60, v60, v61
	v_fma_f32 v18, v22, v18, -v19
	v_mul_f32_e32 v19, v25, v21
	v_add_f32_e32 v18, v60, v18
	v_fma_f32 v19, v24, v20, -v19
	v_add_f32_e32 v18, v18, v19
	v_mul_f32_e32 v19, v43, v27
	v_fma_f32 v19, v42, v26, -v19
	v_add_f32_e32 v18, v18, v19
	v_mul_f32_e32 v19, v45, v29
	;; [unrolled: 3-line block ×6, first 2 shown]
	v_fma_f32 v19, v52, v36, -v19
	v_add_f32_e32 v252, v18, v19
	s_waitcnt vmcnt(5)
	v_mul_f32_e32 v18, v55, v39
	v_fma_f32 v254, v54, v38, -v18
	v_mul_f32_e32 v18, v57, v41
	v_fma_f32 v156, v56, v40, -v18
	ds_read_b128 v[18:21], v250 offset:704
	ds_read_b128 v[22:25], v250 offset:720
	;; [unrolled: 1-line block ×4, first 2 shown]
	v_mul_f32_e32 v255, v54, v39
	v_fmac_f32_e32 v255, v55, v38
	v_mul_f32_e32 v157, v56, v41
	v_fmac_f32_e32 v157, v57, v40
	v_pk_add_f32 v[34:35], v[252:253], v[254:255]
	s_waitcnt vmcnt(4) lgkmcnt(3)
	v_pk_mul_f32 v[36:37], v[18:19], v[14:15] op_sel:[1,1] op_sel_hi:[0,1]
	v_pk_fma_f32 v[38:39], v[18:19], v[14:15], v[36:37] neg_lo:[0,0,1] neg_hi:[0,0,1]
	v_pk_fma_f32 v[14:15], v[18:19], v[14:15], v[36:37] op_sel_hi:[1,0,1]
	v_mov_b32_e32 v18, v17
	v_pk_add_f32 v[34:35], v[34:35], v[156:157]
	v_mov_b32_e32 v39, v15
	v_pk_mul_f32 v[18:19], v[20:21], v[18:19] op_sel:[1,0] op_sel_hi:[0,0]
	v_pk_add_f32 v[14:15], v[34:35], v[38:39]
	v_pk_fma_f32 v[34:35], v[20:21], v[16:17], v[18:19] neg_lo:[0,0,1] neg_hi:[0,0,1]
	v_pk_fma_f32 v[16:17], v[20:21], v[16:17], v[18:19] op_sel_hi:[1,0,1]
	s_nop 0
	v_mov_b32_e32 v35, v17
	s_waitcnt vmcnt(3) lgkmcnt(2)
	v_pk_mul_f32 v[16:17], v[22:23], v[10:11] op_sel:[1,1] op_sel_hi:[0,1]
	v_pk_fma_f32 v[18:19], v[22:23], v[10:11], v[16:17] neg_lo:[0,0,1] neg_hi:[0,0,1]
	v_pk_fma_f32 v[10:11], v[22:23], v[10:11], v[16:17] op_sel_hi:[1,0,1]
	v_pk_add_f32 v[14:15], v[14:15], v[34:35]
	v_mov_b32_e32 v19, v11
	v_pk_add_f32 v[10:11], v[14:15], v[18:19]
	v_mov_b32_e32 v14, v13
	v_pk_mul_f32 v[14:15], v[24:25], v[14:15] op_sel:[1,0] op_sel_hi:[0,0]
	v_pk_fma_f32 v[16:17], v[24:25], v[12:13], v[14:15] neg_lo:[0,0,1] neg_hi:[0,0,1]
	v_pk_fma_f32 v[12:13], v[24:25], v[12:13], v[14:15] op_sel_hi:[1,0,1]
	s_nop 0
	v_mov_b32_e32 v17, v13
	s_waitcnt vmcnt(2) lgkmcnt(1)
	v_pk_mul_f32 v[12:13], v[26:27], v[6:7] op_sel:[1,1] op_sel_hi:[0,1]
	v_pk_fma_f32 v[14:15], v[26:27], v[6:7], v[12:13] neg_lo:[0,0,1] neg_hi:[0,0,1]
	v_pk_fma_f32 v[6:7], v[26:27], v[6:7], v[12:13] op_sel_hi:[1,0,1]
	v_pk_add_f32 v[10:11], v[10:11], v[16:17]
	v_mov_b32_e32 v15, v7
	v_pk_add_f32 v[6:7], v[10:11], v[14:15]
	v_mov_b32_e32 v10, v9
	v_pk_mul_f32 v[10:11], v[28:29], v[10:11] op_sel:[1,0] op_sel_hi:[0,0]
	;; [unrolled: 13-line block ×3, first 2 shown]
	v_pk_fma_f32 v[8:9], v[32:33], v[4:5], v[6:7] neg_lo:[0,0,1] neg_hi:[0,0,1]
	v_pk_fma_f32 v[4:5], v[32:33], v[4:5], v[6:7] op_sel_hi:[1,0,1]
	s_nop 0
	v_mov_b32_e32 v9, v5
	v_pk_add_f32 v[2:3], v[2:3], v[8:9]
	s_waitcnt vmcnt(0)
	v_pk_add_f32 v[2:3], v[58:59], v[2:3] neg_lo:[0,1] neg_hi:[0,1]
	scratch_store_dwordx2 off, v[2:3], off offset:40
	s_and_saveexec_b64 s[0:1], vcc
	s_cbranch_execz .LBB111_293
; %bb.292:
	scratch_load_dwordx2 v[2:3], off, off offset:32
	v_mov_b32_e32 v4, 0
	v_mov_b32_e32 v5, v4
	scratch_store_dwordx2 off, v[4:5], off offset:32
	s_waitcnt vmcnt(1)
	ds_write_b64 v1, v[2:3]
.LBB111_293:
	s_or_b64 exec, exec, s[0:1]
	s_waitcnt lgkmcnt(0)
	; wave barrier
	scratch_load_dwordx4 v[6:9], off, off offset:40
	scratch_load_dwordx4 v[14:17], off, off offset:56
	;; [unrolled: 1-line block ×10, first 2 shown]
	v_mov_b32_e32 v102, 0
	ds_read2_b64 v[2:5], v102 offset0:53 offset1:54
	scratch_load_dwordx4 v[86:89], off, off offset:200
	scratch_load_dwordx4 v[94:97], off, off offset:216
	;; [unrolled: 1-line block ×8, first 2 shown]
	v_cmp_lt_u32_e32 vcc, 3, v0
	s_waitcnt vmcnt(17) lgkmcnt(0)
	v_mul_f32_e32 v10, v2, v7
	v_fmac_f32_e32 v10, v3, v6
	v_mul_f32_e32 v11, v4, v9
	v_add_f32_e32 v10, 0, v10
	v_fmac_f32_e32 v11, v5, v8
	v_add_f32_e32 v18, v10, v11
	ds_read2_b64 v[10:13], v102 offset0:55 offset1:56
	v_mul_f32_e32 v3, v3, v7
	v_fma_f32 v2, v2, v6, -v3
	v_mul_f32_e32 v3, v5, v9
	v_add_f32_e32 v2, 0, v2
	s_waitcnt vmcnt(16) lgkmcnt(0)
	v_mul_f32_e32 v19, v10, v15
	v_fmac_f32_e32 v19, v11, v14
	v_add_f32_e32 v18, v18, v19
	v_mul_f32_e32 v19, v12, v17
	v_fmac_f32_e32 v19, v13, v16
	v_add_f32_e32 v26, v18, v19
	ds_read2_b64 v[18:21], v102 offset0:57 offset1:58
	v_fma_f32 v3, v4, v8, -v3
	v_add_f32_e32 v2, v2, v3
	v_mul_f32_e32 v3, v11, v15
	v_fma_f32 v3, v10, v14, -v3
	s_waitcnt vmcnt(15) lgkmcnt(0)
	v_mul_f32_e32 v27, v18, v23
	v_fmac_f32_e32 v27, v19, v22
	v_add_f32_e32 v26, v26, v27
	v_mul_f32_e32 v27, v20, v25
	v_fmac_f32_e32 v27, v21, v24
	v_add_f32_e32 v34, v26, v27
	ds_read2_b64 v[26:29], v102 offset0:59 offset1:60
	v_add_f32_e32 v2, v2, v3
	v_mul_f32_e32 v3, v13, v17
	v_fma_f32 v3, v12, v16, -v3
	v_add_f32_e32 v2, v2, v3
	s_waitcnt vmcnt(14) lgkmcnt(0)
	v_mul_f32_e32 v35, v26, v31
	v_fmac_f32_e32 v35, v27, v30
	v_add_f32_e32 v34, v34, v35
	v_mul_f32_e32 v35, v28, v33
	v_fmac_f32_e32 v35, v29, v32
	v_add_f32_e32 v42, v34, v35
	ds_read2_b64 v[34:37], v102 offset0:61 offset1:62
	v_mul_f32_e32 v3, v19, v23
	v_fma_f32 v3, v18, v22, -v3
	v_add_f32_e32 v2, v2, v3
	v_mul_f32_e32 v3, v21, v25
	s_waitcnt vmcnt(13) lgkmcnt(0)
	v_mul_f32_e32 v43, v34, v39
	v_fmac_f32_e32 v43, v35, v38
	v_add_f32_e32 v42, v42, v43
	v_mul_f32_e32 v43, v36, v41
	v_fmac_f32_e32 v43, v37, v40
	v_add_f32_e32 v50, v42, v43
	ds_read2_b64 v[42:45], v102 offset0:63 offset1:64
	v_fma_f32 v3, v20, v24, -v3
	v_add_f32_e32 v2, v2, v3
	v_mul_f32_e32 v3, v27, v31
	v_fma_f32 v3, v26, v30, -v3
	s_waitcnt vmcnt(12) lgkmcnt(0)
	v_mul_f32_e32 v51, v42, v47
	v_fmac_f32_e32 v51, v43, v46
	v_add_f32_e32 v50, v50, v51
	v_mul_f32_e32 v51, v44, v49
	v_fmac_f32_e32 v51, v45, v48
	v_add_f32_e32 v58, v50, v51
	ds_read2_b64 v[50:53], v102 offset0:65 offset1:66
	v_add_f32_e32 v2, v2, v3
	v_mul_f32_e32 v3, v29, v33
	v_fma_f32 v3, v28, v32, -v3
	v_add_f32_e32 v2, v2, v3
	s_waitcnt vmcnt(11) lgkmcnt(0)
	v_mul_f32_e32 v59, v50, v55
	v_fmac_f32_e32 v59, v51, v54
	v_add_f32_e32 v58, v58, v59
	v_mul_f32_e32 v59, v52, v57
	v_fmac_f32_e32 v59, v53, v56
	v_add_f32_e32 v66, v58, v59
	ds_read2_b64 v[58:61], v102 offset0:67 offset1:68
	v_mul_f32_e32 v3, v35, v39
	v_fma_f32 v3, v34, v38, -v3
	v_add_f32_e32 v2, v2, v3
	v_mul_f32_e32 v3, v37, v41
	;; [unrolled: 36-line block ×5, first 2 shown]
	s_waitcnt vmcnt(1) lgkmcnt(0)
	v_mul_f32_e32 v140, v132, v137
	v_fmac_f32_e32 v140, v133, v136
	v_add_f32_e32 v153, v103, v140
	ds_read2_b64 v[140:143], v102 offset0:87 offset1:88
	scratch_load_dwordx4 v[148:151], off, off offset:328
	scratch_load_dwordx4 v[250:253], off, off offset:344
	;; [unrolled: 1-line block ×3, first 2 shown]
	scratch_load_dwordx2 v[164:165], off, off offset:376
	v_fma_f32 v3, v84, v88, -v3
	v_add_f32_e32 v2, v2, v3
	v_mul_f32_e32 v3, v91, v95
	v_fma_f32 v3, v90, v94, -v3
	v_add_f32_e32 v2, v2, v3
	v_mul_f32_e32 v3, v93, v97
	;; [unrolled: 3-line block ×12, first 2 shown]
	v_mul_f32_e32 v161, v134, v139
	v_fma_f32 v160, v134, v138, -v2
	s_waitcnt vmcnt(4) lgkmcnt(0)
	v_mul_f32_e32 v2, v141, v145
	v_mov_b32_e32 v18, v147
	v_fmac_f32_e32 v161, v135, v138
	v_mul_f32_e32 v163, v140, v145
	v_fma_f32 v162, v140, v144, -v2
	ds_read2_b64 v[2:5], v102 offset0:89 offset1:90
	ds_read2_b64 v[6:9], v102 offset0:91 offset1:92
	;; [unrolled: 1-line block ×3, first 2 shown]
	ds_read_b64 v[14:15], v102 offset:760
	v_pk_mul_f32 v[18:19], v[142:143], v[18:19] op_sel:[1,0] op_sel_hi:[0,0]
	v_fmac_f32_e32 v163, v141, v144
	v_pk_add_f32 v[16:17], v[152:153], v[160:161]
	v_pk_fma_f32 v[20:21], v[142:143], v[146:147], v[18:19] neg_lo:[0,0,1] neg_hi:[0,0,1]
	v_pk_fma_f32 v[18:19], v[142:143], v[146:147], v[18:19] op_sel_hi:[1,0,1]
	v_pk_add_f32 v[16:17], v[16:17], v[162:163]
	v_mov_b32_e32 v21, v19
	v_pk_add_f32 v[16:17], v[16:17], v[20:21]
	s_waitcnt vmcnt(3) lgkmcnt(3)
	v_pk_mul_f32 v[18:19], v[2:3], v[148:149] op_sel:[1,1] op_sel_hi:[0,1]
	v_pk_fma_f32 v[20:21], v[2:3], v[148:149], v[18:19] neg_lo:[0,0,1] neg_hi:[0,0,1]
	v_pk_fma_f32 v[2:3], v[2:3], v[148:149], v[18:19] op_sel_hi:[1,0,1]
	s_nop 0
	v_mov_b32_e32 v21, v3
	v_pk_add_f32 v[2:3], v[16:17], v[20:21]
	v_mov_b32_e32 v16, v151
	v_pk_mul_f32 v[16:17], v[4:5], v[16:17] op_sel:[1,0] op_sel_hi:[0,0]
	v_pk_fma_f32 v[18:19], v[4:5], v[150:151], v[16:17] neg_lo:[0,0,1] neg_hi:[0,0,1]
	v_pk_fma_f32 v[4:5], v[4:5], v[150:151], v[16:17] op_sel_hi:[1,0,1]
	s_nop 0
	v_mov_b32_e32 v19, v5
	s_waitcnt vmcnt(2) lgkmcnt(2)
	v_pk_mul_f32 v[4:5], v[6:7], v[250:251] op_sel:[1,1] op_sel_hi:[0,1]
	v_pk_fma_f32 v[16:17], v[6:7], v[250:251], v[4:5] neg_lo:[0,0,1] neg_hi:[0,0,1]
	v_pk_fma_f32 v[4:5], v[6:7], v[250:251], v[4:5] op_sel_hi:[1,0,1]
	v_pk_add_f32 v[2:3], v[2:3], v[18:19]
	v_mov_b32_e32 v4, v253
	v_mov_b32_e32 v17, v5
	v_pk_mul_f32 v[4:5], v[8:9], v[4:5] op_sel:[1,0] op_sel_hi:[0,0]
	v_pk_fma_f32 v[6:7], v[8:9], v[252:253], v[4:5] neg_lo:[0,0,1] neg_hi:[0,0,1]
	v_pk_fma_f32 v[4:5], v[8:9], v[252:253], v[4:5] op_sel_hi:[1,0,1]
	v_pk_add_f32 v[2:3], v[2:3], v[16:17]
	v_mov_b32_e32 v7, v5
	s_waitcnt vmcnt(1) lgkmcnt(1)
	v_pk_mul_f32 v[4:5], v[10:11], v[156:157] op_sel:[1,1] op_sel_hi:[0,1]
	v_pk_add_f32 v[2:3], v[2:3], v[6:7]
	v_pk_fma_f32 v[6:7], v[10:11], v[156:157], v[4:5] neg_lo:[0,0,1] neg_hi:[0,0,1]
	v_pk_fma_f32 v[4:5], v[10:11], v[156:157], v[4:5] op_sel_hi:[1,0,1]
	s_nop 0
	v_mov_b32_e32 v4, v159
	v_mov_b32_e32 v7, v5
	v_pk_mul_f32 v[4:5], v[12:13], v[4:5] op_sel:[1,0] op_sel_hi:[0,0]
	v_pk_add_f32 v[2:3], v[2:3], v[6:7]
	v_pk_fma_f32 v[6:7], v[12:13], v[158:159], v[4:5] neg_lo:[0,0,1] neg_hi:[0,0,1]
	v_pk_fma_f32 v[4:5], v[12:13], v[158:159], v[4:5] op_sel_hi:[1,0,1]
	s_nop 0
	v_mov_b32_e32 v7, v5
	s_waitcnt vmcnt(0) lgkmcnt(0)
	v_pk_mul_f32 v[4:5], v[14:15], v[164:165] op_sel:[1,1] op_sel_hi:[0,1]
	v_pk_add_f32 v[2:3], v[2:3], v[6:7]
	v_pk_fma_f32 v[6:7], v[14:15], v[164:165], v[4:5] neg_lo:[0,0,1] neg_hi:[0,0,1]
	v_pk_fma_f32 v[4:5], v[14:15], v[164:165], v[4:5] op_sel_hi:[1,0,1]
	s_nop 0
	v_mov_b32_e32 v7, v5
	scratch_load_dwordx2 v[4:5], off, off offset:32
	v_pk_add_f32 v[2:3], v[2:3], v[6:7]
	s_waitcnt vmcnt(0)
	v_pk_add_f32 v[2:3], v[4:5], v[2:3] neg_lo:[0,1] neg_hi:[0,1]
	scratch_store_dwordx2 off, v[2:3], off offset:32
	s_and_saveexec_b64 s[0:1], vcc
	s_cbranch_execz .LBB111_295
; %bb.294:
	scratch_load_dwordx2 v[2:3], off, off offset:24
	v_mov_b32_e32 v103, v102
	scratch_store_dwordx2 off, v[102:103], off offset:24
	s_waitcnt vmcnt(1)
	ds_write_b64 v1, v[2:3]
.LBB111_295:
	s_or_b64 exec, exec, s[0:1]
	s_waitcnt lgkmcnt(0)
	; wave barrier
	ds_read_b128 v[14:17], v102 offset:416
	ds_read_b128 v[10:13], v102 offset:432
	;; [unrolled: 1-line block ×4, first 2 shown]
	scratch_load_dwordx4 v[18:21], off, off offset:32
	scratch_load_dwordx4 v[38:41], off, off offset:96
	;; [unrolled: 1-line block ×12, first 2 shown]
	v_cmp_lt_u32_e32 vcc, 2, v0
	scratch_load_dwordx4 v[46:49], off, off offset:112
	scratch_load_dwordx4 v[54:57], off, off offset:128
	;; [unrolled: 1-line block ×3, first 2 shown]
	s_waitcnt vmcnt(14) lgkmcnt(3)
	v_mul_f32_e32 v22, v14, v19
	v_fmac_f32_e32 v22, v15, v18
	v_mul_f32_e32 v23, v16, v21
	v_add_f32_e32 v22, 0, v22
	v_fmac_f32_e32 v23, v17, v20
	v_add_f32_e32 v26, v22, v23
	scratch_load_dwordx4 v[22:25], off, off offset:48
	v_mul_f32_e32 v15, v15, v19
	v_fma_f32 v14, v14, v18, -v15
	v_mul_f32_e32 v15, v17, v21
	v_add_f32_e32 v14, 0, v14
	v_fma_f32 v15, v16, v20, -v15
	v_add_f32_e32 v14, v14, v15
	s_waitcnt vmcnt(0) lgkmcnt(2)
	v_mul_f32_e32 v27, v10, v23
	v_fmac_f32_e32 v27, v11, v22
	v_add_f32_e32 v26, v26, v27
	v_mul_f32_e32 v27, v12, v25
	v_fmac_f32_e32 v27, v13, v24
	v_add_f32_e32 v30, v26, v27
	scratch_load_dwordx4 v[26:29], off, off offset:64
	v_mul_f32_e32 v11, v11, v23
	v_fma_f32 v10, v10, v22, -v11
	v_mul_f32_e32 v11, v13, v25
	v_add_f32_e32 v10, v14, v10
	v_fma_f32 v11, v12, v24, -v11
	v_add_f32_e32 v10, v10, v11
	s_waitcnt vmcnt(0) lgkmcnt(1)
	v_mul_f32_e32 v31, v6, v27
	v_fmac_f32_e32 v31, v7, v26
	v_add_f32_e32 v30, v30, v31
	v_mul_f32_e32 v31, v8, v29
	;; [unrolled: 14-line block ×3, first 2 shown]
	v_fmac_f32_e32 v35, v5, v32
	v_add_f32_e32 v42, v34, v35
	ds_read_b128 v[34:37], v102 offset:480
	v_mul_f32_e32 v3, v3, v31
	v_fma_f32 v2, v2, v30, -v3
	v_mul_f32_e32 v3, v5, v33
	v_add_f32_e32 v2, v6, v2
	s_waitcnt lgkmcnt(0)
	v_mul_f32_e32 v43, v34, v39
	v_fmac_f32_e32 v43, v35, v38
	v_add_f32_e32 v42, v42, v43
	v_mul_f32_e32 v43, v36, v41
	v_fmac_f32_e32 v43, v37, v40
	v_add_f32_e32 v50, v42, v43
	ds_read_b128 v[42:45], v102 offset:496
	v_fma_f32 v3, v4, v32, -v3
	v_add_f32_e32 v2, v2, v3
	v_mul_f32_e32 v3, v35, v39
	v_fma_f32 v3, v34, v38, -v3
	s_waitcnt lgkmcnt(0)
	v_mul_f32_e32 v51, v42, v47
	v_fmac_f32_e32 v51, v43, v46
	v_add_f32_e32 v50, v50, v51
	v_mul_f32_e32 v51, v44, v49
	v_fmac_f32_e32 v51, v45, v48
	v_add_f32_e32 v58, v50, v51
	ds_read_b128 v[50:53], v102 offset:512
	v_add_f32_e32 v2, v2, v3
	v_mul_f32_e32 v3, v37, v41
	v_fma_f32 v3, v36, v40, -v3
	v_add_f32_e32 v2, v2, v3
	s_waitcnt lgkmcnt(0)
	v_mul_f32_e32 v59, v50, v55
	v_fmac_f32_e32 v59, v51, v54
	v_add_f32_e32 v58, v58, v59
	v_mul_f32_e32 v59, v52, v57
	v_fmac_f32_e32 v59, v53, v56
	v_add_f32_e32 v66, v58, v59
	ds_read_b128 v[58:61], v102 offset:528
	v_mul_f32_e32 v3, v43, v47
	v_fma_f32 v3, v42, v46, -v3
	v_add_f32_e32 v2, v2, v3
	v_mul_f32_e32 v3, v45, v49
	s_waitcnt lgkmcnt(0)
	v_mul_f32_e32 v67, v58, v63
	v_fmac_f32_e32 v67, v59, v62
	v_add_f32_e32 v66, v66, v67
	v_mul_f32_e32 v67, v60, v65
	v_fmac_f32_e32 v67, v61, v64
	v_add_f32_e32 v74, v66, v67
	ds_read_b128 v[66:69], v102 offset:544
	v_fma_f32 v3, v44, v48, -v3
	v_add_f32_e32 v2, v2, v3
	v_mul_f32_e32 v3, v51, v55
	v_fma_f32 v3, v50, v54, -v3
	s_waitcnt lgkmcnt(0)
	v_mul_f32_e32 v75, v66, v71
	v_fmac_f32_e32 v75, v67, v70
	v_add_f32_e32 v74, v74, v75
	v_mul_f32_e32 v75, v68, v73
	v_fmac_f32_e32 v75, v69, v72
	v_add_f32_e32 v82, v74, v75
	ds_read_b128 v[74:77], v102 offset:560
	v_add_f32_e32 v2, v2, v3
	v_mul_f32_e32 v3, v53, v57
	v_fma_f32 v3, v52, v56, -v3
	v_add_f32_e32 v2, v2, v3
	s_waitcnt lgkmcnt(0)
	v_mul_f32_e32 v83, v74, v79
	v_fmac_f32_e32 v83, v75, v78
	v_add_f32_e32 v82, v82, v83
	v_mul_f32_e32 v83, v76, v81
	v_fmac_f32_e32 v83, v77, v80
	v_add_f32_e32 v90, v82, v83
	ds_read_b128 v[82:85], v102 offset:576
	v_mul_f32_e32 v3, v59, v63
	v_fma_f32 v3, v58, v62, -v3
	v_add_f32_e32 v2, v2, v3
	v_mul_f32_e32 v3, v61, v65
	;; [unrolled: 36-line block ×4, first 2 shown]
	s_waitcnt lgkmcnt(0)
	v_mul_f32_e32 v140, v132, v137
	v_fmac_f32_e32 v140, v133, v136
	v_add_f32_e32 v103, v103, v140
	v_mul_f32_e32 v140, v134, v139
	v_fmac_f32_e32 v140, v135, v138
	v_add_f32_e32 v153, v103, v140
	ds_read_b128 v[140:143], v102 offset:688
	scratch_load_dwordx4 v[148:151], off, off offset:320
	scratch_load_dwordx4 v[156:159], off, off offset:336
	;; [unrolled: 1-line block ×4, first 2 shown]
	v_fma_f32 v3, v92, v96, -v3
	v_add_f32_e32 v2, v2, v3
	v_mul_f32_e32 v3, v99, v105
	v_fma_f32 v3, v98, v104, -v3
	v_add_f32_e32 v2, v2, v3
	v_mul_f32_e32 v3, v101, v107
	;; [unrolled: 3-line block ×10, first 2 shown]
	v_fma_f32 v3, v134, v138, -v3
	v_add_f32_e32 v152, v2, v3
	s_waitcnt lgkmcnt(0)
	v_mul_f32_e32 v2, v141, v145
	v_fma_f32 v164, v140, v144, -v2
	v_mul_f32_e32 v2, v143, v147
	v_fma_f32 v166, v142, v146, -v2
	ds_read_b128 v[2:5], v102 offset:704
	ds_read_b128 v[6:9], v102 offset:720
	;; [unrolled: 1-line block ×4, first 2 shown]
	v_mul_f32_e32 v165, v140, v145
	v_fmac_f32_e32 v165, v141, v144
	v_mul_f32_e32 v167, v142, v147
	v_fmac_f32_e32 v167, v143, v146
	v_pk_add_f32 v[18:19], v[152:153], v[164:165]
	s_waitcnt vmcnt(3) lgkmcnt(3)
	v_pk_mul_f32 v[20:21], v[2:3], v[148:149] op_sel:[1,1] op_sel_hi:[0,1]
	v_pk_fma_f32 v[22:23], v[2:3], v[148:149], v[20:21] neg_lo:[0,0,1] neg_hi:[0,0,1]
	v_pk_fma_f32 v[2:3], v[2:3], v[148:149], v[20:21] op_sel_hi:[1,0,1]
	v_pk_add_f32 v[18:19], v[18:19], v[166:167]
	v_mov_b32_e32 v23, v3
	v_pk_add_f32 v[2:3], v[18:19], v[22:23]
	v_mov_b32_e32 v18, v151
	v_pk_mul_f32 v[18:19], v[4:5], v[18:19] op_sel:[1,0] op_sel_hi:[0,0]
	v_pk_fma_f32 v[20:21], v[4:5], v[150:151], v[18:19] neg_lo:[0,0,1] neg_hi:[0,0,1]
	v_pk_fma_f32 v[4:5], v[4:5], v[150:151], v[18:19] op_sel_hi:[1,0,1]
	s_nop 0
	v_mov_b32_e32 v21, v5
	s_waitcnt vmcnt(2) lgkmcnt(2)
	v_pk_mul_f32 v[4:5], v[6:7], v[156:157] op_sel:[1,1] op_sel_hi:[0,1]
	v_pk_fma_f32 v[18:19], v[6:7], v[156:157], v[4:5] neg_lo:[0,0,1] neg_hi:[0,0,1]
	v_pk_fma_f32 v[4:5], v[6:7], v[156:157], v[4:5] op_sel_hi:[1,0,1]
	v_pk_add_f32 v[2:3], v[2:3], v[20:21]
	v_mov_b32_e32 v4, v159
	v_mov_b32_e32 v19, v5
	v_pk_mul_f32 v[4:5], v[8:9], v[4:5] op_sel:[1,0] op_sel_hi:[0,0]
	v_pk_fma_f32 v[6:7], v[8:9], v[158:159], v[4:5] neg_lo:[0,0,1] neg_hi:[0,0,1]
	v_pk_fma_f32 v[4:5], v[8:9], v[158:159], v[4:5] op_sel_hi:[1,0,1]
	v_pk_add_f32 v[2:3], v[2:3], v[18:19]
	v_mov_b32_e32 v7, v5
	s_waitcnt vmcnt(1) lgkmcnt(1)
	v_pk_mul_f32 v[4:5], v[10:11], v[250:251] op_sel:[1,1] op_sel_hi:[0,1]
	v_pk_add_f32 v[2:3], v[2:3], v[6:7]
	v_pk_fma_f32 v[6:7], v[10:11], v[250:251], v[4:5] neg_lo:[0,0,1] neg_hi:[0,0,1]
	v_pk_fma_f32 v[4:5], v[10:11], v[250:251], v[4:5] op_sel_hi:[1,0,1]
	s_nop 0
	v_mov_b32_e32 v4, v253
	v_mov_b32_e32 v7, v5
	v_pk_mul_f32 v[4:5], v[12:13], v[4:5] op_sel:[1,0] op_sel_hi:[0,0]
	v_pk_add_f32 v[2:3], v[2:3], v[6:7]
	v_pk_fma_f32 v[6:7], v[12:13], v[252:253], v[4:5] neg_lo:[0,0,1] neg_hi:[0,0,1]
	v_pk_fma_f32 v[4:5], v[12:13], v[252:253], v[4:5] op_sel_hi:[1,0,1]
	s_nop 0
	v_mov_b32_e32 v7, v5
	s_waitcnt vmcnt(0) lgkmcnt(0)
	v_pk_mul_f32 v[4:5], v[14:15], v[160:161] op_sel:[1,1] op_sel_hi:[0,1]
	v_pk_add_f32 v[2:3], v[2:3], v[6:7]
	v_pk_fma_f32 v[6:7], v[14:15], v[160:161], v[4:5] neg_lo:[0,0,1] neg_hi:[0,0,1]
	v_pk_fma_f32 v[4:5], v[14:15], v[160:161], v[4:5] op_sel_hi:[1,0,1]
	s_nop 0
	v_mov_b32_e32 v4, v163
	v_mov_b32_e32 v7, v5
	v_pk_mul_f32 v[4:5], v[16:17], v[4:5] op_sel:[1,0] op_sel_hi:[0,0]
	v_pk_add_f32 v[2:3], v[2:3], v[6:7]
	v_pk_fma_f32 v[6:7], v[16:17], v[162:163], v[4:5] neg_lo:[0,0,1] neg_hi:[0,0,1]
	v_pk_fma_f32 v[4:5], v[16:17], v[162:163], v[4:5] op_sel_hi:[1,0,1]
	s_nop 0
	v_mov_b32_e32 v7, v5
	scratch_load_dwordx2 v[4:5], off, off offset:24
	v_pk_add_f32 v[2:3], v[2:3], v[6:7]
	s_waitcnt vmcnt(0)
	v_pk_add_f32 v[2:3], v[4:5], v[2:3] neg_lo:[0,1] neg_hi:[0,1]
	scratch_store_dwordx2 off, v[2:3], off offset:24
	s_and_saveexec_b64 s[0:1], vcc
	s_cbranch_execz .LBB111_297
; %bb.296:
	scratch_load_dwordx2 v[2:3], off, off offset:16
	v_mov_b32_e32 v4, 0
	v_mov_b32_e32 v5, v4
	scratch_store_dwordx2 off, v[4:5], off offset:16
	s_waitcnt vmcnt(1)
	ds_write_b64 v1, v[2:3]
.LBB111_297:
	s_or_b64 exec, exec, s[0:1]
	s_waitcnt lgkmcnt(0)
	; wave barrier
	scratch_load_dwordx4 v[6:9], off, off offset:24
	scratch_load_dwordx4 v[14:17], off, off offset:40
	;; [unrolled: 1-line block ×10, first 2 shown]
	v_mov_b32_e32 v110, 0
	ds_read2_b64 v[2:5], v110 offset0:51 offset1:52
	scratch_load_dwordx4 v[86:89], off, off offset:184
	scratch_load_dwordx4 v[94:97], off, off offset:200
	;; [unrolled: 1-line block ×9, first 2 shown]
	v_cmp_lt_u32_e32 vcc, 1, v0
	s_waitcnt vmcnt(18) lgkmcnt(0)
	v_mul_f32_e32 v10, v2, v7
	v_fmac_f32_e32 v10, v3, v6
	v_mul_f32_e32 v11, v4, v9
	v_add_f32_e32 v10, 0, v10
	v_fmac_f32_e32 v11, v5, v8
	v_add_f32_e32 v18, v10, v11
	ds_read2_b64 v[10:13], v110 offset0:53 offset1:54
	v_mul_f32_e32 v3, v3, v7
	v_fma_f32 v2, v2, v6, -v3
	v_mul_f32_e32 v3, v5, v9
	v_add_f32_e32 v2, 0, v2
	s_waitcnt vmcnt(17) lgkmcnt(0)
	v_mul_f32_e32 v19, v10, v15
	v_fmac_f32_e32 v19, v11, v14
	v_add_f32_e32 v18, v18, v19
	v_mul_f32_e32 v19, v12, v17
	v_fmac_f32_e32 v19, v13, v16
	v_add_f32_e32 v26, v18, v19
	ds_read2_b64 v[18:21], v110 offset0:55 offset1:56
	v_fma_f32 v3, v4, v8, -v3
	v_add_f32_e32 v2, v2, v3
	v_mul_f32_e32 v3, v11, v15
	v_fma_f32 v3, v10, v14, -v3
	s_waitcnt vmcnt(16) lgkmcnt(0)
	v_mul_f32_e32 v27, v18, v23
	v_fmac_f32_e32 v27, v19, v22
	v_add_f32_e32 v26, v26, v27
	v_mul_f32_e32 v27, v20, v25
	v_fmac_f32_e32 v27, v21, v24
	v_add_f32_e32 v34, v26, v27
	ds_read2_b64 v[26:29], v110 offset0:57 offset1:58
	v_add_f32_e32 v2, v2, v3
	v_mul_f32_e32 v3, v13, v17
	v_fma_f32 v3, v12, v16, -v3
	v_add_f32_e32 v2, v2, v3
	s_waitcnt vmcnt(15) lgkmcnt(0)
	v_mul_f32_e32 v35, v26, v31
	v_fmac_f32_e32 v35, v27, v30
	v_add_f32_e32 v34, v34, v35
	v_mul_f32_e32 v35, v28, v33
	v_fmac_f32_e32 v35, v29, v32
	v_add_f32_e32 v42, v34, v35
	ds_read2_b64 v[34:37], v110 offset0:59 offset1:60
	v_mul_f32_e32 v3, v19, v23
	v_fma_f32 v3, v18, v22, -v3
	v_add_f32_e32 v2, v2, v3
	v_mul_f32_e32 v3, v21, v25
	s_waitcnt vmcnt(14) lgkmcnt(0)
	v_mul_f32_e32 v43, v34, v39
	v_fmac_f32_e32 v43, v35, v38
	v_add_f32_e32 v42, v42, v43
	v_mul_f32_e32 v43, v36, v41
	v_fmac_f32_e32 v43, v37, v40
	v_add_f32_e32 v50, v42, v43
	ds_read2_b64 v[42:45], v110 offset0:61 offset1:62
	v_fma_f32 v3, v20, v24, -v3
	v_add_f32_e32 v2, v2, v3
	v_mul_f32_e32 v3, v27, v31
	v_fma_f32 v3, v26, v30, -v3
	s_waitcnt vmcnt(13) lgkmcnt(0)
	v_mul_f32_e32 v51, v42, v47
	v_fmac_f32_e32 v51, v43, v46
	v_add_f32_e32 v50, v50, v51
	v_mul_f32_e32 v51, v44, v49
	v_fmac_f32_e32 v51, v45, v48
	v_add_f32_e32 v58, v50, v51
	ds_read2_b64 v[50:53], v110 offset0:63 offset1:64
	v_add_f32_e32 v2, v2, v3
	v_mul_f32_e32 v3, v29, v33
	v_fma_f32 v3, v28, v32, -v3
	v_add_f32_e32 v2, v2, v3
	s_waitcnt vmcnt(12) lgkmcnt(0)
	v_mul_f32_e32 v59, v50, v55
	v_fmac_f32_e32 v59, v51, v54
	v_add_f32_e32 v58, v58, v59
	v_mul_f32_e32 v59, v52, v57
	v_fmac_f32_e32 v59, v53, v56
	v_add_f32_e32 v66, v58, v59
	ds_read2_b64 v[58:61], v110 offset0:65 offset1:66
	v_mul_f32_e32 v3, v35, v39
	v_fma_f32 v3, v34, v38, -v3
	v_add_f32_e32 v2, v2, v3
	v_mul_f32_e32 v3, v37, v41
	;; [unrolled: 36-line block ×5, first 2 shown]
	s_waitcnt vmcnt(2) lgkmcnt(0)
	v_mul_f32_e32 v140, v132, v137
	v_fmac_f32_e32 v140, v133, v136
	v_add_f32_e32 v111, v111, v140
	v_mul_f32_e32 v140, v134, v139
	v_fmac_f32_e32 v140, v135, v138
	v_add_f32_e32 v111, v111, v140
	ds_read2_b64 v[140:143], v110 offset0:85 offset1:86
	v_fma_f32 v3, v84, v88, -v3
	v_add_f32_e32 v2, v2, v3
	v_mul_f32_e32 v3, v91, v95
	v_fma_f32 v3, v90, v94, -v3
	s_waitcnt vmcnt(1) lgkmcnt(0)
	v_mul_f32_e32 v148, v140, v145
	v_fmac_f32_e32 v148, v141, v144
	v_add_f32_e32 v153, v111, v148
	ds_read2_b64 v[148:151], v110 offset0:87 offset1:88
	scratch_load_dwordx4 v[160:163], off, off offset:328
	scratch_load_dwordx4 v[250:253], off, off offset:344
	;; [unrolled: 1-line block ×3, first 2 shown]
	scratch_load_dwordx2 v[254:255], off, off offset:376
	v_add_f32_e32 v2, v2, v3
	v_mul_f32_e32 v3, v93, v97
	v_fma_f32 v3, v92, v96, -v3
	v_add_f32_e32 v2, v2, v3
	v_mul_f32_e32 v3, v99, v103
	v_fma_f32 v3, v98, v102, -v3
	;; [unrolled: 3-line block ×12, first 2 shown]
	v_add_f32_e32 v152, v2, v3
	v_mul_f32_e32 v2, v143, v147
	v_mul_f32_e32 v169, v142, v147
	v_fma_f32 v168, v142, v146, -v2
	s_waitcnt vmcnt(4) lgkmcnt(0)
	v_mul_f32_e32 v2, v149, v157
	v_mov_b32_e32 v18, v159
	v_fmac_f32_e32 v169, v143, v146
	v_mul_f32_e32 v171, v148, v157
	v_fma_f32 v170, v148, v156, -v2
	ds_read2_b64 v[2:5], v110 offset0:89 offset1:90
	ds_read2_b64 v[6:9], v110 offset0:91 offset1:92
	;; [unrolled: 1-line block ×3, first 2 shown]
	ds_read_b64 v[14:15], v110 offset:760
	v_pk_mul_f32 v[18:19], v[150:151], v[18:19] op_sel:[1,0] op_sel_hi:[0,0]
	v_fmac_f32_e32 v171, v149, v156
	v_pk_add_f32 v[16:17], v[152:153], v[168:169]
	v_pk_fma_f32 v[20:21], v[150:151], v[158:159], v[18:19] neg_lo:[0,0,1] neg_hi:[0,0,1]
	v_pk_fma_f32 v[18:19], v[150:151], v[158:159], v[18:19] op_sel_hi:[1,0,1]
	v_pk_add_f32 v[16:17], v[16:17], v[170:171]
	v_mov_b32_e32 v21, v19
	v_pk_add_f32 v[16:17], v[16:17], v[20:21]
	s_waitcnt vmcnt(3) lgkmcnt(3)
	v_pk_mul_f32 v[18:19], v[2:3], v[160:161] op_sel:[1,1] op_sel_hi:[0,1]
	v_pk_fma_f32 v[20:21], v[2:3], v[160:161], v[18:19] neg_lo:[0,0,1] neg_hi:[0,0,1]
	v_pk_fma_f32 v[2:3], v[2:3], v[160:161], v[18:19] op_sel_hi:[1,0,1]
	s_nop 0
	v_mov_b32_e32 v21, v3
	v_pk_add_f32 v[2:3], v[16:17], v[20:21]
	v_mov_b32_e32 v16, v163
	v_pk_mul_f32 v[16:17], v[4:5], v[16:17] op_sel:[1,0] op_sel_hi:[0,0]
	v_pk_fma_f32 v[18:19], v[4:5], v[162:163], v[16:17] neg_lo:[0,0,1] neg_hi:[0,0,1]
	v_pk_fma_f32 v[4:5], v[4:5], v[162:163], v[16:17] op_sel_hi:[1,0,1]
	s_nop 0
	v_mov_b32_e32 v19, v5
	s_waitcnt vmcnt(2) lgkmcnt(2)
	v_pk_mul_f32 v[4:5], v[6:7], v[250:251] op_sel:[1,1] op_sel_hi:[0,1]
	v_pk_fma_f32 v[16:17], v[6:7], v[250:251], v[4:5] neg_lo:[0,0,1] neg_hi:[0,0,1]
	v_pk_fma_f32 v[4:5], v[6:7], v[250:251], v[4:5] op_sel_hi:[1,0,1]
	v_pk_add_f32 v[2:3], v[2:3], v[18:19]
	v_mov_b32_e32 v4, v253
	v_mov_b32_e32 v17, v5
	v_pk_mul_f32 v[4:5], v[8:9], v[4:5] op_sel:[1,0] op_sel_hi:[0,0]
	v_pk_fma_f32 v[6:7], v[8:9], v[252:253], v[4:5] neg_lo:[0,0,1] neg_hi:[0,0,1]
	v_pk_fma_f32 v[4:5], v[8:9], v[252:253], v[4:5] op_sel_hi:[1,0,1]
	v_pk_add_f32 v[2:3], v[2:3], v[16:17]
	v_mov_b32_e32 v7, v5
	s_waitcnt vmcnt(1) lgkmcnt(1)
	v_pk_mul_f32 v[4:5], v[10:11], v[164:165] op_sel:[1,1] op_sel_hi:[0,1]
	v_pk_add_f32 v[2:3], v[2:3], v[6:7]
	v_pk_fma_f32 v[6:7], v[10:11], v[164:165], v[4:5] neg_lo:[0,0,1] neg_hi:[0,0,1]
	v_pk_fma_f32 v[4:5], v[10:11], v[164:165], v[4:5] op_sel_hi:[1,0,1]
	s_nop 0
	v_mov_b32_e32 v4, v167
	v_mov_b32_e32 v7, v5
	v_pk_mul_f32 v[4:5], v[12:13], v[4:5] op_sel:[1,0] op_sel_hi:[0,0]
	v_pk_add_f32 v[2:3], v[2:3], v[6:7]
	v_pk_fma_f32 v[6:7], v[12:13], v[166:167], v[4:5] neg_lo:[0,0,1] neg_hi:[0,0,1]
	v_pk_fma_f32 v[4:5], v[12:13], v[166:167], v[4:5] op_sel_hi:[1,0,1]
	s_nop 0
	v_mov_b32_e32 v7, v5
	s_waitcnt vmcnt(0) lgkmcnt(0)
	v_pk_mul_f32 v[4:5], v[14:15], v[254:255] op_sel:[1,1] op_sel_hi:[0,1]
	v_pk_add_f32 v[2:3], v[2:3], v[6:7]
	v_pk_fma_f32 v[6:7], v[14:15], v[254:255], v[4:5] neg_lo:[0,0,1] neg_hi:[0,0,1]
	v_pk_fma_f32 v[4:5], v[14:15], v[254:255], v[4:5] op_sel_hi:[1,0,1]
	s_nop 0
	v_mov_b32_e32 v7, v5
	scratch_load_dwordx2 v[4:5], off, off offset:16
	v_pk_add_f32 v[2:3], v[2:3], v[6:7]
	s_waitcnt vmcnt(0)
	v_pk_add_f32 v[2:3], v[4:5], v[2:3] neg_lo:[0,1] neg_hi:[0,1]
	scratch_store_dwordx2 off, v[2:3], off offset:16
	s_and_saveexec_b64 s[0:1], vcc
	s_cbranch_execz .LBB111_299
; %bb.298:
	scratch_load_dwordx2 v[2:3], off, off offset:8
	v_mov_b32_e32 v111, v110
	scratch_store_dwordx2 off, v[110:111], off offset:8
	s_waitcnt vmcnt(1)
	ds_write_b64 v1, v[2:3]
.LBB111_299:
	s_or_b64 exec, exec, s[0:1]
	s_waitcnt lgkmcnt(0)
	; wave barrier
	ds_read_b128 v[14:17], v110 offset:400
	ds_read_b128 v[10:13], v110 offset:416
	;; [unrolled: 1-line block ×4, first 2 shown]
	scratch_load_dwordx4 v[18:21], off, off offset:16
	scratch_load_dwordx4 v[38:41], off, off offset:80
	;; [unrolled: 1-line block ×13, first 2 shown]
	v_cmp_ne_u32_e32 vcc, 0, v0
	scratch_load_dwordx4 v[46:49], off, off offset:96
	scratch_load_dwordx4 v[54:57], off, off offset:112
	;; [unrolled: 1-line block ×3, first 2 shown]
	s_waitcnt vmcnt(15) lgkmcnt(3)
	v_mul_f32_e32 v22, v14, v19
	v_fmac_f32_e32 v22, v15, v18
	v_mul_f32_e32 v23, v16, v21
	v_add_f32_e32 v22, 0, v22
	v_fmac_f32_e32 v23, v17, v20
	v_add_f32_e32 v26, v22, v23
	scratch_load_dwordx4 v[22:25], off, off offset:32
	v_mul_f32_e32 v15, v15, v19
	v_fma_f32 v14, v14, v18, -v15
	v_mul_f32_e32 v15, v17, v21
	v_add_f32_e32 v14, 0, v14
	v_fma_f32 v15, v16, v20, -v15
	v_add_f32_e32 v14, v14, v15
	s_waitcnt vmcnt(0) lgkmcnt(2)
	v_mul_f32_e32 v27, v10, v23
	v_fmac_f32_e32 v27, v11, v22
	v_add_f32_e32 v26, v26, v27
	v_mul_f32_e32 v27, v12, v25
	v_fmac_f32_e32 v27, v13, v24
	v_add_f32_e32 v30, v26, v27
	scratch_load_dwordx4 v[26:29], off, off offset:48
	v_mul_f32_e32 v11, v11, v23
	v_fma_f32 v10, v10, v22, -v11
	v_mul_f32_e32 v11, v13, v25
	v_add_f32_e32 v10, v14, v10
	v_fma_f32 v11, v12, v24, -v11
	v_add_f32_e32 v10, v10, v11
	s_waitcnt vmcnt(0) lgkmcnt(1)
	v_mul_f32_e32 v31, v6, v27
	v_fmac_f32_e32 v31, v7, v26
	v_add_f32_e32 v30, v30, v31
	v_mul_f32_e32 v31, v8, v29
	;; [unrolled: 14-line block ×3, first 2 shown]
	v_fmac_f32_e32 v35, v5, v32
	v_add_f32_e32 v42, v34, v35
	ds_read_b128 v[34:37], v110 offset:464
	v_mul_f32_e32 v3, v3, v31
	v_fma_f32 v2, v2, v30, -v3
	v_mul_f32_e32 v3, v5, v33
	v_add_f32_e32 v2, v6, v2
	s_waitcnt lgkmcnt(0)
	v_mul_f32_e32 v43, v34, v39
	v_fmac_f32_e32 v43, v35, v38
	v_add_f32_e32 v42, v42, v43
	v_mul_f32_e32 v43, v36, v41
	v_fmac_f32_e32 v43, v37, v40
	v_add_f32_e32 v50, v42, v43
	ds_read_b128 v[42:45], v110 offset:480
	v_fma_f32 v3, v4, v32, -v3
	v_add_f32_e32 v2, v2, v3
	v_mul_f32_e32 v3, v35, v39
	v_fma_f32 v3, v34, v38, -v3
	s_waitcnt lgkmcnt(0)
	v_mul_f32_e32 v51, v42, v47
	v_fmac_f32_e32 v51, v43, v46
	v_add_f32_e32 v50, v50, v51
	v_mul_f32_e32 v51, v44, v49
	v_fmac_f32_e32 v51, v45, v48
	v_add_f32_e32 v58, v50, v51
	ds_read_b128 v[50:53], v110 offset:496
	v_add_f32_e32 v2, v2, v3
	v_mul_f32_e32 v3, v37, v41
	v_fma_f32 v3, v36, v40, -v3
	v_add_f32_e32 v2, v2, v3
	s_waitcnt lgkmcnt(0)
	v_mul_f32_e32 v59, v50, v55
	v_fmac_f32_e32 v59, v51, v54
	v_add_f32_e32 v58, v58, v59
	v_mul_f32_e32 v59, v52, v57
	v_fmac_f32_e32 v59, v53, v56
	v_add_f32_e32 v66, v58, v59
	ds_read_b128 v[58:61], v110 offset:512
	v_mul_f32_e32 v3, v43, v47
	v_fma_f32 v3, v42, v46, -v3
	v_add_f32_e32 v2, v2, v3
	v_mul_f32_e32 v3, v45, v49
	s_waitcnt lgkmcnt(0)
	v_mul_f32_e32 v67, v58, v63
	v_fmac_f32_e32 v67, v59, v62
	v_add_f32_e32 v66, v66, v67
	v_mul_f32_e32 v67, v60, v65
	v_fmac_f32_e32 v67, v61, v64
	v_add_f32_e32 v74, v66, v67
	ds_read_b128 v[66:69], v110 offset:528
	v_fma_f32 v3, v44, v48, -v3
	v_add_f32_e32 v2, v2, v3
	v_mul_f32_e32 v3, v51, v55
	v_fma_f32 v3, v50, v54, -v3
	s_waitcnt lgkmcnt(0)
	v_mul_f32_e32 v75, v66, v71
	v_fmac_f32_e32 v75, v67, v70
	v_add_f32_e32 v74, v74, v75
	v_mul_f32_e32 v75, v68, v73
	v_fmac_f32_e32 v75, v69, v72
	v_add_f32_e32 v82, v74, v75
	ds_read_b128 v[74:77], v110 offset:544
	v_add_f32_e32 v2, v2, v3
	v_mul_f32_e32 v3, v53, v57
	v_fma_f32 v3, v52, v56, -v3
	v_add_f32_e32 v2, v2, v3
	s_waitcnt lgkmcnt(0)
	v_mul_f32_e32 v83, v74, v79
	v_fmac_f32_e32 v83, v75, v78
	v_add_f32_e32 v82, v82, v83
	v_mul_f32_e32 v83, v76, v81
	v_fmac_f32_e32 v83, v77, v80
	v_add_f32_e32 v90, v82, v83
	ds_read_b128 v[82:85], v110 offset:560
	v_mul_f32_e32 v3, v59, v63
	v_fma_f32 v3, v58, v62, -v3
	v_add_f32_e32 v2, v2, v3
	v_mul_f32_e32 v3, v61, v65
	;; [unrolled: 36-line block ×4, first 2 shown]
	s_waitcnt lgkmcnt(0)
	v_mul_f32_e32 v140, v132, v137
	v_fmac_f32_e32 v140, v133, v136
	v_add_f32_e32 v111, v111, v140
	v_mul_f32_e32 v140, v134, v139
	v_fmac_f32_e32 v140, v135, v138
	v_add_f32_e32 v111, v111, v140
	ds_read_b128 v[140:143], v110 offset:672
	v_fma_f32 v3, v92, v96, -v3
	v_add_f32_e32 v2, v2, v3
	v_mul_f32_e32 v3, v99, v103
	v_fma_f32 v3, v98, v102, -v3
	s_waitcnt lgkmcnt(0)
	v_mul_f32_e32 v148, v140, v145
	v_fmac_f32_e32 v148, v141, v144
	v_add_f32_e32 v111, v111, v148
	v_mul_f32_e32 v148, v142, v147
	v_fmac_f32_e32 v148, v143, v146
	v_add_f32_e32 v153, v111, v148
	ds_read_b128 v[148:151], v110 offset:688
	scratch_load_dwordx4 v[160:163], off, off offset:320
	scratch_load_dwordx4 v[164:167], off, off offset:336
	;; [unrolled: 1-line block ×4, first 2 shown]
	v_add_f32_e32 v2, v2, v3
	v_mul_f32_e32 v3, v101, v105
	v_fma_f32 v3, v100, v104, -v3
	v_add_f32_e32 v2, v2, v3
	v_mul_f32_e32 v3, v107, v113
	v_fma_f32 v3, v106, v112, -v3
	;; [unrolled: 3-line block ×11, first 2 shown]
	v_add_f32_e32 v152, v2, v3
	s_waitcnt lgkmcnt(0)
	v_mul_f32_e32 v2, v149, v157
	v_fma_f32 v254, v148, v156, -v2
	v_mul_f32_e32 v2, v151, v159
	v_fma_f32 v172, v150, v158, -v2
	ds_read_b128 v[2:5], v110 offset:704
	ds_read_b128 v[6:9], v110 offset:720
	;; [unrolled: 1-line block ×4, first 2 shown]
	v_mul_f32_e32 v255, v148, v157
	v_fmac_f32_e32 v255, v149, v156
	v_mul_f32_e32 v173, v150, v159
	v_fmac_f32_e32 v173, v151, v158
	v_pk_add_f32 v[18:19], v[152:153], v[254:255]
	s_waitcnt vmcnt(3) lgkmcnt(3)
	v_pk_mul_f32 v[20:21], v[2:3], v[160:161] op_sel:[1,1] op_sel_hi:[0,1]
	v_pk_fma_f32 v[22:23], v[2:3], v[160:161], v[20:21] neg_lo:[0,0,1] neg_hi:[0,0,1]
	v_pk_fma_f32 v[2:3], v[2:3], v[160:161], v[20:21] op_sel_hi:[1,0,1]
	v_pk_add_f32 v[18:19], v[18:19], v[172:173]
	v_mov_b32_e32 v23, v3
	v_pk_add_f32 v[2:3], v[18:19], v[22:23]
	v_mov_b32_e32 v18, v163
	v_pk_mul_f32 v[18:19], v[4:5], v[18:19] op_sel:[1,0] op_sel_hi:[0,0]
	v_pk_fma_f32 v[20:21], v[4:5], v[162:163], v[18:19] neg_lo:[0,0,1] neg_hi:[0,0,1]
	v_pk_fma_f32 v[4:5], v[4:5], v[162:163], v[18:19] op_sel_hi:[1,0,1]
	s_nop 0
	v_mov_b32_e32 v21, v5
	s_waitcnt vmcnt(2) lgkmcnt(2)
	v_pk_mul_f32 v[4:5], v[6:7], v[164:165] op_sel:[1,1] op_sel_hi:[0,1]
	v_pk_fma_f32 v[18:19], v[6:7], v[164:165], v[4:5] neg_lo:[0,0,1] neg_hi:[0,0,1]
	v_pk_fma_f32 v[4:5], v[6:7], v[164:165], v[4:5] op_sel_hi:[1,0,1]
	v_pk_add_f32 v[2:3], v[2:3], v[20:21]
	v_mov_b32_e32 v4, v167
	v_mov_b32_e32 v19, v5
	v_pk_mul_f32 v[4:5], v[8:9], v[4:5] op_sel:[1,0] op_sel_hi:[0,0]
	v_pk_fma_f32 v[6:7], v[8:9], v[166:167], v[4:5] neg_lo:[0,0,1] neg_hi:[0,0,1]
	v_pk_fma_f32 v[4:5], v[8:9], v[166:167], v[4:5] op_sel_hi:[1,0,1]
	v_pk_add_f32 v[2:3], v[2:3], v[18:19]
	v_mov_b32_e32 v7, v5
	s_waitcnt vmcnt(1) lgkmcnt(1)
	v_pk_mul_f32 v[4:5], v[10:11], v[250:251] op_sel:[1,1] op_sel_hi:[0,1]
	v_pk_add_f32 v[2:3], v[2:3], v[6:7]
	v_pk_fma_f32 v[6:7], v[10:11], v[250:251], v[4:5] neg_lo:[0,0,1] neg_hi:[0,0,1]
	v_pk_fma_f32 v[4:5], v[10:11], v[250:251], v[4:5] op_sel_hi:[1,0,1]
	s_nop 0
	v_mov_b32_e32 v4, v253
	v_mov_b32_e32 v7, v5
	v_pk_mul_f32 v[4:5], v[12:13], v[4:5] op_sel:[1,0] op_sel_hi:[0,0]
	v_pk_add_f32 v[2:3], v[2:3], v[6:7]
	v_pk_fma_f32 v[6:7], v[12:13], v[252:253], v[4:5] neg_lo:[0,0,1] neg_hi:[0,0,1]
	v_pk_fma_f32 v[4:5], v[12:13], v[252:253], v[4:5] op_sel_hi:[1,0,1]
	s_nop 0
	v_mov_b32_e32 v7, v5
	s_waitcnt vmcnt(0) lgkmcnt(0)
	v_pk_mul_f32 v[4:5], v[14:15], v[168:169] op_sel:[1,1] op_sel_hi:[0,1]
	v_pk_add_f32 v[2:3], v[2:3], v[6:7]
	v_pk_fma_f32 v[6:7], v[14:15], v[168:169], v[4:5] neg_lo:[0,0,1] neg_hi:[0,0,1]
	v_pk_fma_f32 v[4:5], v[14:15], v[168:169], v[4:5] op_sel_hi:[1,0,1]
	s_nop 0
	v_mov_b32_e32 v4, v171
	v_mov_b32_e32 v7, v5
	v_pk_mul_f32 v[4:5], v[16:17], v[4:5] op_sel:[1,0] op_sel_hi:[0,0]
	v_pk_add_f32 v[2:3], v[2:3], v[6:7]
	v_pk_fma_f32 v[6:7], v[16:17], v[170:171], v[4:5] neg_lo:[0,0,1] neg_hi:[0,0,1]
	v_pk_fma_f32 v[4:5], v[16:17], v[170:171], v[4:5] op_sel_hi:[1,0,1]
	s_nop 0
	v_mov_b32_e32 v7, v5
	scratch_load_dwordx2 v[4:5], off, off offset:8
	v_pk_add_f32 v[2:3], v[2:3], v[6:7]
	s_waitcnt vmcnt(0)
	v_pk_add_f32 v[2:3], v[4:5], v[2:3] neg_lo:[0,1] neg_hi:[0,1]
	scratch_store_dwordx2 off, v[2:3], off offset:8
	s_and_saveexec_b64 s[0:1], vcc
	s_cbranch_execz .LBB111_301
; %bb.300:
	scratch_load_dwordx2 v[2:3], off, off
	v_mov_b32_e32 v4, 0
	v_mov_b32_e32 v5, v4
	scratch_store_dwordx2 off, v[4:5], off
	s_waitcnt vmcnt(1)
	ds_write_b64 v1, v[2:3]
.LBB111_301:
	s_or_b64 exec, exec, s[0:1]
	s_waitcnt lgkmcnt(0)
	; wave barrier
	scratch_load_dwordx4 v[4:7], off, off offset:8
	scratch_load_dwordx4 v[12:15], off, off offset:24
	;; [unrolled: 1-line block ×10, first 2 shown]
	v_mov_b32_e32 v116, 0
	ds_read2_b64 v[0:3], v116 offset0:49 offset1:50
	scratch_load_dwordx4 v[84:87], off, off offset:168
	scratch_load_dwordx4 v[92:95], off, off offset:184
	;; [unrolled: 1-line block ×10, first 2 shown]
	s_and_b64 vcc, exec, s[10:11]
	s_waitcnt vmcnt(19) lgkmcnt(0)
	v_mul_f32_e32 v8, v0, v5
	v_fmac_f32_e32 v8, v1, v4
	v_mul_f32_e32 v9, v2, v7
	v_add_f32_e32 v8, 0, v8
	v_fmac_f32_e32 v9, v3, v6
	v_add_f32_e32 v16, v8, v9
	ds_read2_b64 v[8:11], v116 offset0:51 offset1:52
	v_mul_f32_e32 v1, v1, v5
	v_fma_f32 v0, v0, v4, -v1
	v_mul_f32_e32 v1, v3, v7
	v_add_f32_e32 v0, 0, v0
	s_waitcnt vmcnt(18) lgkmcnt(0)
	v_mul_f32_e32 v17, v8, v13
	v_fmac_f32_e32 v17, v9, v12
	v_add_f32_e32 v16, v16, v17
	v_mul_f32_e32 v17, v10, v15
	v_fmac_f32_e32 v17, v11, v14
	v_add_f32_e32 v24, v16, v17
	ds_read2_b64 v[16:19], v116 offset0:53 offset1:54
	v_fma_f32 v1, v2, v6, -v1
	v_add_f32_e32 v0, v0, v1
	v_mul_f32_e32 v1, v9, v13
	v_fma_f32 v1, v8, v12, -v1
	s_waitcnt vmcnt(17) lgkmcnt(0)
	v_mul_f32_e32 v25, v16, v21
	v_fmac_f32_e32 v25, v17, v20
	v_add_f32_e32 v24, v24, v25
	v_mul_f32_e32 v25, v18, v23
	v_fmac_f32_e32 v25, v19, v22
	v_add_f32_e32 v32, v24, v25
	ds_read2_b64 v[24:27], v116 offset0:55 offset1:56
	v_add_f32_e32 v0, v0, v1
	v_mul_f32_e32 v1, v11, v15
	v_fma_f32 v1, v10, v14, -v1
	v_add_f32_e32 v0, v0, v1
	s_waitcnt vmcnt(16) lgkmcnt(0)
	v_mul_f32_e32 v33, v24, v29
	v_fmac_f32_e32 v33, v25, v28
	v_add_f32_e32 v32, v32, v33
	v_mul_f32_e32 v33, v26, v31
	v_fmac_f32_e32 v33, v27, v30
	v_add_f32_e32 v40, v32, v33
	ds_read2_b64 v[32:35], v116 offset0:57 offset1:58
	v_mul_f32_e32 v1, v17, v21
	v_fma_f32 v1, v16, v20, -v1
	v_add_f32_e32 v0, v0, v1
	v_mul_f32_e32 v1, v19, v23
	s_waitcnt vmcnt(15) lgkmcnt(0)
	v_mul_f32_e32 v41, v32, v37
	v_fmac_f32_e32 v41, v33, v36
	v_add_f32_e32 v40, v40, v41
	v_mul_f32_e32 v41, v34, v39
	v_fmac_f32_e32 v41, v35, v38
	v_add_f32_e32 v48, v40, v41
	ds_read2_b64 v[40:43], v116 offset0:59 offset1:60
	v_fma_f32 v1, v18, v22, -v1
	v_add_f32_e32 v0, v0, v1
	v_mul_f32_e32 v1, v25, v29
	v_fma_f32 v1, v24, v28, -v1
	s_waitcnt vmcnt(14) lgkmcnt(0)
	v_mul_f32_e32 v49, v40, v45
	v_fmac_f32_e32 v49, v41, v44
	v_add_f32_e32 v48, v48, v49
	v_mul_f32_e32 v49, v42, v47
	v_fmac_f32_e32 v49, v43, v46
	v_add_f32_e32 v56, v48, v49
	ds_read2_b64 v[48:51], v116 offset0:61 offset1:62
	v_add_f32_e32 v0, v0, v1
	v_mul_f32_e32 v1, v27, v31
	v_fma_f32 v1, v26, v30, -v1
	v_add_f32_e32 v0, v0, v1
	s_waitcnt vmcnt(13) lgkmcnt(0)
	v_mul_f32_e32 v57, v48, v53
	v_fmac_f32_e32 v57, v49, v52
	v_add_f32_e32 v56, v56, v57
	v_mul_f32_e32 v57, v50, v55
	v_fmac_f32_e32 v57, v51, v54
	v_add_f32_e32 v64, v56, v57
	ds_read2_b64 v[56:59], v116 offset0:63 offset1:64
	v_mul_f32_e32 v1, v33, v37
	v_fma_f32 v1, v32, v36, -v1
	v_add_f32_e32 v0, v0, v1
	v_mul_f32_e32 v1, v35, v39
	;; [unrolled: 36-line block ×5, first 2 shown]
	s_waitcnt vmcnt(3) lgkmcnt(0)
	v_mul_f32_e32 v138, v130, v135
	v_fmac_f32_e32 v138, v131, v134
	v_add_f32_e32 v117, v117, v138
	v_mul_f32_e32 v138, v132, v137
	v_fmac_f32_e32 v138, v133, v136
	v_add_f32_e32 v117, v117, v138
	ds_read2_b64 v[138:141], v116 offset0:83 offset1:84
	v_fma_f32 v1, v82, v86, -v1
	v_add_f32_e32 v0, v0, v1
	v_mul_f32_e32 v1, v89, v93
	v_fma_f32 v1, v88, v92, -v1
	s_waitcnt vmcnt(2) lgkmcnt(0)
	v_mul_f32_e32 v146, v138, v143
	v_fmac_f32_e32 v146, v139, v142
	v_add_f32_e32 v117, v117, v146
	v_mul_f32_e32 v146, v140, v145
	v_fmac_f32_e32 v146, v141, v144
	v_add_f32_e32 v117, v117, v146
	ds_read2_b64 v[146:149], v116 offset0:85 offset1:86
	v_add_f32_e32 v0, v0, v1
	v_mul_f32_e32 v1, v91, v95
	v_fma_f32 v1, v90, v94, -v1
	v_add_f32_e32 v0, v0, v1
	s_waitcnt vmcnt(1) lgkmcnt(0)
	v_mul_f32_e32 v156, v146, v151
	v_fmac_f32_e32 v156, v147, v150
	v_add_f32_e32 v173, v117, v156
	ds_read2_b64 v[156:159], v116 offset0:87 offset1:88
	scratch_load_dwordx4 v[164:167], off, off offset:328
	scratch_load_dwordx4 v[168:171], off, off offset:344
	;; [unrolled: 1-line block ×3, first 2 shown]
	scratch_load_dwordx2 v[176:177], off, off offset:376
	v_mul_f32_e32 v1, v97, v101
	v_fma_f32 v1, v96, v100, -v1
	v_add_f32_e32 v0, v0, v1
	v_mul_f32_e32 v1, v99, v103
	v_fma_f32 v1, v98, v102, -v1
	v_add_f32_e32 v0, v0, v1
	;; [unrolled: 3-line block ×13, first 2 shown]
	v_mul_f32_e32 v0, v149, v153
	v_mul_f32_e32 v255, v148, v153
	v_fma_f32 v254, v148, v152, -v0
	s_waitcnt vmcnt(4) lgkmcnt(0)
	v_mul_f32_e32 v0, v157, v161
	v_mov_b32_e32 v16, v163
	v_fmac_f32_e32 v255, v149, v152
	v_mul_f32_e32 v175, v156, v161
	v_fma_f32 v174, v156, v160, -v0
	ds_read2_b64 v[0:3], v116 offset0:89 offset1:90
	ds_read2_b64 v[4:7], v116 offset0:91 offset1:92
	;; [unrolled: 1-line block ×3, first 2 shown]
	ds_read_b64 v[12:13], v116 offset:760
	v_pk_mul_f32 v[16:17], v[158:159], v[16:17] op_sel:[1,0] op_sel_hi:[0,0]
	v_fmac_f32_e32 v175, v157, v160
	v_pk_add_f32 v[14:15], v[172:173], v[254:255]
	v_pk_fma_f32 v[18:19], v[158:159], v[162:163], v[16:17] neg_lo:[0,0,1] neg_hi:[0,0,1]
	v_pk_fma_f32 v[16:17], v[158:159], v[162:163], v[16:17] op_sel_hi:[1,0,1]
	v_pk_add_f32 v[14:15], v[14:15], v[174:175]
	v_mov_b32_e32 v19, v17
	v_pk_add_f32 v[14:15], v[14:15], v[18:19]
	s_waitcnt vmcnt(3) lgkmcnt(3)
	v_pk_mul_f32 v[16:17], v[0:1], v[164:165] op_sel:[1,1] op_sel_hi:[0,1]
	v_pk_fma_f32 v[18:19], v[0:1], v[164:165], v[16:17] neg_lo:[0,0,1] neg_hi:[0,0,1]
	v_pk_fma_f32 v[0:1], v[0:1], v[164:165], v[16:17] op_sel_hi:[1,0,1]
	s_nop 0
	v_mov_b32_e32 v19, v1
	v_pk_add_f32 v[0:1], v[14:15], v[18:19]
	v_mov_b32_e32 v14, v167
	v_pk_mul_f32 v[14:15], v[2:3], v[14:15] op_sel:[1,0] op_sel_hi:[0,0]
	v_pk_fma_f32 v[16:17], v[2:3], v[166:167], v[14:15] neg_lo:[0,0,1] neg_hi:[0,0,1]
	v_pk_fma_f32 v[2:3], v[2:3], v[166:167], v[14:15] op_sel_hi:[1,0,1]
	s_nop 0
	v_mov_b32_e32 v17, v3
	s_waitcnt vmcnt(2) lgkmcnt(2)
	v_pk_mul_f32 v[2:3], v[4:5], v[168:169] op_sel:[1,1] op_sel_hi:[0,1]
	v_pk_fma_f32 v[14:15], v[4:5], v[168:169], v[2:3] neg_lo:[0,0,1] neg_hi:[0,0,1]
	v_pk_fma_f32 v[2:3], v[4:5], v[168:169], v[2:3] op_sel_hi:[1,0,1]
	v_pk_add_f32 v[0:1], v[0:1], v[16:17]
	v_mov_b32_e32 v2, v171
	v_mov_b32_e32 v15, v3
	v_pk_mul_f32 v[2:3], v[6:7], v[2:3] op_sel:[1,0] op_sel_hi:[0,0]
	v_pk_fma_f32 v[4:5], v[6:7], v[170:171], v[2:3] neg_lo:[0,0,1] neg_hi:[0,0,1]
	v_pk_fma_f32 v[2:3], v[6:7], v[170:171], v[2:3] op_sel_hi:[1,0,1]
	v_pk_add_f32 v[0:1], v[0:1], v[14:15]
	v_mov_b32_e32 v5, v3
	s_waitcnt vmcnt(1) lgkmcnt(1)
	v_pk_mul_f32 v[2:3], v[8:9], v[250:251] op_sel:[1,1] op_sel_hi:[0,1]
	v_pk_add_f32 v[0:1], v[0:1], v[4:5]
	v_pk_fma_f32 v[4:5], v[8:9], v[250:251], v[2:3] neg_lo:[0,0,1] neg_hi:[0,0,1]
	v_pk_fma_f32 v[2:3], v[8:9], v[250:251], v[2:3] op_sel_hi:[1,0,1]
	s_nop 0
	v_mov_b32_e32 v2, v253
	v_mov_b32_e32 v5, v3
	v_pk_mul_f32 v[2:3], v[10:11], v[2:3] op_sel:[1,0] op_sel_hi:[0,0]
	v_pk_add_f32 v[0:1], v[0:1], v[4:5]
	v_pk_fma_f32 v[4:5], v[10:11], v[252:253], v[2:3] neg_lo:[0,0,1] neg_hi:[0,0,1]
	v_pk_fma_f32 v[2:3], v[10:11], v[252:253], v[2:3] op_sel_hi:[1,0,1]
	s_nop 0
	v_mov_b32_e32 v5, v3
	s_waitcnt vmcnt(0) lgkmcnt(0)
	v_pk_mul_f32 v[2:3], v[12:13], v[176:177] op_sel:[1,1] op_sel_hi:[0,1]
	v_pk_add_f32 v[0:1], v[0:1], v[4:5]
	v_pk_fma_f32 v[4:5], v[12:13], v[176:177], v[2:3] neg_lo:[0,0,1] neg_hi:[0,0,1]
	v_pk_fma_f32 v[2:3], v[12:13], v[176:177], v[2:3] op_sel_hi:[1,0,1]
	s_nop 0
	v_mov_b32_e32 v5, v3
	scratch_load_dwordx2 v[2:3], off, off
	v_pk_add_f32 v[0:1], v[0:1], v[4:5]
	s_waitcnt vmcnt(0)
	v_pk_add_f32 v[0:1], v[2:3], v[0:1] neg_lo:[0,1] neg_hi:[0,1]
	scratch_store_dwordx2 off, v[0:1], off
	s_cbranch_vccz .LBB111_396
; %bb.302:
	global_load_dword v0, v116, s[8:9] offset:184
	s_waitcnt vmcnt(0)
	v_readfirstlane_b32 s0, v0
	s_add_i32 s0, s0, -1
	s_cmp_lg_u32 s0, 46
	s_cbranch_scc0 .LBB111_304
; %bb.303:
	s_lshl_b32 s0, s0, 3
	s_nop 0
	scratch_load_dwordx2 v[0:1], off, s0
	scratch_load_dwordx2 v[2:3], off, off offset:368
	s_waitcnt vmcnt(1)
	scratch_store_dwordx2 off, v[0:1], off offset:368
	s_waitcnt vmcnt(1)
	scratch_store_dwordx2 off, v[2:3], s0
.LBB111_304:
	v_mov_b32_e32 v0, 0
	global_load_dword v1, v0, s[8:9] offset:180
	s_waitcnt vmcnt(0)
	v_readfirstlane_b32 s0, v1
	s_add_i32 s0, s0, -1
	s_cmp_eq_u32 s0, 45
	s_cbranch_scc1 .LBB111_306
; %bb.305:
	s_lshl_b32 s0, s0, 3
	s_nop 0
	scratch_load_dwordx2 v[2:3], off, s0
	scratch_load_dwordx2 v[4:5], off, off offset:360
	s_waitcnt vmcnt(1)
	scratch_store_dwordx2 off, v[2:3], off offset:360
	s_waitcnt vmcnt(1)
	scratch_store_dwordx2 off, v[4:5], s0
.LBB111_306:
	global_load_dword v0, v0, s[8:9] offset:176
	s_waitcnt vmcnt(0)
	v_readfirstlane_b32 s0, v0
	s_add_i32 s0, s0, -1
	s_cmp_eq_u32 s0, 44
	s_cbranch_scc1 .LBB111_308
; %bb.307:
	s_lshl_b32 s0, s0, 3
	s_nop 0
	scratch_load_dwordx2 v[0:1], off, s0
	scratch_load_dwordx2 v[2:3], off, off offset:352
	s_waitcnt vmcnt(1)
	scratch_store_dwordx2 off, v[0:1], off offset:352
	s_waitcnt vmcnt(1)
	scratch_store_dwordx2 off, v[2:3], s0
.LBB111_308:
	v_mov_b32_e32 v0, 0
	global_load_dword v1, v0, s[8:9] offset:172
	s_waitcnt vmcnt(0)
	v_readfirstlane_b32 s0, v1
	s_add_i32 s0, s0, -1
	s_cmp_eq_u32 s0, 43
	s_cbranch_scc1 .LBB111_310
; %bb.309:
	s_lshl_b32 s0, s0, 3
	s_nop 0
	scratch_load_dwordx2 v[2:3], off, s0
	scratch_load_dwordx2 v[4:5], off, off offset:344
	s_waitcnt vmcnt(1)
	scratch_store_dwordx2 off, v[2:3], off offset:344
	s_waitcnt vmcnt(1)
	scratch_store_dwordx2 off, v[4:5], s0
.LBB111_310:
	global_load_dword v0, v0, s[8:9] offset:168
	s_waitcnt vmcnt(0)
	v_readfirstlane_b32 s0, v0
	s_add_i32 s0, s0, -1
	s_cmp_eq_u32 s0, 42
	s_cbranch_scc1 .LBB111_312
; %bb.311:
	s_lshl_b32 s0, s0, 3
	s_nop 0
	scratch_load_dwordx2 v[0:1], off, s0
	scratch_load_dwordx2 v[2:3], off, off offset:336
	s_waitcnt vmcnt(1)
	scratch_store_dwordx2 off, v[0:1], off offset:336
	s_waitcnt vmcnt(1)
	scratch_store_dwordx2 off, v[2:3], s0
.LBB111_312:
	;; [unrolled: 33-line block ×22, first 2 shown]
	v_mov_b32_e32 v0, 0
	global_load_dword v1, v0, s[8:9] offset:4
	s_waitcnt vmcnt(0)
	v_readfirstlane_b32 s0, v1
	s_add_i32 s0, s0, -1
	s_cmp_eq_u32 s0, 1
	s_cbranch_scc1 .LBB111_394
; %bb.393:
	s_lshl_b32 s0, s0, 3
	s_nop 0
	scratch_load_dwordx2 v[2:3], off, s0
	scratch_load_dwordx2 v[4:5], off, off offset:8
	s_waitcnt vmcnt(1)
	scratch_store_dwordx2 off, v[2:3], off offset:8
	s_waitcnt vmcnt(1)
	scratch_store_dwordx2 off, v[4:5], s0
.LBB111_394:
	global_load_dword v2, v0, s[8:9]
	s_nop 0
	scratch_load_dwordx2 v[0:1], off, off
	s_waitcnt vmcnt(1)
	v_readfirstlane_b32 s0, v2
	s_add_i32 s0, s0, -1
	s_cmp_eq_u32 s0, 0
	s_cbranch_scc1 .LBB111_396
; %bb.395:
	s_lshl_b32 s0, s0, 3
	s_nop 0
	scratch_load_dwordx2 v[2:3], off, s0
	s_waitcnt vmcnt(0)
	scratch_store_dwordx2 off, v[2:3], off
	scratch_store_dwordx2 off, v[0:1], s0
	scratch_load_dwordx2 v[0:1], off, off
.LBB111_396:
	s_waitcnt vmcnt(0)
	flat_store_dwordx2 v[154:155], v[0:1]
	scratch_load_dwordx2 v[0:1], off, off offset:8
	v_accvgpr_read_b32 v3, a1
	v_accvgpr_read_b32 v2, a0
	s_waitcnt vmcnt(0)
	flat_store_dwordx2 v[2:3], v[0:1]
	scratch_load_dwordx2 v[0:1], off, off offset:16
	v_accvgpr_read_b32 v2, a2
	v_accvgpr_read_b32 v3, a3
	;; [unrolled: 5-line block ×11, first 2 shown]
	s_waitcnt vmcnt(0)
	flat_store_dwordx2 v[2:3], v[0:1]
	scratch_load_dwordx2 v[0:1], off, off offset:96
	s_waitcnt vmcnt(0)
	flat_store_dwordx2 v[178:179], v[0:1]
	scratch_load_dwordx2 v[0:1], off, off offset:104
	;; [unrolled: 3-line block ×36, first 2 shown]
	s_waitcnt vmcnt(0)
	flat_store_dwordx2 v[248:249], v[0:1]
	s_endpgm
	.section	.rodata,"a",@progbits
	.p2align	6, 0x0
	.amdhsa_kernel _ZN9rocsolver6v33100L18getri_kernel_smallILi48E19rocblas_complex_numIfEPKPS3_EEvT1_iilPiilS8_bb
		.amdhsa_group_segment_fixed_size 772
		.amdhsa_private_segment_fixed_size 400
		.amdhsa_kernarg_size 60
		.amdhsa_user_sgpr_count 2
		.amdhsa_user_sgpr_dispatch_ptr 0
		.amdhsa_user_sgpr_queue_ptr 0
		.amdhsa_user_sgpr_kernarg_segment_ptr 1
		.amdhsa_user_sgpr_dispatch_id 0
		.amdhsa_user_sgpr_kernarg_preload_length 0
		.amdhsa_user_sgpr_kernarg_preload_offset 0
		.amdhsa_user_sgpr_private_segment_size 0
		.amdhsa_uses_dynamic_stack 0
		.amdhsa_enable_private_segment 1
		.amdhsa_system_sgpr_workgroup_id_x 1
		.amdhsa_system_sgpr_workgroup_id_y 0
		.amdhsa_system_sgpr_workgroup_id_z 0
		.amdhsa_system_sgpr_workgroup_info 0
		.amdhsa_system_vgpr_workitem_id 0
		.amdhsa_next_free_vgpr 278
		.amdhsa_next_free_sgpr 17
		.amdhsa_accum_offset 256
		.amdhsa_reserve_vcc 1
		.amdhsa_float_round_mode_32 0
		.amdhsa_float_round_mode_16_64 0
		.amdhsa_float_denorm_mode_32 3
		.amdhsa_float_denorm_mode_16_64 3
		.amdhsa_dx10_clamp 1
		.amdhsa_ieee_mode 1
		.amdhsa_fp16_overflow 0
		.amdhsa_tg_split 0
		.amdhsa_exception_fp_ieee_invalid_op 0
		.amdhsa_exception_fp_denorm_src 0
		.amdhsa_exception_fp_ieee_div_zero 0
		.amdhsa_exception_fp_ieee_overflow 0
		.amdhsa_exception_fp_ieee_underflow 0
		.amdhsa_exception_fp_ieee_inexact 0
		.amdhsa_exception_int_div_zero 0
	.end_amdhsa_kernel
	.section	.text._ZN9rocsolver6v33100L18getri_kernel_smallILi48E19rocblas_complex_numIfEPKPS3_EEvT1_iilPiilS8_bb,"axG",@progbits,_ZN9rocsolver6v33100L18getri_kernel_smallILi48E19rocblas_complex_numIfEPKPS3_EEvT1_iilPiilS8_bb,comdat
.Lfunc_end111:
	.size	_ZN9rocsolver6v33100L18getri_kernel_smallILi48E19rocblas_complex_numIfEPKPS3_EEvT1_iilPiilS8_bb, .Lfunc_end111-_ZN9rocsolver6v33100L18getri_kernel_smallILi48E19rocblas_complex_numIfEPKPS3_EEvT1_iilPiilS8_bb
                                        ; -- End function
	.set _ZN9rocsolver6v33100L18getri_kernel_smallILi48E19rocblas_complex_numIfEPKPS3_EEvT1_iilPiilS8_bb.num_vgpr, 256
	.set _ZN9rocsolver6v33100L18getri_kernel_smallILi48E19rocblas_complex_numIfEPKPS3_EEvT1_iilPiilS8_bb.num_agpr, 22
	.set _ZN9rocsolver6v33100L18getri_kernel_smallILi48E19rocblas_complex_numIfEPKPS3_EEvT1_iilPiilS8_bb.numbered_sgpr, 17
	.set _ZN9rocsolver6v33100L18getri_kernel_smallILi48E19rocblas_complex_numIfEPKPS3_EEvT1_iilPiilS8_bb.num_named_barrier, 0
	.set _ZN9rocsolver6v33100L18getri_kernel_smallILi48E19rocblas_complex_numIfEPKPS3_EEvT1_iilPiilS8_bb.private_seg_size, 400
	.set _ZN9rocsolver6v33100L18getri_kernel_smallILi48E19rocblas_complex_numIfEPKPS3_EEvT1_iilPiilS8_bb.uses_vcc, 1
	.set _ZN9rocsolver6v33100L18getri_kernel_smallILi48E19rocblas_complex_numIfEPKPS3_EEvT1_iilPiilS8_bb.uses_flat_scratch, 0
	.set _ZN9rocsolver6v33100L18getri_kernel_smallILi48E19rocblas_complex_numIfEPKPS3_EEvT1_iilPiilS8_bb.has_dyn_sized_stack, 0
	.set _ZN9rocsolver6v33100L18getri_kernel_smallILi48E19rocblas_complex_numIfEPKPS3_EEvT1_iilPiilS8_bb.has_recursion, 0
	.set _ZN9rocsolver6v33100L18getri_kernel_smallILi48E19rocblas_complex_numIfEPKPS3_EEvT1_iilPiilS8_bb.has_indirect_call, 0
	.section	.AMDGPU.csdata,"",@progbits
; Kernel info:
; codeLenInByte = 68928
; TotalNumSgprs: 23
; NumVgprs: 256
; NumAgprs: 22
; TotalNumVgprs: 278
; ScratchSize: 400
; MemoryBound: 0
; FloatMode: 240
; IeeeMode: 1
; LDSByteSize: 772 bytes/workgroup (compile time only)
; SGPRBlocks: 2
; VGPRBlocks: 34
; NumSGPRsForWavesPerEU: 23
; NumVGPRsForWavesPerEU: 278
; AccumOffset: 256
; Occupancy: 1
; WaveLimiterHint : 1
; COMPUTE_PGM_RSRC2:SCRATCH_EN: 1
; COMPUTE_PGM_RSRC2:USER_SGPR: 2
; COMPUTE_PGM_RSRC2:TRAP_HANDLER: 0
; COMPUTE_PGM_RSRC2:TGID_X_EN: 1
; COMPUTE_PGM_RSRC2:TGID_Y_EN: 0
; COMPUTE_PGM_RSRC2:TGID_Z_EN: 0
; COMPUTE_PGM_RSRC2:TIDIG_COMP_CNT: 0
; COMPUTE_PGM_RSRC3_GFX90A:ACCUM_OFFSET: 63
; COMPUTE_PGM_RSRC3_GFX90A:TG_SPLIT: 0
	.section	.text._ZN9rocsolver6v33100L18getri_kernel_smallILi49E19rocblas_complex_numIfEPKPS3_EEvT1_iilPiilS8_bb,"axG",@progbits,_ZN9rocsolver6v33100L18getri_kernel_smallILi49E19rocblas_complex_numIfEPKPS3_EEvT1_iilPiilS8_bb,comdat
	.globl	_ZN9rocsolver6v33100L18getri_kernel_smallILi49E19rocblas_complex_numIfEPKPS3_EEvT1_iilPiilS8_bb ; -- Begin function _ZN9rocsolver6v33100L18getri_kernel_smallILi49E19rocblas_complex_numIfEPKPS3_EEvT1_iilPiilS8_bb
	.p2align	8
	.type	_ZN9rocsolver6v33100L18getri_kernel_smallILi49E19rocblas_complex_numIfEPKPS3_EEvT1_iilPiilS8_bb,@function
_ZN9rocsolver6v33100L18getri_kernel_smallILi49E19rocblas_complex_numIfEPKPS3_EEvT1_iilPiilS8_bb: ; @_ZN9rocsolver6v33100L18getri_kernel_smallILi49E19rocblas_complex_numIfEPKPS3_EEvT1_iilPiilS8_bb
; %bb.0:
	v_cmp_gt_u32_e32 vcc, 49, v0
	s_and_saveexec_b64 s[4:5], vcc
	s_cbranch_execz .LBB112_210
; %bb.1:
	s_load_dword s14, s[0:1], 0x38
	s_load_dwordx2 s[8:9], s[0:1], 0x0
	s_load_dwordx4 s[4:7], s[0:1], 0x28
	s_waitcnt lgkmcnt(0)
	s_bitcmp1_b32 s14, 8
	s_cselect_b64 s[10:11], -1, 0
	s_ashr_i32 s3, s2, 31
	s_lshl_b64 s[12:13], s[2:3], 3
	s_add_u32 s8, s8, s12
	s_addc_u32 s9, s9, s13
	s_load_dwordx2 s[12:13], s[8:9], 0x0
	s_bfe_u32 s8, s14, 0x10008
	s_cmp_eq_u32 s8, 0
                                        ; implicit-def: $sgpr8_sgpr9
	s_cbranch_scc1 .LBB112_3
; %bb.2:
	s_load_dword s8, s[0:1], 0x20
	s_load_dwordx2 s[14:15], s[0:1], 0x18
	s_mul_i32 s9, s4, s3
	s_mul_hi_u32 s16, s4, s2
	s_add_i32 s16, s16, s9
	s_mul_i32 s5, s5, s2
	s_add_i32 s5, s16, s5
	s_mul_i32 s4, s4, s2
	s_waitcnt lgkmcnt(0)
	s_ashr_i32 s9, s8, 31
	s_lshl_b64 s[4:5], s[4:5], 2
	s_add_u32 s14, s14, s4
	s_addc_u32 s15, s15, s5
	s_lshl_b64 s[4:5], s[8:9], 2
	s_add_u32 s8, s14, s4
	s_addc_u32 s9, s15, s5
.LBB112_3:
	s_load_dwordx2 s[4:5], s[0:1], 0x8
	s_load_dword s14, s[0:1], 0x38
	v_lshlrev_b32_e32 v2, 3, v0
	v_mov_b32_e32 v3, 0
	s_waitcnt lgkmcnt(0)
	s_ashr_i32 s1, s4, 31
	s_mov_b32 s0, s4
	s_lshl_b64 s[0:1], s[0:1], 3
	s_add_u32 s0, s12, s0
	s_addc_u32 s1, s13, s1
	v_lshl_add_u64 v[122:123], s[0:1], 0, v[2:3]
	flat_load_dwordx2 v[4:5], v[122:123]
	s_mov_b32 s12, s5
	s_ashr_i32 s13, s5, 31
	v_lshl_add_u64 v[6:7], s[12:13], 3, v[122:123]
	v_accvgpr_write_b32 a0, v6
	s_add_i32 s4, s5, s5
	v_accvgpr_write_b32 a1, v7
	s_bitcmp0_b32 s14, 0
	s_waitcnt vmcnt(0) lgkmcnt(0)
	scratch_store_dwordx2 off, v[4:5], off
	flat_load_dwordx2 v[4:5], v[6:7]
	v_add_u32_e32 v6, s4, v0
	v_ashrrev_i32_e32 v7, 31, v6
	v_lshl_add_u64 v[8:9], v[6:7], 3, s[0:1]
	v_add_u32_e32 v6, s5, v6
	v_accvgpr_write_b32 a2, v8
	v_ashrrev_i32_e32 v7, 31, v6
	v_accvgpr_write_b32 a3, v9
	s_waitcnt vmcnt(0) lgkmcnt(0)
	scratch_store_dwordx2 off, v[4:5], off offset:8
	flat_load_dwordx2 v[4:5], v[8:9]
	v_lshl_add_u64 v[8:9], v[6:7], 3, s[0:1]
	v_add_u32_e32 v6, s5, v6
	v_accvgpr_write_b32 a4, v8
	v_ashrrev_i32_e32 v7, 31, v6
	v_accvgpr_write_b32 a5, v9
	s_waitcnt vmcnt(0) lgkmcnt(0)
	scratch_store_dwordx2 off, v[4:5], off offset:16
	flat_load_dwordx2 v[4:5], v[8:9]
	;; [unrolled: 8-line block ×11, first 2 shown]
	v_lshl_add_u64 v[8:9], v[6:7], 3, s[0:1]
	v_add_u32_e32 v6, s5, v6
	v_ashrrev_i32_e32 v7, 31, v6
	v_lshl_add_u64 v[150:151], v[6:7], 3, s[0:1]
	v_add_u32_e32 v6, s5, v6
	v_ashrrev_i32_e32 v7, 31, v6
	;; [unrolled: 3-line block ×26, first 2 shown]
	v_lshl_add_u64 v[200:201], v[6:7], 3, s[0:1]
	s_waitcnt vmcnt(0) lgkmcnt(0)
	scratch_store_dwordx2 off, v[4:5], off offset:96
	flat_load_dwordx2 v[4:5], v[8:9]
	v_add_u32_e32 v6, s5, v6
	v_ashrrev_i32_e32 v7, 31, v6
	v_lshl_add_u64 v[202:203], v[6:7], 3, s[0:1]
	v_add_u32_e32 v6, s5, v6
	v_ashrrev_i32_e32 v7, 31, v6
	v_lshl_add_u64 v[204:205], v[6:7], 3, s[0:1]
	;; [unrolled: 3-line block ×9, first 2 shown]
	v_accvgpr_write_b32 a25, v9
	v_accvgpr_write_b32 a24, v8
	s_mov_b64 s[4:5], -1
	s_waitcnt vmcnt(0) lgkmcnt(0)
	scratch_store_dwordx2 off, v[4:5], off offset:104
	flat_load_dwordx2 v[4:5], v[150:151]
	s_waitcnt vmcnt(0) lgkmcnt(0)
	scratch_store_dwordx2 off, v[4:5], off offset:112
	flat_load_dwordx2 v[4:5], v[152:153]
	;; [unrolled: 3-line block ×35, first 2 shown]
	s_waitcnt vmcnt(0) lgkmcnt(0)
	scratch_store_dwordx2 off, v[4:5], off offset:384
	s_cbranch_scc1 .LBB112_208
; %bb.4:
	v_cmp_eq_u32_e64 s[0:1], 0, v0
	s_and_saveexec_b64 s[4:5], s[0:1]
; %bb.5:
	v_mov_b32_e32 v1, 0
	ds_write_b32 v1, v1 offset:392
; %bb.6:
	s_or_b64 exec, exec, s[4:5]
	s_waitcnt lgkmcnt(0)
	; wave barrier
	scratch_load_dwordx2 v[4:5], v2, off
	s_waitcnt vmcnt(0)
	v_cmp_eq_f32_e32 vcc, 0, v4
	v_cmp_eq_f32_e64 s[4:5], 0, v5
	s_and_b64 s[4:5], vcc, s[4:5]
	s_and_saveexec_b64 s[12:13], s[4:5]
	s_cbranch_execz .LBB112_10
; %bb.7:
	v_mov_b32_e32 v1, 0
	ds_read_b32 v4, v1 offset:392
	v_add_u32_e32 v3, 1, v0
	s_waitcnt lgkmcnt(0)
	v_readfirstlane_b32 s4, v4
	s_cmp_eq_u32 s4, 0
	s_cselect_b64 s[14:15], -1, 0
	v_cmp_gt_i32_e32 vcc, s4, v3
	s_or_b64 s[14:15], s[14:15], vcc
	s_and_b64 exec, exec, s[14:15]
	s_cbranch_execz .LBB112_10
; %bb.8:
	s_mov_b64 s[14:15], 0
	v_mov_b32_e32 v4, s4
.LBB112_9:                              ; =>This Inner Loop Header: Depth=1
	ds_cmpst_rtn_b32 v4, v1, v4, v3 offset:392
	s_waitcnt lgkmcnt(0)
	v_cmp_ne_u32_e32 vcc, 0, v4
	v_cmp_le_i32_e64 s[4:5], v4, v3
	s_and_b64 s[4:5], vcc, s[4:5]
	s_and_b64 s[4:5], exec, s[4:5]
	s_or_b64 s[14:15], s[4:5], s[14:15]
	s_andn2_b64 exec, exec, s[14:15]
	s_cbranch_execnz .LBB112_9
.LBB112_10:
	s_or_b64 exec, exec, s[12:13]
	v_mov_b32_e32 v3, 0
	; wave barrier
	ds_read_b32 v1, v3 offset:392
	s_and_saveexec_b64 s[4:5], s[0:1]
	s_cbranch_execz .LBB112_12
; %bb.11:
	s_lshl_b64 s[12:13], s[2:3], 2
	s_add_u32 s12, s6, s12
	s_addc_u32 s13, s7, s13
	s_waitcnt lgkmcnt(0)
	global_store_dword v3, v1, s[12:13]
.LBB112_12:
	s_or_b64 exec, exec, s[4:5]
	s_waitcnt lgkmcnt(0)
	v_cmp_ne_u32_e32 vcc, 0, v1
	s_mov_b64 s[4:5], 0
	s_cbranch_vccnz .LBB112_208
; %bb.13:
	v_mov_b32_e32 v3, v2
	scratch_load_dwordx2 v[4:5], v3, off
                                        ; implicit-def: $vgpr7
                                        ; implicit-def: $vgpr8
	s_waitcnt vmcnt(0)
	v_cmp_ngt_f32_e64 s[4:5], |v4|, |v5|
	s_and_saveexec_b64 s[12:13], s[4:5]
	s_xor_b64 s[4:5], exec, s[12:13]
	s_cbranch_execz .LBB112_15
; %bb.14:
	v_div_scale_f32 v1, s[12:13], v5, v5, v4
	v_rcp_f32_e32 v6, v1
	v_div_scale_f32 v7, vcc, v4, v5, v4
	v_fma_f32 v8, -v1, v6, 1.0
	v_fmac_f32_e32 v6, v8, v6
	v_mul_f32_e32 v8, v7, v6
	v_fma_f32 v9, -v1, v8, v7
	v_fmac_f32_e32 v8, v9, v6
	v_fma_f32 v1, -v1, v8, v7
	v_div_fmas_f32 v1, v1, v6, v8
	v_div_fixup_f32 v1, v1, v5, v4
	v_fmac_f32_e32 v5, v4, v1
	v_div_scale_f32 v4, s[12:13], v5, v5, -1.0
	v_rcp_f32_e32 v6, v4
	s_nop 0
	v_fma_f32 v7, -v4, v6, 1.0
	v_fmac_f32_e32 v6, v7, v6
	v_div_scale_f32 v7, vcc, -1.0, v5, -1.0
	v_mul_f32_e32 v8, v7, v6
	v_fma_f32 v9, -v4, v8, v7
	v_fmac_f32_e32 v8, v9, v6
	v_fma_f32 v4, -v4, v8, v7
	v_div_fmas_f32 v4, v4, v6, v8
	v_div_fixup_f32 v7, v4, v5, -1.0
	v_mul_f32_e32 v8, v1, v7
	v_xor_b32_e32 v6, 0x80000000, v8
                                        ; implicit-def: $vgpr4_vgpr5
.LBB112_15:
	s_andn2_saveexec_b64 s[4:5], s[4:5]
	s_cbranch_execz .LBB112_17
; %bb.16:
	v_div_scale_f32 v1, s[12:13], v4, v4, v5
	v_rcp_f32_e32 v6, v1
	v_div_scale_f32 v7, vcc, v5, v4, v5
	v_fma_f32 v8, -v1, v6, 1.0
	v_fmac_f32_e32 v6, v8, v6
	v_mul_f32_e32 v8, v7, v6
	v_fma_f32 v9, -v1, v8, v7
	v_fmac_f32_e32 v8, v9, v6
	v_fma_f32 v1, -v1, v8, v7
	v_div_fmas_f32 v1, v1, v6, v8
	v_div_fixup_f32 v1, v1, v4, v5
	v_fmac_f32_e32 v4, v5, v1
	v_div_scale_f32 v5, s[12:13], v4, v4, 1.0
	v_rcp_f32_e32 v6, v5
	s_nop 0
	v_fma_f32 v7, -v5, v6, 1.0
	v_fmac_f32_e32 v6, v7, v6
	v_div_scale_f32 v7, vcc, 1.0, v4, 1.0
	v_mul_f32_e32 v8, v7, v6
	v_fma_f32 v9, -v5, v8, v7
	v_fmac_f32_e32 v8, v9, v6
	v_fma_f32 v5, -v5, v8, v7
	v_div_fmas_f32 v5, v5, v6, v8
	v_div_fixup_f32 v6, v5, v4, 1.0
	v_xor_b32_e32 v8, 0x80000000, v6
	v_mul_f32_e64 v7, v1, -v6
.LBB112_17:
	s_or_b64 exec, exec, s[4:5]
	scratch_store_dwordx2 v3, v[6:7], off
	scratch_load_dwordx2 v[4:5], off, off offset:8
	v_xor_b32_e32 v9, 0x80000000, v7
	v_add_u32_e32 v1, 0x190, v2
	s_waitcnt vmcnt(0)
	ds_write2_b64 v2, v[8:9], v[4:5] offset1:50
	s_waitcnt lgkmcnt(0)
	; wave barrier
	s_and_saveexec_b64 s[4:5], s[0:1]
	s_cbranch_execz .LBB112_19
; %bb.18:
	scratch_load_dwordx2 v[4:5], v3, off
	ds_read_b64 v[6:7], v1
	v_mov_b32_e32 v8, 0
	ds_read_b64 v[8:9], v8 offset:8
	s_waitcnt vmcnt(0) lgkmcnt(1)
	v_pk_mul_f32 v[10:11], v[6:7], v[4:5] op_sel:[1,1] op_sel_hi:[0,1]
	v_pk_fma_f32 v[12:13], v[6:7], v[4:5], v[10:11] neg_lo:[0,0,1] neg_hi:[0,0,1]
	v_pk_fma_f32 v[4:5], v[6:7], v[4:5], v[10:11] op_sel_hi:[1,0,1]
	s_nop 0
	v_mov_b32_e32 v13, v5
	v_pk_add_f32 v[4:5], v[12:13], 0 op_sel_hi:[1,0]
	s_waitcnt lgkmcnt(0)
	v_pk_mul_f32 v[6:7], v[4:5], v[8:9] op_sel:[1,1] op_sel_hi:[0,1]
	v_pk_fma_f32 v[10:11], v[4:5], v[8:9], v[6:7] neg_lo:[0,0,1] neg_hi:[0,0,1]
	v_pk_fma_f32 v[4:5], v[4:5], v[8:9], v[6:7] op_sel_hi:[1,0,1]
	s_nop 0
	v_mov_b32_e32 v11, v5
	scratch_store_dwordx2 off, v[10:11], off offset:8
.LBB112_19:
	s_or_b64 exec, exec, s[4:5]
	; wave barrier
	scratch_load_dwordx2 v[4:5], off, off offset:16
	v_cmp_gt_u32_e32 vcc, 2, v0
	s_waitcnt vmcnt(0)
	ds_write_b64 v1, v[4:5]
	s_waitcnt lgkmcnt(0)
	; wave barrier
	s_and_saveexec_b64 s[4:5], vcc
	s_cbranch_execz .LBB112_23
; %bb.20:
	scratch_load_dwordx2 v[4:5], v3, off
	ds_read_b64 v[6:7], v1
	s_waitcnt vmcnt(0) lgkmcnt(0)
	v_pk_mul_f32 v[8:9], v[6:7], v[4:5] op_sel:[1,1] op_sel_hi:[0,1]
	v_pk_fma_f32 v[10:11], v[6:7], v[4:5], v[8:9] neg_lo:[0,0,1] neg_hi:[0,0,1]
	v_pk_fma_f32 v[4:5], v[6:7], v[4:5], v[8:9] op_sel_hi:[1,0,1]
	s_nop 0
	v_mov_b32_e32 v11, v5
	v_pk_add_f32 v[4:5], v[10:11], 0 op_sel_hi:[1,0]
	s_and_saveexec_b64 s[12:13], s[0:1]
	s_cbranch_execz .LBB112_22
; %bb.21:
	scratch_load_dwordx2 v[6:7], off, off offset:8
	v_mov_b32_e32 v3, 0
	ds_read_b64 v[8:9], v3 offset:408
	s_waitcnt vmcnt(0) lgkmcnt(0)
	v_pk_mul_f32 v[10:11], v[8:9], v[6:7] op_sel:[1,1] op_sel_hi:[0,1]
	v_pk_fma_f32 v[12:13], v[8:9], v[6:7], v[10:11] neg_lo:[0,0,1] neg_hi:[0,0,1]
	v_pk_fma_f32 v[6:7], v[8:9], v[6:7], v[10:11] op_sel_hi:[1,0,1]
	s_nop 0
	v_mov_b32_e32 v13, v7
	v_pk_add_f32 v[4:5], v[4:5], v[12:13]
.LBB112_22:
	s_or_b64 exec, exec, s[12:13]
	v_mov_b32_e32 v3, 0
	ds_read_b64 v[6:7], v3 offset:16
	s_waitcnt lgkmcnt(0)
	v_pk_mul_f32 v[8:9], v[4:5], v[6:7] op_sel:[1,1] op_sel_hi:[0,1]
	v_pk_fma_f32 v[10:11], v[4:5], v[6:7], v[8:9] neg_lo:[0,0,1] neg_hi:[0,0,1]
	v_pk_fma_f32 v[4:5], v[4:5], v[6:7], v[8:9] op_sel_hi:[1,0,1]
	s_nop 0
	v_mov_b32_e32 v11, v5
	scratch_store_dwordx2 off, v[10:11], off offset:16
.LBB112_23:
	s_or_b64 exec, exec, s[4:5]
	; wave barrier
	scratch_load_dwordx2 v[4:5], off, off offset:24
	v_cmp_gt_u32_e32 vcc, 3, v0
	v_add_u32_e32 v6, -1, v0
	s_waitcnt vmcnt(0)
	ds_write_b64 v1, v[4:5]
	s_waitcnt lgkmcnt(0)
	; wave barrier
	s_and_saveexec_b64 s[0:1], vcc
	s_cbranch_execz .LBB112_27
; %bb.24:
	v_mov_b32_e32 v4, 0
	v_add_u32_e32 v3, -1, v0
	v_add_u32_e32 v7, 0x190, v2
	v_mov_b32_e32 v8, v2
	s_mov_b64 s[4:5], 0
	v_mov_b32_e32 v5, v4
.LBB112_25:                             ; =>This Inner Loop Header: Depth=1
	scratch_load_dwordx2 v[10:11], v8, off
	ds_read_b64 v[12:13], v7
	v_add_u32_e32 v3, 1, v3
	v_cmp_lt_u32_e32 vcc, 1, v3
	v_add_u32_e32 v7, 8, v7
	v_add_u32_e32 v8, 8, v8
	s_or_b64 s[4:5], vcc, s[4:5]
	s_waitcnt vmcnt(0) lgkmcnt(0)
	v_pk_mul_f32 v[14:15], v[12:13], v[10:11] op_sel:[1,1] op_sel_hi:[0,1]
	v_pk_fma_f32 v[16:17], v[12:13], v[10:11], v[14:15] neg_lo:[0,0,1] neg_hi:[0,0,1]
	v_pk_fma_f32 v[10:11], v[12:13], v[10:11], v[14:15] op_sel_hi:[1,0,1]
	s_nop 0
	v_mov_b32_e32 v17, v11
	v_pk_add_f32 v[4:5], v[4:5], v[16:17]
	s_andn2_b64 exec, exec, s[4:5]
	s_cbranch_execnz .LBB112_25
; %bb.26:
	s_or_b64 exec, exec, s[4:5]
	v_mov_b32_e32 v3, 0
	ds_read_b64 v[8:9], v3 offset:24
	s_waitcnt lgkmcnt(0)
	v_pk_mul_f32 v[10:11], v[4:5], v[8:9] op_sel:[1,1] op_sel_hi:[0,1]
	v_pk_fma_f32 v[12:13], v[4:5], v[8:9], v[10:11] neg_lo:[0,0,1] neg_hi:[0,0,1]
	v_pk_fma_f32 v[4:5], v[4:5], v[8:9], v[10:11] op_sel_hi:[1,0,1]
	s_nop 0
	v_mov_b32_e32 v13, v5
	scratch_store_dwordx2 off, v[12:13], off offset:24
.LBB112_27:
	s_or_b64 exec, exec, s[0:1]
	; wave barrier
	scratch_load_dwordx2 v[4:5], off, off offset:32
	v_cmp_gt_u32_e32 vcc, 4, v0
	s_waitcnt vmcnt(0)
	ds_write_b64 v1, v[4:5]
	s_waitcnt lgkmcnt(0)
	; wave barrier
	s_and_saveexec_b64 s[0:1], vcc
	s_cbranch_execz .LBB112_31
; %bb.28:
	v_mov_b32_e32 v4, 0
	v_add_u32_e32 v3, -1, v0
	v_add_u32_e32 v7, 0x190, v2
	v_mov_b32_e32 v8, v2
	s_mov_b64 s[4:5], 0
	v_mov_b32_e32 v5, v4
.LBB112_29:                             ; =>This Inner Loop Header: Depth=1
	scratch_load_dwordx2 v[10:11], v8, off
	ds_read_b64 v[12:13], v7
	v_add_u32_e32 v3, 1, v3
	v_cmp_lt_u32_e32 vcc, 2, v3
	v_add_u32_e32 v7, 8, v7
	v_add_u32_e32 v8, 8, v8
	s_or_b64 s[4:5], vcc, s[4:5]
	s_waitcnt vmcnt(0) lgkmcnt(0)
	v_pk_mul_f32 v[14:15], v[12:13], v[10:11] op_sel:[1,1] op_sel_hi:[0,1]
	v_pk_fma_f32 v[16:17], v[12:13], v[10:11], v[14:15] neg_lo:[0,0,1] neg_hi:[0,0,1]
	v_pk_fma_f32 v[10:11], v[12:13], v[10:11], v[14:15] op_sel_hi:[1,0,1]
	s_nop 0
	v_mov_b32_e32 v17, v11
	v_pk_add_f32 v[4:5], v[4:5], v[16:17]
	s_andn2_b64 exec, exec, s[4:5]
	s_cbranch_execnz .LBB112_29
; %bb.30:
	s_or_b64 exec, exec, s[4:5]
	v_mov_b32_e32 v3, 0
	ds_read_b64 v[8:9], v3 offset:32
	s_waitcnt lgkmcnt(0)
	v_pk_mul_f32 v[10:11], v[4:5], v[8:9] op_sel:[1,1] op_sel_hi:[0,1]
	v_pk_fma_f32 v[12:13], v[4:5], v[8:9], v[10:11] neg_lo:[0,0,1] neg_hi:[0,0,1]
	v_pk_fma_f32 v[4:5], v[4:5], v[8:9], v[10:11] op_sel_hi:[1,0,1]
	s_nop 0
	v_mov_b32_e32 v13, v5
	scratch_store_dwordx2 off, v[12:13], off offset:32
.LBB112_31:
	s_or_b64 exec, exec, s[0:1]
	; wave barrier
	scratch_load_dwordx2 v[4:5], off, off offset:40
	v_cmp_gt_u32_e32 vcc, 5, v0
	;; [unrolled: 46-line block ×19, first 2 shown]
	s_waitcnt vmcnt(0)
	ds_write_b64 v1, v[4:5]
	s_waitcnt lgkmcnt(0)
	; wave barrier
	s_and_saveexec_b64 s[0:1], vcc
	s_cbranch_execz .LBB112_103
; %bb.100:
	v_mov_b32_e32 v4, 0
	v_add_u32_e32 v3, -1, v0
	v_add_u32_e32 v7, 0x190, v2
	v_mov_b32_e32 v8, v2
	s_mov_b64 s[4:5], 0
	v_mov_b32_e32 v5, v4
.LBB112_101:                            ; =>This Inner Loop Header: Depth=1
	scratch_load_dwordx2 v[10:11], v8, off
	ds_read_b64 v[12:13], v7
	v_add_u32_e32 v3, 1, v3
	v_cmp_lt_u32_e32 vcc, 20, v3
	v_add_u32_e32 v7, 8, v7
	v_add_u32_e32 v8, 8, v8
	s_or_b64 s[4:5], vcc, s[4:5]
	s_waitcnt vmcnt(0) lgkmcnt(0)
	v_pk_mul_f32 v[14:15], v[12:13], v[10:11] op_sel:[1,1] op_sel_hi:[0,1]
	v_pk_fma_f32 v[16:17], v[12:13], v[10:11], v[14:15] neg_lo:[0,0,1] neg_hi:[0,0,1]
	v_pk_fma_f32 v[10:11], v[12:13], v[10:11], v[14:15] op_sel_hi:[1,0,1]
	s_nop 0
	v_mov_b32_e32 v17, v11
	v_pk_add_f32 v[4:5], v[4:5], v[16:17]
	s_andn2_b64 exec, exec, s[4:5]
	s_cbranch_execnz .LBB112_101
; %bb.102:
	s_or_b64 exec, exec, s[4:5]
	v_mov_b32_e32 v3, 0
	ds_read_b64 v[8:9], v3 offset:176
	s_waitcnt lgkmcnt(0)
	v_pk_mul_f32 v[10:11], v[4:5], v[8:9] op_sel:[1,1] op_sel_hi:[0,1]
	v_pk_fma_f32 v[12:13], v[4:5], v[8:9], v[10:11] neg_lo:[0,0,1] neg_hi:[0,0,1]
	v_pk_fma_f32 v[4:5], v[4:5], v[8:9], v[10:11] op_sel_hi:[1,0,1]
	s_nop 0
	v_mov_b32_e32 v13, v5
	scratch_store_dwordx2 off, v[12:13], off offset:176
.LBB112_103:
	s_or_b64 exec, exec, s[0:1]
	; wave barrier
	scratch_load_dwordx2 v[4:5], off, off offset:184
	v_cmp_gt_u32_e32 vcc, 23, v0
	s_waitcnt vmcnt(0)
	ds_write_b64 v1, v[4:5]
	s_waitcnt lgkmcnt(0)
	; wave barrier
	s_and_saveexec_b64 s[0:1], vcc
	s_cbranch_execz .LBB112_107
; %bb.104:
	v_mov_b32_e32 v4, 0
	v_add_u32_e32 v3, -1, v0
	v_add_u32_e32 v7, 0x190, v2
	v_mov_b32_e32 v8, v2
	s_mov_b64 s[4:5], 0
	v_mov_b32_e32 v5, v4
.LBB112_105:                            ; =>This Inner Loop Header: Depth=1
	scratch_load_dwordx2 v[10:11], v8, off
	ds_read_b64 v[12:13], v7
	v_add_u32_e32 v3, 1, v3
	v_cmp_lt_u32_e32 vcc, 21, v3
	v_add_u32_e32 v7, 8, v7
	v_add_u32_e32 v8, 8, v8
	s_or_b64 s[4:5], vcc, s[4:5]
	s_waitcnt vmcnt(0) lgkmcnt(0)
	v_pk_mul_f32 v[14:15], v[12:13], v[10:11] op_sel:[1,1] op_sel_hi:[0,1]
	v_pk_fma_f32 v[16:17], v[12:13], v[10:11], v[14:15] neg_lo:[0,0,1] neg_hi:[0,0,1]
	v_pk_fma_f32 v[10:11], v[12:13], v[10:11], v[14:15] op_sel_hi:[1,0,1]
	s_nop 0
	v_mov_b32_e32 v17, v11
	v_pk_add_f32 v[4:5], v[4:5], v[16:17]
	s_andn2_b64 exec, exec, s[4:5]
	s_cbranch_execnz .LBB112_105
; %bb.106:
	s_or_b64 exec, exec, s[4:5]
	v_mov_b32_e32 v3, 0
	ds_read_b64 v[8:9], v3 offset:184
	s_waitcnt lgkmcnt(0)
	v_pk_mul_f32 v[10:11], v[4:5], v[8:9] op_sel:[1,1] op_sel_hi:[0,1]
	v_pk_fma_f32 v[12:13], v[4:5], v[8:9], v[10:11] neg_lo:[0,0,1] neg_hi:[0,0,1]
	v_pk_fma_f32 v[4:5], v[4:5], v[8:9], v[10:11] op_sel_hi:[1,0,1]
	s_nop 0
	v_mov_b32_e32 v13, v5
	scratch_store_dwordx2 off, v[12:13], off offset:184
.LBB112_107:
	s_or_b64 exec, exec, s[0:1]
	; wave barrier
	scratch_load_dwordx2 v[4:5], off, off offset:192
	v_cmp_gt_u32_e32 vcc, 24, v0
	;; [unrolled: 46-line block ×25, first 2 shown]
	s_waitcnt vmcnt(0)
	ds_write_b64 v1, v[4:5]
	s_waitcnt lgkmcnt(0)
	; wave barrier
	s_and_saveexec_b64 s[0:1], vcc
	s_cbranch_execz .LBB112_203
; %bb.200:
	v_mov_b32_e32 v4, 0
	v_add_u32_e32 v3, -1, v0
	v_add_u32_e32 v7, 0x190, v2
	v_mov_b32_e32 v8, v2
	s_mov_b64 s[4:5], 0
	v_mov_b32_e32 v5, v4
.LBB112_201:                            ; =>This Inner Loop Header: Depth=1
	scratch_load_dwordx2 v[10:11], v8, off
	ds_read_b64 v[12:13], v7
	v_add_u32_e32 v3, 1, v3
	v_cmp_lt_u32_e32 vcc, 45, v3
	v_add_u32_e32 v7, 8, v7
	v_add_u32_e32 v8, 8, v8
	s_or_b64 s[4:5], vcc, s[4:5]
	s_waitcnt vmcnt(0) lgkmcnt(0)
	v_pk_mul_f32 v[14:15], v[12:13], v[10:11] op_sel:[1,1] op_sel_hi:[0,1]
	v_pk_fma_f32 v[16:17], v[12:13], v[10:11], v[14:15] neg_lo:[0,0,1] neg_hi:[0,0,1]
	v_pk_fma_f32 v[10:11], v[12:13], v[10:11], v[14:15] op_sel_hi:[1,0,1]
	s_nop 0
	v_mov_b32_e32 v17, v11
	v_pk_add_f32 v[4:5], v[4:5], v[16:17]
	s_andn2_b64 exec, exec, s[4:5]
	s_cbranch_execnz .LBB112_201
; %bb.202:
	s_or_b64 exec, exec, s[4:5]
	v_mov_b32_e32 v3, 0
	ds_read_b64 v[8:9], v3 offset:376
	s_waitcnt lgkmcnt(0)
	v_pk_mul_f32 v[10:11], v[4:5], v[8:9] op_sel:[1,1] op_sel_hi:[0,1]
	v_pk_fma_f32 v[12:13], v[4:5], v[8:9], v[10:11] neg_lo:[0,0,1] neg_hi:[0,0,1]
	v_pk_fma_f32 v[4:5], v[4:5], v[8:9], v[10:11] op_sel_hi:[1,0,1]
	s_nop 0
	v_mov_b32_e32 v13, v5
	scratch_store_dwordx2 off, v[12:13], off offset:376
.LBB112_203:
	s_or_b64 exec, exec, s[0:1]
	; wave barrier
	scratch_load_dwordx2 v[4:5], off, off offset:384
	v_cmp_ne_u32_e32 vcc, 48, v0
	s_waitcnt vmcnt(0)
	ds_write_b64 v1, v[4:5]
	s_waitcnt lgkmcnt(0)
	; wave barrier
	s_and_saveexec_b64 s[0:1], vcc
	s_cbranch_execz .LBB112_207
; %bb.204:
	v_add_u32_e32 v1, 0x190, v2
	v_mov_b32_e32 v4, v2
	v_mov_b32_e32 v2, 0
	s_mov_b64 s[4:5], 0
	v_mov_b32_e32 v3, v2
.LBB112_205:                            ; =>This Inner Loop Header: Depth=1
	scratch_load_dwordx2 v[8:9], v4, off
	ds_read_b64 v[10:11], v1
	v_add_u32_e32 v6, 1, v6
	v_cmp_lt_u32_e32 vcc, 46, v6
	v_add_u32_e32 v1, 8, v1
	v_add_u32_e32 v4, 8, v4
	s_or_b64 s[4:5], vcc, s[4:5]
	s_waitcnt vmcnt(0) lgkmcnt(0)
	v_pk_mul_f32 v[12:13], v[10:11], v[8:9] op_sel:[1,1] op_sel_hi:[0,1]
	v_pk_fma_f32 v[14:15], v[10:11], v[8:9], v[12:13] neg_lo:[0,0,1] neg_hi:[0,0,1]
	v_pk_fma_f32 v[8:9], v[10:11], v[8:9], v[12:13] op_sel_hi:[1,0,1]
	s_nop 0
	v_mov_b32_e32 v15, v9
	v_pk_add_f32 v[2:3], v[2:3], v[14:15]
	s_andn2_b64 exec, exec, s[4:5]
	s_cbranch_execnz .LBB112_205
; %bb.206:
	s_or_b64 exec, exec, s[4:5]
	v_mov_b32_e32 v1, 0
	ds_read_b64 v[4:5], v1 offset:384
	s_waitcnt lgkmcnt(0)
	v_pk_mul_f32 v[6:7], v[2:3], v[4:5] op_sel:[1,1] op_sel_hi:[0,1]
	v_pk_fma_f32 v[8:9], v[2:3], v[4:5], v[6:7] neg_lo:[0,0,1] neg_hi:[0,0,1]
	v_pk_fma_f32 v[2:3], v[2:3], v[4:5], v[6:7] op_sel_hi:[1,0,1]
	s_nop 0
	v_mov_b32_e32 v9, v3
	scratch_store_dwordx2 off, v[8:9], off offset:384
.LBB112_207:
	s_or_b64 exec, exec, s[0:1]
	s_mov_b64 s[4:5], -1
	; wave barrier
.LBB112_208:
	s_and_b64 vcc, exec, s[4:5]
	s_cbranch_vccz .LBB112_210
; %bb.209:
	s_lshl_b64 s[0:1], s[2:3], 2
	s_add_u32 s0, s6, s0
	s_addc_u32 s1, s7, s1
	v_mov_b32_e32 v1, 0
	global_load_dword v1, v1, s[0:1]
	s_waitcnt vmcnt(0)
	v_cmp_ne_u32_e32 vcc, 0, v1
	s_cbranch_vccz .LBB112_211
.LBB112_210:
	s_endpgm
.LBB112_211:
	v_mov_b32_e32 v1, 0x190
	v_lshl_add_u32 v1, v0, 3, v1
	v_cmp_eq_u32_e32 vcc, 48, v0
	s_and_saveexec_b64 s[0:1], vcc
	s_cbranch_execz .LBB112_213
; %bb.212:
	scratch_load_dwordx2 v[2:3], off, off offset:376
	v_mov_b32_e32 v4, 0
	v_mov_b32_e32 v5, v4
	scratch_store_dwordx2 off, v[4:5], off offset:376
	s_waitcnt vmcnt(1)
	ds_write_b64 v1, v[2:3]
.LBB112_213:
	s_or_b64 exec, exec, s[0:1]
	s_waitcnt lgkmcnt(0)
	; wave barrier
	scratch_load_dwordx2 v[4:5], off, off offset:384
	scratch_load_dwordx2 v[6:7], off, off offset:376
	v_mov_b32_e32 v2, 0
	ds_read_b64 v[8:9], v2 offset:784
	v_cmp_lt_u32_e32 vcc, 46, v0
	s_waitcnt vmcnt(1) lgkmcnt(0)
	v_pk_mul_f32 v[10:11], v[8:9], v[4:5] op_sel:[1,1] op_sel_hi:[0,1]
	v_pk_fma_f32 v[12:13], v[8:9], v[4:5], v[10:11] neg_lo:[0,0,1] neg_hi:[0,0,1]
	v_pk_fma_f32 v[4:5], v[8:9], v[4:5], v[10:11] op_sel_hi:[1,0,1]
	s_nop 0
	v_mov_b32_e32 v13, v5
	v_pk_add_f32 v[4:5], v[12:13], 0 op_sel_hi:[1,0]
	s_waitcnt vmcnt(0)
	v_pk_add_f32 v[4:5], v[6:7], v[4:5] neg_lo:[0,1] neg_hi:[0,1]
	scratch_store_dwordx2 off, v[4:5], off offset:376
	s_and_saveexec_b64 s[0:1], vcc
	s_cbranch_execz .LBB112_215
; %bb.214:
	scratch_load_dwordx2 v[4:5], off, off offset:368
	v_mov_b32_e32 v3, v2
	scratch_store_dwordx2 off, v[2:3], off offset:368
	s_waitcnt vmcnt(1)
	ds_write_b64 v1, v[4:5]
.LBB112_215:
	s_or_b64 exec, exec, s[0:1]
	s_waitcnt lgkmcnt(0)
	; wave barrier
	scratch_load_dwordx4 v[4:7], off, off offset:376
	scratch_load_dwordx2 v[12:13], off, off offset:368
	ds_read2_b64 v[8:11], v2 offset0:97 offset1:98
	v_cmp_lt_u32_e32 vcc, 45, v0
	s_waitcnt vmcnt(1) lgkmcnt(0)
	v_pk_mul_f32 v[2:3], v[8:9], v[4:5] op_sel:[1,1] op_sel_hi:[0,1]
	v_mov_b32_e32 v14, v7
	v_pk_fma_f32 v[16:17], v[8:9], v[4:5], v[2:3] neg_lo:[0,0,1] neg_hi:[0,0,1]
	v_pk_fma_f32 v[2:3], v[8:9], v[4:5], v[2:3] op_sel_hi:[1,0,1]
	v_pk_mul_f32 v[4:5], v[10:11], v[14:15] op_sel:[1,0] op_sel_hi:[0,0]
	v_mov_b32_e32 v17, v3
	v_pk_fma_f32 v[2:3], v[10:11], v[6:7], v[4:5] neg_lo:[0,0,1] neg_hi:[0,0,1]
	v_pk_fma_f32 v[4:5], v[10:11], v[6:7], v[4:5] op_sel_hi:[1,0,1]
	v_pk_add_f32 v[6:7], v[16:17], 0 op_sel_hi:[1,0]
	v_mov_b32_e32 v3, v5
	v_pk_add_f32 v[2:3], v[6:7], v[2:3]
	s_waitcnt vmcnt(0)
	v_pk_add_f32 v[2:3], v[12:13], v[2:3] neg_lo:[0,1] neg_hi:[0,1]
	scratch_store_dwordx2 off, v[2:3], off offset:368
	s_and_saveexec_b64 s[0:1], vcc
	s_cbranch_execz .LBB112_217
; %bb.216:
	scratch_load_dwordx2 v[2:3], off, off offset:360
	v_mov_b32_e32 v4, 0
	v_mov_b32_e32 v5, v4
	scratch_store_dwordx2 off, v[4:5], off offset:360
	s_waitcnt vmcnt(1)
	ds_write_b64 v1, v[2:3]
.LBB112_217:
	s_or_b64 exec, exec, s[0:1]
	s_waitcnt lgkmcnt(0)
	; wave barrier
	scratch_load_dwordx4 v[4:7], off, off offset:368
	scratch_load_dwordx2 v[12:13], off, off offset:384
	scratch_load_dwordx2 v[14:15], off, off offset:360
	v_mov_b32_e32 v2, 0
	ds_read_b128 v[8:11], v2 offset:768
	ds_read_b64 v[16:17], v2 offset:784
	v_cmp_lt_u32_e32 vcc, 44, v0
	s_waitcnt vmcnt(2) lgkmcnt(1)
	v_pk_mul_f32 v[18:19], v[8:9], v[4:5] op_sel:[1,1] op_sel_hi:[0,1]
	v_mov_b32_e32 v20, v7
	v_pk_fma_f32 v[24:25], v[8:9], v[4:5], v[18:19] neg_lo:[0,0,1] neg_hi:[0,0,1]
	v_pk_fma_f32 v[4:5], v[8:9], v[4:5], v[18:19] op_sel_hi:[1,0,1]
	v_pk_mul_f32 v[8:9], v[10:11], v[20:21] op_sel:[1,0] op_sel_hi:[0,0]
	s_waitcnt vmcnt(1) lgkmcnt(0)
	v_pk_mul_f32 v[22:23], v[16:17], v[12:13] op_sel:[1,1] op_sel_hi:[0,1]
	v_mov_b32_e32 v25, v5
	v_pk_fma_f32 v[4:5], v[10:11], v[6:7], v[8:9] neg_lo:[0,0,1] neg_hi:[0,0,1]
	v_pk_fma_f32 v[6:7], v[10:11], v[6:7], v[8:9] op_sel_hi:[1,0,1]
	v_pk_fma_f32 v[18:19], v[16:17], v[12:13], v[22:23] neg_lo:[0,0,1] neg_hi:[0,0,1]
	v_pk_fma_f32 v[12:13], v[16:17], v[12:13], v[22:23] op_sel_hi:[1,0,1]
	v_pk_add_f32 v[8:9], v[24:25], 0 op_sel_hi:[1,0]
	v_mov_b32_e32 v5, v7
	v_mov_b32_e32 v19, v13
	v_pk_add_f32 v[4:5], v[8:9], v[4:5]
	s_nop 0
	v_pk_add_f32 v[4:5], v[4:5], v[18:19]
	s_waitcnt vmcnt(0)
	v_pk_add_f32 v[4:5], v[14:15], v[4:5] neg_lo:[0,1] neg_hi:[0,1]
	scratch_store_dwordx2 off, v[4:5], off offset:360
	s_and_saveexec_b64 s[0:1], vcc
	s_cbranch_execz .LBB112_219
; %bb.218:
	scratch_load_dwordx2 v[4:5], off, off offset:352
	v_mov_b32_e32 v3, v2
	scratch_store_dwordx2 off, v[2:3], off offset:352
	s_waitcnt vmcnt(1)
	ds_write_b64 v1, v[4:5]
.LBB112_219:
	s_or_b64 exec, exec, s[0:1]
	s_waitcnt lgkmcnt(0)
	; wave barrier
	scratch_load_dwordx4 v[4:7], off, off offset:360
	scratch_load_dwordx4 v[8:11], off, off offset:376
	scratch_load_dwordx2 v[20:21], off, off offset:352
	ds_read2_b64 v[12:15], v2 offset0:95 offset1:96
	ds_read2_b64 v[16:19], v2 offset0:97 offset1:98
	v_cmp_lt_u32_e32 vcc, 43, v0
	s_waitcnt vmcnt(2) lgkmcnt(1)
	v_pk_mul_f32 v[2:3], v[12:13], v[4:5] op_sel:[1,1] op_sel_hi:[0,1]
	v_mov_b32_e32 v22, v7
	s_waitcnt vmcnt(1) lgkmcnt(0)
	v_pk_mul_f32 v[24:25], v[16:17], v[8:9] op_sel:[1,1] op_sel_hi:[0,1]
	v_mov_b32_e32 v26, v11
	v_pk_fma_f32 v[28:29], v[12:13], v[4:5], v[2:3] neg_lo:[0,0,1] neg_hi:[0,0,1]
	v_pk_fma_f32 v[2:3], v[12:13], v[4:5], v[2:3] op_sel_hi:[1,0,1]
	v_pk_mul_f32 v[4:5], v[14:15], v[22:23] op_sel:[1,0] op_sel_hi:[0,0]
	v_pk_fma_f32 v[12:13], v[16:17], v[8:9], v[24:25] neg_lo:[0,0,1] neg_hi:[0,0,1]
	v_pk_fma_f32 v[8:9], v[16:17], v[8:9], v[24:25] op_sel_hi:[1,0,1]
	v_pk_mul_f32 v[16:17], v[18:19], v[26:27] op_sel:[1,0] op_sel_hi:[0,0]
	v_mov_b32_e32 v29, v3
	v_pk_fma_f32 v[2:3], v[14:15], v[6:7], v[4:5] neg_lo:[0,0,1] neg_hi:[0,0,1]
	v_pk_fma_f32 v[4:5], v[14:15], v[6:7], v[4:5] op_sel_hi:[1,0,1]
	v_mov_b32_e32 v13, v9
	v_pk_fma_f32 v[6:7], v[18:19], v[10:11], v[16:17] neg_lo:[0,0,1] neg_hi:[0,0,1]
	v_pk_fma_f32 v[8:9], v[18:19], v[10:11], v[16:17] op_sel_hi:[1,0,1]
	v_pk_add_f32 v[10:11], v[28:29], 0 op_sel_hi:[1,0]
	v_mov_b32_e32 v3, v5
	v_pk_add_f32 v[2:3], v[10:11], v[2:3]
	v_mov_b32_e32 v7, v9
	v_pk_add_f32 v[2:3], v[2:3], v[12:13]
	s_nop 0
	v_pk_add_f32 v[2:3], v[2:3], v[6:7]
	s_waitcnt vmcnt(0)
	v_pk_add_f32 v[2:3], v[20:21], v[2:3] neg_lo:[0,1] neg_hi:[0,1]
	scratch_store_dwordx2 off, v[2:3], off offset:352
	s_and_saveexec_b64 s[0:1], vcc
	s_cbranch_execz .LBB112_221
; %bb.220:
	scratch_load_dwordx2 v[2:3], off, off offset:344
	v_mov_b32_e32 v4, 0
	v_mov_b32_e32 v5, v4
	scratch_store_dwordx2 off, v[4:5], off offset:344
	s_waitcnt vmcnt(1)
	ds_write_b64 v1, v[2:3]
.LBB112_221:
	s_or_b64 exec, exec, s[0:1]
	s_waitcnt lgkmcnt(0)
	; wave barrier
	scratch_load_dwordx4 v[4:7], off, off offset:352
	scratch_load_dwordx4 v[8:11], off, off offset:368
	scratch_load_dwordx2 v[20:21], off, off offset:384
	v_mov_b32_e32 v2, 0
	ds_read_b128 v[12:15], v2 offset:752
	ds_read_b128 v[16:19], v2 offset:768
	ds_read_b64 v[22:23], v2 offset:784
	v_cmp_lt_u32_e32 vcc, 42, v0
	s_waitcnt vmcnt(2) lgkmcnt(2)
	v_pk_mul_f32 v[24:25], v[12:13], v[4:5] op_sel:[1,1] op_sel_hi:[0,1]
	v_pk_fma_f32 v[26:27], v[12:13], v[4:5], v[24:25] neg_lo:[0,0,1] neg_hi:[0,0,1]
	v_pk_fma_f32 v[4:5], v[12:13], v[4:5], v[24:25] op_sel_hi:[1,0,1]
	v_mov_b32_e32 v12, v7
	v_pk_mul_f32 v[12:13], v[14:15], v[12:13] op_sel:[1,0] op_sel_hi:[0,0]
	v_pk_fma_f32 v[24:25], v[14:15], v[6:7], v[12:13] neg_lo:[0,0,1] neg_hi:[0,0,1]
	v_pk_fma_f32 v[6:7], v[14:15], v[6:7], v[12:13] op_sel_hi:[1,0,1]
	v_mov_b32_e32 v27, v5
	v_mov_b32_e32 v25, v7
	s_waitcnt vmcnt(1) lgkmcnt(1)
	v_pk_mul_f32 v[6:7], v[16:17], v[8:9] op_sel:[1,1] op_sel_hi:[0,1]
	v_pk_fma_f32 v[12:13], v[16:17], v[8:9], v[6:7] neg_lo:[0,0,1] neg_hi:[0,0,1]
	v_pk_fma_f32 v[6:7], v[16:17], v[8:9], v[6:7] op_sel_hi:[1,0,1]
	v_pk_add_f32 v[4:5], v[26:27], 0 op_sel_hi:[1,0]
	v_mov_b32_e32 v6, v11
	v_mov_b32_e32 v13, v7
	v_pk_mul_f32 v[6:7], v[18:19], v[6:7] op_sel:[1,0] op_sel_hi:[0,0]
	v_pk_add_f32 v[4:5], v[4:5], v[24:25]
	v_pk_fma_f32 v[8:9], v[18:19], v[10:11], v[6:7] neg_lo:[0,0,1] neg_hi:[0,0,1]
	v_pk_fma_f32 v[6:7], v[18:19], v[10:11], v[6:7] op_sel_hi:[1,0,1]
	v_pk_add_f32 v[4:5], v[4:5], v[12:13]
	v_mov_b32_e32 v9, v7
	s_waitcnt vmcnt(0) lgkmcnt(0)
	v_pk_mul_f32 v[6:7], v[22:23], v[20:21] op_sel:[1,1] op_sel_hi:[0,1]
	v_pk_add_f32 v[4:5], v[4:5], v[8:9]
	v_pk_fma_f32 v[8:9], v[22:23], v[20:21], v[6:7] neg_lo:[0,0,1] neg_hi:[0,0,1]
	v_pk_fma_f32 v[6:7], v[22:23], v[20:21], v[6:7] op_sel_hi:[1,0,1]
	s_nop 0
	v_mov_b32_e32 v9, v7
	scratch_load_dwordx2 v[6:7], off, off offset:344
	v_pk_add_f32 v[4:5], v[4:5], v[8:9]
	s_waitcnt vmcnt(0)
	v_pk_add_f32 v[4:5], v[6:7], v[4:5] neg_lo:[0,1] neg_hi:[0,1]
	scratch_store_dwordx2 off, v[4:5], off offset:344
	s_and_saveexec_b64 s[0:1], vcc
	s_cbranch_execz .LBB112_223
; %bb.222:
	scratch_load_dwordx2 v[4:5], off, off offset:336
	v_mov_b32_e32 v3, v2
	scratch_store_dwordx2 off, v[2:3], off offset:336
	s_waitcnt vmcnt(1)
	ds_write_b64 v1, v[4:5]
.LBB112_223:
	s_or_b64 exec, exec, s[0:1]
	s_waitcnt lgkmcnt(0)
	; wave barrier
	scratch_load_dwordx4 v[4:7], off, off offset:344
	scratch_load_dwordx4 v[8:11], off, off offset:360
	;; [unrolled: 1-line block ×3, first 2 shown]
	scratch_load_dwordx2 v[28:29], off, off offset:336
	ds_read2_b64 v[16:19], v2 offset0:93 offset1:94
	ds_read2_b64 v[20:23], v2 offset0:95 offset1:96
	;; [unrolled: 1-line block ×3, first 2 shown]
	v_cmp_lt_u32_e32 vcc, 41, v0
	s_waitcnt vmcnt(3) lgkmcnt(2)
	v_pk_mul_f32 v[2:3], v[16:17], v[4:5] op_sel:[1,1] op_sel_hi:[0,1]
	v_mov_b32_e32 v30, v7
	s_waitcnt vmcnt(2) lgkmcnt(1)
	v_pk_mul_f32 v[32:33], v[20:21], v[8:9] op_sel:[1,1] op_sel_hi:[0,1]
	v_mov_b32_e32 v34, v11
	;; [unrolled: 3-line block ×3, first 2 shown]
	v_pk_fma_f32 v[40:41], v[16:17], v[4:5], v[2:3] neg_lo:[0,0,1] neg_hi:[0,0,1]
	v_pk_fma_f32 v[2:3], v[16:17], v[4:5], v[2:3] op_sel_hi:[1,0,1]
	v_pk_mul_f32 v[4:5], v[18:19], v[30:31] op_sel:[1,0] op_sel_hi:[0,0]
	v_pk_fma_f32 v[16:17], v[20:21], v[8:9], v[32:33] neg_lo:[0,0,1] neg_hi:[0,0,1]
	v_pk_fma_f32 v[8:9], v[20:21], v[8:9], v[32:33] op_sel_hi:[1,0,1]
	v_pk_mul_f32 v[20:21], v[22:23], v[34:35] op_sel:[1,0] op_sel_hi:[0,0]
	;; [unrolled: 3-line block ×3, first 2 shown]
	v_mov_b32_e32 v41, v3
	v_pk_fma_f32 v[2:3], v[18:19], v[6:7], v[4:5] neg_lo:[0,0,1] neg_hi:[0,0,1]
	v_pk_fma_f32 v[4:5], v[18:19], v[6:7], v[4:5] op_sel_hi:[1,0,1]
	v_mov_b32_e32 v17, v9
	v_pk_fma_f32 v[6:7], v[22:23], v[10:11], v[20:21] neg_lo:[0,0,1] neg_hi:[0,0,1]
	v_pk_fma_f32 v[8:9], v[22:23], v[10:11], v[20:21] op_sel_hi:[1,0,1]
	v_mov_b32_e32 v31, v13
	v_pk_fma_f32 v[10:11], v[26:27], v[14:15], v[24:25] neg_lo:[0,0,1] neg_hi:[0,0,1]
	v_pk_fma_f32 v[12:13], v[26:27], v[14:15], v[24:25] op_sel_hi:[1,0,1]
	v_pk_add_f32 v[14:15], v[40:41], 0 op_sel_hi:[1,0]
	v_mov_b32_e32 v3, v5
	v_pk_add_f32 v[2:3], v[14:15], v[2:3]
	v_mov_b32_e32 v7, v9
	v_pk_add_f32 v[2:3], v[2:3], v[16:17]
	;; [unrolled: 2-line block ×3, first 2 shown]
	s_nop 0
	v_pk_add_f32 v[2:3], v[2:3], v[30:31]
	s_nop 0
	v_pk_add_f32 v[2:3], v[2:3], v[10:11]
	s_waitcnt vmcnt(0)
	v_pk_add_f32 v[2:3], v[28:29], v[2:3] neg_lo:[0,1] neg_hi:[0,1]
	scratch_store_dwordx2 off, v[2:3], off offset:336
	s_and_saveexec_b64 s[0:1], vcc
	s_cbranch_execz .LBB112_225
; %bb.224:
	scratch_load_dwordx2 v[2:3], off, off offset:328
	v_mov_b32_e32 v4, 0
	v_mov_b32_e32 v5, v4
	scratch_store_dwordx2 off, v[4:5], off offset:328
	s_waitcnt vmcnt(1)
	ds_write_b64 v1, v[2:3]
.LBB112_225:
	s_or_b64 exec, exec, s[0:1]
	s_waitcnt lgkmcnt(0)
	; wave barrier
	scratch_load_dwordx4 v[4:7], off, off offset:336
	scratch_load_dwordx4 v[8:11], off, off offset:352
	;; [unrolled: 1-line block ×3, first 2 shown]
	scratch_load_dwordx2 v[28:29], off, off offset:384
	scratch_load_dwordx2 v[30:31], off, off offset:328
	v_mov_b32_e32 v2, 0
	ds_read_b128 v[16:19], v2 offset:736
	ds_read_b128 v[20:23], v2 offset:752
	;; [unrolled: 1-line block ×3, first 2 shown]
	ds_read_b64 v[32:33], v2 offset:784
	v_cmp_lt_u32_e32 vcc, 40, v0
	s_waitcnt vmcnt(4) lgkmcnt(3)
	v_pk_mul_f32 v[34:35], v[16:17], v[4:5] op_sel:[1,1] op_sel_hi:[0,1]
	v_mov_b32_e32 v36, v7
	v_pk_fma_f32 v[48:49], v[16:17], v[4:5], v[34:35] neg_lo:[0,0,1] neg_hi:[0,0,1]
	v_pk_fma_f32 v[4:5], v[16:17], v[4:5], v[34:35] op_sel_hi:[1,0,1]
	v_pk_mul_f32 v[16:17], v[18:19], v[36:37] op_sel:[1,0] op_sel_hi:[0,0]
	s_waitcnt vmcnt(3) lgkmcnt(2)
	v_pk_mul_f32 v[38:39], v[20:21], v[8:9] op_sel:[1,1] op_sel_hi:[0,1]
	v_mov_b32_e32 v40, v11
	v_mov_b32_e32 v49, v5
	v_pk_fma_f32 v[4:5], v[18:19], v[6:7], v[16:17] neg_lo:[0,0,1] neg_hi:[0,0,1]
	v_pk_fma_f32 v[6:7], v[18:19], v[6:7], v[16:17] op_sel_hi:[1,0,1]
	v_pk_fma_f32 v[34:35], v[20:21], v[8:9], v[38:39] neg_lo:[0,0,1] neg_hi:[0,0,1]
	v_pk_fma_f32 v[8:9], v[20:21], v[8:9], v[38:39] op_sel_hi:[1,0,1]
	v_pk_mul_f32 v[20:21], v[22:23], v[40:41] op_sel:[1,0] op_sel_hi:[0,0]
	v_pk_add_f32 v[16:17], v[48:49], 0 op_sel_hi:[1,0]
	v_mov_b32_e32 v5, v7
	s_waitcnt vmcnt(2) lgkmcnt(1)
	v_pk_mul_f32 v[42:43], v[24:25], v[12:13] op_sel:[1,1] op_sel_hi:[0,1]
	v_mov_b32_e32 v44, v15
	v_mov_b32_e32 v35, v9
	v_pk_fma_f32 v[8:9], v[22:23], v[10:11], v[20:21] neg_lo:[0,0,1] neg_hi:[0,0,1]
	v_pk_fma_f32 v[10:11], v[22:23], v[10:11], v[20:21] op_sel_hi:[1,0,1]
	v_pk_add_f32 v[4:5], v[16:17], v[4:5]
	v_pk_fma_f32 v[36:37], v[24:25], v[12:13], v[42:43] neg_lo:[0,0,1] neg_hi:[0,0,1]
	v_pk_fma_f32 v[12:13], v[24:25], v[12:13], v[42:43] op_sel_hi:[1,0,1]
	v_pk_mul_f32 v[24:25], v[26:27], v[44:45] op_sel:[1,0] op_sel_hi:[0,0]
	v_mov_b32_e32 v9, v11
	v_pk_add_f32 v[4:5], v[4:5], v[34:35]
	s_waitcnt vmcnt(1) lgkmcnt(0)
	v_pk_mul_f32 v[46:47], v[32:33], v[28:29] op_sel:[1,1] op_sel_hi:[0,1]
	v_mov_b32_e32 v37, v13
	v_pk_fma_f32 v[12:13], v[26:27], v[14:15], v[24:25] neg_lo:[0,0,1] neg_hi:[0,0,1]
	v_pk_fma_f32 v[14:15], v[26:27], v[14:15], v[24:25] op_sel_hi:[1,0,1]
	v_pk_add_f32 v[4:5], v[4:5], v[8:9]
	v_pk_fma_f32 v[38:39], v[32:33], v[28:29], v[46:47] neg_lo:[0,0,1] neg_hi:[0,0,1]
	v_pk_fma_f32 v[28:29], v[32:33], v[28:29], v[46:47] op_sel_hi:[1,0,1]
	v_mov_b32_e32 v13, v15
	v_pk_add_f32 v[4:5], v[4:5], v[36:37]
	v_mov_b32_e32 v39, v29
	v_pk_add_f32 v[4:5], v[4:5], v[12:13]
	s_nop 0
	v_pk_add_f32 v[4:5], v[4:5], v[38:39]
	s_waitcnt vmcnt(0)
	v_pk_add_f32 v[4:5], v[30:31], v[4:5] neg_lo:[0,1] neg_hi:[0,1]
	scratch_store_dwordx2 off, v[4:5], off offset:328
	s_and_saveexec_b64 s[0:1], vcc
	s_cbranch_execz .LBB112_227
; %bb.226:
	scratch_load_dwordx2 v[4:5], off, off offset:320
	v_mov_b32_e32 v3, v2
	scratch_store_dwordx2 off, v[2:3], off offset:320
	s_waitcnt vmcnt(1)
	ds_write_b64 v1, v[4:5]
.LBB112_227:
	s_or_b64 exec, exec, s[0:1]
	s_waitcnt lgkmcnt(0)
	; wave barrier
	scratch_load_dwordx4 v[4:7], off, off offset:328
	scratch_load_dwordx4 v[8:11], off, off offset:344
	;; [unrolled: 1-line block ×4, first 2 shown]
	scratch_load_dwordx2 v[36:37], off, off offset:320
	ds_read2_b64 v[20:23], v2 offset0:91 offset1:92
	ds_read2_b64 v[24:27], v2 offset0:93 offset1:94
	;; [unrolled: 1-line block ×4, first 2 shown]
	v_cmp_lt_u32_e32 vcc, 39, v0
	s_waitcnt vmcnt(4) lgkmcnt(3)
	v_pk_mul_f32 v[2:3], v[20:21], v[4:5] op_sel:[1,1] op_sel_hi:[0,1]
	v_mov_b32_e32 v38, v7
	s_waitcnt vmcnt(3) lgkmcnt(2)
	v_pk_mul_f32 v[40:41], v[24:25], v[8:9] op_sel:[1,1] op_sel_hi:[0,1]
	v_mov_b32_e32 v42, v11
	;; [unrolled: 3-line block ×4, first 2 shown]
	v_pk_fma_f32 v[52:53], v[20:21], v[4:5], v[2:3] neg_lo:[0,0,1] neg_hi:[0,0,1]
	v_pk_fma_f32 v[2:3], v[20:21], v[4:5], v[2:3] op_sel_hi:[1,0,1]
	v_pk_mul_f32 v[4:5], v[22:23], v[38:39] op_sel:[1,0] op_sel_hi:[0,0]
	v_pk_fma_f32 v[20:21], v[24:25], v[8:9], v[40:41] neg_lo:[0,0,1] neg_hi:[0,0,1]
	v_pk_fma_f32 v[8:9], v[24:25], v[8:9], v[40:41] op_sel_hi:[1,0,1]
	v_pk_mul_f32 v[24:25], v[26:27], v[42:43] op_sel:[1,0] op_sel_hi:[0,0]
	;; [unrolled: 3-line block ×4, first 2 shown]
	v_mov_b32_e32 v53, v3
	v_pk_fma_f32 v[2:3], v[22:23], v[6:7], v[4:5] neg_lo:[0,0,1] neg_hi:[0,0,1]
	v_pk_fma_f32 v[4:5], v[22:23], v[6:7], v[4:5] op_sel_hi:[1,0,1]
	v_mov_b32_e32 v21, v9
	v_pk_fma_f32 v[6:7], v[26:27], v[10:11], v[24:25] neg_lo:[0,0,1] neg_hi:[0,0,1]
	v_pk_fma_f32 v[8:9], v[26:27], v[10:11], v[24:25] op_sel_hi:[1,0,1]
	;; [unrolled: 3-line block ×4, first 2 shown]
	v_pk_add_f32 v[18:19], v[52:53], 0 op_sel_hi:[1,0]
	v_mov_b32_e32 v3, v5
	v_pk_add_f32 v[2:3], v[18:19], v[2:3]
	v_mov_b32_e32 v7, v9
	v_pk_add_f32 v[2:3], v[2:3], v[20:21]
	;; [unrolled: 2-line block ×4, first 2 shown]
	s_nop 0
	v_pk_add_f32 v[2:3], v[2:3], v[10:11]
	s_nop 0
	v_pk_add_f32 v[2:3], v[2:3], v[40:41]
	;; [unrolled: 2-line block ×3, first 2 shown]
	s_waitcnt vmcnt(0)
	v_pk_add_f32 v[2:3], v[36:37], v[2:3] neg_lo:[0,1] neg_hi:[0,1]
	scratch_store_dwordx2 off, v[2:3], off offset:320
	s_and_saveexec_b64 s[0:1], vcc
	s_cbranch_execz .LBB112_229
; %bb.228:
	scratch_load_dwordx2 v[2:3], off, off offset:312
	v_mov_b32_e32 v4, 0
	v_mov_b32_e32 v5, v4
	scratch_store_dwordx2 off, v[4:5], off offset:312
	s_waitcnt vmcnt(1)
	ds_write_b64 v1, v[2:3]
.LBB112_229:
	s_or_b64 exec, exec, s[0:1]
	s_waitcnt lgkmcnt(0)
	; wave barrier
	scratch_load_dwordx4 v[4:7], off, off offset:320
	scratch_load_dwordx4 v[8:11], off, off offset:336
	scratch_load_dwordx4 v[12:15], off, off offset:352
	scratch_load_dwordx4 v[16:19], off, off offset:368
	scratch_load_dwordx2 v[36:37], off, off offset:384
	scratch_load_dwordx2 v[38:39], off, off offset:312
	v_mov_b32_e32 v2, 0
	ds_read_b128 v[20:23], v2 offset:720
	ds_read_b128 v[24:27], v2 offset:736
	;; [unrolled: 1-line block ×4, first 2 shown]
	ds_read_b64 v[40:41], v2 offset:784
	v_cmp_lt_u32_e32 vcc, 38, v0
	s_waitcnt vmcnt(5) lgkmcnt(4)
	v_mul_f32_e32 v43, v20, v5
	v_mul_f32_e32 v3, v21, v5
	v_mov_b32_e32 v44, v7
	s_waitcnt vmcnt(4) lgkmcnt(3)
	v_pk_mul_f32 v[46:47], v[24:25], v[8:9] op_sel:[1,1] op_sel_hi:[0,1]
	v_mov_b32_e32 v48, v11
	s_waitcnt vmcnt(1) lgkmcnt(0)
	v_pk_mul_f32 v[58:59], v[40:41], v[36:37] op_sel:[1,1] op_sel_hi:[0,1]
	v_fmac_f32_e32 v43, v21, v4
	v_fma_f32 v42, v20, v4, -v3
	v_pk_mul_f32 v[4:5], v[22:23], v[44:45] op_sel:[1,0] op_sel_hi:[0,0]
	v_pk_fma_f32 v[20:21], v[24:25], v[8:9], v[46:47] neg_lo:[0,0,1] neg_hi:[0,0,1]
	v_pk_fma_f32 v[8:9], v[24:25], v[8:9], v[46:47] op_sel_hi:[1,0,1]
	v_pk_mul_f32 v[24:25], v[26:27], v[48:49] op_sel:[1,0] op_sel_hi:[0,0]
	v_pk_fma_f32 v[48:49], v[40:41], v[36:37], v[58:59] neg_lo:[0,0,1] neg_hi:[0,0,1]
	v_pk_fma_f32 v[36:37], v[40:41], v[36:37], v[58:59] op_sel_hi:[1,0,1]
	v_pk_add_f32 v[40:41], v[42:43], 0 op_sel_hi:[1,0]
	v_pk_fma_f32 v[42:43], v[22:23], v[6:7], v[4:5] neg_lo:[0,0,1] neg_hi:[0,0,1]
	v_pk_fma_f32 v[4:5], v[22:23], v[6:7], v[4:5] op_sel_hi:[1,0,1]
	v_pk_mul_f32 v[50:51], v[28:29], v[12:13] op_sel:[1,1] op_sel_hi:[0,1]
	v_mov_b32_e32 v43, v5
	v_mov_b32_e32 v52, v15
	;; [unrolled: 1-line block ×3, first 2 shown]
	v_pk_fma_f32 v[6:7], v[26:27], v[10:11], v[24:25] neg_lo:[0,0,1] neg_hi:[0,0,1]
	v_pk_fma_f32 v[8:9], v[26:27], v[10:11], v[24:25] op_sel_hi:[1,0,1]
	v_pk_add_f32 v[4:5], v[40:41], v[42:43]
	v_pk_fma_f32 v[44:45], v[28:29], v[12:13], v[50:51] neg_lo:[0,0,1] neg_hi:[0,0,1]
	v_pk_fma_f32 v[12:13], v[28:29], v[12:13], v[50:51] op_sel_hi:[1,0,1]
	v_pk_mul_f32 v[28:29], v[30:31], v[52:53] op_sel:[1,0] op_sel_hi:[0,0]
	v_mov_b32_e32 v7, v9
	v_pk_add_f32 v[4:5], v[4:5], v[20:21]
	v_pk_mul_f32 v[54:55], v[32:33], v[16:17] op_sel:[1,1] op_sel_hi:[0,1]
	v_mov_b32_e32 v56, v19
	v_mov_b32_e32 v45, v13
	v_pk_fma_f32 v[10:11], v[30:31], v[14:15], v[28:29] neg_lo:[0,0,1] neg_hi:[0,0,1]
	v_pk_fma_f32 v[12:13], v[30:31], v[14:15], v[28:29] op_sel_hi:[1,0,1]
	v_pk_add_f32 v[4:5], v[4:5], v[6:7]
	v_pk_fma_f32 v[46:47], v[32:33], v[16:17], v[54:55] neg_lo:[0,0,1] neg_hi:[0,0,1]
	v_pk_fma_f32 v[16:17], v[32:33], v[16:17], v[54:55] op_sel_hi:[1,0,1]
	v_pk_mul_f32 v[32:33], v[34:35], v[56:57] op_sel:[1,0] op_sel_hi:[0,0]
	v_mov_b32_e32 v11, v13
	v_pk_add_f32 v[4:5], v[4:5], v[44:45]
	v_mov_b32_e32 v47, v17
	v_pk_fma_f32 v[14:15], v[34:35], v[18:19], v[32:33] neg_lo:[0,0,1] neg_hi:[0,0,1]
	v_pk_fma_f32 v[16:17], v[34:35], v[18:19], v[32:33] op_sel_hi:[1,0,1]
	v_pk_add_f32 v[4:5], v[4:5], v[10:11]
	v_mov_b32_e32 v15, v17
	v_pk_add_f32 v[4:5], v[4:5], v[46:47]
	v_mov_b32_e32 v49, v37
	v_pk_add_f32 v[4:5], v[4:5], v[14:15]
	s_nop 0
	v_pk_add_f32 v[4:5], v[4:5], v[48:49]
	s_waitcnt vmcnt(0)
	v_pk_add_f32 v[4:5], v[38:39], v[4:5] neg_lo:[0,1] neg_hi:[0,1]
	scratch_store_dwordx2 off, v[4:5], off offset:312
	s_and_saveexec_b64 s[0:1], vcc
	s_cbranch_execz .LBB112_231
; %bb.230:
	scratch_load_dwordx2 v[4:5], off, off offset:304
	v_mov_b32_e32 v3, v2
	scratch_store_dwordx2 off, v[2:3], off offset:304
	s_waitcnt vmcnt(1)
	ds_write_b64 v1, v[4:5]
.LBB112_231:
	s_or_b64 exec, exec, s[0:1]
	s_waitcnt lgkmcnt(0)
	; wave barrier
	scratch_load_dwordx4 v[4:7], off, off offset:312
	scratch_load_dwordx4 v[8:11], off, off offset:328
	;; [unrolled: 1-line block ×5, first 2 shown]
	scratch_load_dwordx2 v[44:45], off, off offset:304
	ds_read2_b64 v[24:27], v2 offset0:89 offset1:90
	ds_read2_b64 v[28:31], v2 offset0:91 offset1:92
	;; [unrolled: 1-line block ×5, first 2 shown]
	v_cmp_lt_u32_e32 vcc, 37, v0
	s_waitcnt vmcnt(5) lgkmcnt(4)
	v_mul_f32_e32 v3, v24, v5
	v_mul_f32_e32 v2, v25, v5
	;; [unrolled: 1-line block ×4, first 2 shown]
	s_waitcnt vmcnt(4) lgkmcnt(3)
	v_pk_mul_f32 v[48:49], v[28:29], v[8:9] op_sel:[1,1] op_sel_hi:[0,1]
	v_mov_b32_e32 v50, v11
	v_fmac_f32_e32 v3, v25, v4
	v_fma_f32 v2, v24, v4, -v2
	v_fmac_f32_e32 v47, v27, v6
	v_fma_f32 v46, v26, v6, -v5
	v_pk_fma_f32 v[4:5], v[28:29], v[8:9], v[48:49] neg_lo:[0,0,1] neg_hi:[0,0,1]
	v_pk_fma_f32 v[6:7], v[28:29], v[8:9], v[48:49] op_sel_hi:[1,0,1]
	v_pk_mul_f32 v[8:9], v[30:31], v[50:51] op_sel:[1,0] op_sel_hi:[0,0]
	v_pk_add_f32 v[2:3], v[2:3], 0 op_sel_hi:[1,0]
	s_waitcnt vmcnt(3) lgkmcnt(2)
	v_pk_mul_f32 v[52:53], v[32:33], v[12:13] op_sel:[1,1] op_sel_hi:[0,1]
	v_mov_b32_e32 v54, v15
	v_mov_b32_e32 v5, v7
	v_pk_fma_f32 v[6:7], v[30:31], v[10:11], v[8:9] neg_lo:[0,0,1] neg_hi:[0,0,1]
	v_pk_fma_f32 v[8:9], v[30:31], v[10:11], v[8:9] op_sel_hi:[1,0,1]
	v_pk_add_f32 v[2:3], v[2:3], v[46:47]
	v_pk_fma_f32 v[24:25], v[32:33], v[12:13], v[52:53] neg_lo:[0,0,1] neg_hi:[0,0,1]
	v_pk_fma_f32 v[12:13], v[32:33], v[12:13], v[52:53] op_sel_hi:[1,0,1]
	v_pk_mul_f32 v[26:27], v[34:35], v[54:55] op_sel:[1,0] op_sel_hi:[0,0]
	v_mov_b32_e32 v7, v9
	v_pk_add_f32 v[2:3], v[2:3], v[4:5]
	s_waitcnt vmcnt(2) lgkmcnt(1)
	v_pk_mul_f32 v[56:57], v[36:37], v[16:17] op_sel:[1,1] op_sel_hi:[0,1]
	v_mov_b32_e32 v58, v19
	v_mov_b32_e32 v25, v13
	v_pk_fma_f32 v[10:11], v[34:35], v[14:15], v[26:27] neg_lo:[0,0,1] neg_hi:[0,0,1]
	v_pk_fma_f32 v[12:13], v[34:35], v[14:15], v[26:27] op_sel_hi:[1,0,1]
	v_pk_add_f32 v[2:3], v[2:3], v[6:7]
	v_pk_fma_f32 v[28:29], v[36:37], v[16:17], v[56:57] neg_lo:[0,0,1] neg_hi:[0,0,1]
	v_pk_fma_f32 v[16:17], v[36:37], v[16:17], v[56:57] op_sel_hi:[1,0,1]
	v_pk_mul_f32 v[32:33], v[38:39], v[58:59] op_sel:[1,0] op_sel_hi:[0,0]
	v_mov_b32_e32 v11, v13
	v_pk_add_f32 v[2:3], v[2:3], v[24:25]
	;; [unrolled: 12-line block ×3, first 2 shown]
	v_mov_b32_e32 v37, v21
	v_pk_fma_f32 v[18:19], v[42:43], v[22:23], v[40:41] neg_lo:[0,0,1] neg_hi:[0,0,1]
	v_pk_fma_f32 v[20:21], v[42:43], v[22:23], v[40:41] op_sel_hi:[1,0,1]
	v_pk_add_f32 v[2:3], v[2:3], v[14:15]
	v_mov_b32_e32 v19, v21
	v_pk_add_f32 v[2:3], v[2:3], v[36:37]
	s_nop 0
	v_pk_add_f32 v[2:3], v[2:3], v[18:19]
	s_waitcnt vmcnt(0)
	v_pk_add_f32 v[2:3], v[44:45], v[2:3] neg_lo:[0,1] neg_hi:[0,1]
	scratch_store_dwordx2 off, v[2:3], off offset:304
	s_and_saveexec_b64 s[0:1], vcc
	s_cbranch_execz .LBB112_233
; %bb.232:
	scratch_load_dwordx2 v[2:3], off, off offset:296
	v_mov_b32_e32 v4, 0
	v_mov_b32_e32 v5, v4
	scratch_store_dwordx2 off, v[4:5], off offset:296
	s_waitcnt vmcnt(1)
	ds_write_b64 v1, v[2:3]
.LBB112_233:
	s_or_b64 exec, exec, s[0:1]
	s_waitcnt lgkmcnt(0)
	; wave barrier
	scratch_load_dwordx4 v[4:7], off, off offset:304
	scratch_load_dwordx4 v[8:11], off, off offset:320
	;; [unrolled: 1-line block ×5, first 2 shown]
	scratch_load_dwordx2 v[44:45], off, off offset:384
	scratch_load_dwordx2 v[46:47], off, off offset:296
	v_mov_b32_e32 v2, 0
	ds_read_b128 v[24:27], v2 offset:704
	ds_read_b128 v[28:31], v2 offset:720
	;; [unrolled: 1-line block ×5, first 2 shown]
	ds_read_b64 v[48:49], v2 offset:784
	v_cmp_lt_u32_e32 vcc, 36, v0
	s_waitcnt vmcnt(6) lgkmcnt(5)
	v_mul_f32_e32 v3, v24, v5
	v_mul_f32_e32 v5, v25, v5
	;; [unrolled: 1-line block ×3, first 2 shown]
	s_waitcnt vmcnt(5) lgkmcnt(4)
	v_mul_f32_e32 v53, v28, v9
	v_mul_f32_e32 v7, v27, v7
	;; [unrolled: 1-line block ×3, first 2 shown]
	v_mov_b32_e32 v54, v11
	s_waitcnt vmcnt(3) lgkmcnt(2)
	v_pk_mul_f32 v[60:61], v[36:37], v[16:17] op_sel:[1,1] op_sel_hi:[0,1]
	s_waitcnt vmcnt(2) lgkmcnt(1)
	v_pk_mul_f32 v[64:65], v[40:41], v[20:21] op_sel:[1,1] op_sel_hi:[0,1]
	;; [unrolled: 2-line block ×3, first 2 shown]
	v_fmac_f32_e32 v3, v25, v4
	v_fma_f32 v55, v24, v4, -v5
	v_fmac_f32_e32 v51, v27, v6
	v_fmac_f32_e32 v53, v29, v8
	v_fma_f32 v50, v26, v6, -v7
	v_fma_f32 v52, v28, v8, -v9
	v_pk_mul_f32 v[4:5], v[30:31], v[54:55] op_sel:[1,0] op_sel_hi:[0,0]
	v_pk_fma_f32 v[24:25], v[36:37], v[16:17], v[60:61] neg_lo:[0,0,1] neg_hi:[0,0,1]
	v_pk_fma_f32 v[16:17], v[36:37], v[16:17], v[60:61] op_sel_hi:[1,0,1]
	v_pk_fma_f32 v[28:29], v[40:41], v[20:21], v[64:65] neg_lo:[0,0,1] neg_hi:[0,0,1]
	v_pk_fma_f32 v[20:21], v[40:41], v[20:21], v[64:65] op_sel_hi:[1,0,1]
	;; [unrolled: 2-line block ×3, first 2 shown]
	v_add_f32_e32 v45, 0, v3
	v_add_f32_e32 v44, 0, v55
	v_pk_mul_f32 v[56:57], v[32:33], v[12:13] op_sel:[1,1] op_sel_hi:[0,1]
	v_mov_b32_e32 v58, v15
	v_pk_fma_f32 v[48:49], v[30:31], v[10:11], v[4:5] neg_lo:[0,0,1] neg_hi:[0,0,1]
	v_pk_fma_f32 v[4:5], v[30:31], v[10:11], v[4:5] op_sel_hi:[1,0,1]
	v_mov_b32_e32 v29, v21
	v_pk_add_f32 v[20:21], v[44:45], v[50:51]
	v_pk_fma_f32 v[6:7], v[32:33], v[12:13], v[56:57] neg_lo:[0,0,1] neg_hi:[0,0,1]
	v_pk_fma_f32 v[8:9], v[32:33], v[12:13], v[56:57] op_sel_hi:[1,0,1]
	v_pk_mul_f32 v[12:13], v[34:35], v[58:59] op_sel:[1,0] op_sel_hi:[0,0]
	v_mov_b32_e32 v49, v5
	v_pk_add_f32 v[4:5], v[20:21], v[52:53]
	v_mov_b32_e32 v62, v19
	v_mov_b32_e32 v7, v9
	v_pk_fma_f32 v[8:9], v[34:35], v[14:15], v[12:13] neg_lo:[0,0,1] neg_hi:[0,0,1]
	v_pk_fma_f32 v[10:11], v[34:35], v[14:15], v[12:13] op_sel_hi:[1,0,1]
	v_pk_add_f32 v[4:5], v[4:5], v[48:49]
	v_pk_mul_f32 v[26:27], v[38:39], v[62:63] op_sel:[1,0] op_sel_hi:[0,0]
	v_mov_b32_e32 v9, v11
	v_pk_add_f32 v[4:5], v[4:5], v[6:7]
	v_mov_b32_e32 v66, v23
	v_mov_b32_e32 v25, v17
	v_pk_fma_f32 v[12:13], v[38:39], v[18:19], v[26:27] neg_lo:[0,0,1] neg_hi:[0,0,1]
	v_pk_fma_f32 v[14:15], v[38:39], v[18:19], v[26:27] op_sel_hi:[1,0,1]
	v_pk_add_f32 v[4:5], v[4:5], v[8:9]
	v_pk_mul_f32 v[32:33], v[42:43], v[66:67] op_sel:[1,0] op_sel_hi:[0,0]
	v_mov_b32_e32 v13, v15
	v_pk_add_f32 v[4:5], v[4:5], v[24:25]
	v_pk_fma_f32 v[16:17], v[42:43], v[22:23], v[32:33] neg_lo:[0,0,1] neg_hi:[0,0,1]
	v_pk_fma_f32 v[18:19], v[42:43], v[22:23], v[32:33] op_sel_hi:[1,0,1]
	v_pk_add_f32 v[4:5], v[4:5], v[12:13]
	v_mov_b32_e32 v17, v19
	v_pk_add_f32 v[4:5], v[4:5], v[28:29]
	v_mov_b32_e32 v37, v41
	v_pk_add_f32 v[4:5], v[4:5], v[16:17]
	s_nop 0
	v_pk_add_f32 v[4:5], v[4:5], v[36:37]
	s_waitcnt vmcnt(0)
	v_pk_add_f32 v[4:5], v[46:47], v[4:5] neg_lo:[0,1] neg_hi:[0,1]
	scratch_store_dwordx2 off, v[4:5], off offset:296
	s_and_saveexec_b64 s[0:1], vcc
	s_cbranch_execz .LBB112_235
; %bb.234:
	scratch_load_dwordx2 v[4:5], off, off offset:288
	v_mov_b32_e32 v3, v2
	scratch_store_dwordx2 off, v[2:3], off offset:288
	s_waitcnt vmcnt(1)
	ds_write_b64 v1, v[4:5]
.LBB112_235:
	s_or_b64 exec, exec, s[0:1]
	s_waitcnt lgkmcnt(0)
	; wave barrier
	scratch_load_dwordx4 v[4:7], off, off offset:296
	scratch_load_dwordx4 v[8:11], off, off offset:312
	;; [unrolled: 1-line block ×6, first 2 shown]
	scratch_load_dwordx2 v[52:53], off, off offset:288
	ds_read2_b64 v[28:31], v2 offset0:87 offset1:88
	ds_read2_b64 v[32:35], v2 offset0:89 offset1:90
	;; [unrolled: 1-line block ×6, first 2 shown]
	v_cmp_lt_u32_e32 vcc, 35, v0
	s_waitcnt vmcnt(6) lgkmcnt(5)
	v_mul_f32_e32 v59, v28, v5
	v_mul_f32_e32 v63, v30, v7
	s_waitcnt vmcnt(5) lgkmcnt(4)
	v_mul_f32_e32 v3, v32, v9
	v_mul_f32_e32 v2, v29, v5
	;; [unrolled: 1-line block ×4, first 2 shown]
	s_waitcnt vmcnt(1) lgkmcnt(0)
	v_pk_mul_f32 v[68:69], v[48:49], v[24:25] op_sel:[1,1] op_sel_hi:[0,1]
	v_pk_mul_f32 v[56:57], v[36:37], v[12:13] op_sel:[1,1] op_sel_hi:[0,1]
	v_fmac_f32_e32 v59, v29, v4
	v_fmac_f32_e32 v3, v33, v8
	v_fma_f32 v67, v28, v4, -v2
	v_fma_f32 v2, v32, v8, -v7
	v_pk_fma_f32 v[32:33], v[48:49], v[24:25], v[68:69] neg_lo:[0,0,1] neg_hi:[0,0,1]
	v_pk_fma_f32 v[24:25], v[48:49], v[24:25], v[68:69] op_sel_hi:[1,0,1]
	v_fmac_f32_e32 v63, v31, v6
	v_fma_f32 v71, v30, v6, -v5
	v_pk_fma_f32 v[4:5], v[36:37], v[12:13], v[56:57] neg_lo:[0,0,1] neg_hi:[0,0,1]
	v_pk_fma_f32 v[6:7], v[36:37], v[12:13], v[56:57] op_sel_hi:[1,0,1]
	v_add_f32_e32 v24, 0, v59
	v_add_f32_e32 v36, 0, v67
	v_mul_f32_e32 v55, v34, v11
	v_mul_f32_e32 v9, v35, v11
	v_mov_b32_e32 v58, v15
	v_mov_b32_e32 v33, v25
	v_add_f32_e32 v25, v24, v63
	v_add_f32_e32 v24, v36, v71
	v_fmac_f32_e32 v55, v35, v10
	v_fma_f32 v54, v34, v10, -v9
	v_pk_mul_f32 v[8:9], v[38:39], v[58:59] op_sel:[1,0] op_sel_hi:[0,0]
	v_pk_add_f32 v[2:3], v[24:25], v[2:3]
	v_pk_mul_f32 v[60:61], v[40:41], v[16:17] op_sel:[1,1] op_sel_hi:[0,1]
	v_mov_b32_e32 v62, v19
	v_mov_b32_e32 v5, v7
	v_pk_fma_f32 v[6:7], v[38:39], v[14:15], v[8:9] neg_lo:[0,0,1] neg_hi:[0,0,1]
	v_pk_fma_f32 v[8:9], v[38:39], v[14:15], v[8:9] op_sel_hi:[1,0,1]
	v_pk_add_f32 v[2:3], v[2:3], v[54:55]
	v_pk_fma_f32 v[10:11], v[40:41], v[16:17], v[60:61] neg_lo:[0,0,1] neg_hi:[0,0,1]
	v_pk_fma_f32 v[12:13], v[40:41], v[16:17], v[60:61] op_sel_hi:[1,0,1]
	v_pk_mul_f32 v[16:17], v[42:43], v[62:63] op_sel:[1,0] op_sel_hi:[0,0]
	v_mov_b32_e32 v7, v9
	v_pk_add_f32 v[2:3], v[2:3], v[4:5]
	v_pk_mul_f32 v[64:65], v[44:45], v[20:21] op_sel:[1,1] op_sel_hi:[0,1]
	v_mov_b32_e32 v66, v23
	v_mov_b32_e32 v11, v13
	v_pk_fma_f32 v[12:13], v[42:43], v[18:19], v[16:17] neg_lo:[0,0,1] neg_hi:[0,0,1]
	v_pk_fma_f32 v[14:15], v[42:43], v[18:19], v[16:17] op_sel_hi:[1,0,1]
	v_pk_add_f32 v[2:3], v[2:3], v[6:7]
	v_pk_fma_f32 v[28:29], v[44:45], v[20:21], v[64:65] neg_lo:[0,0,1] neg_hi:[0,0,1]
	v_pk_fma_f32 v[20:21], v[44:45], v[20:21], v[64:65] op_sel_hi:[1,0,1]
	v_pk_mul_f32 v[30:31], v[46:47], v[66:67] op_sel:[1,0] op_sel_hi:[0,0]
	v_mov_b32_e32 v13, v15
	v_pk_add_f32 v[2:3], v[2:3], v[10:11]
	v_mov_b32_e32 v70, v27
	v_mov_b32_e32 v29, v21
	v_pk_fma_f32 v[16:17], v[46:47], v[22:23], v[30:31] neg_lo:[0,0,1] neg_hi:[0,0,1]
	v_pk_fma_f32 v[18:19], v[46:47], v[22:23], v[30:31] op_sel_hi:[1,0,1]
	v_pk_add_f32 v[2:3], v[2:3], v[12:13]
	v_pk_mul_f32 v[34:35], v[50:51], v[70:71] op_sel:[1,0] op_sel_hi:[0,0]
	v_mov_b32_e32 v17, v19
	v_pk_add_f32 v[2:3], v[2:3], v[28:29]
	v_pk_fma_f32 v[20:21], v[50:51], v[26:27], v[34:35] neg_lo:[0,0,1] neg_hi:[0,0,1]
	v_pk_fma_f32 v[22:23], v[50:51], v[26:27], v[34:35] op_sel_hi:[1,0,1]
	v_pk_add_f32 v[2:3], v[2:3], v[16:17]
	v_mov_b32_e32 v21, v23
	v_pk_add_f32 v[2:3], v[2:3], v[32:33]
	s_nop 0
	v_pk_add_f32 v[2:3], v[2:3], v[20:21]
	s_waitcnt vmcnt(0)
	v_pk_add_f32 v[2:3], v[52:53], v[2:3] neg_lo:[0,1] neg_hi:[0,1]
	scratch_store_dwordx2 off, v[2:3], off offset:288
	s_and_saveexec_b64 s[0:1], vcc
	s_cbranch_execz .LBB112_237
; %bb.236:
	scratch_load_dwordx2 v[2:3], off, off offset:280
	v_mov_b32_e32 v4, 0
	v_mov_b32_e32 v5, v4
	scratch_store_dwordx2 off, v[4:5], off offset:280
	s_waitcnt vmcnt(1)
	ds_write_b64 v1, v[2:3]
.LBB112_237:
	s_or_b64 exec, exec, s[0:1]
	v_mov_b32_e32 v2, 0
	s_waitcnt lgkmcnt(0)
	; wave barrier
	ds_read_b128 v[4:7], v2 offset:688
	ds_read_b128 v[8:11], v2 offset:704
	;; [unrolled: 1-line block ×4, first 2 shown]
	scratch_load_dwordx4 v[20:23], off, off offset:288
	v_cmp_lt_u32_e32 vcc, 34, v0
	s_waitcnt vmcnt(0) lgkmcnt(3)
	v_mul_f32_e32 v3, v4, v21
	v_fmac_f32_e32 v3, v5, v20
	v_mul_f32_e32 v24, v6, v23
	v_add_f32_e32 v3, 0, v3
	v_fmac_f32_e32 v24, v7, v22
	v_add_f32_e32 v3, v3, v24
	scratch_load_dwordx4 v[24:27], off, off offset:304
	s_waitcnt vmcnt(0) lgkmcnt(2)
	v_mul_f32_e32 v28, v8, v25
	v_fmac_f32_e32 v28, v9, v24
	v_add_f32_e32 v45, v3, v28
	scratch_load_dwordx4 v[28:31], off, off offset:320
	scratch_load_dwordx4 v[32:35], off, off offset:336
	;; [unrolled: 1-line block ×4, first 2 shown]
	scratch_load_dwordx2 v[50:51], off, off offset:384
	v_mul_f32_e32 v3, v5, v21
	v_fma_f32 v3, v4, v20, -v3
	v_mul_f32_e32 v4, v7, v23
	v_add_f32_e32 v3, 0, v3
	v_fma_f32 v4, v6, v22, -v4
	v_add_f32_e32 v3, v3, v4
	v_mul_f32_e32 v4, v9, v25
	v_fma_f32 v4, v8, v24, -v4
	v_mul_f32_e32 v47, v10, v27
	v_add_f32_e32 v44, v3, v4
	v_mul_f32_e32 v3, v11, v27
	v_fmac_f32_e32 v47, v11, v26
	v_fma_f32 v46, v10, v26, -v3
	v_pk_add_f32 v[20:21], v[44:45], v[46:47]
	s_waitcnt vmcnt(4)
	v_mov_b32_e32 v22, v31
	s_waitcnt lgkmcnt(1)
	v_mul_f32_e32 v49, v12, v29
	v_mul_f32_e32 v3, v13, v29
	v_pk_mul_f32 v[22:23], v[14:15], v[22:23] op_sel:[1,0] op_sel_hi:[0,0]
	v_fmac_f32_e32 v49, v13, v28
	v_fma_f32 v48, v12, v28, -v3
	v_pk_fma_f32 v[24:25], v[14:15], v[30:31], v[22:23] neg_lo:[0,0,1] neg_hi:[0,0,1]
	v_pk_fma_f32 v[14:15], v[14:15], v[30:31], v[22:23] op_sel_hi:[1,0,1]
	v_pk_add_f32 v[20:21], v[20:21], v[48:49]
	v_mov_b32_e32 v25, v15
	v_pk_add_f32 v[14:15], v[20:21], v[24:25]
	s_waitcnt vmcnt(3) lgkmcnt(0)
	v_pk_mul_f32 v[20:21], v[16:17], v[32:33] op_sel:[1,1] op_sel_hi:[0,1]
	v_pk_fma_f32 v[22:23], v[16:17], v[32:33], v[20:21] neg_lo:[0,0,1] neg_hi:[0,0,1]
	v_pk_fma_f32 v[16:17], v[16:17], v[32:33], v[20:21] op_sel_hi:[1,0,1]
	ds_read_b128 v[4:7], v2 offset:752
	ds_read_b128 v[8:11], v2 offset:768
	ds_read_b64 v[12:13], v2 offset:784
	v_mov_b32_e32 v16, v35
	v_mov_b32_e32 v23, v17
	v_pk_mul_f32 v[16:17], v[18:19], v[16:17] op_sel:[1,0] op_sel_hi:[0,0]
	v_pk_fma_f32 v[20:21], v[18:19], v[34:35], v[16:17] neg_lo:[0,0,1] neg_hi:[0,0,1]
	v_pk_fma_f32 v[16:17], v[18:19], v[34:35], v[16:17] op_sel_hi:[1,0,1]
	v_pk_add_f32 v[14:15], v[14:15], v[22:23]
	v_mov_b32_e32 v21, v17
	s_waitcnt vmcnt(2) lgkmcnt(2)
	v_pk_mul_f32 v[16:17], v[4:5], v[36:37] op_sel:[1,1] op_sel_hi:[0,1]
	v_pk_fma_f32 v[18:19], v[4:5], v[36:37], v[16:17] neg_lo:[0,0,1] neg_hi:[0,0,1]
	v_pk_fma_f32 v[4:5], v[4:5], v[36:37], v[16:17] op_sel_hi:[1,0,1]
	v_pk_add_f32 v[14:15], v[14:15], v[20:21]
	v_mov_b32_e32 v19, v5
	v_pk_add_f32 v[4:5], v[14:15], v[18:19]
	v_mov_b32_e32 v14, v39
	v_pk_mul_f32 v[14:15], v[6:7], v[14:15] op_sel:[1,0] op_sel_hi:[0,0]
	v_pk_fma_f32 v[16:17], v[6:7], v[38:39], v[14:15] neg_lo:[0,0,1] neg_hi:[0,0,1]
	v_pk_fma_f32 v[6:7], v[6:7], v[38:39], v[14:15] op_sel_hi:[1,0,1]
	s_nop 0
	v_mov_b32_e32 v17, v7
	s_waitcnt vmcnt(1) lgkmcnt(1)
	v_pk_mul_f32 v[6:7], v[8:9], v[40:41] op_sel:[1,1] op_sel_hi:[0,1]
	v_pk_fma_f32 v[14:15], v[8:9], v[40:41], v[6:7] neg_lo:[0,0,1] neg_hi:[0,0,1]
	v_pk_fma_f32 v[6:7], v[8:9], v[40:41], v[6:7] op_sel_hi:[1,0,1]
	v_pk_add_f32 v[4:5], v[4:5], v[16:17]
	v_mov_b32_e32 v6, v43
	v_mov_b32_e32 v15, v7
	v_pk_mul_f32 v[6:7], v[10:11], v[6:7] op_sel:[1,0] op_sel_hi:[0,0]
	v_pk_fma_f32 v[8:9], v[10:11], v[42:43], v[6:7] neg_lo:[0,0,1] neg_hi:[0,0,1]
	v_pk_fma_f32 v[6:7], v[10:11], v[42:43], v[6:7] op_sel_hi:[1,0,1]
	v_pk_add_f32 v[4:5], v[4:5], v[14:15]
	v_mov_b32_e32 v9, v7
	s_waitcnt vmcnt(0) lgkmcnt(0)
	v_pk_mul_f32 v[6:7], v[12:13], v[50:51] op_sel:[1,1] op_sel_hi:[0,1]
	v_pk_add_f32 v[4:5], v[4:5], v[8:9]
	v_pk_fma_f32 v[8:9], v[12:13], v[50:51], v[6:7] neg_lo:[0,0,1] neg_hi:[0,0,1]
	v_pk_fma_f32 v[6:7], v[12:13], v[50:51], v[6:7] op_sel_hi:[1,0,1]
	s_nop 0
	v_mov_b32_e32 v9, v7
	scratch_load_dwordx2 v[6:7], off, off offset:280
	v_pk_add_f32 v[4:5], v[4:5], v[8:9]
	s_waitcnt vmcnt(0)
	v_pk_add_f32 v[4:5], v[6:7], v[4:5] neg_lo:[0,1] neg_hi:[0,1]
	scratch_store_dwordx2 off, v[4:5], off offset:280
	s_and_saveexec_b64 s[0:1], vcc
	s_cbranch_execz .LBB112_239
; %bb.238:
	scratch_load_dwordx2 v[4:5], off, off offset:272
	v_mov_b32_e32 v3, v2
	scratch_store_dwordx2 off, v[2:3], off offset:272
	s_waitcnt vmcnt(1)
	ds_write_b64 v1, v[4:5]
.LBB112_239:
	s_or_b64 exec, exec, s[0:1]
	s_waitcnt lgkmcnt(0)
	; wave barrier
	scratch_load_dwordx4 v[8:11], off, off offset:280
	scratch_load_dwordx4 v[16:19], off, off offset:296
	ds_read2_b64 v[4:7], v2 offset0:85 offset1:86
	scratch_load_dwordx4 v[24:27], off, off offset:312
	v_cmp_lt_u32_e32 vcc, 33, v0
	s_waitcnt vmcnt(2) lgkmcnt(0)
	v_mul_f32_e32 v3, v4, v9
	v_fmac_f32_e32 v3, v5, v8
	v_mul_f32_e32 v12, v6, v11
	v_add_f32_e32 v3, 0, v3
	v_fmac_f32_e32 v12, v7, v10
	v_add_f32_e32 v3, v3, v12
	ds_read2_b64 v[12:15], v2 offset0:87 offset1:88
	s_waitcnt vmcnt(1) lgkmcnt(0)
	v_mul_f32_e32 v20, v12, v17
	v_fmac_f32_e32 v20, v13, v16
	v_add_f32_e32 v3, v3, v20
	v_mul_f32_e32 v20, v14, v19
	v_fmac_f32_e32 v20, v15, v18
	v_add_f32_e32 v45, v3, v20
	ds_read2_b64 v[20:23], v2 offset0:89 offset1:90
	scratch_load_dwordx4 v[28:31], off, off offset:328
	scratch_load_dwordx4 v[32:35], off, off offset:344
	;; [unrolled: 1-line block ×4, first 2 shown]
	v_mul_f32_e32 v3, v5, v9
	v_fma_f32 v3, v4, v8, -v3
	v_mul_f32_e32 v4, v7, v11
	v_add_f32_e32 v3, 0, v3
	v_fma_f32 v4, v6, v10, -v4
	v_add_f32_e32 v3, v3, v4
	v_mul_f32_e32 v4, v13, v17
	v_fma_f32 v4, v12, v16, -v4
	v_add_f32_e32 v3, v3, v4
	v_mul_f32_e32 v4, v15, v19
	v_fma_f32 v4, v14, v18, -v4
	v_add_f32_e32 v44, v3, v4
	ds_read2_b64 v[4:7], v2 offset0:91 offset1:92
	ds_read2_b64 v[8:11], v2 offset0:93 offset1:94
	;; [unrolled: 1-line block ×4, first 2 shown]
	s_waitcnt vmcnt(4) lgkmcnt(4)
	v_mul_f32_e32 v47, v20, v25
	v_mul_f32_e32 v3, v21, v25
	v_fmac_f32_e32 v47, v21, v24
	v_mul_f32_e32 v49, v22, v27
	v_fma_f32 v46, v20, v24, -v3
	v_mul_f32_e32 v3, v23, v27
	v_fmac_f32_e32 v49, v23, v26
	v_fma_f32 v48, v22, v26, -v3
	v_pk_add_f32 v[2:3], v[44:45], v[46:47]
	s_waitcnt vmcnt(3) lgkmcnt(3)
	v_pk_mul_f32 v[20:21], v[4:5], v[28:29] op_sel:[1,1] op_sel_hi:[0,1]
	v_pk_fma_f32 v[22:23], v[4:5], v[28:29], v[20:21] neg_lo:[0,0,1] neg_hi:[0,0,1]
	v_pk_fma_f32 v[4:5], v[4:5], v[28:29], v[20:21] op_sel_hi:[1,0,1]
	v_pk_add_f32 v[2:3], v[2:3], v[48:49]
	v_mov_b32_e32 v4, v31
	v_mov_b32_e32 v23, v5
	v_pk_mul_f32 v[4:5], v[6:7], v[4:5] op_sel:[1,0] op_sel_hi:[0,0]
	v_pk_fma_f32 v[20:21], v[6:7], v[30:31], v[4:5] neg_lo:[0,0,1] neg_hi:[0,0,1]
	v_pk_fma_f32 v[4:5], v[6:7], v[30:31], v[4:5] op_sel_hi:[1,0,1]
	v_pk_add_f32 v[2:3], v[2:3], v[22:23]
	v_mov_b32_e32 v21, v5
	s_waitcnt vmcnt(2) lgkmcnt(2)
	v_pk_mul_f32 v[4:5], v[8:9], v[32:33] op_sel:[1,1] op_sel_hi:[0,1]
	v_pk_fma_f32 v[6:7], v[8:9], v[32:33], v[4:5] neg_lo:[0,0,1] neg_hi:[0,0,1]
	v_pk_fma_f32 v[4:5], v[8:9], v[32:33], v[4:5] op_sel_hi:[1,0,1]
	v_pk_add_f32 v[2:3], v[2:3], v[20:21]
	v_mov_b32_e32 v4, v35
	v_mov_b32_e32 v7, v5
	v_pk_mul_f32 v[4:5], v[10:11], v[4:5] op_sel:[1,0] op_sel_hi:[0,0]
	v_pk_add_f32 v[2:3], v[2:3], v[6:7]
	v_pk_fma_f32 v[6:7], v[10:11], v[34:35], v[4:5] neg_lo:[0,0,1] neg_hi:[0,0,1]
	v_pk_fma_f32 v[4:5], v[10:11], v[34:35], v[4:5] op_sel_hi:[1,0,1]
	s_nop 0
	v_mov_b32_e32 v7, v5
	s_waitcnt vmcnt(1) lgkmcnt(1)
	v_pk_mul_f32 v[4:5], v[12:13], v[36:37] op_sel:[1,1] op_sel_hi:[0,1]
	v_pk_add_f32 v[2:3], v[2:3], v[6:7]
	v_pk_fma_f32 v[6:7], v[12:13], v[36:37], v[4:5] neg_lo:[0,0,1] neg_hi:[0,0,1]
	v_pk_fma_f32 v[4:5], v[12:13], v[36:37], v[4:5] op_sel_hi:[1,0,1]
	s_nop 0
	v_mov_b32_e32 v4, v39
	v_mov_b32_e32 v7, v5
	v_pk_mul_f32 v[4:5], v[14:15], v[4:5] op_sel:[1,0] op_sel_hi:[0,0]
	v_pk_add_f32 v[2:3], v[2:3], v[6:7]
	v_pk_fma_f32 v[6:7], v[14:15], v[38:39], v[4:5] neg_lo:[0,0,1] neg_hi:[0,0,1]
	v_pk_fma_f32 v[4:5], v[14:15], v[38:39], v[4:5] op_sel_hi:[1,0,1]
	s_nop 0
	v_mov_b32_e32 v7, v5
	s_waitcnt vmcnt(0) lgkmcnt(0)
	v_pk_mul_f32 v[4:5], v[16:17], v[40:41] op_sel:[1,1] op_sel_hi:[0,1]
	v_pk_add_f32 v[2:3], v[2:3], v[6:7]
	v_pk_fma_f32 v[6:7], v[16:17], v[40:41], v[4:5] neg_lo:[0,0,1] neg_hi:[0,0,1]
	v_pk_fma_f32 v[4:5], v[16:17], v[40:41], v[4:5] op_sel_hi:[1,0,1]
	s_nop 0
	v_mov_b32_e32 v4, v43
	v_mov_b32_e32 v7, v5
	v_pk_mul_f32 v[4:5], v[18:19], v[4:5] op_sel:[1,0] op_sel_hi:[0,0]
	v_pk_add_f32 v[2:3], v[2:3], v[6:7]
	v_pk_fma_f32 v[6:7], v[18:19], v[42:43], v[4:5] neg_lo:[0,0,1] neg_hi:[0,0,1]
	v_pk_fma_f32 v[4:5], v[18:19], v[42:43], v[4:5] op_sel_hi:[1,0,1]
	s_nop 0
	v_mov_b32_e32 v7, v5
	scratch_load_dwordx2 v[4:5], off, off offset:272
	v_pk_add_f32 v[2:3], v[2:3], v[6:7]
	s_waitcnt vmcnt(0)
	v_pk_add_f32 v[2:3], v[4:5], v[2:3] neg_lo:[0,1] neg_hi:[0,1]
	scratch_store_dwordx2 off, v[2:3], off offset:272
	s_and_saveexec_b64 s[0:1], vcc
	s_cbranch_execz .LBB112_241
; %bb.240:
	scratch_load_dwordx2 v[2:3], off, off offset:264
	v_mov_b32_e32 v4, 0
	v_mov_b32_e32 v5, v4
	scratch_store_dwordx2 off, v[4:5], off offset:264
	s_waitcnt vmcnt(1)
	ds_write_b64 v1, v[2:3]
.LBB112_241:
	s_or_b64 exec, exec, s[0:1]
	v_mov_b32_e32 v2, 0
	s_waitcnt lgkmcnt(0)
	; wave barrier
	ds_read_b128 v[4:7], v2 offset:672
	ds_read_b128 v[8:11], v2 offset:688
	;; [unrolled: 1-line block ×4, first 2 shown]
	scratch_load_dwordx4 v[20:23], off, off offset:272
	v_cmp_lt_u32_e32 vcc, 32, v0
	s_waitcnt vmcnt(0) lgkmcnt(3)
	v_mul_f32_e32 v3, v4, v21
	v_fmac_f32_e32 v3, v5, v20
	v_mul_f32_e32 v24, v6, v23
	v_add_f32_e32 v3, 0, v3
	v_fmac_f32_e32 v24, v7, v22
	v_add_f32_e32 v3, v3, v24
	scratch_load_dwordx4 v[24:27], off, off offset:288
	s_waitcnt vmcnt(0) lgkmcnt(2)
	v_mul_f32_e32 v28, v8, v25
	v_fmac_f32_e32 v28, v9, v24
	v_add_f32_e32 v3, v3, v28
	v_mul_f32_e32 v28, v10, v27
	v_fmac_f32_e32 v28, v11, v26
	v_add_f32_e32 v3, v3, v28
	scratch_load_dwordx4 v[28:31], off, off offset:304
	s_waitcnt vmcnt(0) lgkmcnt(1)
	v_mul_f32_e32 v32, v12, v29
	v_fmac_f32_e32 v32, v13, v28
	v_add_f32_e32 v49, v3, v32
	scratch_load_dwordx4 v[32:35], off, off offset:320
	scratch_load_dwordx4 v[36:39], off, off offset:336
	;; [unrolled: 1-line block ×4, first 2 shown]
	scratch_load_dwordx2 v[54:55], off, off offset:384
	v_mul_f32_e32 v3, v5, v21
	v_fma_f32 v3, v4, v20, -v3
	v_mul_f32_e32 v4, v7, v23
	v_add_f32_e32 v3, 0, v3
	v_fma_f32 v4, v6, v22, -v4
	v_add_f32_e32 v3, v3, v4
	v_mul_f32_e32 v4, v9, v25
	v_fma_f32 v4, v8, v24, -v4
	v_add_f32_e32 v3, v3, v4
	v_mul_f32_e32 v4, v11, v27
	;; [unrolled: 3-line block ×3, first 2 shown]
	v_fma_f32 v4, v12, v28, -v4
	v_mul_f32_e32 v51, v14, v31
	v_add_f32_e32 v48, v3, v4
	v_mul_f32_e32 v3, v15, v31
	v_fmac_f32_e32 v51, v15, v30
	v_fma_f32 v50, v14, v30, -v3
	v_pk_add_f32 v[20:21], v[48:49], v[50:51]
	s_waitcnt vmcnt(4)
	v_mov_b32_e32 v22, v35
	s_waitcnt lgkmcnt(0)
	v_mul_f32_e32 v53, v16, v33
	v_mul_f32_e32 v3, v17, v33
	v_pk_mul_f32 v[22:23], v[18:19], v[22:23] op_sel:[1,0] op_sel_hi:[0,0]
	v_fmac_f32_e32 v53, v17, v32
	v_fma_f32 v52, v16, v32, -v3
	ds_read_b128 v[4:7], v2 offset:736
	ds_read_b128 v[8:11], v2 offset:752
	;; [unrolled: 1-line block ×3, first 2 shown]
	ds_read_b64 v[16:17], v2 offset:784
	v_pk_fma_f32 v[24:25], v[18:19], v[34:35], v[22:23] neg_lo:[0,0,1] neg_hi:[0,0,1]
	v_pk_fma_f32 v[18:19], v[18:19], v[34:35], v[22:23] op_sel_hi:[1,0,1]
	v_pk_add_f32 v[20:21], v[20:21], v[52:53]
	v_mov_b32_e32 v25, v19
	v_pk_add_f32 v[18:19], v[20:21], v[24:25]
	s_waitcnt vmcnt(3) lgkmcnt(3)
	v_pk_mul_f32 v[20:21], v[4:5], v[36:37] op_sel:[1,1] op_sel_hi:[0,1]
	v_pk_fma_f32 v[22:23], v[4:5], v[36:37], v[20:21] neg_lo:[0,0,1] neg_hi:[0,0,1]
	v_pk_fma_f32 v[4:5], v[4:5], v[36:37], v[20:21] op_sel_hi:[1,0,1]
	s_nop 0
	v_mov_b32_e32 v23, v5
	v_pk_add_f32 v[4:5], v[18:19], v[22:23]
	v_mov_b32_e32 v18, v39
	v_pk_mul_f32 v[18:19], v[6:7], v[18:19] op_sel:[1,0] op_sel_hi:[0,0]
	v_pk_fma_f32 v[20:21], v[6:7], v[38:39], v[18:19] neg_lo:[0,0,1] neg_hi:[0,0,1]
	v_pk_fma_f32 v[6:7], v[6:7], v[38:39], v[18:19] op_sel_hi:[1,0,1]
	s_nop 0
	v_mov_b32_e32 v21, v7
	s_waitcnt vmcnt(2) lgkmcnt(2)
	v_pk_mul_f32 v[6:7], v[8:9], v[40:41] op_sel:[1,1] op_sel_hi:[0,1]
	v_pk_fma_f32 v[18:19], v[8:9], v[40:41], v[6:7] neg_lo:[0,0,1] neg_hi:[0,0,1]
	v_pk_fma_f32 v[6:7], v[8:9], v[40:41], v[6:7] op_sel_hi:[1,0,1]
	v_pk_add_f32 v[4:5], v[4:5], v[20:21]
	v_mov_b32_e32 v6, v43
	v_mov_b32_e32 v19, v7
	v_pk_mul_f32 v[6:7], v[10:11], v[6:7] op_sel:[1,0] op_sel_hi:[0,0]
	v_pk_fma_f32 v[8:9], v[10:11], v[42:43], v[6:7] neg_lo:[0,0,1] neg_hi:[0,0,1]
	v_pk_fma_f32 v[6:7], v[10:11], v[42:43], v[6:7] op_sel_hi:[1,0,1]
	v_pk_add_f32 v[4:5], v[4:5], v[18:19]
	v_mov_b32_e32 v9, v7
	s_waitcnt vmcnt(1) lgkmcnt(1)
	v_pk_mul_f32 v[6:7], v[12:13], v[44:45] op_sel:[1,1] op_sel_hi:[0,1]
	v_pk_add_f32 v[4:5], v[4:5], v[8:9]
	v_pk_fma_f32 v[8:9], v[12:13], v[44:45], v[6:7] neg_lo:[0,0,1] neg_hi:[0,0,1]
	v_pk_fma_f32 v[6:7], v[12:13], v[44:45], v[6:7] op_sel_hi:[1,0,1]
	s_nop 0
	v_mov_b32_e32 v6, v47
	v_mov_b32_e32 v9, v7
	v_pk_mul_f32 v[6:7], v[14:15], v[6:7] op_sel:[1,0] op_sel_hi:[0,0]
	v_pk_add_f32 v[4:5], v[4:5], v[8:9]
	v_pk_fma_f32 v[8:9], v[14:15], v[46:47], v[6:7] neg_lo:[0,0,1] neg_hi:[0,0,1]
	v_pk_fma_f32 v[6:7], v[14:15], v[46:47], v[6:7] op_sel_hi:[1,0,1]
	s_nop 0
	v_mov_b32_e32 v9, v7
	s_waitcnt vmcnt(0) lgkmcnt(0)
	v_pk_mul_f32 v[6:7], v[16:17], v[54:55] op_sel:[1,1] op_sel_hi:[0,1]
	v_pk_add_f32 v[4:5], v[4:5], v[8:9]
	v_pk_fma_f32 v[8:9], v[16:17], v[54:55], v[6:7] neg_lo:[0,0,1] neg_hi:[0,0,1]
	v_pk_fma_f32 v[6:7], v[16:17], v[54:55], v[6:7] op_sel_hi:[1,0,1]
	s_nop 0
	v_mov_b32_e32 v9, v7
	scratch_load_dwordx2 v[6:7], off, off offset:264
	v_pk_add_f32 v[4:5], v[4:5], v[8:9]
	s_waitcnt vmcnt(0)
	v_pk_add_f32 v[4:5], v[6:7], v[4:5] neg_lo:[0,1] neg_hi:[0,1]
	scratch_store_dwordx2 off, v[4:5], off offset:264
	s_and_saveexec_b64 s[0:1], vcc
	s_cbranch_execz .LBB112_243
; %bb.242:
	scratch_load_dwordx2 v[4:5], off, off offset:256
	v_mov_b32_e32 v3, v2
	scratch_store_dwordx2 off, v[2:3], off offset:256
	s_waitcnt vmcnt(1)
	ds_write_b64 v1, v[4:5]
.LBB112_243:
	s_or_b64 exec, exec, s[0:1]
	s_waitcnt lgkmcnt(0)
	; wave barrier
	scratch_load_dwordx4 v[8:11], off, off offset:264
	scratch_load_dwordx4 v[16:19], off, off offset:280
	;; [unrolled: 1-line block ×4, first 2 shown]
	ds_read2_b64 v[4:7], v2 offset0:83 offset1:84
	v_cmp_lt_u32_e32 vcc, 31, v0
	s_waitcnt vmcnt(3) lgkmcnt(0)
	v_mul_f32_e32 v3, v4, v9
	v_fmac_f32_e32 v3, v5, v8
	v_mul_f32_e32 v12, v6, v11
	v_add_f32_e32 v3, 0, v3
	v_fmac_f32_e32 v12, v7, v10
	v_add_f32_e32 v3, v3, v12
	ds_read2_b64 v[12:15], v2 offset0:85 offset1:86
	s_waitcnt vmcnt(2) lgkmcnt(0)
	v_mul_f32_e32 v20, v12, v17
	v_fmac_f32_e32 v20, v13, v16
	v_add_f32_e32 v3, v3, v20
	v_mul_f32_e32 v20, v14, v19
	v_fmac_f32_e32 v20, v15, v18
	v_add_f32_e32 v3, v3, v20
	ds_read2_b64 v[20:23], v2 offset0:87 offset1:88
	s_waitcnt vmcnt(1) lgkmcnt(0)
	v_mul_f32_e32 v28, v20, v25
	v_fmac_f32_e32 v28, v21, v24
	v_add_f32_e32 v3, v3, v28
	v_mul_f32_e32 v28, v22, v27
	v_fmac_f32_e32 v28, v23, v26
	v_add_f32_e32 v53, v3, v28
	ds_read2_b64 v[28:31], v2 offset0:89 offset1:90
	scratch_load_dwordx4 v[36:39], off, off offset:328
	scratch_load_dwordx4 v[40:43], off, off offset:344
	;; [unrolled: 1-line block ×4, first 2 shown]
	v_mul_f32_e32 v3, v5, v9
	v_fma_f32 v3, v4, v8, -v3
	v_mul_f32_e32 v4, v7, v11
	v_add_f32_e32 v3, 0, v3
	v_fma_f32 v4, v6, v10, -v4
	v_add_f32_e32 v3, v3, v4
	v_mul_f32_e32 v4, v13, v17
	v_fma_f32 v4, v12, v16, -v4
	v_add_f32_e32 v3, v3, v4
	v_mul_f32_e32 v4, v15, v19
	;; [unrolled: 3-line block ×4, first 2 shown]
	v_fma_f32 v4, v22, v26, -v4
	v_add_f32_e32 v52, v3, v4
	ds_read2_b64 v[4:7], v2 offset0:91 offset1:92
	ds_read2_b64 v[8:11], v2 offset0:93 offset1:94
	;; [unrolled: 1-line block ×4, first 2 shown]
	s_waitcnt vmcnt(4) lgkmcnt(4)
	v_mul_f32_e32 v55, v28, v33
	v_mul_f32_e32 v3, v29, v33
	v_fmac_f32_e32 v55, v29, v32
	v_mul_f32_e32 v57, v30, v35
	v_fma_f32 v54, v28, v32, -v3
	v_mul_f32_e32 v3, v31, v35
	v_fmac_f32_e32 v57, v31, v34
	v_fma_f32 v56, v30, v34, -v3
	v_pk_add_f32 v[2:3], v[52:53], v[54:55]
	s_waitcnt vmcnt(3) lgkmcnt(3)
	v_pk_mul_f32 v[20:21], v[4:5], v[36:37] op_sel:[1,1] op_sel_hi:[0,1]
	v_pk_fma_f32 v[22:23], v[4:5], v[36:37], v[20:21] neg_lo:[0,0,1] neg_hi:[0,0,1]
	v_pk_fma_f32 v[4:5], v[4:5], v[36:37], v[20:21] op_sel_hi:[1,0,1]
	v_pk_add_f32 v[2:3], v[2:3], v[56:57]
	v_mov_b32_e32 v4, v39
	v_mov_b32_e32 v23, v5
	v_pk_mul_f32 v[4:5], v[6:7], v[4:5] op_sel:[1,0] op_sel_hi:[0,0]
	v_pk_fma_f32 v[20:21], v[6:7], v[38:39], v[4:5] neg_lo:[0,0,1] neg_hi:[0,0,1]
	v_pk_fma_f32 v[4:5], v[6:7], v[38:39], v[4:5] op_sel_hi:[1,0,1]
	v_pk_add_f32 v[2:3], v[2:3], v[22:23]
	v_mov_b32_e32 v21, v5
	s_waitcnt vmcnt(2) lgkmcnt(2)
	v_pk_mul_f32 v[4:5], v[8:9], v[40:41] op_sel:[1,1] op_sel_hi:[0,1]
	v_pk_fma_f32 v[6:7], v[8:9], v[40:41], v[4:5] neg_lo:[0,0,1] neg_hi:[0,0,1]
	v_pk_fma_f32 v[4:5], v[8:9], v[40:41], v[4:5] op_sel_hi:[1,0,1]
	v_pk_add_f32 v[2:3], v[2:3], v[20:21]
	v_mov_b32_e32 v4, v43
	v_mov_b32_e32 v7, v5
	v_pk_mul_f32 v[4:5], v[10:11], v[4:5] op_sel:[1,0] op_sel_hi:[0,0]
	v_pk_add_f32 v[2:3], v[2:3], v[6:7]
	v_pk_fma_f32 v[6:7], v[10:11], v[42:43], v[4:5] neg_lo:[0,0,1] neg_hi:[0,0,1]
	v_pk_fma_f32 v[4:5], v[10:11], v[42:43], v[4:5] op_sel_hi:[1,0,1]
	s_nop 0
	v_mov_b32_e32 v7, v5
	s_waitcnt vmcnt(1) lgkmcnt(1)
	v_pk_mul_f32 v[4:5], v[12:13], v[44:45] op_sel:[1,1] op_sel_hi:[0,1]
	v_pk_add_f32 v[2:3], v[2:3], v[6:7]
	v_pk_fma_f32 v[6:7], v[12:13], v[44:45], v[4:5] neg_lo:[0,0,1] neg_hi:[0,0,1]
	v_pk_fma_f32 v[4:5], v[12:13], v[44:45], v[4:5] op_sel_hi:[1,0,1]
	s_nop 0
	v_mov_b32_e32 v4, v47
	v_mov_b32_e32 v7, v5
	v_pk_mul_f32 v[4:5], v[14:15], v[4:5] op_sel:[1,0] op_sel_hi:[0,0]
	v_pk_add_f32 v[2:3], v[2:3], v[6:7]
	v_pk_fma_f32 v[6:7], v[14:15], v[46:47], v[4:5] neg_lo:[0,0,1] neg_hi:[0,0,1]
	v_pk_fma_f32 v[4:5], v[14:15], v[46:47], v[4:5] op_sel_hi:[1,0,1]
	s_nop 0
	v_mov_b32_e32 v7, v5
	s_waitcnt vmcnt(0) lgkmcnt(0)
	v_pk_mul_f32 v[4:5], v[16:17], v[48:49] op_sel:[1,1] op_sel_hi:[0,1]
	v_pk_add_f32 v[2:3], v[2:3], v[6:7]
	v_pk_fma_f32 v[6:7], v[16:17], v[48:49], v[4:5] neg_lo:[0,0,1] neg_hi:[0,0,1]
	v_pk_fma_f32 v[4:5], v[16:17], v[48:49], v[4:5] op_sel_hi:[1,0,1]
	s_nop 0
	v_mov_b32_e32 v4, v51
	v_mov_b32_e32 v7, v5
	v_pk_mul_f32 v[4:5], v[18:19], v[4:5] op_sel:[1,0] op_sel_hi:[0,0]
	v_pk_add_f32 v[2:3], v[2:3], v[6:7]
	v_pk_fma_f32 v[6:7], v[18:19], v[50:51], v[4:5] neg_lo:[0,0,1] neg_hi:[0,0,1]
	v_pk_fma_f32 v[4:5], v[18:19], v[50:51], v[4:5] op_sel_hi:[1,0,1]
	s_nop 0
	v_mov_b32_e32 v7, v5
	scratch_load_dwordx2 v[4:5], off, off offset:256
	v_pk_add_f32 v[2:3], v[2:3], v[6:7]
	s_waitcnt vmcnt(0)
	v_pk_add_f32 v[2:3], v[4:5], v[2:3] neg_lo:[0,1] neg_hi:[0,1]
	scratch_store_dwordx2 off, v[2:3], off offset:256
	s_and_saveexec_b64 s[0:1], vcc
	s_cbranch_execz .LBB112_245
; %bb.244:
	scratch_load_dwordx2 v[2:3], off, off offset:248
	v_mov_b32_e32 v4, 0
	v_mov_b32_e32 v5, v4
	scratch_store_dwordx2 off, v[4:5], off offset:248
	s_waitcnt vmcnt(1)
	ds_write_b64 v1, v[2:3]
.LBB112_245:
	s_or_b64 exec, exec, s[0:1]
	v_mov_b32_e32 v2, 0
	s_waitcnt lgkmcnt(0)
	; wave barrier
	ds_read_b128 v[4:7], v2 offset:656
	ds_read_b128 v[8:11], v2 offset:672
	ds_read_b128 v[12:15], v2 offset:688
	ds_read_b128 v[16:19], v2 offset:704
	scratch_load_dwordx4 v[20:23], off, off offset:256
	scratch_load_dwordx4 v[40:43], off, off offset:320
	v_cmp_lt_u32_e32 vcc, 30, v0
	s_waitcnt vmcnt(1) lgkmcnt(3)
	v_mul_f32_e32 v3, v4, v21
	v_fmac_f32_e32 v3, v5, v20
	v_mul_f32_e32 v24, v6, v23
	v_add_f32_e32 v3, 0, v3
	v_fmac_f32_e32 v24, v7, v22
	v_add_f32_e32 v3, v3, v24
	scratch_load_dwordx4 v[24:27], off, off offset:272
	s_waitcnt vmcnt(0) lgkmcnt(2)
	v_mul_f32_e32 v28, v8, v25
	v_fmac_f32_e32 v28, v9, v24
	v_add_f32_e32 v3, v3, v28
	v_mul_f32_e32 v28, v10, v27
	v_fmac_f32_e32 v28, v11, v26
	v_add_f32_e32 v3, v3, v28
	scratch_load_dwordx4 v[28:31], off, off offset:288
	s_waitcnt vmcnt(0) lgkmcnt(1)
	v_mul_f32_e32 v32, v12, v29
	v_fmac_f32_e32 v32, v13, v28
	v_add_f32_e32 v3, v3, v32
	v_mul_f32_e32 v32, v14, v31
	v_fmac_f32_e32 v32, v15, v30
	v_add_f32_e32 v3, v3, v32
	scratch_load_dwordx4 v[32:35], off, off offset:304
	s_waitcnt vmcnt(0) lgkmcnt(0)
	v_mul_f32_e32 v36, v16, v33
	v_fmac_f32_e32 v36, v17, v32
	v_add_f32_e32 v57, v3, v36
	ds_read_b128 v[36:39], v2 offset:720
	scratch_load_dwordx4 v[44:47], off, off offset:336
	scratch_load_dwordx4 v[48:51], off, off offset:352
	;; [unrolled: 1-line block ×3, first 2 shown]
	scratch_load_dwordx2 v[62:63], off, off offset:384
	v_mul_f32_e32 v3, v5, v21
	v_fma_f32 v3, v4, v20, -v3
	v_mul_f32_e32 v4, v7, v23
	v_add_f32_e32 v3, 0, v3
	v_fma_f32 v4, v6, v22, -v4
	v_add_f32_e32 v3, v3, v4
	v_mul_f32_e32 v4, v9, v25
	v_fma_f32 v4, v8, v24, -v4
	v_add_f32_e32 v3, v3, v4
	v_mul_f32_e32 v4, v11, v27
	;; [unrolled: 3-line block ×5, first 2 shown]
	v_fma_f32 v4, v16, v32, -v4
	v_mul_f32_e32 v59, v18, v35
	v_add_f32_e32 v56, v3, v4
	v_mul_f32_e32 v3, v19, v35
	v_mov_b32_e32 v20, v43
	v_fmac_f32_e32 v59, v19, v34
	s_waitcnt lgkmcnt(0)
	v_mul_f32_e32 v61, v36, v41
	v_fma_f32 v58, v18, v34, -v3
	v_mul_f32_e32 v3, v37, v41
	ds_read_b128 v[4:7], v2 offset:736
	ds_read_b128 v[8:11], v2 offset:752
	;; [unrolled: 1-line block ×3, first 2 shown]
	ds_read_b64 v[16:17], v2 offset:784
	v_pk_mul_f32 v[20:21], v[38:39], v[20:21] op_sel:[1,0] op_sel_hi:[0,0]
	v_fmac_f32_e32 v61, v37, v40
	v_fma_f32 v60, v36, v40, -v3
	v_pk_add_f32 v[18:19], v[56:57], v[58:59]
	v_pk_fma_f32 v[22:23], v[38:39], v[42:43], v[20:21] neg_lo:[0,0,1] neg_hi:[0,0,1]
	v_pk_fma_f32 v[20:21], v[38:39], v[42:43], v[20:21] op_sel_hi:[1,0,1]
	v_pk_add_f32 v[18:19], v[18:19], v[60:61]
	v_mov_b32_e32 v23, v21
	v_pk_add_f32 v[18:19], v[18:19], v[22:23]
	s_waitcnt vmcnt(3) lgkmcnt(3)
	v_pk_mul_f32 v[20:21], v[4:5], v[44:45] op_sel:[1,1] op_sel_hi:[0,1]
	v_pk_fma_f32 v[22:23], v[4:5], v[44:45], v[20:21] neg_lo:[0,0,1] neg_hi:[0,0,1]
	v_pk_fma_f32 v[4:5], v[4:5], v[44:45], v[20:21] op_sel_hi:[1,0,1]
	s_nop 0
	v_mov_b32_e32 v23, v5
	v_pk_add_f32 v[4:5], v[18:19], v[22:23]
	v_mov_b32_e32 v18, v47
	v_pk_mul_f32 v[18:19], v[6:7], v[18:19] op_sel:[1,0] op_sel_hi:[0,0]
	v_pk_fma_f32 v[20:21], v[6:7], v[46:47], v[18:19] neg_lo:[0,0,1] neg_hi:[0,0,1]
	v_pk_fma_f32 v[6:7], v[6:7], v[46:47], v[18:19] op_sel_hi:[1,0,1]
	s_nop 0
	v_mov_b32_e32 v21, v7
	s_waitcnt vmcnt(2) lgkmcnt(2)
	v_pk_mul_f32 v[6:7], v[8:9], v[48:49] op_sel:[1,1] op_sel_hi:[0,1]
	v_pk_fma_f32 v[18:19], v[8:9], v[48:49], v[6:7] neg_lo:[0,0,1] neg_hi:[0,0,1]
	v_pk_fma_f32 v[6:7], v[8:9], v[48:49], v[6:7] op_sel_hi:[1,0,1]
	v_pk_add_f32 v[4:5], v[4:5], v[20:21]
	v_mov_b32_e32 v6, v51
	v_mov_b32_e32 v19, v7
	v_pk_mul_f32 v[6:7], v[10:11], v[6:7] op_sel:[1,0] op_sel_hi:[0,0]
	v_pk_fma_f32 v[8:9], v[10:11], v[50:51], v[6:7] neg_lo:[0,0,1] neg_hi:[0,0,1]
	v_pk_fma_f32 v[6:7], v[10:11], v[50:51], v[6:7] op_sel_hi:[1,0,1]
	v_pk_add_f32 v[4:5], v[4:5], v[18:19]
	v_mov_b32_e32 v9, v7
	s_waitcnt vmcnt(1) lgkmcnt(1)
	v_pk_mul_f32 v[6:7], v[12:13], v[52:53] op_sel:[1,1] op_sel_hi:[0,1]
	v_pk_add_f32 v[4:5], v[4:5], v[8:9]
	v_pk_fma_f32 v[8:9], v[12:13], v[52:53], v[6:7] neg_lo:[0,0,1] neg_hi:[0,0,1]
	v_pk_fma_f32 v[6:7], v[12:13], v[52:53], v[6:7] op_sel_hi:[1,0,1]
	s_nop 0
	v_mov_b32_e32 v6, v55
	v_mov_b32_e32 v9, v7
	v_pk_mul_f32 v[6:7], v[14:15], v[6:7] op_sel:[1,0] op_sel_hi:[0,0]
	v_pk_add_f32 v[4:5], v[4:5], v[8:9]
	v_pk_fma_f32 v[8:9], v[14:15], v[54:55], v[6:7] neg_lo:[0,0,1] neg_hi:[0,0,1]
	v_pk_fma_f32 v[6:7], v[14:15], v[54:55], v[6:7] op_sel_hi:[1,0,1]
	s_nop 0
	v_mov_b32_e32 v9, v7
	s_waitcnt vmcnt(0) lgkmcnt(0)
	v_pk_mul_f32 v[6:7], v[16:17], v[62:63] op_sel:[1,1] op_sel_hi:[0,1]
	v_pk_add_f32 v[4:5], v[4:5], v[8:9]
	v_pk_fma_f32 v[8:9], v[16:17], v[62:63], v[6:7] neg_lo:[0,0,1] neg_hi:[0,0,1]
	v_pk_fma_f32 v[6:7], v[16:17], v[62:63], v[6:7] op_sel_hi:[1,0,1]
	s_nop 0
	v_mov_b32_e32 v9, v7
	scratch_load_dwordx2 v[6:7], off, off offset:248
	v_pk_add_f32 v[4:5], v[4:5], v[8:9]
	s_waitcnt vmcnt(0)
	v_pk_add_f32 v[4:5], v[6:7], v[4:5] neg_lo:[0,1] neg_hi:[0,1]
	scratch_store_dwordx2 off, v[4:5], off offset:248
	s_and_saveexec_b64 s[0:1], vcc
	s_cbranch_execz .LBB112_247
; %bb.246:
	scratch_load_dwordx2 v[4:5], off, off offset:240
	v_mov_b32_e32 v3, v2
	scratch_store_dwordx2 off, v[2:3], off offset:240
	s_waitcnt vmcnt(1)
	ds_write_b64 v1, v[4:5]
.LBB112_247:
	s_or_b64 exec, exec, s[0:1]
	s_waitcnt lgkmcnt(0)
	; wave barrier
	scratch_load_dwordx4 v[8:11], off, off offset:248
	scratch_load_dwordx4 v[16:19], off, off offset:264
	;; [unrolled: 1-line block ×4, first 2 shown]
	ds_read2_b64 v[4:7], v2 offset0:81 offset1:82
	scratch_load_dwordx4 v[40:43], off, off offset:312
	v_cmp_lt_u32_e32 vcc, 29, v0
	s_waitcnt vmcnt(4) lgkmcnt(0)
	v_mul_f32_e32 v3, v4, v9
	v_fmac_f32_e32 v3, v5, v8
	v_mul_f32_e32 v12, v6, v11
	v_add_f32_e32 v3, 0, v3
	v_fmac_f32_e32 v12, v7, v10
	v_add_f32_e32 v3, v3, v12
	ds_read2_b64 v[12:15], v2 offset0:83 offset1:84
	s_waitcnt vmcnt(3) lgkmcnt(0)
	v_mul_f32_e32 v20, v12, v17
	v_fmac_f32_e32 v20, v13, v16
	v_add_f32_e32 v3, v3, v20
	v_mul_f32_e32 v20, v14, v19
	v_fmac_f32_e32 v20, v15, v18
	v_add_f32_e32 v3, v3, v20
	ds_read2_b64 v[20:23], v2 offset0:85 offset1:86
	s_waitcnt vmcnt(2) lgkmcnt(0)
	v_mul_f32_e32 v28, v20, v25
	v_fmac_f32_e32 v28, v21, v24
	v_add_f32_e32 v3, v3, v28
	v_mul_f32_e32 v28, v22, v27
	;; [unrolled: 8-line block ×3, first 2 shown]
	v_fmac_f32_e32 v36, v31, v34
	v_add_f32_e32 v61, v3, v36
	ds_read2_b64 v[36:39], v2 offset0:89 offset1:90
	scratch_load_dwordx4 v[44:47], off, off offset:328
	scratch_load_dwordx4 v[48:51], off, off offset:344
	;; [unrolled: 1-line block ×4, first 2 shown]
	v_mul_f32_e32 v3, v5, v9
	v_fma_f32 v3, v4, v8, -v3
	v_mul_f32_e32 v4, v7, v11
	v_add_f32_e32 v3, 0, v3
	v_fma_f32 v4, v6, v10, -v4
	v_add_f32_e32 v3, v3, v4
	v_mul_f32_e32 v4, v13, v17
	v_fma_f32 v4, v12, v16, -v4
	v_add_f32_e32 v3, v3, v4
	v_mul_f32_e32 v4, v15, v19
	;; [unrolled: 3-line block ×6, first 2 shown]
	v_fma_f32 v4, v30, v34, -v4
	v_add_f32_e32 v60, v3, v4
	ds_read2_b64 v[4:7], v2 offset0:91 offset1:92
	ds_read2_b64 v[8:11], v2 offset0:93 offset1:94
	;; [unrolled: 1-line block ×4, first 2 shown]
	s_waitcnt vmcnt(4) lgkmcnt(4)
	v_mul_f32_e32 v63, v36, v41
	v_mul_f32_e32 v3, v37, v41
	v_fmac_f32_e32 v63, v37, v40
	v_mul_f32_e32 v65, v38, v43
	v_fma_f32 v62, v36, v40, -v3
	v_mul_f32_e32 v3, v39, v43
	v_fmac_f32_e32 v65, v39, v42
	v_fma_f32 v64, v38, v42, -v3
	v_pk_add_f32 v[2:3], v[60:61], v[62:63]
	s_waitcnt vmcnt(3) lgkmcnt(3)
	v_pk_mul_f32 v[20:21], v[4:5], v[44:45] op_sel:[1,1] op_sel_hi:[0,1]
	v_pk_fma_f32 v[22:23], v[4:5], v[44:45], v[20:21] neg_lo:[0,0,1] neg_hi:[0,0,1]
	v_pk_fma_f32 v[4:5], v[4:5], v[44:45], v[20:21] op_sel_hi:[1,0,1]
	v_pk_add_f32 v[2:3], v[2:3], v[64:65]
	v_mov_b32_e32 v4, v47
	v_mov_b32_e32 v23, v5
	v_pk_mul_f32 v[4:5], v[6:7], v[4:5] op_sel:[1,0] op_sel_hi:[0,0]
	v_pk_fma_f32 v[20:21], v[6:7], v[46:47], v[4:5] neg_lo:[0,0,1] neg_hi:[0,0,1]
	v_pk_fma_f32 v[4:5], v[6:7], v[46:47], v[4:5] op_sel_hi:[1,0,1]
	v_pk_add_f32 v[2:3], v[2:3], v[22:23]
	v_mov_b32_e32 v21, v5
	s_waitcnt vmcnt(2) lgkmcnt(2)
	v_pk_mul_f32 v[4:5], v[8:9], v[48:49] op_sel:[1,1] op_sel_hi:[0,1]
	v_pk_fma_f32 v[6:7], v[8:9], v[48:49], v[4:5] neg_lo:[0,0,1] neg_hi:[0,0,1]
	v_pk_fma_f32 v[4:5], v[8:9], v[48:49], v[4:5] op_sel_hi:[1,0,1]
	v_pk_add_f32 v[2:3], v[2:3], v[20:21]
	v_mov_b32_e32 v4, v51
	v_mov_b32_e32 v7, v5
	v_pk_mul_f32 v[4:5], v[10:11], v[4:5] op_sel:[1,0] op_sel_hi:[0,0]
	v_pk_add_f32 v[2:3], v[2:3], v[6:7]
	v_pk_fma_f32 v[6:7], v[10:11], v[50:51], v[4:5] neg_lo:[0,0,1] neg_hi:[0,0,1]
	v_pk_fma_f32 v[4:5], v[10:11], v[50:51], v[4:5] op_sel_hi:[1,0,1]
	s_nop 0
	v_mov_b32_e32 v7, v5
	s_waitcnt vmcnt(1) lgkmcnt(1)
	v_pk_mul_f32 v[4:5], v[12:13], v[52:53] op_sel:[1,1] op_sel_hi:[0,1]
	v_pk_add_f32 v[2:3], v[2:3], v[6:7]
	v_pk_fma_f32 v[6:7], v[12:13], v[52:53], v[4:5] neg_lo:[0,0,1] neg_hi:[0,0,1]
	v_pk_fma_f32 v[4:5], v[12:13], v[52:53], v[4:5] op_sel_hi:[1,0,1]
	s_nop 0
	v_mov_b32_e32 v4, v55
	v_mov_b32_e32 v7, v5
	v_pk_mul_f32 v[4:5], v[14:15], v[4:5] op_sel:[1,0] op_sel_hi:[0,0]
	v_pk_add_f32 v[2:3], v[2:3], v[6:7]
	v_pk_fma_f32 v[6:7], v[14:15], v[54:55], v[4:5] neg_lo:[0,0,1] neg_hi:[0,0,1]
	v_pk_fma_f32 v[4:5], v[14:15], v[54:55], v[4:5] op_sel_hi:[1,0,1]
	s_nop 0
	v_mov_b32_e32 v7, v5
	s_waitcnt vmcnt(0) lgkmcnt(0)
	v_pk_mul_f32 v[4:5], v[16:17], v[56:57] op_sel:[1,1] op_sel_hi:[0,1]
	v_pk_add_f32 v[2:3], v[2:3], v[6:7]
	v_pk_fma_f32 v[6:7], v[16:17], v[56:57], v[4:5] neg_lo:[0,0,1] neg_hi:[0,0,1]
	v_pk_fma_f32 v[4:5], v[16:17], v[56:57], v[4:5] op_sel_hi:[1,0,1]
	s_nop 0
	v_mov_b32_e32 v4, v59
	v_mov_b32_e32 v7, v5
	v_pk_mul_f32 v[4:5], v[18:19], v[4:5] op_sel:[1,0] op_sel_hi:[0,0]
	v_pk_add_f32 v[2:3], v[2:3], v[6:7]
	v_pk_fma_f32 v[6:7], v[18:19], v[58:59], v[4:5] neg_lo:[0,0,1] neg_hi:[0,0,1]
	v_pk_fma_f32 v[4:5], v[18:19], v[58:59], v[4:5] op_sel_hi:[1,0,1]
	s_nop 0
	v_mov_b32_e32 v7, v5
	scratch_load_dwordx2 v[4:5], off, off offset:240
	v_pk_add_f32 v[2:3], v[2:3], v[6:7]
	s_waitcnt vmcnt(0)
	v_pk_add_f32 v[2:3], v[4:5], v[2:3] neg_lo:[0,1] neg_hi:[0,1]
	scratch_store_dwordx2 off, v[2:3], off offset:240
	s_and_saveexec_b64 s[0:1], vcc
	s_cbranch_execz .LBB112_249
; %bb.248:
	scratch_load_dwordx2 v[2:3], off, off offset:232
	v_mov_b32_e32 v4, 0
	v_mov_b32_e32 v5, v4
	scratch_store_dwordx2 off, v[4:5], off offset:232
	s_waitcnt vmcnt(1)
	ds_write_b64 v1, v[2:3]
.LBB112_249:
	s_or_b64 exec, exec, s[0:1]
	v_mov_b32_e32 v2, 0
	s_waitcnt lgkmcnt(0)
	; wave barrier
	ds_read_b128 v[4:7], v2 offset:640
	ds_read_b128 v[8:11], v2 offset:656
	;; [unrolled: 1-line block ×4, first 2 shown]
	scratch_load_dwordx4 v[20:23], off, off offset:240
	scratch_load_dwordx4 v[40:43], off, off offset:304
	v_cmp_lt_u32_e32 vcc, 28, v0
	scratch_load_dwordx4 v[48:51], off, off offset:320
	s_waitcnt vmcnt(2) lgkmcnt(3)
	v_mul_f32_e32 v3, v4, v21
	v_fmac_f32_e32 v3, v5, v20
	v_mul_f32_e32 v24, v6, v23
	v_add_f32_e32 v3, 0, v3
	v_fmac_f32_e32 v24, v7, v22
	v_add_f32_e32 v3, v3, v24
	scratch_load_dwordx4 v[24:27], off, off offset:256
	s_waitcnt vmcnt(0) lgkmcnt(2)
	v_mul_f32_e32 v28, v8, v25
	v_fmac_f32_e32 v28, v9, v24
	v_add_f32_e32 v3, v3, v28
	v_mul_f32_e32 v28, v10, v27
	v_fmac_f32_e32 v28, v11, v26
	v_add_f32_e32 v3, v3, v28
	scratch_load_dwordx4 v[28:31], off, off offset:272
	s_waitcnt vmcnt(0) lgkmcnt(1)
	v_mul_f32_e32 v32, v12, v29
	v_fmac_f32_e32 v32, v13, v28
	v_add_f32_e32 v3, v3, v32
	v_mul_f32_e32 v32, v14, v31
	;; [unrolled: 8-line block ×3, first 2 shown]
	v_fmac_f32_e32 v36, v19, v34
	v_add_f32_e32 v3, v3, v36
	ds_read_b128 v[36:39], v2 offset:704
	s_waitcnt lgkmcnt(0)
	v_mul_f32_e32 v44, v36, v41
	v_fmac_f32_e32 v44, v37, v40
	v_add_f32_e32 v65, v3, v44
	ds_read_b128 v[44:47], v2 offset:720
	scratch_load_dwordx4 v[52:55], off, off offset:336
	scratch_load_dwordx4 v[56:59], off, off offset:352
	;; [unrolled: 1-line block ×3, first 2 shown]
	scratch_load_dwordx2 v[70:71], off, off offset:384
	v_mul_f32_e32 v3, v5, v21
	v_fma_f32 v3, v4, v20, -v3
	v_mul_f32_e32 v4, v7, v23
	v_add_f32_e32 v3, 0, v3
	v_fma_f32 v4, v6, v22, -v4
	v_add_f32_e32 v3, v3, v4
	v_mul_f32_e32 v4, v9, v25
	v_fma_f32 v4, v8, v24, -v4
	v_add_f32_e32 v3, v3, v4
	v_mul_f32_e32 v4, v11, v27
	;; [unrolled: 3-line block ×7, first 2 shown]
	v_fma_f32 v4, v36, v40, -v4
	v_mul_f32_e32 v67, v38, v43
	v_add_f32_e32 v64, v3, v4
	v_mul_f32_e32 v3, v39, v43
	v_mov_b32_e32 v20, v51
	v_fmac_f32_e32 v67, v39, v42
	s_waitcnt lgkmcnt(0)
	v_mul_f32_e32 v69, v44, v49
	v_fma_f32 v66, v38, v42, -v3
	v_mul_f32_e32 v3, v45, v49
	ds_read_b128 v[4:7], v2 offset:736
	ds_read_b128 v[8:11], v2 offset:752
	;; [unrolled: 1-line block ×3, first 2 shown]
	ds_read_b64 v[16:17], v2 offset:784
	v_pk_mul_f32 v[20:21], v[46:47], v[20:21] op_sel:[1,0] op_sel_hi:[0,0]
	v_fmac_f32_e32 v69, v45, v48
	v_fma_f32 v68, v44, v48, -v3
	v_pk_add_f32 v[18:19], v[64:65], v[66:67]
	v_pk_fma_f32 v[22:23], v[46:47], v[50:51], v[20:21] neg_lo:[0,0,1] neg_hi:[0,0,1]
	v_pk_fma_f32 v[20:21], v[46:47], v[50:51], v[20:21] op_sel_hi:[1,0,1]
	v_pk_add_f32 v[18:19], v[18:19], v[68:69]
	v_mov_b32_e32 v23, v21
	v_pk_add_f32 v[18:19], v[18:19], v[22:23]
	s_waitcnt vmcnt(3) lgkmcnt(3)
	v_pk_mul_f32 v[20:21], v[4:5], v[52:53] op_sel:[1,1] op_sel_hi:[0,1]
	v_pk_fma_f32 v[22:23], v[4:5], v[52:53], v[20:21] neg_lo:[0,0,1] neg_hi:[0,0,1]
	v_pk_fma_f32 v[4:5], v[4:5], v[52:53], v[20:21] op_sel_hi:[1,0,1]
	s_nop 0
	v_mov_b32_e32 v23, v5
	v_pk_add_f32 v[4:5], v[18:19], v[22:23]
	v_mov_b32_e32 v18, v55
	v_pk_mul_f32 v[18:19], v[6:7], v[18:19] op_sel:[1,0] op_sel_hi:[0,0]
	v_pk_fma_f32 v[20:21], v[6:7], v[54:55], v[18:19] neg_lo:[0,0,1] neg_hi:[0,0,1]
	v_pk_fma_f32 v[6:7], v[6:7], v[54:55], v[18:19] op_sel_hi:[1,0,1]
	s_nop 0
	v_mov_b32_e32 v21, v7
	s_waitcnt vmcnt(2) lgkmcnt(2)
	v_pk_mul_f32 v[6:7], v[8:9], v[56:57] op_sel:[1,1] op_sel_hi:[0,1]
	v_pk_fma_f32 v[18:19], v[8:9], v[56:57], v[6:7] neg_lo:[0,0,1] neg_hi:[0,0,1]
	v_pk_fma_f32 v[6:7], v[8:9], v[56:57], v[6:7] op_sel_hi:[1,0,1]
	v_pk_add_f32 v[4:5], v[4:5], v[20:21]
	v_mov_b32_e32 v6, v59
	v_mov_b32_e32 v19, v7
	v_pk_mul_f32 v[6:7], v[10:11], v[6:7] op_sel:[1,0] op_sel_hi:[0,0]
	v_pk_fma_f32 v[8:9], v[10:11], v[58:59], v[6:7] neg_lo:[0,0,1] neg_hi:[0,0,1]
	v_pk_fma_f32 v[6:7], v[10:11], v[58:59], v[6:7] op_sel_hi:[1,0,1]
	v_pk_add_f32 v[4:5], v[4:5], v[18:19]
	v_mov_b32_e32 v9, v7
	s_waitcnt vmcnt(1) lgkmcnt(1)
	v_pk_mul_f32 v[6:7], v[12:13], v[60:61] op_sel:[1,1] op_sel_hi:[0,1]
	v_pk_add_f32 v[4:5], v[4:5], v[8:9]
	v_pk_fma_f32 v[8:9], v[12:13], v[60:61], v[6:7] neg_lo:[0,0,1] neg_hi:[0,0,1]
	v_pk_fma_f32 v[6:7], v[12:13], v[60:61], v[6:7] op_sel_hi:[1,0,1]
	s_nop 0
	v_mov_b32_e32 v6, v63
	v_mov_b32_e32 v9, v7
	v_pk_mul_f32 v[6:7], v[14:15], v[6:7] op_sel:[1,0] op_sel_hi:[0,0]
	v_pk_add_f32 v[4:5], v[4:5], v[8:9]
	v_pk_fma_f32 v[8:9], v[14:15], v[62:63], v[6:7] neg_lo:[0,0,1] neg_hi:[0,0,1]
	v_pk_fma_f32 v[6:7], v[14:15], v[62:63], v[6:7] op_sel_hi:[1,0,1]
	s_nop 0
	v_mov_b32_e32 v9, v7
	s_waitcnt vmcnt(0) lgkmcnt(0)
	v_pk_mul_f32 v[6:7], v[16:17], v[70:71] op_sel:[1,1] op_sel_hi:[0,1]
	v_pk_add_f32 v[4:5], v[4:5], v[8:9]
	v_pk_fma_f32 v[8:9], v[16:17], v[70:71], v[6:7] neg_lo:[0,0,1] neg_hi:[0,0,1]
	v_pk_fma_f32 v[6:7], v[16:17], v[70:71], v[6:7] op_sel_hi:[1,0,1]
	s_nop 0
	v_mov_b32_e32 v9, v7
	scratch_load_dwordx2 v[6:7], off, off offset:232
	v_pk_add_f32 v[4:5], v[4:5], v[8:9]
	s_waitcnt vmcnt(0)
	v_pk_add_f32 v[4:5], v[6:7], v[4:5] neg_lo:[0,1] neg_hi:[0,1]
	scratch_store_dwordx2 off, v[4:5], off offset:232
	s_and_saveexec_b64 s[0:1], vcc
	s_cbranch_execz .LBB112_251
; %bb.250:
	scratch_load_dwordx2 v[4:5], off, off offset:224
	v_mov_b32_e32 v3, v2
	scratch_store_dwordx2 off, v[2:3], off offset:224
	s_waitcnt vmcnt(1)
	ds_write_b64 v1, v[4:5]
.LBB112_251:
	s_or_b64 exec, exec, s[0:1]
	s_waitcnt lgkmcnt(0)
	; wave barrier
	scratch_load_dwordx4 v[4:7], off, off offset:232
	scratch_load_dwordx4 v[8:11], off, off offset:248
	;; [unrolled: 1-line block ×7, first 2 shown]
	ds_read2_b64 v[32:35], v2 offset0:79 offset1:80
	ds_read2_b64 v[36:39], v2 offset0:81 offset1:82
	;; [unrolled: 1-line block ×6, first 2 shown]
	scratch_load_dwordx4 v[56:59], off, off offset:344
	scratch_load_dwordx4 v[60:63], off, off offset:360
	;; [unrolled: 1-line block ×3, first 2 shown]
	ds_read2_b64 v[68:71], v2 offset0:91 offset1:92
	ds_read2_b64 v[72:75], v2 offset0:93 offset1:94
	;; [unrolled: 1-line block ×4, first 2 shown]
	scratch_load_dwordx2 v[2:3], off, off offset:224
	v_cmp_lt_u32_e32 vcc, 27, v0
	s_waitcnt vmcnt(10) lgkmcnt(9)
	v_mul_f32_e32 v90, v32, v5
	v_mul_f32_e32 v5, v33, v5
	;; [unrolled: 1-line block ×3, first 2 shown]
	s_waitcnt vmcnt(9) lgkmcnt(8)
	v_mul_f32_e32 v92, v36, v9
	s_waitcnt vmcnt(8) lgkmcnt(7)
	v_mul_f32_e32 v95, v42, v15
	v_mul_f32_e32 v7, v35, v7
	;; [unrolled: 1-line block ×4, first 2 shown]
	v_fmac_f32_e32 v90, v33, v4
	v_fma_f32 v4, v32, v4, -v5
	v_fmac_f32_e32 v91, v35, v6
	v_fmac_f32_e32 v95, v43, v14
	v_fma_f32 v5, v34, v6, -v7
	v_fma_f32 v6, v36, v8, -v9
	;; [unrolled: 1-line block ×3, first 2 shown]
	v_add_f32_e32 v14, 0, v90
	v_add_f32_e32 v4, 0, v4
	v_mul_f32_e32 v93, v38, v11
	v_mul_f32_e32 v11, v39, v11
	v_fmac_f32_e32 v92, v37, v8
	v_add_f32_e32 v14, v14, v91
	v_add_f32_e32 v4, v4, v5
	v_mul_f32_e32 v94, v40, v13
	v_mul_f32_e32 v13, v41, v13
	v_fmac_f32_e32 v93, v39, v10
	v_fma_f32 v7, v38, v10, -v11
	v_add_f32_e32 v5, v14, v92
	v_add_f32_e32 v4, v4, v6
	v_fmac_f32_e32 v94, v41, v12
	v_fma_f32 v8, v40, v12, -v13
	v_add_f32_e32 v5, v5, v93
	v_add_f32_e32 v4, v4, v7
	s_waitcnt vmcnt(7) lgkmcnt(6)
	v_mul_f32_e32 v96, v44, v17
	v_mul_f32_e32 v17, v45, v17
	v_add_f32_e32 v5, v5, v94
	v_add_f32_e32 v4, v4, v8
	v_mul_f32_e32 v97, v46, v19
	v_mul_f32_e32 v19, v47, v19
	v_fmac_f32_e32 v96, v45, v16
	v_fma_f32 v10, v44, v16, -v17
	v_add_f32_e32 v5, v5, v95
	v_add_f32_e32 v4, v4, v9
	s_waitcnt vmcnt(6) lgkmcnt(5)
	v_mul_f32_e32 v98, v48, v21
	v_mul_f32_e32 v21, v49, v21
	v_fmac_f32_e32 v97, v47, v18
	v_fma_f32 v11, v46, v18, -v19
	v_add_f32_e32 v5, v5, v96
	v_add_f32_e32 v4, v4, v10
	v_mul_f32_e32 v99, v50, v23
	v_mul_f32_e32 v23, v51, v23
	v_fmac_f32_e32 v98, v49, v20
	v_fma_f32 v12, v48, v20, -v21
	v_add_f32_e32 v5, v5, v97
	v_add_f32_e32 v4, v4, v11
	s_waitcnt vmcnt(5) lgkmcnt(4)
	v_mul_f32_e32 v85, v52, v25
	v_mul_f32_e32 v25, v53, v25
	v_fmac_f32_e32 v99, v51, v22
	v_fma_f32 v13, v50, v22, -v23
	v_add_f32_e32 v5, v5, v98
	v_add_f32_e32 v4, v4, v12
	v_mul_f32_e32 v87, v54, v27
	v_mul_f32_e32 v27, v55, v27
	s_waitcnt vmcnt(4) lgkmcnt(3)
	v_pk_mul_f32 v[88:89], v[68:69], v[28:29] op_sel:[1,1] op_sel_hi:[0,1]
	v_fmac_f32_e32 v85, v53, v24
	v_fma_f32 v84, v52, v24, -v25
	v_add_f32_e32 v5, v5, v99
	v_add_f32_e32 v4, v4, v13
	v_fmac_f32_e32 v87, v55, v26
	v_fma_f32 v86, v54, v26, -v27
	v_pk_add_f32 v[4:5], v[4:5], v[84:85]
	v_pk_fma_f32 v[6:7], v[68:69], v[28:29], v[88:89] neg_lo:[0,0,1] neg_hi:[0,0,1]
	v_pk_fma_f32 v[8:9], v[68:69], v[28:29], v[88:89] op_sel_hi:[1,0,1]
	v_pk_add_f32 v[4:5], v[4:5], v[86:87]
	v_mov_b32_e32 v7, v9
	v_pk_add_f32 v[4:5], v[4:5], v[6:7]
	v_mov_b32_e32 v6, v31
	v_pk_mul_f32 v[6:7], v[70:71], v[6:7] op_sel:[1,0] op_sel_hi:[0,0]
	v_pk_fma_f32 v[8:9], v[70:71], v[30:31], v[6:7] neg_lo:[0,0,1] neg_hi:[0,0,1]
	v_pk_fma_f32 v[6:7], v[70:71], v[30:31], v[6:7] op_sel_hi:[1,0,1]
	s_nop 0
	v_mov_b32_e32 v9, v7
	s_waitcnt vmcnt(3) lgkmcnt(2)
	v_pk_mul_f32 v[6:7], v[72:73], v[56:57] op_sel:[1,1] op_sel_hi:[0,1]
	v_pk_add_f32 v[4:5], v[4:5], v[8:9]
	v_pk_fma_f32 v[8:9], v[72:73], v[56:57], v[6:7] neg_lo:[0,0,1] neg_hi:[0,0,1]
	v_pk_fma_f32 v[6:7], v[72:73], v[56:57], v[6:7] op_sel_hi:[1,0,1]
	s_nop 0
	v_mov_b32_e32 v6, v59
	v_mov_b32_e32 v9, v7
	v_pk_mul_f32 v[6:7], v[74:75], v[6:7] op_sel:[1,0] op_sel_hi:[0,0]
	v_pk_add_f32 v[4:5], v[4:5], v[8:9]
	v_pk_fma_f32 v[8:9], v[74:75], v[58:59], v[6:7] neg_lo:[0,0,1] neg_hi:[0,0,1]
	v_pk_fma_f32 v[6:7], v[74:75], v[58:59], v[6:7] op_sel_hi:[1,0,1]
	s_nop 0
	v_mov_b32_e32 v9, v7
	s_waitcnt vmcnt(2) lgkmcnt(1)
	v_pk_mul_f32 v[6:7], v[76:77], v[60:61] op_sel:[1,1] op_sel_hi:[0,1]
	v_pk_add_f32 v[4:5], v[4:5], v[8:9]
	v_pk_fma_f32 v[8:9], v[76:77], v[60:61], v[6:7] neg_lo:[0,0,1] neg_hi:[0,0,1]
	v_pk_fma_f32 v[6:7], v[76:77], v[60:61], v[6:7] op_sel_hi:[1,0,1]
	s_nop 0
	v_mov_b32_e32 v6, v63
	v_mov_b32_e32 v9, v7
	v_pk_mul_f32 v[6:7], v[78:79], v[6:7] op_sel:[1,0] op_sel_hi:[0,0]
	v_pk_add_f32 v[4:5], v[4:5], v[8:9]
	;; [unrolled: 14-line block ×3, first 2 shown]
	v_pk_fma_f32 v[8:9], v[82:83], v[66:67], v[6:7] neg_lo:[0,0,1] neg_hi:[0,0,1]
	v_pk_fma_f32 v[6:7], v[82:83], v[66:67], v[6:7] op_sel_hi:[1,0,1]
	s_nop 0
	v_mov_b32_e32 v9, v7
	v_pk_add_f32 v[4:5], v[4:5], v[8:9]
	s_waitcnt vmcnt(0)
	v_pk_add_f32 v[2:3], v[2:3], v[4:5] neg_lo:[0,1] neg_hi:[0,1]
	scratch_store_dwordx2 off, v[2:3], off offset:224
	s_and_saveexec_b64 s[0:1], vcc
	s_cbranch_execz .LBB112_253
; %bb.252:
	scratch_load_dwordx2 v[2:3], off, off offset:216
	v_mov_b32_e32 v4, 0
	v_mov_b32_e32 v5, v4
	scratch_store_dwordx2 off, v[4:5], off offset:216
	s_waitcnt vmcnt(1)
	ds_write_b64 v1, v[2:3]
.LBB112_253:
	s_or_b64 exec, exec, s[0:1]
	s_waitcnt lgkmcnt(0)
	; wave barrier
	scratch_load_dwordx4 v[2:5], off, off offset:224
	scratch_load_dwordx4 v[6:9], off, off offset:240
	;; [unrolled: 1-line block ×10, first 2 shown]
	scratch_load_dwordx2 v[76:77], off, off offset:384
	scratch_load_dwordx2 v[78:79], off, off offset:216
	v_mov_b32_e32 v10, 0
	ds_read_b128 v[44:47], v10 offset:624
	ds_read_b128 v[48:51], v10 offset:640
	;; [unrolled: 1-line block ×8, first 2 shown]
	v_cmp_lt_u32_e32 vcc, 26, v0
	s_waitcnt vmcnt(11) lgkmcnt(7)
	v_mul_f32_e32 v11, v44, v3
	v_mul_f32_e32 v3, v45, v3
	;; [unrolled: 1-line block ×4, first 2 shown]
	v_fmac_f32_e32 v11, v45, v2
	v_fma_f32 v2, v44, v2, -v3
	s_waitcnt vmcnt(10) lgkmcnt(6)
	v_mul_f32_e32 v82, v48, v7
	v_mul_f32_e32 v7, v49, v7
	v_fma_f32 v3, v46, v4, -v5
	v_add_f32_e32 v2, 0, v2
	v_mul_f32_e32 v84, v50, v9
	v_mul_f32_e32 v9, v51, v9
	v_fmac_f32_e32 v80, v47, v4
	v_fma_f32 v4, v48, v6, -v7
	v_add_f32_e32 v11, 0, v11
	v_add_f32_e32 v2, v2, v3
	s_waitcnt vmcnt(9) lgkmcnt(5)
	v_mul_f32_e32 v85, v52, v13
	v_mul_f32_e32 v13, v53, v13
	v_fmac_f32_e32 v82, v49, v6
	v_fma_f32 v5, v50, v8, -v9
	v_add_f32_e32 v11, v11, v80
	v_add_f32_e32 v2, v2, v4
	v_mul_f32_e32 v86, v54, v15
	v_mul_f32_e32 v15, v55, v15
	v_fmac_f32_e32 v84, v51, v8
	v_fma_f32 v6, v52, v12, -v13
	v_add_f32_e32 v3, v11, v82
	v_add_f32_e32 v2, v2, v5
	s_waitcnt vmcnt(8) lgkmcnt(4)
	v_mul_f32_e32 v87, v56, v17
	v_mul_f32_e32 v17, v57, v17
	v_fmac_f32_e32 v85, v53, v12
	v_fma_f32 v7, v54, v14, -v15
	v_add_f32_e32 v3, v3, v84
	;; [unrolled: 13-line block ×4, first 2 shown]
	v_add_f32_e32 v2, v2, v12
	v_fmac_f32_e32 v90, v63, v22
	v_fma_f32 v14, v64, v24, -v25
	v_add_f32_e32 v3, v3, v89
	v_add_f32_e32 v2, v2, v13
	v_mul_f32_e32 v81, v66, v27
	v_fmac_f32_e32 v91, v65, v24
	v_add_f32_e32 v3, v3, v90
	v_add_f32_e32 v12, v2, v14
	v_mul_f32_e32 v2, v67, v27
	s_waitcnt vmcnt(5)
	v_mov_b32_e32 v16, v31
	s_waitcnt lgkmcnt(1)
	v_mul_f32_e32 v83, v68, v29
	v_fmac_f32_e32 v81, v67, v26
	v_add_f32_e32 v13, v3, v91
	v_fma_f32 v80, v66, v26, -v2
	v_mul_f32_e32 v2, v69, v29
	v_pk_mul_f32 v[16:17], v[70:71], v[16:17] op_sel:[1,0] op_sel_hi:[0,0]
	v_fmac_f32_e32 v83, v69, v28
	v_fma_f32 v82, v68, v28, -v2
	v_pk_add_f32 v[12:13], v[12:13], v[80:81]
	v_pk_fma_f32 v[18:19], v[70:71], v[30:31], v[16:17] neg_lo:[0,0,1] neg_hi:[0,0,1]
	v_pk_fma_f32 v[16:17], v[70:71], v[30:31], v[16:17] op_sel_hi:[1,0,1]
	v_pk_add_f32 v[12:13], v[12:13], v[82:83]
	v_mov_b32_e32 v19, v17
	s_waitcnt vmcnt(4) lgkmcnt(0)
	v_pk_mul_f32 v[16:17], v[72:73], v[32:33] op_sel:[1,1] op_sel_hi:[0,1]
	v_pk_add_f32 v[12:13], v[12:13], v[18:19]
	v_pk_fma_f32 v[18:19], v[72:73], v[32:33], v[16:17] neg_lo:[0,0,1] neg_hi:[0,0,1]
	v_pk_fma_f32 v[16:17], v[72:73], v[32:33], v[16:17] op_sel_hi:[1,0,1]
	ds_read_b128 v[2:5], v10 offset:752
	ds_read_b128 v[6:9], v10 offset:768
	ds_read_b64 v[14:15], v10 offset:784
	v_mov_b32_e32 v16, v35
	v_mov_b32_e32 v19, v17
	v_pk_mul_f32 v[16:17], v[74:75], v[16:17] op_sel:[1,0] op_sel_hi:[0,0]
	v_pk_add_f32 v[12:13], v[12:13], v[18:19]
	v_pk_fma_f32 v[18:19], v[74:75], v[34:35], v[16:17] neg_lo:[0,0,1] neg_hi:[0,0,1]
	v_pk_fma_f32 v[16:17], v[74:75], v[34:35], v[16:17] op_sel_hi:[1,0,1]
	s_nop 0
	v_mov_b32_e32 v19, v17
	s_waitcnt vmcnt(3) lgkmcnt(2)
	v_pk_mul_f32 v[16:17], v[2:3], v[36:37] op_sel:[1,1] op_sel_hi:[0,1]
	v_pk_add_f32 v[12:13], v[12:13], v[18:19]
	v_pk_fma_f32 v[18:19], v[2:3], v[36:37], v[16:17] neg_lo:[0,0,1] neg_hi:[0,0,1]
	v_pk_fma_f32 v[2:3], v[2:3], v[36:37], v[16:17] op_sel_hi:[1,0,1]
	s_nop 0
	v_mov_b32_e32 v19, v3
	v_pk_add_f32 v[2:3], v[12:13], v[18:19]
	v_mov_b32_e32 v12, v39
	v_pk_mul_f32 v[12:13], v[4:5], v[12:13] op_sel:[1,0] op_sel_hi:[0,0]
	v_pk_fma_f32 v[16:17], v[4:5], v[38:39], v[12:13] neg_lo:[0,0,1] neg_hi:[0,0,1]
	v_pk_fma_f32 v[4:5], v[4:5], v[38:39], v[12:13] op_sel_hi:[1,0,1]
	s_nop 0
	v_mov_b32_e32 v17, v5
	s_waitcnt vmcnt(2) lgkmcnt(1)
	v_pk_mul_f32 v[4:5], v[6:7], v[40:41] op_sel:[1,1] op_sel_hi:[0,1]
	v_pk_fma_f32 v[12:13], v[6:7], v[40:41], v[4:5] neg_lo:[0,0,1] neg_hi:[0,0,1]
	v_pk_fma_f32 v[4:5], v[6:7], v[40:41], v[4:5] op_sel_hi:[1,0,1]
	v_pk_add_f32 v[2:3], v[2:3], v[16:17]
	v_mov_b32_e32 v4, v43
	v_mov_b32_e32 v13, v5
	v_pk_mul_f32 v[4:5], v[8:9], v[4:5] op_sel:[1,0] op_sel_hi:[0,0]
	v_pk_fma_f32 v[6:7], v[8:9], v[42:43], v[4:5] neg_lo:[0,0,1] neg_hi:[0,0,1]
	v_pk_fma_f32 v[4:5], v[8:9], v[42:43], v[4:5] op_sel_hi:[1,0,1]
	v_pk_add_f32 v[2:3], v[2:3], v[12:13]
	v_mov_b32_e32 v7, v5
	s_waitcnt vmcnt(1) lgkmcnt(0)
	v_pk_mul_f32 v[4:5], v[14:15], v[76:77] op_sel:[1,1] op_sel_hi:[0,1]
	v_pk_add_f32 v[2:3], v[2:3], v[6:7]
	v_pk_fma_f32 v[6:7], v[14:15], v[76:77], v[4:5] neg_lo:[0,0,1] neg_hi:[0,0,1]
	v_pk_fma_f32 v[4:5], v[14:15], v[76:77], v[4:5] op_sel_hi:[1,0,1]
	s_nop 0
	v_mov_b32_e32 v7, v5
	v_pk_add_f32 v[2:3], v[2:3], v[6:7]
	s_waitcnt vmcnt(0)
	v_pk_add_f32 v[2:3], v[78:79], v[2:3] neg_lo:[0,1] neg_hi:[0,1]
	scratch_store_dwordx2 off, v[2:3], off offset:216
	s_and_saveexec_b64 s[0:1], vcc
	s_cbranch_execz .LBB112_255
; %bb.254:
	scratch_load_dwordx2 v[2:3], off, off offset:208
	v_mov_b32_e32 v11, v10
	scratch_store_dwordx2 off, v[10:11], off offset:208
	s_waitcnt vmcnt(1)
	ds_write_b64 v1, v[2:3]
.LBB112_255:
	s_or_b64 exec, exec, s[0:1]
	s_waitcnt lgkmcnt(0)
	; wave barrier
	scratch_load_dwordx4 v[6:9], off, off offset:216
	scratch_load_dwordx4 v[12:15], off, off offset:232
	;; [unrolled: 1-line block ×7, first 2 shown]
	ds_read2_b64 v[36:39], v10 offset0:77 offset1:78
	ds_read2_b64 v[40:43], v10 offset0:79 offset1:80
	;; [unrolled: 1-line block ×6, first 2 shown]
	scratch_load_dwordx4 v[60:63], off, off offset:328
	scratch_load_dwordx4 v[64:67], off, off offset:344
	;; [unrolled: 1-line block ×4, first 2 shown]
	ds_read2_b64 v[72:75], v10 offset0:89 offset1:90
	ds_read2_b64 v[76:79], v10 offset0:91 offset1:92
	scratch_load_dwordx2 v[80:81], off, off offset:208
	v_cmp_lt_u32_e32 vcc, 25, v0
	s_waitcnt vmcnt(11) lgkmcnt(7)
	v_mul_f32_e32 v11, v36, v7
	v_mul_f32_e32 v82, v38, v9
	;; [unrolled: 1-line block ×3, first 2 shown]
	v_fmac_f32_e32 v11, v37, v6
	s_waitcnt vmcnt(10) lgkmcnt(6)
	v_mul_f32_e32 v84, v40, v13
	v_mul_f32_e32 v9, v39, v9
	v_fmac_f32_e32 v82, v39, v8
	v_fma_f32 v6, v36, v6, -v7
	v_add_f32_e32 v11, 0, v11
	v_mul_f32_e32 v86, v42, v15
	v_fmac_f32_e32 v84, v41, v12
	v_fma_f32 v7, v38, v8, -v9
	v_add_f32_e32 v6, 0, v6
	v_add_f32_e32 v11, v11, v82
	s_waitcnt vmcnt(9) lgkmcnt(5)
	v_mul_f32_e32 v87, v44, v17
	v_mul_f32_e32 v13, v41, v13
	v_fmac_f32_e32 v86, v43, v14
	v_add_f32_e32 v6, v6, v7
	v_add_f32_e32 v7, v11, v84
	v_mul_f32_e32 v88, v46, v19
	v_mul_f32_e32 v15, v43, v15
	v_fmac_f32_e32 v87, v45, v16
	v_fma_f32 v8, v40, v12, -v13
	v_add_f32_e32 v7, v7, v86
	s_waitcnt vmcnt(8) lgkmcnt(4)
	v_mul_f32_e32 v89, v48, v21
	v_mul_f32_e32 v17, v45, v17
	v_fmac_f32_e32 v88, v47, v18
	v_fma_f32 v9, v42, v14, -v15
	v_add_f32_e32 v6, v6, v8
	v_add_f32_e32 v7, v7, v87
	v_mul_f32_e32 v90, v50, v23
	v_mul_f32_e32 v19, v47, v19
	v_fmac_f32_e32 v89, v49, v20
	v_fma_f32 v12, v44, v16, -v17
	v_add_f32_e32 v6, v6, v9
	v_add_f32_e32 v7, v7, v88
	s_waitcnt vmcnt(7) lgkmcnt(3)
	v_mul_f32_e32 v91, v52, v25
	v_mul_f32_e32 v21, v49, v21
	v_fmac_f32_e32 v90, v51, v22
	v_fma_f32 v13, v46, v18, -v19
	v_add_f32_e32 v6, v6, v12
	v_add_f32_e32 v7, v7, v89
	v_mul_f32_e32 v92, v54, v27
	v_mul_f32_e32 v23, v51, v23
	v_fmac_f32_e32 v91, v53, v24
	v_fma_f32 v14, v48, v20, -v21
	v_add_f32_e32 v6, v6, v13
	v_add_f32_e32 v7, v7, v90
	s_waitcnt vmcnt(6) lgkmcnt(2)
	v_mul_f32_e32 v93, v56, v29
	v_mul_f32_e32 v25, v53, v25
	v_fmac_f32_e32 v92, v55, v26
	v_fma_f32 v15, v50, v22, -v23
	v_add_f32_e32 v6, v6, v14
	v_add_f32_e32 v7, v7, v91
	v_mul_f32_e32 v94, v58, v31
	v_mul_f32_e32 v27, v55, v27
	v_fmac_f32_e32 v93, v57, v28
	v_fma_f32 v16, v52, v24, -v25
	v_add_f32_e32 v6, v6, v15
	v_add_f32_e32 v7, v7, v92
	v_mul_f32_e32 v29, v57, v29
	v_fmac_f32_e32 v94, v59, v30
	v_fma_f32 v17, v54, v26, -v27
	v_add_f32_e32 v6, v6, v16
	v_add_f32_e32 v7, v7, v93
	v_fma_f32 v18, v56, v28, -v29
	v_add_f32_e32 v6, v6, v17
	v_add_f32_e32 v21, v7, v94
	v_mul_f32_e32 v7, v59, v31
	v_add_f32_e32 v6, v6, v18
	v_fma_f32 v7, v58, v30, -v7
	s_waitcnt vmcnt(5) lgkmcnt(1)
	v_mul_f32_e32 v83, v72, v33
	v_add_f32_e32 v20, v6, v7
	v_mul_f32_e32 v6, v73, v33
	v_fmac_f32_e32 v83, v73, v32
	v_fma_f32 v82, v72, v32, -v6
	v_mul_f32_e32 v6, v75, v35
	v_fma_f32 v84, v74, v34, -v6
	ds_read2_b64 v[6:9], v10 offset0:93 offset1:94
	ds_read2_b64 v[12:15], v10 offset0:95 offset1:96
	;; [unrolled: 1-line block ×3, first 2 shown]
	v_pk_add_f32 v[10:11], v[20:21], v[82:83]
	s_waitcnt vmcnt(4) lgkmcnt(3)
	v_pk_mul_f32 v[20:21], v[76:77], v[60:61] op_sel:[1,1] op_sel_hi:[0,1]
	v_mul_f32_e32 v85, v74, v35
	v_pk_fma_f32 v[22:23], v[76:77], v[60:61], v[20:21] neg_lo:[0,0,1] neg_hi:[0,0,1]
	v_pk_fma_f32 v[20:21], v[76:77], v[60:61], v[20:21] op_sel_hi:[1,0,1]
	v_fmac_f32_e32 v85, v75, v34
	v_mov_b32_e32 v20, v63
	v_pk_add_f32 v[10:11], v[10:11], v[84:85]
	v_mov_b32_e32 v23, v21
	v_pk_mul_f32 v[20:21], v[78:79], v[20:21] op_sel:[1,0] op_sel_hi:[0,0]
	v_pk_add_f32 v[10:11], v[10:11], v[22:23]
	v_pk_fma_f32 v[22:23], v[78:79], v[62:63], v[20:21] neg_lo:[0,0,1] neg_hi:[0,0,1]
	v_pk_fma_f32 v[20:21], v[78:79], v[62:63], v[20:21] op_sel_hi:[1,0,1]
	s_nop 0
	v_mov_b32_e32 v23, v21
	s_waitcnt vmcnt(3) lgkmcnt(2)
	v_pk_mul_f32 v[20:21], v[6:7], v[64:65] op_sel:[1,1] op_sel_hi:[0,1]
	v_pk_add_f32 v[10:11], v[10:11], v[22:23]
	v_pk_fma_f32 v[22:23], v[6:7], v[64:65], v[20:21] neg_lo:[0,0,1] neg_hi:[0,0,1]
	v_pk_fma_f32 v[6:7], v[6:7], v[64:65], v[20:21] op_sel_hi:[1,0,1]
	s_nop 0
	v_mov_b32_e32 v23, v7
	v_pk_add_f32 v[6:7], v[10:11], v[22:23]
	v_mov_b32_e32 v10, v67
	v_pk_mul_f32 v[10:11], v[8:9], v[10:11] op_sel:[1,0] op_sel_hi:[0,0]
	v_pk_fma_f32 v[20:21], v[8:9], v[66:67], v[10:11] neg_lo:[0,0,1] neg_hi:[0,0,1]
	v_pk_fma_f32 v[8:9], v[8:9], v[66:67], v[10:11] op_sel_hi:[1,0,1]
	s_nop 0
	v_mov_b32_e32 v21, v9
	s_waitcnt vmcnt(2) lgkmcnt(1)
	v_pk_mul_f32 v[8:9], v[12:13], v[68:69] op_sel:[1,1] op_sel_hi:[0,1]
	v_pk_fma_f32 v[10:11], v[12:13], v[68:69], v[8:9] neg_lo:[0,0,1] neg_hi:[0,0,1]
	v_pk_fma_f32 v[8:9], v[12:13], v[68:69], v[8:9] op_sel_hi:[1,0,1]
	v_pk_add_f32 v[6:7], v[6:7], v[20:21]
	v_mov_b32_e32 v8, v71
	v_mov_b32_e32 v11, v9
	v_pk_mul_f32 v[8:9], v[14:15], v[8:9] op_sel:[1,0] op_sel_hi:[0,0]
	v_pk_add_f32 v[6:7], v[6:7], v[10:11]
	v_pk_fma_f32 v[10:11], v[14:15], v[70:71], v[8:9] neg_lo:[0,0,1] neg_hi:[0,0,1]
	v_pk_fma_f32 v[8:9], v[14:15], v[70:71], v[8:9] op_sel_hi:[1,0,1]
	s_nop 0
	v_mov_b32_e32 v11, v9
	s_waitcnt vmcnt(1) lgkmcnt(0)
	v_pk_mul_f32 v[8:9], v[16:17], v[2:3] op_sel:[1,1] op_sel_hi:[0,1]
	v_pk_add_f32 v[6:7], v[6:7], v[10:11]
	v_pk_fma_f32 v[10:11], v[16:17], v[2:3], v[8:9] neg_lo:[0,0,1] neg_hi:[0,0,1]
	v_pk_fma_f32 v[2:3], v[16:17], v[2:3], v[8:9] op_sel_hi:[1,0,1]
	s_nop 0
	v_mov_b32_e32 v11, v3
	v_pk_add_f32 v[2:3], v[6:7], v[10:11]
	v_mov_b32_e32 v6, v5
	v_pk_mul_f32 v[6:7], v[18:19], v[6:7] op_sel:[1,0] op_sel_hi:[0,0]
	v_pk_fma_f32 v[8:9], v[18:19], v[4:5], v[6:7] neg_lo:[0,0,1] neg_hi:[0,0,1]
	v_pk_fma_f32 v[4:5], v[18:19], v[4:5], v[6:7] op_sel_hi:[1,0,1]
	s_nop 0
	v_mov_b32_e32 v9, v5
	v_pk_add_f32 v[2:3], v[2:3], v[8:9]
	s_waitcnt vmcnt(0)
	v_pk_add_f32 v[2:3], v[80:81], v[2:3] neg_lo:[0,1] neg_hi:[0,1]
	scratch_store_dwordx2 off, v[2:3], off offset:208
	s_and_saveexec_b64 s[0:1], vcc
	s_cbranch_execz .LBB112_257
; %bb.256:
	scratch_load_dwordx2 v[2:3], off, off offset:200
	v_mov_b32_e32 v4, 0
	v_mov_b32_e32 v5, v4
	scratch_store_dwordx2 off, v[4:5], off offset:200
	s_waitcnt vmcnt(1)
	ds_write_b64 v1, v[2:3]
.LBB112_257:
	s_or_b64 exec, exec, s[0:1]
	s_waitcnt lgkmcnt(0)
	; wave barrier
	scratch_load_dwordx4 v[6:9], off, off offset:208
	scratch_load_dwordx4 v[14:17], off, off offset:224
	;; [unrolled: 1-line block ×11, first 2 shown]
	scratch_load_dwordx2 v[22:23], off, off offset:384
	scratch_load_dwordx2 v[36:37], off, off offset:200
	v_mov_b32_e32 v38, 0
	ds_read_b128 v[52:55], v38 offset:608
	ds_read_b128 v[56:59], v38 offset:624
	ds_read_b128 v[60:63], v38 offset:640
	ds_read_b128 v[64:67], v38 offset:656
	ds_read_b128 v[68:71], v38 offset:672
	ds_read_b128 v[72:75], v38 offset:688
	ds_read_b128 v[76:79], v38 offset:704
	ds_read_b128 v[80:83], v38 offset:720
	v_cmp_lt_u32_e32 vcc, 24, v0
	s_waitcnt vmcnt(12) lgkmcnt(7)
	v_mul_f32_e32 v39, v52, v7
	v_mul_f32_e32 v84, v54, v9
	;; [unrolled: 1-line block ×3, first 2 shown]
	v_fmac_f32_e32 v39, v53, v6
	s_waitcnt vmcnt(8) lgkmcnt(3)
	v_mul_f32_e32 v93, v68, v19
	v_mul_f32_e32 v19, v69, v19
	;; [unrolled: 1-line block ×4, first 2 shown]
	v_fmac_f32_e32 v84, v55, v8
	v_fmac_f32_e32 v93, v69, v18
	v_fma_f32 v6, v52, v6, -v7
	v_fma_f32 v18, v68, v18, -v19
	v_add_f32_e32 v19, 0, v39
	v_mul_f32_e32 v88, v58, v17
	v_fmac_f32_e32 v86, v57, v14
	v_fma_f32 v7, v54, v8, -v9
	v_add_f32_e32 v6, 0, v6
	v_add_f32_e32 v19, v19, v84
	v_mul_f32_e32 v89, v60, v25
	v_fmac_f32_e32 v88, v59, v16
	v_add_f32_e32 v6, v6, v7
	v_add_f32_e32 v7, v19, v86
	v_mul_f32_e32 v90, v62, v27
	v_fmac_f32_e32 v89, v61, v24
	v_add_f32_e32 v7, v7, v88
	v_mul_f32_e32 v91, v64, v29
	v_mul_f32_e32 v15, v57, v15
	v_fmac_f32_e32 v90, v63, v26
	v_add_f32_e32 v7, v7, v89
	v_mul_f32_e32 v92, v66, v31
	v_mul_f32_e32 v17, v59, v17
	v_fmac_f32_e32 v91, v65, v28
	v_fma_f32 v8, v56, v14, -v15
	v_add_f32_e32 v7, v7, v90
	v_mul_f32_e32 v25, v61, v25
	v_fmac_f32_e32 v92, v67, v30
	v_fma_f32 v9, v58, v16, -v17
	v_add_f32_e32 v6, v6, v8
	v_add_f32_e32 v7, v7, v91
	v_mul_f32_e32 v94, v70, v21
	v_mul_f32_e32 v27, v63, v27
	v_fma_f32 v14, v60, v24, -v25
	v_add_f32_e32 v6, v6, v9
	v_add_f32_e32 v7, v7, v92
	s_waitcnt vmcnt(7) lgkmcnt(2)
	v_mul_f32_e32 v95, v72, v33
	v_mul_f32_e32 v29, v65, v29
	v_fmac_f32_e32 v94, v71, v20
	v_fma_f32 v15, v62, v26, -v27
	v_add_f32_e32 v6, v6, v14
	v_add_f32_e32 v7, v7, v93
	v_mul_f32_e32 v96, v74, v35
	v_mul_f32_e32 v31, v67, v31
	v_fmac_f32_e32 v95, v73, v32
	v_fma_f32 v16, v64, v28, -v29
	v_add_f32_e32 v6, v6, v15
	v_add_f32_e32 v7, v7, v94
	s_waitcnt vmcnt(6) lgkmcnt(1)
	v_mul_f32_e32 v97, v76, v41
	v_fmac_f32_e32 v96, v75, v34
	v_fma_f32 v17, v66, v30, -v31
	v_add_f32_e32 v6, v6, v16
	v_add_f32_e32 v7, v7, v95
	v_mul_f32_e32 v21, v71, v21
	v_fmac_f32_e32 v97, v77, v40
	v_add_f32_e32 v6, v6, v17
	v_add_f32_e32 v7, v7, v96
	;; [unrolled: 1-line block ×4, first 2 shown]
	v_fma_f32 v7, v70, v20, -v21
	v_add_f32_e32 v6, v6, v7
	v_mul_f32_e32 v7, v73, v33
	v_fma_f32 v7, v72, v32, -v7
	v_add_f32_e32 v6, v6, v7
	v_mul_f32_e32 v7, v75, v35
	;; [unrolled: 3-line block ×4, first 2 shown]
	v_mul_f32_e32 v85, v78, v43
	v_fma_f32 v84, v78, v42, -v6
	s_waitcnt vmcnt(5) lgkmcnt(0)
	v_mul_f32_e32 v6, v81, v45
	v_mov_b32_e32 v28, v47
	v_mul_f32_e32 v87, v80, v45
	v_fmac_f32_e32 v85, v79, v42
	v_fma_f32 v86, v80, v44, -v6
	ds_read_b128 v[6:9], v38 offset:736
	ds_read_b128 v[14:17], v38 offset:752
	;; [unrolled: 1-line block ×3, first 2 shown]
	ds_read_b64 v[26:27], v38 offset:784
	v_pk_mul_f32 v[28:29], v[82:83], v[28:29] op_sel:[1,0] op_sel_hi:[0,0]
	v_fmac_f32_e32 v87, v81, v44
	v_pk_add_f32 v[24:25], v[24:25], v[84:85]
	v_pk_fma_f32 v[30:31], v[82:83], v[46:47], v[28:29] neg_lo:[0,0,1] neg_hi:[0,0,1]
	v_pk_fma_f32 v[28:29], v[82:83], v[46:47], v[28:29] op_sel_hi:[1,0,1]
	v_pk_add_f32 v[24:25], v[24:25], v[86:87]
	v_mov_b32_e32 v31, v29
	s_waitcnt vmcnt(4) lgkmcnt(3)
	v_pk_mul_f32 v[28:29], v[6:7], v[48:49] op_sel:[1,1] op_sel_hi:[0,1]
	v_pk_add_f32 v[24:25], v[24:25], v[30:31]
	v_pk_fma_f32 v[30:31], v[6:7], v[48:49], v[28:29] neg_lo:[0,0,1] neg_hi:[0,0,1]
	v_pk_fma_f32 v[6:7], v[6:7], v[48:49], v[28:29] op_sel_hi:[1,0,1]
	s_nop 0
	v_mov_b32_e32 v31, v7
	v_pk_add_f32 v[6:7], v[24:25], v[30:31]
	v_mov_b32_e32 v24, v51
	v_pk_mul_f32 v[24:25], v[8:9], v[24:25] op_sel:[1,0] op_sel_hi:[0,0]
	v_pk_fma_f32 v[28:29], v[8:9], v[50:51], v[24:25] neg_lo:[0,0,1] neg_hi:[0,0,1]
	v_pk_fma_f32 v[8:9], v[8:9], v[50:51], v[24:25] op_sel_hi:[1,0,1]
	s_nop 0
	v_mov_b32_e32 v29, v9
	s_waitcnt vmcnt(3) lgkmcnt(2)
	v_pk_mul_f32 v[8:9], v[14:15], v[10:11] op_sel:[1,1] op_sel_hi:[0,1]
	v_pk_fma_f32 v[24:25], v[14:15], v[10:11], v[8:9] neg_lo:[0,0,1] neg_hi:[0,0,1]
	v_pk_fma_f32 v[8:9], v[14:15], v[10:11], v[8:9] op_sel_hi:[1,0,1]
	v_pk_add_f32 v[6:7], v[6:7], v[28:29]
	v_mov_b32_e32 v8, v13
	v_mov_b32_e32 v25, v9
	v_pk_mul_f32 v[8:9], v[16:17], v[8:9] op_sel:[1,0] op_sel_hi:[0,0]
	v_pk_fma_f32 v[10:11], v[16:17], v[12:13], v[8:9] neg_lo:[0,0,1] neg_hi:[0,0,1]
	v_pk_fma_f32 v[8:9], v[16:17], v[12:13], v[8:9] op_sel_hi:[1,0,1]
	v_pk_add_f32 v[6:7], v[6:7], v[24:25]
	v_mov_b32_e32 v11, v9
	s_waitcnt vmcnt(2) lgkmcnt(1)
	v_pk_mul_f32 v[8:9], v[18:19], v[2:3] op_sel:[1,1] op_sel_hi:[0,1]
	v_pk_add_f32 v[6:7], v[6:7], v[10:11]
	v_pk_fma_f32 v[10:11], v[18:19], v[2:3], v[8:9] neg_lo:[0,0,1] neg_hi:[0,0,1]
	v_pk_fma_f32 v[2:3], v[18:19], v[2:3], v[8:9] op_sel_hi:[1,0,1]
	s_nop 0
	v_mov_b32_e32 v11, v3
	v_pk_add_f32 v[2:3], v[6:7], v[10:11]
	v_mov_b32_e32 v6, v5
	v_pk_mul_f32 v[6:7], v[20:21], v[6:7] op_sel:[1,0] op_sel_hi:[0,0]
	v_pk_fma_f32 v[8:9], v[20:21], v[4:5], v[6:7] neg_lo:[0,0,1] neg_hi:[0,0,1]
	v_pk_fma_f32 v[4:5], v[20:21], v[4:5], v[6:7] op_sel_hi:[1,0,1]
	s_nop 0
	v_mov_b32_e32 v9, v5
	s_waitcnt vmcnt(1) lgkmcnt(0)
	v_pk_mul_f32 v[4:5], v[26:27], v[22:23] op_sel:[1,1] op_sel_hi:[0,1]
	v_pk_fma_f32 v[6:7], v[26:27], v[22:23], v[4:5] neg_lo:[0,0,1] neg_hi:[0,0,1]
	v_pk_fma_f32 v[4:5], v[26:27], v[22:23], v[4:5] op_sel_hi:[1,0,1]
	v_pk_add_f32 v[2:3], v[2:3], v[8:9]
	v_mov_b32_e32 v7, v5
	v_pk_add_f32 v[2:3], v[2:3], v[6:7]
	s_waitcnt vmcnt(0)
	v_pk_add_f32 v[2:3], v[36:37], v[2:3] neg_lo:[0,1] neg_hi:[0,1]
	scratch_store_dwordx2 off, v[2:3], off offset:200
	s_and_saveexec_b64 s[0:1], vcc
	s_cbranch_execz .LBB112_259
; %bb.258:
	scratch_load_dwordx2 v[2:3], off, off offset:192
	v_mov_b32_e32 v39, v38
	scratch_store_dwordx2 off, v[38:39], off offset:192
	s_waitcnt vmcnt(1)
	ds_write_b64 v1, v[2:3]
.LBB112_259:
	s_or_b64 exec, exec, s[0:1]
	s_waitcnt lgkmcnt(0)
	; wave barrier
	scratch_load_dwordx4 v[2:5], off, off offset:200
	scratch_load_dwordx4 v[14:17], off, off offset:216
	;; [unrolled: 1-line block ×8, first 2 shown]
	ds_read2_b64 v[48:51], v38 offset0:75 offset1:76
	ds_read2_b64 v[52:55], v38 offset0:77 offset1:78
	;; [unrolled: 1-line block ×8, first 2 shown]
	scratch_load_dwordx4 v[80:83], off, off offset:328
	scratch_load_dwordx4 v[26:29], off, off offset:344
	;; [unrolled: 1-line block ×4, first 2 shown]
	scratch_load_dwordx2 v[84:85], off, off offset:192
	v_cmp_lt_u32_e32 vcc, 23, v0
	s_waitcnt vmcnt(12) lgkmcnt(7)
	v_mul_f32_e32 v39, v48, v3
	v_mul_f32_e32 v86, v50, v5
	;; [unrolled: 1-line block ×3, first 2 shown]
	v_fmac_f32_e32 v39, v49, v2
	s_waitcnt vmcnt(8) lgkmcnt(3)
	v_mul_f32_e32 v95, v64, v19
	v_mul_f32_e32 v19, v65, v19
	;; [unrolled: 1-line block ×4, first 2 shown]
	v_fmac_f32_e32 v86, v51, v4
	v_fmac_f32_e32 v95, v65, v18
	v_fma_f32 v2, v48, v2, -v3
	v_fma_f32 v18, v64, v18, -v19
	v_add_f32_e32 v19, 0, v39
	v_mul_f32_e32 v90, v54, v17
	v_fmac_f32_e32 v88, v53, v14
	v_fma_f32 v3, v50, v4, -v5
	v_add_f32_e32 v2, 0, v2
	v_add_f32_e32 v19, v19, v86
	v_mul_f32_e32 v91, v56, v31
	v_fmac_f32_e32 v90, v55, v16
	v_add_f32_e32 v2, v2, v3
	v_add_f32_e32 v3, v19, v88
	v_mul_f32_e32 v92, v58, v33
	v_fmac_f32_e32 v91, v57, v30
	v_add_f32_e32 v3, v3, v90
	v_mul_f32_e32 v93, v60, v41
	v_fmac_f32_e32 v92, v59, v32
	v_add_f32_e32 v3, v3, v91
	v_mul_f32_e32 v94, v62, v43
	v_fmac_f32_e32 v93, v61, v40
	v_add_f32_e32 v3, v3, v92
	v_mul_f32_e32 v15, v53, v15
	v_fmac_f32_e32 v94, v63, v42
	v_add_f32_e32 v3, v3, v93
	v_mul_f32_e32 v96, v66, v21
	v_mul_f32_e32 v17, v55, v17
	v_fma_f32 v4, v52, v14, -v15
	v_add_f32_e32 v3, v3, v94
	s_waitcnt vmcnt(7) lgkmcnt(2)
	v_mul_f32_e32 v97, v68, v23
	v_mul_f32_e32 v31, v57, v31
	v_fmac_f32_e32 v96, v67, v20
	v_fma_f32 v5, v54, v16, -v17
	v_add_f32_e32 v2, v2, v4
	v_add_f32_e32 v3, v3, v95
	v_mul_f32_e32 v98, v70, v25
	v_mul_f32_e32 v33, v59, v33
	v_fmac_f32_e32 v97, v69, v22
	v_fma_f32 v14, v56, v30, -v31
	v_add_f32_e32 v2, v2, v5
	v_add_f32_e32 v3, v3, v96
	s_waitcnt vmcnt(6) lgkmcnt(1)
	v_mul_f32_e32 v99, v72, v35
	v_mul_f32_e32 v41, v61, v41
	v_fmac_f32_e32 v98, v71, v24
	v_fma_f32 v15, v58, v32, -v33
	v_add_f32_e32 v2, v2, v14
	v_add_f32_e32 v3, v3, v97
	v_mul_f32_e32 v100, v74, v37
	v_mul_f32_e32 v43, v63, v43
	v_fmac_f32_e32 v99, v73, v34
	v_fma_f32 v16, v60, v40, -v41
	v_add_f32_e32 v2, v2, v15
	v_add_f32_e32 v3, v3, v98
	v_fmac_f32_e32 v100, v75, v36
	v_fma_f32 v17, v62, v42, -v43
	v_add_f32_e32 v2, v2, v16
	v_add_f32_e32 v3, v3, v99
	;; [unrolled: 1-line block ×4, first 2 shown]
	v_mul_f32_e32 v3, v67, v21
	v_add_f32_e32 v2, v2, v18
	v_fma_f32 v3, v66, v20, -v3
	v_add_f32_e32 v2, v2, v3
	v_mul_f32_e32 v3, v69, v23
	v_fma_f32 v3, v68, v22, -v3
	v_add_f32_e32 v2, v2, v3
	v_mul_f32_e32 v3, v71, v25
	;; [unrolled: 3-line block ×4, first 2 shown]
	v_fma_f32 v3, v74, v36, -v3
	v_add_f32_e32 v30, v2, v3
	s_waitcnt vmcnt(5) lgkmcnt(0)
	v_mul_f32_e32 v2, v77, v45
	v_fma_f32 v86, v76, v44, -v2
	v_mul_f32_e32 v2, v79, v47
	v_fma_f32 v88, v78, v46, -v2
	ds_read2_b64 v[2:5], v38 offset0:91 offset1:92
	ds_read2_b64 v[14:17], v38 offset0:93 offset1:94
	;; [unrolled: 1-line block ×4, first 2 shown]
	v_mul_f32_e32 v87, v76, v45
	v_mul_f32_e32 v89, v78, v47
	v_fmac_f32_e32 v87, v77, v44
	s_waitcnt vmcnt(4) lgkmcnt(3)
	v_pk_mul_f32 v[32:33], v[2:3], v[80:81] op_sel:[1,1] op_sel_hi:[0,1]
	v_fmac_f32_e32 v89, v79, v46
	v_pk_add_f32 v[30:31], v[30:31], v[86:87]
	v_pk_fma_f32 v[34:35], v[2:3], v[80:81], v[32:33] neg_lo:[0,0,1] neg_hi:[0,0,1]
	v_pk_fma_f32 v[2:3], v[2:3], v[80:81], v[32:33] op_sel_hi:[1,0,1]
	v_pk_add_f32 v[30:31], v[30:31], v[88:89]
	v_mov_b32_e32 v35, v3
	v_pk_add_f32 v[2:3], v[30:31], v[34:35]
	v_mov_b32_e32 v30, v83
	v_pk_mul_f32 v[30:31], v[4:5], v[30:31] op_sel:[1,0] op_sel_hi:[0,0]
	v_pk_fma_f32 v[32:33], v[4:5], v[82:83], v[30:31] neg_lo:[0,0,1] neg_hi:[0,0,1]
	v_pk_fma_f32 v[4:5], v[4:5], v[82:83], v[30:31] op_sel_hi:[1,0,1]
	s_nop 0
	v_mov_b32_e32 v33, v5
	s_waitcnt vmcnt(3) lgkmcnt(2)
	v_pk_mul_f32 v[4:5], v[14:15], v[26:27] op_sel:[1,1] op_sel_hi:[0,1]
	v_pk_fma_f32 v[30:31], v[14:15], v[26:27], v[4:5] neg_lo:[0,0,1] neg_hi:[0,0,1]
	v_pk_fma_f32 v[4:5], v[14:15], v[26:27], v[4:5] op_sel_hi:[1,0,1]
	v_pk_add_f32 v[2:3], v[2:3], v[32:33]
	v_mov_b32_e32 v4, v29
	v_mov_b32_e32 v31, v5
	v_pk_mul_f32 v[4:5], v[16:17], v[4:5] op_sel:[1,0] op_sel_hi:[0,0]
	v_pk_fma_f32 v[14:15], v[16:17], v[28:29], v[4:5] neg_lo:[0,0,1] neg_hi:[0,0,1]
	v_pk_fma_f32 v[4:5], v[16:17], v[28:29], v[4:5] op_sel_hi:[1,0,1]
	v_pk_add_f32 v[2:3], v[2:3], v[30:31]
	v_mov_b32_e32 v15, v5
	s_waitcnt vmcnt(2) lgkmcnt(1)
	v_pk_mul_f32 v[4:5], v[18:19], v[10:11] op_sel:[1,1] op_sel_hi:[0,1]
	v_pk_add_f32 v[2:3], v[2:3], v[14:15]
	v_pk_fma_f32 v[14:15], v[18:19], v[10:11], v[4:5] neg_lo:[0,0,1] neg_hi:[0,0,1]
	v_pk_fma_f32 v[4:5], v[18:19], v[10:11], v[4:5] op_sel_hi:[1,0,1]
	s_nop 0
	v_mov_b32_e32 v4, v13
	v_mov_b32_e32 v15, v5
	v_pk_mul_f32 v[4:5], v[20:21], v[4:5] op_sel:[1,0] op_sel_hi:[0,0]
	v_pk_fma_f32 v[10:11], v[20:21], v[12:13], v[4:5] neg_lo:[0,0,1] neg_hi:[0,0,1]
	v_pk_fma_f32 v[4:5], v[20:21], v[12:13], v[4:5] op_sel_hi:[1,0,1]
	v_pk_add_f32 v[2:3], v[2:3], v[14:15]
	v_mov_b32_e32 v11, v5
	s_waitcnt vmcnt(1) lgkmcnt(0)
	v_pk_mul_f32 v[4:5], v[22:23], v[6:7] op_sel:[1,1] op_sel_hi:[0,1]
	v_pk_add_f32 v[2:3], v[2:3], v[10:11]
	v_pk_fma_f32 v[10:11], v[22:23], v[6:7], v[4:5] neg_lo:[0,0,1] neg_hi:[0,0,1]
	v_pk_fma_f32 v[4:5], v[22:23], v[6:7], v[4:5] op_sel_hi:[1,0,1]
	s_nop 0
	v_mov_b32_e32 v4, v9
	v_mov_b32_e32 v11, v5
	v_pk_mul_f32 v[4:5], v[24:25], v[4:5] op_sel:[1,0] op_sel_hi:[0,0]
	v_pk_fma_f32 v[6:7], v[24:25], v[8:9], v[4:5] neg_lo:[0,0,1] neg_hi:[0,0,1]
	v_pk_fma_f32 v[4:5], v[24:25], v[8:9], v[4:5] op_sel_hi:[1,0,1]
	v_pk_add_f32 v[2:3], v[2:3], v[10:11]
	v_mov_b32_e32 v7, v5
	v_pk_add_f32 v[2:3], v[2:3], v[6:7]
	s_waitcnt vmcnt(0)
	v_pk_add_f32 v[2:3], v[84:85], v[2:3] neg_lo:[0,1] neg_hi:[0,1]
	scratch_store_dwordx2 off, v[2:3], off offset:192
	s_and_saveexec_b64 s[0:1], vcc
	s_cbranch_execz .LBB112_261
; %bb.260:
	scratch_load_dwordx2 v[2:3], off, off offset:184
	v_mov_b32_e32 v4, 0
	v_mov_b32_e32 v5, v4
	scratch_store_dwordx2 off, v[4:5], off offset:184
	s_waitcnt vmcnt(1)
	ds_write_b64 v1, v[2:3]
.LBB112_261:
	s_or_b64 exec, exec, s[0:1]
	s_waitcnt lgkmcnt(0)
	; wave barrier
	scratch_load_dwordx4 v[10:13], off, off offset:192
	scratch_load_dwordx4 v[26:29], off, off offset:208
	scratch_load_dwordx4 v[38:41], off, off offset:224
	scratch_load_dwordx4 v[6:9], off, off offset:240
	scratch_load_dwordx4 v[14:17], off, off offset:256
	scratch_load_dwordx4 v[22:25], off, off offset:272
	scratch_load_dwordx4 v[30:33], off, off offset:288
	scratch_load_dwordx4 v[42:45], off, off offset:304
	scratch_load_dwordx4 v[46:49], off, off offset:320
	scratch_load_dwordx4 v[34:37], off, off offset:336
	scratch_load_dwordx4 v[18:21], off, off offset:352
	scratch_load_dwordx4 v[2:5], off, off offset:368
	scratch_load_dwordx2 v[50:51], off, off offset:384
	scratch_load_dwordx2 v[56:57], off, off offset:184
	v_mov_b32_e32 v58, 0
	ds_read_b128 v[52:55], v58 offset:592
	ds_read_b128 v[60:63], v58 offset:608
	;; [unrolled: 1-line block ×10, first 2 shown]
	v_cmp_lt_u32_e32 vcc, 22, v0
	s_waitcnt vmcnt(13) lgkmcnt(9)
	v_mul_f32_e32 v59, v52, v11
	v_mul_f32_e32 v96, v54, v13
	v_fmac_f32_e32 v59, v53, v10
	s_waitcnt vmcnt(10) lgkmcnt(6)
	v_mul_f32_e32 v103, v68, v7
	v_mul_f32_e32 v7, v69, v7
	;; [unrolled: 1-line block ×3, first 2 shown]
	v_fmac_f32_e32 v96, v55, v12
	v_fmac_f32_e32 v103, v69, v6
	v_fma_f32 v6, v68, v6, -v7
	v_add_f32_e32 v7, 0, v59
	v_mul_f32_e32 v100, v62, v29
	v_fmac_f32_e32 v98, v61, v26
	v_add_f32_e32 v7, v7, v96
	v_mul_f32_e32 v101, v64, v39
	v_fmac_f32_e32 v100, v63, v28
	;; [unrolled: 3-line block ×3, first 2 shown]
	v_add_f32_e32 v7, v7, v100
	v_fmac_f32_e32 v102, v67, v40
	v_add_f32_e32 v7, v7, v101
	v_mul_f32_e32 v104, v70, v9
	v_add_f32_e32 v7, v7, v102
	s_waitcnt vmcnt(9) lgkmcnt(5)
	v_mul_f32_e32 v105, v72, v15
	v_fmac_f32_e32 v104, v71, v8
	v_add_f32_e32 v7, v7, v103
	v_mul_f32_e32 v106, v74, v17
	v_mul_f32_e32 v11, v53, v11
	v_fmac_f32_e32 v105, v73, v14
	v_add_f32_e32 v7, v7, v104
	s_waitcnt vmcnt(8) lgkmcnt(4)
	v_mul_f32_e32 v107, v76, v23
	v_mul_f32_e32 v13, v55, v13
	v_fmac_f32_e32 v106, v75, v16
	v_fma_f32 v10, v52, v10, -v11
	v_add_f32_e32 v7, v7, v105
	v_mul_f32_e32 v108, v78, v25
	v_mul_f32_e32 v27, v61, v27
	v_fmac_f32_e32 v107, v77, v22
	v_fma_f32 v11, v54, v12, -v13
	v_add_f32_e32 v10, 0, v10
	v_add_f32_e32 v7, v7, v106
	s_waitcnt vmcnt(7) lgkmcnt(3)
	v_mul_f32_e32 v109, v80, v31
	v_mul_f32_e32 v29, v63, v29
	v_fmac_f32_e32 v108, v79, v24
	v_fma_f32 v12, v60, v26, -v27
	v_add_f32_e32 v10, v10, v11
	v_add_f32_e32 v7, v7, v107
	v_mul_f32_e32 v110, v82, v33
	v_mul_f32_e32 v39, v65, v39
	v_fmac_f32_e32 v109, v81, v30
	v_fma_f32 v13, v62, v28, -v29
	v_add_f32_e32 v10, v10, v12
	v_add_f32_e32 v7, v7, v108
	s_waitcnt vmcnt(6) lgkmcnt(2)
	v_mul_f32_e32 v111, v84, v43
	v_mul_f32_e32 v41, v67, v41
	v_fmac_f32_e32 v110, v83, v32
	v_fma_f32 v26, v64, v38, -v39
	v_add_f32_e32 v10, v10, v13
	v_add_f32_e32 v7, v7, v109
	v_fmac_f32_e32 v111, v85, v42
	v_fma_f32 v27, v66, v40, -v41
	v_add_f32_e32 v10, v10, v26
	v_add_f32_e32 v7, v7, v110
	;; [unrolled: 1-line block ×4, first 2 shown]
	v_mul_f32_e32 v7, v71, v9
	v_add_f32_e32 v6, v10, v6
	v_fma_f32 v7, v70, v8, -v7
	v_add_f32_e32 v6, v6, v7
	v_mul_f32_e32 v7, v73, v15
	v_fma_f32 v7, v72, v14, -v7
	v_add_f32_e32 v6, v6, v7
	v_mul_f32_e32 v7, v75, v17
	;; [unrolled: 3-line block ×7, first 2 shown]
	v_fma_f32 v7, v84, v42, -v7
	v_mul_f32_e32 v97, v86, v45
	v_add_f32_e32 v26, v6, v7
	v_mul_f32_e32 v6, v87, v45
	s_waitcnt vmcnt(5)
	v_mov_b32_e32 v22, v49
	s_waitcnt lgkmcnt(1)
	v_mul_f32_e32 v99, v88, v47
	v_fmac_f32_e32 v97, v87, v44
	v_fma_f32 v96, v86, v44, -v6
	v_mul_f32_e32 v6, v89, v47
	v_pk_mul_f32 v[22:23], v[90:91], v[22:23] op_sel:[1,0] op_sel_hi:[0,0]
	v_fmac_f32_e32 v99, v89, v46
	v_fma_f32 v98, v88, v46, -v6
	v_pk_add_f32 v[16:17], v[26:27], v[96:97]
	v_pk_fma_f32 v[24:25], v[90:91], v[48:49], v[22:23] neg_lo:[0,0,1] neg_hi:[0,0,1]
	v_pk_fma_f32 v[22:23], v[90:91], v[48:49], v[22:23] op_sel_hi:[1,0,1]
	v_pk_add_f32 v[16:17], v[16:17], v[98:99]
	v_mov_b32_e32 v25, v23
	s_waitcnt vmcnt(4) lgkmcnt(0)
	v_pk_mul_f32 v[22:23], v[92:93], v[34:35] op_sel:[1,1] op_sel_hi:[0,1]
	v_pk_add_f32 v[16:17], v[16:17], v[24:25]
	v_pk_fma_f32 v[24:25], v[92:93], v[34:35], v[22:23] neg_lo:[0,0,1] neg_hi:[0,0,1]
	v_pk_fma_f32 v[22:23], v[92:93], v[34:35], v[22:23] op_sel_hi:[1,0,1]
	ds_read_b128 v[6:9], v58 offset:752
	ds_read_b128 v[10:13], v58 offset:768
	ds_read_b64 v[14:15], v58 offset:784
	v_mov_b32_e32 v22, v37
	v_mov_b32_e32 v25, v23
	v_pk_mul_f32 v[22:23], v[94:95], v[22:23] op_sel:[1,0] op_sel_hi:[0,0]
	v_pk_add_f32 v[16:17], v[16:17], v[24:25]
	v_pk_fma_f32 v[24:25], v[94:95], v[36:37], v[22:23] neg_lo:[0,0,1] neg_hi:[0,0,1]
	v_pk_fma_f32 v[22:23], v[94:95], v[36:37], v[22:23] op_sel_hi:[1,0,1]
	s_nop 0
	v_mov_b32_e32 v25, v23
	s_waitcnt vmcnt(3) lgkmcnt(2)
	v_pk_mul_f32 v[22:23], v[6:7], v[18:19] op_sel:[1,1] op_sel_hi:[0,1]
	v_pk_add_f32 v[16:17], v[16:17], v[24:25]
	v_pk_fma_f32 v[24:25], v[6:7], v[18:19], v[22:23] neg_lo:[0,0,1] neg_hi:[0,0,1]
	v_pk_fma_f32 v[6:7], v[6:7], v[18:19], v[22:23] op_sel_hi:[1,0,1]
	s_nop 0
	v_mov_b32_e32 v25, v7
	v_pk_add_f32 v[6:7], v[16:17], v[24:25]
	v_mov_b32_e32 v16, v21
	v_pk_mul_f32 v[16:17], v[8:9], v[16:17] op_sel:[1,0] op_sel_hi:[0,0]
	v_pk_fma_f32 v[18:19], v[8:9], v[20:21], v[16:17] neg_lo:[0,0,1] neg_hi:[0,0,1]
	v_pk_fma_f32 v[8:9], v[8:9], v[20:21], v[16:17] op_sel_hi:[1,0,1]
	s_nop 0
	v_mov_b32_e32 v19, v9
	s_waitcnt vmcnt(2) lgkmcnt(1)
	v_pk_mul_f32 v[8:9], v[10:11], v[2:3] op_sel:[1,1] op_sel_hi:[0,1]
	v_pk_fma_f32 v[16:17], v[10:11], v[2:3], v[8:9] neg_lo:[0,0,1] neg_hi:[0,0,1]
	v_pk_fma_f32 v[2:3], v[10:11], v[2:3], v[8:9] op_sel_hi:[1,0,1]
	v_pk_add_f32 v[6:7], v[6:7], v[18:19]
	v_mov_b32_e32 v17, v3
	v_pk_add_f32 v[2:3], v[6:7], v[16:17]
	v_mov_b32_e32 v6, v5
	v_pk_mul_f32 v[6:7], v[12:13], v[6:7] op_sel:[1,0] op_sel_hi:[0,0]
	v_pk_fma_f32 v[8:9], v[12:13], v[4:5], v[6:7] neg_lo:[0,0,1] neg_hi:[0,0,1]
	v_pk_fma_f32 v[4:5], v[12:13], v[4:5], v[6:7] op_sel_hi:[1,0,1]
	s_nop 0
	v_mov_b32_e32 v9, v5
	s_waitcnt vmcnt(1) lgkmcnt(0)
	v_pk_mul_f32 v[4:5], v[14:15], v[50:51] op_sel:[1,1] op_sel_hi:[0,1]
	v_pk_fma_f32 v[6:7], v[14:15], v[50:51], v[4:5] neg_lo:[0,0,1] neg_hi:[0,0,1]
	v_pk_fma_f32 v[4:5], v[14:15], v[50:51], v[4:5] op_sel_hi:[1,0,1]
	v_pk_add_f32 v[2:3], v[2:3], v[8:9]
	v_mov_b32_e32 v7, v5
	v_pk_add_f32 v[2:3], v[2:3], v[6:7]
	s_waitcnt vmcnt(0)
	v_pk_add_f32 v[2:3], v[56:57], v[2:3] neg_lo:[0,1] neg_hi:[0,1]
	scratch_store_dwordx2 off, v[2:3], off offset:184
	s_and_saveexec_b64 s[0:1], vcc
	s_cbranch_execz .LBB112_263
; %bb.262:
	scratch_load_dwordx2 v[2:3], off, off offset:176
	v_mov_b32_e32 v59, v58
	scratch_store_dwordx2 off, v[58:59], off offset:176
	s_waitcnt vmcnt(1)
	ds_write_b64 v1, v[2:3]
.LBB112_263:
	s_or_b64 exec, exec, s[0:1]
	s_waitcnt lgkmcnt(0)
	; wave barrier
	scratch_load_dwordx4 v[2:5], off, off offset:184
	scratch_load_dwordx4 v[18:21], off, off offset:200
	;; [unrolled: 1-line block ×9, first 2 shown]
	ds_read2_b64 v[60:63], v58 offset0:73 offset1:74
	ds_read2_b64 v[64:67], v58 offset0:75 offset1:76
	;; [unrolled: 1-line block ×8, first 2 shown]
	scratch_load_dwordx4 v[50:53], off, off offset:328
	scratch_load_dwordx4 v[34:37], off, off offset:344
	;; [unrolled: 1-line block ×4, first 2 shown]
	ds_read2_b64 v[88:91], v58 offset0:89 offset1:90
	ds_read2_b64 v[92:95], v58 offset0:91 offset1:92
	scratch_load_dwordx2 v[96:97], off, off offset:176
	v_cmp_lt_u32_e32 vcc, 21, v0
	s_waitcnt vmcnt(13) lgkmcnt(9)
	v_mul_f32_e32 v59, v60, v3
	v_mul_f32_e32 v98, v62, v5
	;; [unrolled: 1-line block ×3, first 2 shown]
	s_waitcnt vmcnt(10) lgkmcnt(6)
	v_mul_f32_e32 v105, v72, v7
	v_mul_f32_e32 v7, v73, v7
	v_fmac_f32_e32 v59, v61, v2
	v_mul_f32_e32 v100, v64, v19
	v_mul_f32_e32 v5, v63, v5
	v_fmac_f32_e32 v98, v63, v4
	v_fmac_f32_e32 v105, v73, v6
	v_fma_f32 v2, v60, v2, -v3
	v_fma_f32 v6, v72, v6, -v7
	v_add_f32_e32 v7, 0, v59
	v_mul_f32_e32 v102, v66, v21
	v_fmac_f32_e32 v100, v65, v18
	v_fma_f32 v3, v62, v4, -v5
	v_add_f32_e32 v2, 0, v2
	v_add_f32_e32 v7, v7, v98
	v_mul_f32_e32 v103, v68, v39
	v_fmac_f32_e32 v102, v67, v20
	v_add_f32_e32 v2, v2, v3
	v_add_f32_e32 v3, v7, v100
	v_mul_f32_e32 v104, v70, v41
	v_fmac_f32_e32 v103, v69, v38
	v_add_f32_e32 v3, v3, v102
	v_fmac_f32_e32 v104, v71, v40
	v_add_f32_e32 v3, v3, v103
	v_mul_f32_e32 v106, v74, v9
	v_add_f32_e32 v3, v3, v104
	s_waitcnt vmcnt(9) lgkmcnt(5)
	v_mul_f32_e32 v107, v76, v15
	v_fmac_f32_e32 v106, v75, v8
	v_add_f32_e32 v3, v3, v105
	v_mul_f32_e32 v108, v78, v17
	v_fmac_f32_e32 v107, v77, v14
	v_add_f32_e32 v3, v3, v106
	s_waitcnt vmcnt(8) lgkmcnt(4)
	v_mul_f32_e32 v109, v80, v23
	v_fmac_f32_e32 v108, v79, v16
	v_add_f32_e32 v3, v3, v107
	v_mul_f32_e32 v110, v82, v25
	v_fmac_f32_e32 v109, v81, v22
	v_add_f32_e32 v3, v3, v108
	s_waitcnt vmcnt(7) lgkmcnt(3)
	v_mul_f32_e32 v111, v84, v31
	v_mul_f32_e32 v19, v65, v19
	v_fmac_f32_e32 v110, v83, v24
	v_add_f32_e32 v3, v3, v109
	v_mul_f32_e32 v112, v86, v33
	v_mul_f32_e32 v21, v67, v21
	v_fmac_f32_e32 v111, v85, v30
	v_fma_f32 v4, v64, v18, -v19
	v_add_f32_e32 v3, v3, v110
	s_waitcnt vmcnt(6) lgkmcnt(2)
	v_mul_f32_e32 v113, v54, v43
	v_mul_f32_e32 v39, v69, v39
	v_fmac_f32_e32 v112, v87, v32
	v_fma_f32 v5, v66, v20, -v21
	v_add_f32_e32 v2, v2, v4
	v_add_f32_e32 v3, v3, v111
	v_mul_f32_e32 v114, v56, v45
	v_mul_f32_e32 v41, v71, v41
	v_fmac_f32_e32 v113, v55, v42
	v_fma_f32 v18, v68, v38, -v39
	v_add_f32_e32 v2, v2, v5
	v_add_f32_e32 v3, v3, v112
	v_fmac_f32_e32 v114, v57, v44
	v_fma_f32 v19, v70, v40, -v41
	v_add_f32_e32 v2, v2, v18
	v_add_f32_e32 v3, v3, v113
	;; [unrolled: 1-line block ×4, first 2 shown]
	v_mul_f32_e32 v3, v75, v9
	v_add_f32_e32 v2, v2, v6
	v_fma_f32 v3, v74, v8, -v3
	v_add_f32_e32 v2, v2, v3
	v_mul_f32_e32 v3, v77, v15
	v_fma_f32 v3, v76, v14, -v3
	v_add_f32_e32 v2, v2, v3
	v_mul_f32_e32 v3, v79, v17
	;; [unrolled: 3-line block ×8, first 2 shown]
	v_fma_f32 v3, v56, v44, -v3
	s_waitcnt vmcnt(5) lgkmcnt(1)
	v_mul_f32_e32 v99, v88, v47
	v_add_f32_e32 v18, v2, v3
	v_mul_f32_e32 v2, v89, v47
	s_waitcnt vmcnt(4) lgkmcnt(0)
	v_pk_mul_f32 v[20:21], v[92:93], v[50:51] op_sel:[1,1] op_sel_hi:[0,1]
	v_mul_f32_e32 v101, v90, v49
	v_fmac_f32_e32 v99, v89, v46
	v_fma_f32 v98, v88, v46, -v2
	v_mul_f32_e32 v2, v91, v49
	v_pk_fma_f32 v[22:23], v[92:93], v[50:51], v[20:21] neg_lo:[0,0,1] neg_hi:[0,0,1]
	v_pk_fma_f32 v[20:21], v[92:93], v[50:51], v[20:21] op_sel_hi:[1,0,1]
	v_fmac_f32_e32 v101, v91, v48
	v_fma_f32 v100, v90, v48, -v2
	ds_read2_b64 v[2:5], v58 offset0:93 offset1:94
	ds_read2_b64 v[6:9], v58 offset0:95 offset1:96
	;; [unrolled: 1-line block ×3, first 2 shown]
	v_pk_add_f32 v[18:19], v[18:19], v[98:99]
	v_mov_b32_e32 v20, v53
	v_pk_add_f32 v[18:19], v[18:19], v[100:101]
	v_mov_b32_e32 v23, v21
	v_pk_mul_f32 v[20:21], v[94:95], v[20:21] op_sel:[1,0] op_sel_hi:[0,0]
	v_pk_add_f32 v[18:19], v[18:19], v[22:23]
	v_pk_fma_f32 v[22:23], v[94:95], v[52:53], v[20:21] neg_lo:[0,0,1] neg_hi:[0,0,1]
	v_pk_fma_f32 v[20:21], v[94:95], v[52:53], v[20:21] op_sel_hi:[1,0,1]
	s_nop 0
	v_mov_b32_e32 v23, v21
	s_waitcnt vmcnt(3) lgkmcnt(2)
	v_pk_mul_f32 v[20:21], v[2:3], v[34:35] op_sel:[1,1] op_sel_hi:[0,1]
	v_pk_add_f32 v[18:19], v[18:19], v[22:23]
	v_pk_fma_f32 v[22:23], v[2:3], v[34:35], v[20:21] neg_lo:[0,0,1] neg_hi:[0,0,1]
	v_pk_fma_f32 v[2:3], v[2:3], v[34:35], v[20:21] op_sel_hi:[1,0,1]
	s_nop 0
	v_mov_b32_e32 v23, v3
	v_pk_add_f32 v[2:3], v[18:19], v[22:23]
	v_mov_b32_e32 v18, v37
	v_pk_mul_f32 v[18:19], v[4:5], v[18:19] op_sel:[1,0] op_sel_hi:[0,0]
	v_pk_fma_f32 v[20:21], v[4:5], v[36:37], v[18:19] neg_lo:[0,0,1] neg_hi:[0,0,1]
	v_pk_fma_f32 v[4:5], v[4:5], v[36:37], v[18:19] op_sel_hi:[1,0,1]
	s_nop 0
	v_mov_b32_e32 v21, v5
	s_waitcnt vmcnt(2) lgkmcnt(1)
	v_pk_mul_f32 v[4:5], v[6:7], v[26:27] op_sel:[1,1] op_sel_hi:[0,1]
	v_pk_fma_f32 v[18:19], v[6:7], v[26:27], v[4:5] neg_lo:[0,0,1] neg_hi:[0,0,1]
	v_pk_fma_f32 v[4:5], v[6:7], v[26:27], v[4:5] op_sel_hi:[1,0,1]
	v_pk_add_f32 v[2:3], v[2:3], v[20:21]
	v_mov_b32_e32 v4, v29
	v_mov_b32_e32 v19, v5
	v_pk_mul_f32 v[4:5], v[8:9], v[4:5] op_sel:[1,0] op_sel_hi:[0,0]
	v_pk_fma_f32 v[6:7], v[8:9], v[28:29], v[4:5] neg_lo:[0,0,1] neg_hi:[0,0,1]
	v_pk_fma_f32 v[4:5], v[8:9], v[28:29], v[4:5] op_sel_hi:[1,0,1]
	v_pk_add_f32 v[2:3], v[2:3], v[18:19]
	v_mov_b32_e32 v7, v5
	s_waitcnt vmcnt(1) lgkmcnt(0)
	v_pk_mul_f32 v[4:5], v[14:15], v[10:11] op_sel:[1,1] op_sel_hi:[0,1]
	v_pk_add_f32 v[2:3], v[2:3], v[6:7]
	v_pk_fma_f32 v[6:7], v[14:15], v[10:11], v[4:5] neg_lo:[0,0,1] neg_hi:[0,0,1]
	v_pk_fma_f32 v[4:5], v[14:15], v[10:11], v[4:5] op_sel_hi:[1,0,1]
	s_nop 0
	v_mov_b32_e32 v4, v13
	v_mov_b32_e32 v7, v5
	v_pk_mul_f32 v[4:5], v[16:17], v[4:5] op_sel:[1,0] op_sel_hi:[0,0]
	v_pk_add_f32 v[2:3], v[2:3], v[6:7]
	v_pk_fma_f32 v[6:7], v[16:17], v[12:13], v[4:5] neg_lo:[0,0,1] neg_hi:[0,0,1]
	v_pk_fma_f32 v[4:5], v[16:17], v[12:13], v[4:5] op_sel_hi:[1,0,1]
	s_nop 0
	v_mov_b32_e32 v7, v5
	v_pk_add_f32 v[2:3], v[2:3], v[6:7]
	s_waitcnt vmcnt(0)
	v_pk_add_f32 v[2:3], v[96:97], v[2:3] neg_lo:[0,1] neg_hi:[0,1]
	scratch_store_dwordx2 off, v[2:3], off offset:176
	s_and_saveexec_b64 s[0:1], vcc
	s_cbranch_execz .LBB112_265
; %bb.264:
	scratch_load_dwordx2 v[2:3], off, off offset:168
	v_mov_b32_e32 v4, 0
	v_mov_b32_e32 v5, v4
	scratch_store_dwordx2 off, v[4:5], off offset:168
	s_waitcnt vmcnt(1)
	ds_write_b64 v1, v[2:3]
.LBB112_265:
	s_or_b64 exec, exec, s[0:1]
	s_waitcnt lgkmcnt(0)
	; wave barrier
	scratch_load_dwordx4 v[18:21], off, off offset:176
	scratch_load_dwordx4 v[30:33], off, off offset:192
	;; [unrolled: 1-line block ×13, first 2 shown]
	scratch_load_dwordx2 v[54:55], off, off offset:384
	scratch_load_dwordx2 v[80:81], off, off offset:168
	v_mov_b32_e32 v82, 0
	ds_read_b128 v[56:59], v82 offset:576
	ds_read_b128 v[60:63], v82 offset:592
	;; [unrolled: 1-line block ×10, first 2 shown]
	v_cmp_lt_u32_e32 vcc, 20, v0
	s_waitcnt vmcnt(14) lgkmcnt(9)
	v_mul_f32_e32 v83, v56, v19
	v_mul_f32_e32 v100, v58, v21
	s_waitcnt vmcnt(12) lgkmcnt(7)
	v_mul_f32_e32 v105, v64, v3
	v_mul_f32_e32 v3, v65, v3
	v_fmac_f32_e32 v83, v57, v18
	v_mul_f32_e32 v102, v60, v31
	v_fmac_f32_e32 v100, v59, v20
	v_fmac_f32_e32 v105, v65, v2
	v_fma_f32 v2, v64, v2, -v3
	v_add_f32_e32 v3, 0, v83
	v_mul_f32_e32 v104, v62, v33
	v_fmac_f32_e32 v102, v61, v30
	v_add_f32_e32 v3, v3, v100
	v_fmac_f32_e32 v104, v63, v32
	v_add_f32_e32 v3, v3, v102
	v_mul_f32_e32 v106, v66, v5
	v_add_f32_e32 v3, v3, v104
	s_waitcnt vmcnt(11) lgkmcnt(6)
	v_mul_f32_e32 v107, v68, v7
	v_fmac_f32_e32 v106, v67, v4
	v_add_f32_e32 v3, v3, v105
	v_mul_f32_e32 v108, v70, v9
	v_fmac_f32_e32 v107, v69, v6
	v_add_f32_e32 v3, v3, v106
	s_waitcnt vmcnt(10) lgkmcnt(5)
	v_mul_f32_e32 v109, v72, v15
	v_fmac_f32_e32 v108, v71, v8
	v_add_f32_e32 v3, v3, v107
	v_mul_f32_e32 v110, v74, v17
	v_fmac_f32_e32 v109, v73, v14
	v_add_f32_e32 v3, v3, v108
	s_waitcnt vmcnt(9) lgkmcnt(4)
	v_mul_f32_e32 v111, v76, v23
	v_fmac_f32_e32 v110, v75, v16
	v_add_f32_e32 v3, v3, v109
	v_mul_f32_e32 v112, v78, v25
	v_fmac_f32_e32 v111, v77, v22
	v_add_f32_e32 v3, v3, v110
	s_waitcnt vmcnt(8) lgkmcnt(3)
	v_mul_f32_e32 v113, v84, v35
	v_mul_f32_e32 v19, v57, v19
	v_fmac_f32_e32 v112, v79, v24
	v_add_f32_e32 v3, v3, v111
	v_mul_f32_e32 v114, v86, v37
	v_mul_f32_e32 v21, v59, v21
	v_fmac_f32_e32 v113, v85, v34
	v_fma_f32 v18, v56, v18, -v19
	v_add_f32_e32 v3, v3, v112
	s_waitcnt vmcnt(7) lgkmcnt(2)
	v_mul_f32_e32 v115, v88, v39
	v_mul_f32_e32 v31, v61, v31
	v_fmac_f32_e32 v114, v87, v36
	v_fma_f32 v19, v58, v20, -v21
	v_add_f32_e32 v18, 0, v18
	v_add_f32_e32 v3, v3, v113
	v_mul_f32_e32 v116, v90, v41
	v_mul_f32_e32 v33, v63, v33
	v_fmac_f32_e32 v115, v89, v38
	v_fma_f32 v20, v60, v30, -v31
	v_add_f32_e32 v18, v18, v19
	v_add_f32_e32 v3, v3, v114
	s_waitcnt vmcnt(6) lgkmcnt(1)
	v_mul_f32_e32 v117, v92, v51
	v_fmac_f32_e32 v116, v91, v40
	v_fma_f32 v21, v62, v32, -v33
	v_add_f32_e32 v18, v18, v20
	v_add_f32_e32 v3, v3, v115
	v_mul_f32_e32 v5, v67, v5
	v_fmac_f32_e32 v117, v93, v50
	v_add_f32_e32 v18, v18, v21
	v_add_f32_e32 v3, v3, v116
	v_add_f32_e32 v2, v18, v2
	v_add_f32_e32 v19, v3, v117
	v_fma_f32 v3, v66, v4, -v5
	v_add_f32_e32 v2, v2, v3
	v_mul_f32_e32 v3, v69, v7
	v_fma_f32 v3, v68, v6, -v3
	v_add_f32_e32 v2, v2, v3
	v_mul_f32_e32 v3, v71, v9
	;; [unrolled: 3-line block ×12, first 2 shown]
	v_mul_f32_e32 v101, v94, v53
	v_fma_f32 v100, v94, v52, -v2
	s_waitcnt vmcnt(5) lgkmcnt(0)
	v_mul_f32_e32 v2, v97, v47
	v_mov_b32_e32 v22, v49
	v_mul_f32_e32 v103, v96, v47
	v_fmac_f32_e32 v101, v95, v52
	v_fma_f32 v102, v96, v46, -v2
	ds_read_b128 v[2:5], v82 offset:736
	ds_read_b128 v[6:9], v82 offset:752
	;; [unrolled: 1-line block ×3, first 2 shown]
	ds_read_b64 v[20:21], v82 offset:784
	v_pk_mul_f32 v[22:23], v[98:99], v[22:23] op_sel:[1,0] op_sel_hi:[0,0]
	v_fmac_f32_e32 v103, v97, v46
	v_pk_add_f32 v[18:19], v[18:19], v[100:101]
	v_pk_fma_f32 v[24:25], v[98:99], v[48:49], v[22:23] neg_lo:[0,0,1] neg_hi:[0,0,1]
	v_pk_fma_f32 v[22:23], v[98:99], v[48:49], v[22:23] op_sel_hi:[1,0,1]
	v_pk_add_f32 v[18:19], v[18:19], v[102:103]
	v_mov_b32_e32 v25, v23
	s_waitcnt vmcnt(4) lgkmcnt(3)
	v_pk_mul_f32 v[22:23], v[2:3], v[42:43] op_sel:[1,1] op_sel_hi:[0,1]
	v_pk_add_f32 v[18:19], v[18:19], v[24:25]
	v_pk_fma_f32 v[24:25], v[2:3], v[42:43], v[22:23] neg_lo:[0,0,1] neg_hi:[0,0,1]
	v_pk_fma_f32 v[2:3], v[2:3], v[42:43], v[22:23] op_sel_hi:[1,0,1]
	s_nop 0
	v_mov_b32_e32 v25, v3
	v_pk_add_f32 v[2:3], v[18:19], v[24:25]
	v_mov_b32_e32 v18, v45
	v_pk_mul_f32 v[18:19], v[4:5], v[18:19] op_sel:[1,0] op_sel_hi:[0,0]
	v_pk_fma_f32 v[22:23], v[4:5], v[44:45], v[18:19] neg_lo:[0,0,1] neg_hi:[0,0,1]
	v_pk_fma_f32 v[4:5], v[4:5], v[44:45], v[18:19] op_sel_hi:[1,0,1]
	s_nop 0
	v_mov_b32_e32 v23, v5
	s_waitcnt vmcnt(3) lgkmcnt(2)
	v_pk_mul_f32 v[4:5], v[6:7], v[26:27] op_sel:[1,1] op_sel_hi:[0,1]
	v_pk_fma_f32 v[18:19], v[6:7], v[26:27], v[4:5] neg_lo:[0,0,1] neg_hi:[0,0,1]
	v_pk_fma_f32 v[4:5], v[6:7], v[26:27], v[4:5] op_sel_hi:[1,0,1]
	v_pk_add_f32 v[2:3], v[2:3], v[22:23]
	v_mov_b32_e32 v4, v29
	v_mov_b32_e32 v19, v5
	v_pk_mul_f32 v[4:5], v[8:9], v[4:5] op_sel:[1,0] op_sel_hi:[0,0]
	v_pk_fma_f32 v[6:7], v[8:9], v[28:29], v[4:5] neg_lo:[0,0,1] neg_hi:[0,0,1]
	v_pk_fma_f32 v[4:5], v[8:9], v[28:29], v[4:5] op_sel_hi:[1,0,1]
	v_pk_add_f32 v[2:3], v[2:3], v[18:19]
	v_mov_b32_e32 v7, v5
	s_waitcnt vmcnt(2) lgkmcnt(1)
	v_pk_mul_f32 v[4:5], v[14:15], v[10:11] op_sel:[1,1] op_sel_hi:[0,1]
	v_pk_add_f32 v[2:3], v[2:3], v[6:7]
	v_pk_fma_f32 v[6:7], v[14:15], v[10:11], v[4:5] neg_lo:[0,0,1] neg_hi:[0,0,1]
	v_pk_fma_f32 v[4:5], v[14:15], v[10:11], v[4:5] op_sel_hi:[1,0,1]
	s_nop 0
	v_mov_b32_e32 v4, v13
	v_mov_b32_e32 v7, v5
	v_pk_mul_f32 v[4:5], v[16:17], v[4:5] op_sel:[1,0] op_sel_hi:[0,0]
	v_pk_add_f32 v[2:3], v[2:3], v[6:7]
	v_pk_fma_f32 v[6:7], v[16:17], v[12:13], v[4:5] neg_lo:[0,0,1] neg_hi:[0,0,1]
	v_pk_fma_f32 v[4:5], v[16:17], v[12:13], v[4:5] op_sel_hi:[1,0,1]
	s_nop 0
	v_mov_b32_e32 v7, v5
	s_waitcnt vmcnt(1) lgkmcnt(0)
	v_pk_mul_f32 v[4:5], v[20:21], v[54:55] op_sel:[1,1] op_sel_hi:[0,1]
	v_pk_add_f32 v[2:3], v[2:3], v[6:7]
	v_pk_fma_f32 v[6:7], v[20:21], v[54:55], v[4:5] neg_lo:[0,0,1] neg_hi:[0,0,1]
	v_pk_fma_f32 v[4:5], v[20:21], v[54:55], v[4:5] op_sel_hi:[1,0,1]
	s_nop 0
	v_mov_b32_e32 v7, v5
	v_pk_add_f32 v[2:3], v[2:3], v[6:7]
	s_waitcnt vmcnt(0)
	v_pk_add_f32 v[2:3], v[80:81], v[2:3] neg_lo:[0,1] neg_hi:[0,1]
	scratch_store_dwordx2 off, v[2:3], off offset:168
	s_and_saveexec_b64 s[0:1], vcc
	s_cbranch_execz .LBB112_267
; %bb.266:
	scratch_load_dwordx2 v[2:3], off, off offset:160
	v_mov_b32_e32 v83, v82
	scratch_store_dwordx2 off, v[82:83], off offset:160
	s_waitcnt vmcnt(1)
	ds_write_b64 v1, v[2:3]
.LBB112_267:
	s_or_b64 exec, exec, s[0:1]
	s_waitcnt lgkmcnt(0)
	; wave barrier
	scratch_load_dwordx4 v[10:13], off, off offset:168
	scratch_load_dwordx4 v[26:29], off, off offset:184
	;; [unrolled: 1-line block ×10, first 2 shown]
	ds_read2_b64 v[84:87], v82 offset0:71 offset1:72
	ds_read2_b64 v[88:91], v82 offset0:73 offset1:74
	;; [unrolled: 1-line block ×10, first 2 shown]
	scratch_load_dwordx4 v[54:57], off, off offset:328
	scratch_load_dwordx4 v[46:49], off, off offset:344
	;; [unrolled: 1-line block ×4, first 2 shown]
	scratch_load_dwordx2 v[100:101], off, off offset:160
	v_cmp_lt_u32_e32 vcc, 19, v0
	s_waitcnt vmcnt(14) lgkmcnt(9)
	v_mul_f32_e32 v83, v84, v11
	v_mul_f32_e32 v102, v86, v13
	s_waitcnt vmcnt(12) lgkmcnt(7)
	v_mul_f32_e32 v107, v92, v3
	v_mul_f32_e32 v3, v93, v3
	v_fmac_f32_e32 v83, v85, v10
	v_mul_f32_e32 v104, v88, v27
	v_fmac_f32_e32 v102, v87, v12
	v_fmac_f32_e32 v107, v93, v2
	v_fma_f32 v2, v92, v2, -v3
	v_add_f32_e32 v3, 0, v83
	v_mul_f32_e32 v106, v90, v29
	v_fmac_f32_e32 v104, v89, v26
	v_add_f32_e32 v3, v3, v102
	v_fmac_f32_e32 v106, v91, v28
	v_add_f32_e32 v3, v3, v104
	v_mul_f32_e32 v108, v94, v5
	v_add_f32_e32 v3, v3, v106
	s_waitcnt vmcnt(11) lgkmcnt(6)
	v_mul_f32_e32 v109, v96, v7
	v_fmac_f32_e32 v108, v95, v4
	v_add_f32_e32 v3, v3, v107
	v_mul_f32_e32 v110, v98, v9
	v_fmac_f32_e32 v109, v97, v6
	v_add_f32_e32 v3, v3, v108
	s_waitcnt vmcnt(10) lgkmcnt(5)
	v_mul_f32_e32 v111, v78, v15
	v_fmac_f32_e32 v110, v99, v8
	v_add_f32_e32 v3, v3, v109
	v_mul_f32_e32 v112, v80, v17
	v_fmac_f32_e32 v111, v79, v14
	;; [unrolled: 7-line block ×4, first 2 shown]
	v_add_f32_e32 v3, v3, v114
	s_waitcnt vmcnt(7) lgkmcnt(2)
	v_mul_f32_e32 v117, v66, v39
	v_mul_f32_e32 v11, v85, v11
	v_fmac_f32_e32 v116, v73, v32
	v_add_f32_e32 v3, v3, v115
	v_mul_f32_e32 v118, v68, v41
	v_mul_f32_e32 v13, v87, v13
	v_fmac_f32_e32 v117, v67, v38
	v_fma_f32 v10, v84, v10, -v11
	v_add_f32_e32 v3, v3, v116
	s_waitcnt vmcnt(6) lgkmcnt(1)
	v_mul_f32_e32 v119, v62, v43
	v_mul_f32_e32 v27, v89, v27
	v_fmac_f32_e32 v118, v69, v40
	v_fma_f32 v11, v86, v12, -v13
	v_add_f32_e32 v10, 0, v10
	v_add_f32_e32 v3, v3, v117
	v_mul_f32_e32 v120, v64, v45
	v_mul_f32_e32 v29, v91, v29
	v_fmac_f32_e32 v119, v63, v42
	v_fma_f32 v12, v88, v26, -v27
	v_add_f32_e32 v10, v10, v11
	v_add_f32_e32 v3, v3, v118
	v_fmac_f32_e32 v120, v65, v44
	v_fma_f32 v13, v90, v28, -v29
	v_add_f32_e32 v10, v10, v12
	v_add_f32_e32 v3, v3, v119
	;; [unrolled: 1-line block ×4, first 2 shown]
	v_mul_f32_e32 v3, v95, v5
	v_add_f32_e32 v2, v10, v2
	v_fma_f32 v3, v94, v4, -v3
	v_add_f32_e32 v2, v2, v3
	v_mul_f32_e32 v3, v97, v7
	v_fma_f32 v3, v96, v6, -v3
	v_add_f32_e32 v2, v2, v3
	v_mul_f32_e32 v3, v99, v9
	;; [unrolled: 3-line block ×12, first 2 shown]
	v_fma_f32 v3, v64, v44, -v3
	v_add_f32_e32 v26, v2, v3
	s_waitcnt vmcnt(5) lgkmcnt(0)
	v_mul_f32_e32 v2, v59, v51
	v_fma_f32 v102, v58, v50, -v2
	v_mul_f32_e32 v2, v61, v53
	v_fma_f32 v104, v60, v52, -v2
	ds_read2_b64 v[2:5], v82 offset0:91 offset1:92
	ds_read2_b64 v[6:9], v82 offset0:93 offset1:94
	;; [unrolled: 1-line block ×4, first 2 shown]
	v_mul_f32_e32 v103, v58, v51
	v_mul_f32_e32 v105, v60, v53
	v_fmac_f32_e32 v103, v59, v50
	s_waitcnt vmcnt(4) lgkmcnt(3)
	v_pk_mul_f32 v[24:25], v[2:3], v[54:55] op_sel:[1,1] op_sel_hi:[0,1]
	v_fmac_f32_e32 v105, v61, v52
	v_pk_add_f32 v[22:23], v[26:27], v[102:103]
	v_pk_fma_f32 v[26:27], v[2:3], v[54:55], v[24:25] neg_lo:[0,0,1] neg_hi:[0,0,1]
	v_pk_fma_f32 v[2:3], v[2:3], v[54:55], v[24:25] op_sel_hi:[1,0,1]
	v_pk_add_f32 v[22:23], v[22:23], v[104:105]
	v_mov_b32_e32 v27, v3
	v_pk_add_f32 v[2:3], v[22:23], v[26:27]
	v_mov_b32_e32 v22, v57
	v_pk_mul_f32 v[22:23], v[4:5], v[22:23] op_sel:[1,0] op_sel_hi:[0,0]
	v_pk_fma_f32 v[24:25], v[4:5], v[56:57], v[22:23] neg_lo:[0,0,1] neg_hi:[0,0,1]
	v_pk_fma_f32 v[4:5], v[4:5], v[56:57], v[22:23] op_sel_hi:[1,0,1]
	s_nop 0
	v_mov_b32_e32 v25, v5
	s_waitcnt vmcnt(3) lgkmcnt(2)
	v_pk_mul_f32 v[4:5], v[6:7], v[46:47] op_sel:[1,1] op_sel_hi:[0,1]
	v_pk_fma_f32 v[22:23], v[6:7], v[46:47], v[4:5] neg_lo:[0,0,1] neg_hi:[0,0,1]
	v_pk_fma_f32 v[4:5], v[6:7], v[46:47], v[4:5] op_sel_hi:[1,0,1]
	v_pk_add_f32 v[2:3], v[2:3], v[24:25]
	v_mov_b32_e32 v4, v49
	v_mov_b32_e32 v23, v5
	v_pk_mul_f32 v[4:5], v[8:9], v[4:5] op_sel:[1,0] op_sel_hi:[0,0]
	v_pk_fma_f32 v[6:7], v[8:9], v[48:49], v[4:5] neg_lo:[0,0,1] neg_hi:[0,0,1]
	v_pk_fma_f32 v[4:5], v[8:9], v[48:49], v[4:5] op_sel_hi:[1,0,1]
	v_pk_add_f32 v[2:3], v[2:3], v[22:23]
	v_mov_b32_e32 v7, v5
	s_waitcnt vmcnt(2) lgkmcnt(1)
	v_pk_mul_f32 v[4:5], v[10:11], v[34:35] op_sel:[1,1] op_sel_hi:[0,1]
	v_pk_add_f32 v[2:3], v[2:3], v[6:7]
	v_pk_fma_f32 v[6:7], v[10:11], v[34:35], v[4:5] neg_lo:[0,0,1] neg_hi:[0,0,1]
	v_pk_fma_f32 v[4:5], v[10:11], v[34:35], v[4:5] op_sel_hi:[1,0,1]
	s_nop 0
	v_mov_b32_e32 v4, v37
	v_mov_b32_e32 v7, v5
	v_pk_mul_f32 v[4:5], v[12:13], v[4:5] op_sel:[1,0] op_sel_hi:[0,0]
	v_pk_add_f32 v[2:3], v[2:3], v[6:7]
	v_pk_fma_f32 v[6:7], v[12:13], v[36:37], v[4:5] neg_lo:[0,0,1] neg_hi:[0,0,1]
	v_pk_fma_f32 v[4:5], v[12:13], v[36:37], v[4:5] op_sel_hi:[1,0,1]
	s_nop 0
	v_mov_b32_e32 v7, v5
	s_waitcnt vmcnt(1) lgkmcnt(0)
	v_pk_mul_f32 v[4:5], v[14:15], v[18:19] op_sel:[1,1] op_sel_hi:[0,1]
	v_pk_add_f32 v[2:3], v[2:3], v[6:7]
	v_pk_fma_f32 v[6:7], v[14:15], v[18:19], v[4:5] neg_lo:[0,0,1] neg_hi:[0,0,1]
	v_pk_fma_f32 v[4:5], v[14:15], v[18:19], v[4:5] op_sel_hi:[1,0,1]
	s_nop 0
	v_mov_b32_e32 v4, v21
	v_mov_b32_e32 v7, v5
	v_pk_mul_f32 v[4:5], v[16:17], v[4:5] op_sel:[1,0] op_sel_hi:[0,0]
	v_pk_add_f32 v[2:3], v[2:3], v[6:7]
	v_pk_fma_f32 v[6:7], v[16:17], v[20:21], v[4:5] neg_lo:[0,0,1] neg_hi:[0,0,1]
	v_pk_fma_f32 v[4:5], v[16:17], v[20:21], v[4:5] op_sel_hi:[1,0,1]
	s_nop 0
	v_mov_b32_e32 v7, v5
	v_pk_add_f32 v[2:3], v[2:3], v[6:7]
	s_waitcnt vmcnt(0)
	v_pk_add_f32 v[2:3], v[100:101], v[2:3] neg_lo:[0,1] neg_hi:[0,1]
	scratch_store_dwordx2 off, v[2:3], off offset:160
	s_and_saveexec_b64 s[0:1], vcc
	s_cbranch_execz .LBB112_269
; %bb.268:
	scratch_load_dwordx2 v[2:3], off, off offset:152
	v_mov_b32_e32 v4, 0
	v_mov_b32_e32 v5, v4
	scratch_store_dwordx2 off, v[4:5], off offset:152
	s_waitcnt vmcnt(1)
	ds_write_b64 v1, v[2:3]
.LBB112_269:
	s_or_b64 exec, exec, s[0:1]
	s_waitcnt lgkmcnt(0)
	; wave barrier
	scratch_load_dwordx4 v[26:29], off, off offset:160
	scratch_load_dwordx4 v[2:5], off, off offset:176
	;; [unrolled: 1-line block ×14, first 2 shown]
	scratch_load_dwordx2 v[58:59], off, off offset:384
	scratch_load_dwordx2 v[100:101], off, off offset:152
	v_mov_b32_e32 v102, 0
	ds_read_b128 v[60:63], v102 offset:560
	ds_read_b128 v[64:67], v102 offset:576
	;; [unrolled: 1-line block ×12, first 2 shown]
	v_cmp_lt_u32_e32 vcc, 18, v0
	s_waitcnt vmcnt(15) lgkmcnt(11)
	v_mul_f32_e32 v103, v60, v27
	v_mul_f32_e32 v112, v62, v29
	s_waitcnt vmcnt(14) lgkmcnt(10)
	v_mul_f32_e32 v114, v64, v3
	v_mul_f32_e32 v3, v65, v3
	v_fmac_f32_e32 v103, v61, v26
	v_fmac_f32_e32 v112, v63, v28
	;; [unrolled: 1-line block ×3, first 2 shown]
	v_fma_f32 v2, v64, v2, -v3
	v_add_f32_e32 v3, 0, v103
	v_mul_f32_e32 v116, v66, v5
	v_add_f32_e32 v3, v3, v112
	s_waitcnt vmcnt(13) lgkmcnt(9)
	v_mul_f32_e32 v117, v68, v7
	v_fmac_f32_e32 v116, v67, v4
	v_add_f32_e32 v3, v3, v114
	v_mul_f32_e32 v118, v70, v9
	v_fmac_f32_e32 v117, v69, v6
	v_add_f32_e32 v3, v3, v116
	s_waitcnt vmcnt(12) lgkmcnt(8)
	v_mul_f32_e32 v119, v72, v11
	v_fmac_f32_e32 v118, v71, v8
	v_add_f32_e32 v3, v3, v117
	v_mul_f32_e32 v120, v74, v13
	v_fmac_f32_e32 v119, v73, v10
	v_add_f32_e32 v3, v3, v118
	s_waitcnt vmcnt(11) lgkmcnt(7)
	v_mul_f32_e32 v121, v76, v15
	v_fmac_f32_e32 v120, v75, v12
	v_add_f32_e32 v3, v3, v119
	v_mul_f32_e32 v124, v78, v17
	v_fmac_f32_e32 v121, v77, v14
	v_add_f32_e32 v3, v3, v120
	s_waitcnt vmcnt(10) lgkmcnt(6)
	v_mul_f32_e32 v125, v80, v23
	v_fmac_f32_e32 v124, v79, v16
	v_add_f32_e32 v3, v3, v121
	v_mul_f32_e32 v126, v82, v25
	v_fmac_f32_e32 v125, v81, v22
	v_add_f32_e32 v3, v3, v124
	s_waitcnt vmcnt(9) lgkmcnt(5)
	v_mul_f32_e32 v127, v84, v31
	v_fmac_f32_e32 v126, v83, v24
	v_add_f32_e32 v3, v3, v125
	v_mul_f32_e32 v128, v86, v33
	v_fmac_f32_e32 v127, v85, v30
	v_add_f32_e32 v3, v3, v126
	s_waitcnt vmcnt(8) lgkmcnt(4)
	v_mul_f32_e32 v129, v88, v39
	v_fmac_f32_e32 v128, v87, v32
	v_add_f32_e32 v3, v3, v127
	v_mul_f32_e32 v130, v90, v41
	v_fmac_f32_e32 v129, v89, v38
	v_add_f32_e32 v3, v3, v128
	s_waitcnt vmcnt(7) lgkmcnt(3)
	v_mul_f32_e32 v131, v92, v43
	v_fmac_f32_e32 v130, v91, v40
	v_add_f32_e32 v3, v3, v129
	v_mul_f32_e32 v132, v94, v45
	v_mul_f32_e32 v27, v61, v27
	v_fmac_f32_e32 v131, v93, v42
	v_add_f32_e32 v3, v3, v130
	s_waitcnt vmcnt(6) lgkmcnt(2)
	v_mul_f32_e32 v133, v96, v51
	v_mul_f32_e32 v29, v63, v29
	v_fmac_f32_e32 v132, v95, v44
	v_fma_f32 v26, v60, v26, -v27
	v_add_f32_e32 v3, v3, v131
	v_fmac_f32_e32 v133, v97, v50
	v_fma_f32 v27, v62, v28, -v29
	v_add_f32_e32 v26, 0, v26
	v_add_f32_e32 v3, v3, v132
	;; [unrolled: 1-line block ×4, first 2 shown]
	v_mul_f32_e32 v3, v67, v5
	v_add_f32_e32 v2, v26, v2
	v_fma_f32 v3, v66, v4, -v3
	v_add_f32_e32 v2, v2, v3
	v_mul_f32_e32 v3, v69, v7
	v_fma_f32 v3, v68, v6, -v3
	v_add_f32_e32 v2, v2, v3
	v_mul_f32_e32 v3, v71, v9
	;; [unrolled: 3-line block ×15, first 2 shown]
	v_fma_f32 v3, v96, v50, -v3
	v_mul_f32_e32 v113, v98, v53
	v_add_f32_e32 v26, v2, v3
	v_mul_f32_e32 v2, v99, v53
	s_waitcnt vmcnt(5)
	v_mov_b32_e32 v14, v57
	s_waitcnt lgkmcnt(1)
	v_mul_f32_e32 v115, v104, v55
	v_fmac_f32_e32 v113, v99, v52
	v_fma_f32 v112, v98, v52, -v2
	v_mul_f32_e32 v2, v105, v55
	v_pk_mul_f32 v[14:15], v[106:107], v[14:15] op_sel:[1,0] op_sel_hi:[0,0]
	v_fmac_f32_e32 v115, v105, v54
	v_fma_f32 v114, v104, v54, -v2
	v_pk_add_f32 v[12:13], v[26:27], v[112:113]
	v_pk_fma_f32 v[16:17], v[106:107], v[56:57], v[14:15] neg_lo:[0,0,1] neg_hi:[0,0,1]
	v_pk_fma_f32 v[14:15], v[106:107], v[56:57], v[14:15] op_sel_hi:[1,0,1]
	v_pk_add_f32 v[12:13], v[12:13], v[114:115]
	v_mov_b32_e32 v17, v15
	s_waitcnt vmcnt(4) lgkmcnt(0)
	v_pk_mul_f32 v[14:15], v[108:109], v[46:47] op_sel:[1,1] op_sel_hi:[0,1]
	v_pk_add_f32 v[12:13], v[12:13], v[16:17]
	v_pk_fma_f32 v[16:17], v[108:109], v[46:47], v[14:15] neg_lo:[0,0,1] neg_hi:[0,0,1]
	v_pk_fma_f32 v[14:15], v[108:109], v[46:47], v[14:15] op_sel_hi:[1,0,1]
	ds_read_b128 v[2:5], v102 offset:752
	ds_read_b128 v[6:9], v102 offset:768
	ds_read_b64 v[10:11], v102 offset:784
	v_mov_b32_e32 v14, v49
	v_mov_b32_e32 v17, v15
	v_pk_mul_f32 v[14:15], v[110:111], v[14:15] op_sel:[1,0] op_sel_hi:[0,0]
	v_pk_add_f32 v[12:13], v[12:13], v[16:17]
	v_pk_fma_f32 v[16:17], v[110:111], v[48:49], v[14:15] neg_lo:[0,0,1] neg_hi:[0,0,1]
	v_pk_fma_f32 v[14:15], v[110:111], v[48:49], v[14:15] op_sel_hi:[1,0,1]
	s_nop 0
	v_mov_b32_e32 v17, v15
	s_waitcnt vmcnt(3) lgkmcnt(2)
	v_pk_mul_f32 v[14:15], v[2:3], v[34:35] op_sel:[1,1] op_sel_hi:[0,1]
	v_pk_add_f32 v[12:13], v[12:13], v[16:17]
	v_pk_fma_f32 v[16:17], v[2:3], v[34:35], v[14:15] neg_lo:[0,0,1] neg_hi:[0,0,1]
	v_pk_fma_f32 v[2:3], v[2:3], v[34:35], v[14:15] op_sel_hi:[1,0,1]
	s_nop 0
	v_mov_b32_e32 v17, v3
	v_pk_add_f32 v[2:3], v[12:13], v[16:17]
	v_mov_b32_e32 v12, v37
	v_pk_mul_f32 v[12:13], v[4:5], v[12:13] op_sel:[1,0] op_sel_hi:[0,0]
	v_pk_fma_f32 v[14:15], v[4:5], v[36:37], v[12:13] neg_lo:[0,0,1] neg_hi:[0,0,1]
	v_pk_fma_f32 v[4:5], v[4:5], v[36:37], v[12:13] op_sel_hi:[1,0,1]
	s_nop 0
	v_mov_b32_e32 v15, v5
	s_waitcnt vmcnt(2) lgkmcnt(1)
	v_pk_mul_f32 v[4:5], v[6:7], v[18:19] op_sel:[1,1] op_sel_hi:[0,1]
	v_pk_fma_f32 v[12:13], v[6:7], v[18:19], v[4:5] neg_lo:[0,0,1] neg_hi:[0,0,1]
	v_pk_fma_f32 v[4:5], v[6:7], v[18:19], v[4:5] op_sel_hi:[1,0,1]
	v_pk_add_f32 v[2:3], v[2:3], v[14:15]
	v_mov_b32_e32 v4, v21
	v_mov_b32_e32 v13, v5
	v_pk_mul_f32 v[4:5], v[8:9], v[4:5] op_sel:[1,0] op_sel_hi:[0,0]
	v_pk_fma_f32 v[6:7], v[8:9], v[20:21], v[4:5] neg_lo:[0,0,1] neg_hi:[0,0,1]
	v_pk_fma_f32 v[4:5], v[8:9], v[20:21], v[4:5] op_sel_hi:[1,0,1]
	v_pk_add_f32 v[2:3], v[2:3], v[12:13]
	v_mov_b32_e32 v7, v5
	s_waitcnt vmcnt(1) lgkmcnt(0)
	v_pk_mul_f32 v[4:5], v[10:11], v[58:59] op_sel:[1,1] op_sel_hi:[0,1]
	v_pk_add_f32 v[2:3], v[2:3], v[6:7]
	v_pk_fma_f32 v[6:7], v[10:11], v[58:59], v[4:5] neg_lo:[0,0,1] neg_hi:[0,0,1]
	v_pk_fma_f32 v[4:5], v[10:11], v[58:59], v[4:5] op_sel_hi:[1,0,1]
	s_nop 0
	v_mov_b32_e32 v7, v5
	v_pk_add_f32 v[2:3], v[2:3], v[6:7]
	s_waitcnt vmcnt(0)
	v_pk_add_f32 v[2:3], v[100:101], v[2:3] neg_lo:[0,1] neg_hi:[0,1]
	scratch_store_dwordx2 off, v[2:3], off offset:152
	s_and_saveexec_b64 s[0:1], vcc
	s_cbranch_execz .LBB112_271
; %bb.270:
	scratch_load_dwordx2 v[2:3], off, off offset:144
	v_mov_b32_e32 v103, v102
	scratch_store_dwordx2 off, v[102:103], off offset:144
	s_waitcnt vmcnt(1)
	ds_write_b64 v1, v[2:3]
.LBB112_271:
	s_or_b64 exec, exec, s[0:1]
	s_waitcnt lgkmcnt(0)
	; wave barrier
	scratch_load_dwordx4 v[18:21], off, off offset:152
	scratch_load_dwordx4 v[2:5], off, off offset:168
	;; [unrolled: 1-line block ×11, first 2 shown]
	ds_read2_b64 v[104:107], v102 offset0:69 offset1:70
	ds_read2_b64 v[98:101], v102 offset0:71 offset1:72
	;; [unrolled: 1-line block ×10, first 2 shown]
	scratch_load_dwordx4 v[58:61], off, off offset:328
	scratch_load_dwordx4 v[50:53], off, off offset:344
	;; [unrolled: 1-line block ×4, first 2 shown]
	ds_read2_b64 v[78:81], v102 offset0:89 offset1:90
	ds_read2_b64 v[108:111], v102 offset0:91 offset1:92
	scratch_load_dwordx2 v[112:113], off, off offset:144
	v_cmp_lt_u32_e32 vcc, 17, v0
	s_waitcnt vmcnt(15) lgkmcnt(11)
	v_mul_f32_e32 v103, v104, v19
	v_mul_f32_e32 v114, v106, v21
	s_waitcnt vmcnt(14) lgkmcnt(10)
	v_mul_f32_e32 v116, v98, v3
	v_mul_f32_e32 v3, v99, v3
	v_fmac_f32_e32 v103, v105, v18
	v_fmac_f32_e32 v114, v107, v20
	;; [unrolled: 1-line block ×3, first 2 shown]
	v_fma_f32 v2, v98, v2, -v3
	v_add_f32_e32 v3, 0, v103
	v_mul_f32_e32 v118, v100, v5
	v_add_f32_e32 v3, v3, v114
	s_waitcnt vmcnt(13) lgkmcnt(9)
	v_mul_f32_e32 v119, v94, v7
	v_fmac_f32_e32 v118, v101, v4
	v_add_f32_e32 v3, v3, v116
	v_mul_f32_e32 v120, v96, v9
	v_fmac_f32_e32 v119, v95, v6
	v_add_f32_e32 v3, v3, v118
	s_waitcnt vmcnt(12) lgkmcnt(8)
	v_mul_f32_e32 v121, v90, v11
	v_fmac_f32_e32 v120, v97, v8
	v_add_f32_e32 v3, v3, v119
	v_mul_f32_e32 v124, v92, v13
	v_fmac_f32_e32 v121, v91, v10
	;; [unrolled: 7-line block ×7, first 2 shown]
	v_add_f32_e32 v3, v3, v132
	s_waitcnt vmcnt(6) lgkmcnt(2)
	v_mul_f32_e32 v135, v62, v47
	v_mul_f32_e32 v19, v105, v19
	v_fmac_f32_e32 v134, v69, v44
	v_add_f32_e32 v3, v3, v133
	v_mul_f32_e32 v136, v64, v49
	v_mul_f32_e32 v21, v107, v21
	v_fmac_f32_e32 v135, v63, v46
	v_fma_f32 v18, v104, v18, -v19
	v_add_f32_e32 v3, v3, v134
	v_fmac_f32_e32 v136, v65, v48
	v_fma_f32 v19, v106, v20, -v21
	v_add_f32_e32 v18, 0, v18
	v_add_f32_e32 v3, v3, v135
	v_add_f32_e32 v18, v18, v19
	v_add_f32_e32 v19, v3, v136
	v_mul_f32_e32 v3, v101, v5
	v_add_f32_e32 v2, v18, v2
	v_fma_f32 v3, v100, v4, -v3
	v_add_f32_e32 v2, v2, v3
	v_mul_f32_e32 v3, v95, v7
	v_fma_f32 v3, v94, v6, -v3
	v_add_f32_e32 v2, v2, v3
	v_mul_f32_e32 v3, v97, v9
	;; [unrolled: 3-line block ×16, first 2 shown]
	v_fma_f32 v3, v64, v48, -v3
	s_waitcnt vmcnt(5) lgkmcnt(1)
	v_mul_f32_e32 v115, v78, v55
	v_add_f32_e32 v18, v2, v3
	v_mul_f32_e32 v2, v79, v55
	v_fmac_f32_e32 v115, v79, v54
	v_fma_f32 v114, v78, v54, -v2
	s_waitcnt vmcnt(4) lgkmcnt(0)
	v_pk_mul_f32 v[16:17], v[108:109], v[58:59] op_sel:[1,1] op_sel_hi:[0,1]
	v_mul_f32_e32 v117, v80, v57
	v_mul_f32_e32 v2, v81, v57
	v_pk_add_f32 v[14:15], v[18:19], v[114:115]
	v_pk_fma_f32 v[18:19], v[108:109], v[58:59], v[16:17] neg_lo:[0,0,1] neg_hi:[0,0,1]
	v_pk_fma_f32 v[16:17], v[108:109], v[58:59], v[16:17] op_sel_hi:[1,0,1]
	v_fmac_f32_e32 v117, v81, v56
	v_fma_f32 v116, v80, v56, -v2
	ds_read2_b64 v[2:5], v102 offset0:93 offset1:94
	ds_read2_b64 v[6:9], v102 offset0:95 offset1:96
	;; [unrolled: 1-line block ×3, first 2 shown]
	v_mov_b32_e32 v16, v61
	v_pk_add_f32 v[14:15], v[14:15], v[116:117]
	v_mov_b32_e32 v19, v17
	v_pk_mul_f32 v[16:17], v[110:111], v[16:17] op_sel:[1,0] op_sel_hi:[0,0]
	v_pk_add_f32 v[14:15], v[14:15], v[18:19]
	v_pk_fma_f32 v[18:19], v[110:111], v[60:61], v[16:17] neg_lo:[0,0,1] neg_hi:[0,0,1]
	v_pk_fma_f32 v[16:17], v[110:111], v[60:61], v[16:17] op_sel_hi:[1,0,1]
	s_nop 0
	v_mov_b32_e32 v19, v17
	s_waitcnt vmcnt(3) lgkmcnt(2)
	v_pk_mul_f32 v[16:17], v[2:3], v[50:51] op_sel:[1,1] op_sel_hi:[0,1]
	v_pk_add_f32 v[14:15], v[14:15], v[18:19]
	v_pk_fma_f32 v[18:19], v[2:3], v[50:51], v[16:17] neg_lo:[0,0,1] neg_hi:[0,0,1]
	v_pk_fma_f32 v[2:3], v[2:3], v[50:51], v[16:17] op_sel_hi:[1,0,1]
	s_nop 0
	v_mov_b32_e32 v19, v3
	v_pk_add_f32 v[2:3], v[14:15], v[18:19]
	v_mov_b32_e32 v14, v53
	v_pk_mul_f32 v[14:15], v[4:5], v[14:15] op_sel:[1,0] op_sel_hi:[0,0]
	v_pk_fma_f32 v[16:17], v[4:5], v[52:53], v[14:15] neg_lo:[0,0,1] neg_hi:[0,0,1]
	v_pk_fma_f32 v[4:5], v[4:5], v[52:53], v[14:15] op_sel_hi:[1,0,1]
	s_nop 0
	v_mov_b32_e32 v17, v5
	s_waitcnt vmcnt(2) lgkmcnt(1)
	v_pk_mul_f32 v[4:5], v[6:7], v[38:39] op_sel:[1,1] op_sel_hi:[0,1]
	v_pk_fma_f32 v[14:15], v[6:7], v[38:39], v[4:5] neg_lo:[0,0,1] neg_hi:[0,0,1]
	v_pk_fma_f32 v[4:5], v[6:7], v[38:39], v[4:5] op_sel_hi:[1,0,1]
	v_pk_add_f32 v[2:3], v[2:3], v[16:17]
	v_mov_b32_e32 v4, v41
	v_mov_b32_e32 v15, v5
	v_pk_mul_f32 v[4:5], v[8:9], v[4:5] op_sel:[1,0] op_sel_hi:[0,0]
	v_pk_fma_f32 v[6:7], v[8:9], v[40:41], v[4:5] neg_lo:[0,0,1] neg_hi:[0,0,1]
	v_pk_fma_f32 v[4:5], v[8:9], v[40:41], v[4:5] op_sel_hi:[1,0,1]
	v_pk_add_f32 v[2:3], v[2:3], v[14:15]
	v_mov_b32_e32 v7, v5
	s_waitcnt vmcnt(1) lgkmcnt(0)
	v_pk_mul_f32 v[4:5], v[10:11], v[26:27] op_sel:[1,1] op_sel_hi:[0,1]
	v_pk_add_f32 v[2:3], v[2:3], v[6:7]
	v_pk_fma_f32 v[6:7], v[10:11], v[26:27], v[4:5] neg_lo:[0,0,1] neg_hi:[0,0,1]
	v_pk_fma_f32 v[4:5], v[10:11], v[26:27], v[4:5] op_sel_hi:[1,0,1]
	s_nop 0
	v_mov_b32_e32 v4, v29
	v_mov_b32_e32 v7, v5
	v_pk_mul_f32 v[4:5], v[12:13], v[4:5] op_sel:[1,0] op_sel_hi:[0,0]
	v_pk_add_f32 v[2:3], v[2:3], v[6:7]
	v_pk_fma_f32 v[6:7], v[12:13], v[28:29], v[4:5] neg_lo:[0,0,1] neg_hi:[0,0,1]
	v_pk_fma_f32 v[4:5], v[12:13], v[28:29], v[4:5] op_sel_hi:[1,0,1]
	s_nop 0
	v_mov_b32_e32 v7, v5
	v_pk_add_f32 v[2:3], v[2:3], v[6:7]
	s_waitcnt vmcnt(0)
	v_pk_add_f32 v[2:3], v[112:113], v[2:3] neg_lo:[0,1] neg_hi:[0,1]
	scratch_store_dwordx2 off, v[2:3], off offset:144
	s_and_saveexec_b64 s[0:1], vcc
	s_cbranch_execz .LBB112_273
; %bb.272:
	scratch_load_dwordx2 v[2:3], off, off offset:136
	v_mov_b32_e32 v4, 0
	v_mov_b32_e32 v5, v4
	scratch_store_dwordx2 off, v[4:5], off offset:136
	s_waitcnt vmcnt(1)
	ds_write_b64 v1, v[2:3]
.LBB112_273:
	s_or_b64 exec, exec, s[0:1]
	s_waitcnt lgkmcnt(0)
	; wave barrier
	scratch_load_dwordx4 v[2:5], off, off offset:144
	scratch_load_dwordx4 v[6:9], off, off offset:160
	;; [unrolled: 1-line block ×15, first 2 shown]
	scratch_load_dwordx2 v[62:63], off, off offset:384
	scratch_load_dwordx2 v[112:113], off, off offset:136
	v_mov_b32_e32 v114, 0
	ds_read_b128 v[64:67], v114 offset:544
	ds_read_b128 v[68:71], v114 offset:560
	;; [unrolled: 1-line block ×12, first 2 shown]
	v_cmp_lt_u32_e32 vcc, 16, v0
	s_waitcnt vmcnt(16) lgkmcnt(11)
	v_mul_f32_e32 v115, v64, v3
	v_mul_f32_e32 v116, v66, v5
	;; [unrolled: 1-line block ×3, first 2 shown]
	v_fmac_f32_e32 v115, v65, v2
	s_waitcnt vmcnt(15) lgkmcnt(10)
	v_mul_f32_e32 v118, v68, v7
	v_fmac_f32_e32 v116, v67, v4
	v_fma_f32 v2, v64, v2, -v3
	v_add_f32_e32 v3, 0, v115
	v_mul_f32_e32 v120, v70, v9
	v_fmac_f32_e32 v118, v69, v6
	v_add_f32_e32 v3, v3, v116
	s_waitcnt vmcnt(14) lgkmcnt(9)
	v_mul_f32_e32 v121, v72, v11
	v_fmac_f32_e32 v120, v71, v8
	v_add_f32_e32 v3, v3, v118
	v_mul_f32_e32 v124, v74, v13
	v_fmac_f32_e32 v121, v73, v10
	v_add_f32_e32 v3, v3, v120
	s_waitcnt vmcnt(13) lgkmcnt(8)
	v_mul_f32_e32 v125, v76, v15
	v_fmac_f32_e32 v124, v75, v12
	;; [unrolled: 7-line block ×9, first 2 shown]
	v_add_f32_e32 v3, v3, v137
	v_mul_f32_e32 v5, v67, v5
	v_fmac_f32_e32 v139, v105, v58
	v_add_f32_e32 v3, v3, v138
	v_add_f32_e32 v2, 0, v2
	;; [unrolled: 1-line block ×3, first 2 shown]
	v_fma_f32 v3, v66, v4, -v5
	v_add_f32_e32 v2, v2, v3
	v_mul_f32_e32 v3, v69, v7
	v_fma_f32 v3, v68, v6, -v3
	v_add_f32_e32 v2, v2, v3
	v_mul_f32_e32 v3, v71, v9
	;; [unrolled: 3-line block ×20, first 2 shown]
	v_mul_f32_e32 v117, v106, v61
	v_fma_f32 v116, v106, v60, -v2
	s_waitcnt vmcnt(5) lgkmcnt(0)
	v_mul_f32_e32 v2, v109, v55
	v_mov_b32_e32 v18, v57
	v_mul_f32_e32 v119, v108, v55
	v_fmac_f32_e32 v117, v107, v60
	v_fma_f32 v118, v108, v54, -v2
	ds_read_b128 v[2:5], v114 offset:736
	ds_read_b128 v[6:9], v114 offset:752
	;; [unrolled: 1-line block ×3, first 2 shown]
	ds_read_b64 v[14:15], v114 offset:784
	v_pk_mul_f32 v[18:19], v[110:111], v[18:19] op_sel:[1,0] op_sel_hi:[0,0]
	v_fmac_f32_e32 v119, v109, v54
	v_pk_add_f32 v[16:17], v[64:65], v[116:117]
	v_pk_fma_f32 v[20:21], v[110:111], v[56:57], v[18:19] neg_lo:[0,0,1] neg_hi:[0,0,1]
	v_pk_fma_f32 v[18:19], v[110:111], v[56:57], v[18:19] op_sel_hi:[1,0,1]
	v_pk_add_f32 v[16:17], v[16:17], v[118:119]
	v_mov_b32_e32 v21, v19
	s_waitcnt vmcnt(4) lgkmcnt(3)
	v_pk_mul_f32 v[18:19], v[2:3], v[50:51] op_sel:[1,1] op_sel_hi:[0,1]
	v_pk_add_f32 v[16:17], v[16:17], v[20:21]
	v_pk_fma_f32 v[20:21], v[2:3], v[50:51], v[18:19] neg_lo:[0,0,1] neg_hi:[0,0,1]
	v_pk_fma_f32 v[2:3], v[2:3], v[50:51], v[18:19] op_sel_hi:[1,0,1]
	s_nop 0
	v_mov_b32_e32 v21, v3
	v_pk_add_f32 v[2:3], v[16:17], v[20:21]
	v_mov_b32_e32 v16, v53
	v_pk_mul_f32 v[16:17], v[4:5], v[16:17] op_sel:[1,0] op_sel_hi:[0,0]
	v_pk_fma_f32 v[18:19], v[4:5], v[52:53], v[16:17] neg_lo:[0,0,1] neg_hi:[0,0,1]
	v_pk_fma_f32 v[4:5], v[4:5], v[52:53], v[16:17] op_sel_hi:[1,0,1]
	s_nop 0
	v_mov_b32_e32 v19, v5
	s_waitcnt vmcnt(3) lgkmcnt(2)
	v_pk_mul_f32 v[4:5], v[6:7], v[38:39] op_sel:[1,1] op_sel_hi:[0,1]
	v_pk_fma_f32 v[16:17], v[6:7], v[38:39], v[4:5] neg_lo:[0,0,1] neg_hi:[0,0,1]
	v_pk_fma_f32 v[4:5], v[6:7], v[38:39], v[4:5] op_sel_hi:[1,0,1]
	v_pk_add_f32 v[2:3], v[2:3], v[18:19]
	v_mov_b32_e32 v4, v41
	v_mov_b32_e32 v17, v5
	v_pk_mul_f32 v[4:5], v[8:9], v[4:5] op_sel:[1,0] op_sel_hi:[0,0]
	v_pk_fma_f32 v[6:7], v[8:9], v[40:41], v[4:5] neg_lo:[0,0,1] neg_hi:[0,0,1]
	v_pk_fma_f32 v[4:5], v[8:9], v[40:41], v[4:5] op_sel_hi:[1,0,1]
	v_pk_add_f32 v[2:3], v[2:3], v[16:17]
	v_mov_b32_e32 v7, v5
	s_waitcnt vmcnt(2) lgkmcnt(1)
	v_pk_mul_f32 v[4:5], v[10:11], v[26:27] op_sel:[1,1] op_sel_hi:[0,1]
	v_pk_add_f32 v[2:3], v[2:3], v[6:7]
	v_pk_fma_f32 v[6:7], v[10:11], v[26:27], v[4:5] neg_lo:[0,0,1] neg_hi:[0,0,1]
	v_pk_fma_f32 v[4:5], v[10:11], v[26:27], v[4:5] op_sel_hi:[1,0,1]
	s_nop 0
	v_mov_b32_e32 v4, v29
	v_mov_b32_e32 v7, v5
	v_pk_mul_f32 v[4:5], v[12:13], v[4:5] op_sel:[1,0] op_sel_hi:[0,0]
	v_pk_add_f32 v[2:3], v[2:3], v[6:7]
	v_pk_fma_f32 v[6:7], v[12:13], v[28:29], v[4:5] neg_lo:[0,0,1] neg_hi:[0,0,1]
	v_pk_fma_f32 v[4:5], v[12:13], v[28:29], v[4:5] op_sel_hi:[1,0,1]
	s_nop 0
	v_mov_b32_e32 v7, v5
	s_waitcnt vmcnt(1) lgkmcnt(0)
	v_pk_mul_f32 v[4:5], v[14:15], v[62:63] op_sel:[1,1] op_sel_hi:[0,1]
	v_pk_add_f32 v[2:3], v[2:3], v[6:7]
	v_pk_fma_f32 v[6:7], v[14:15], v[62:63], v[4:5] neg_lo:[0,0,1] neg_hi:[0,0,1]
	v_pk_fma_f32 v[4:5], v[14:15], v[62:63], v[4:5] op_sel_hi:[1,0,1]
	s_nop 0
	v_mov_b32_e32 v7, v5
	v_pk_add_f32 v[2:3], v[2:3], v[6:7]
	s_waitcnt vmcnt(0)
	v_pk_add_f32 v[2:3], v[112:113], v[2:3] neg_lo:[0,1] neg_hi:[0,1]
	scratch_store_dwordx2 off, v[2:3], off offset:136
	s_and_saveexec_b64 s[0:1], vcc
	s_cbranch_execz .LBB112_275
; %bb.274:
	scratch_load_dwordx2 v[2:3], off, off offset:128
	v_mov_b32_e32 v115, v114
	scratch_store_dwordx2 off, v[114:115], off offset:128
	s_waitcnt vmcnt(1)
	ds_write_b64 v1, v[2:3]
.LBB112_275:
	s_or_b64 exec, exec, s[0:1]
	s_waitcnt lgkmcnt(0)
	; wave barrier
	scratch_load_dwordx4 v[2:5], off, off offset:136
	scratch_load_dwordx4 v[6:9], off, off offset:152
	;; [unrolled: 1-line block ×12, first 2 shown]
	ds_read2_b64 v[110:113], v114 offset0:67 offset1:68
	ds_read2_b64 v[106:109], v114 offset0:69 offset1:70
	;; [unrolled: 1-line block ×12, first 2 shown]
	scratch_load_dwordx4 v[62:65], off, off offset:328
	scratch_load_dwordx4 v[54:57], off, off offset:344
	;; [unrolled: 1-line block ×4, first 2 shown]
	scratch_load_dwordx2 v[116:117], off, off offset:128
	v_cmp_lt_u32_e32 vcc, 15, v0
	s_waitcnt vmcnt(16) lgkmcnt(11)
	v_mul_f32_e32 v115, v110, v3
	v_mul_f32_e32 v118, v112, v5
	;; [unrolled: 1-line block ×3, first 2 shown]
	v_fmac_f32_e32 v115, v111, v2
	s_waitcnt vmcnt(15) lgkmcnt(10)
	v_mul_f32_e32 v120, v106, v7
	v_fmac_f32_e32 v118, v113, v4
	v_fma_f32 v2, v110, v2, -v3
	v_add_f32_e32 v3, 0, v115
	v_mul_f32_e32 v124, v108, v9
	v_fmac_f32_e32 v120, v107, v6
	v_add_f32_e32 v3, v3, v118
	s_waitcnt vmcnt(14) lgkmcnt(9)
	v_mul_f32_e32 v125, v102, v11
	v_fmac_f32_e32 v124, v109, v8
	v_add_f32_e32 v3, v3, v120
	v_mul_f32_e32 v126, v104, v13
	v_fmac_f32_e32 v125, v103, v10
	v_add_f32_e32 v3, v3, v124
	s_waitcnt vmcnt(13) lgkmcnt(8)
	v_mul_f32_e32 v127, v98, v15
	v_fmac_f32_e32 v126, v105, v12
	;; [unrolled: 7-line block ×9, first 2 shown]
	v_add_f32_e32 v3, v3, v139
	v_mul_f32_e32 v142, v72, v53
	v_fmac_f32_e32 v141, v71, v50
	v_add_f32_e32 v3, v3, v140
	v_fmac_f32_e32 v142, v73, v52
	v_add_f32_e32 v3, v3, v141
	v_add_f32_e32 v111, v3, v142
	v_mul_f32_e32 v3, v113, v5
	v_add_f32_e32 v2, 0, v2
	v_fma_f32 v3, v112, v4, -v3
	v_add_f32_e32 v2, v2, v3
	v_mul_f32_e32 v3, v107, v7
	v_fma_f32 v3, v106, v6, -v3
	v_add_f32_e32 v2, v2, v3
	v_mul_f32_e32 v3, v109, v9
	;; [unrolled: 3-line block ×20, first 2 shown]
	v_fma_f32 v3, v72, v52, -v3
	v_add_f32_e32 v110, v2, v3
	s_waitcnt vmcnt(5) lgkmcnt(0)
	v_mul_f32_e32 v2, v67, v59
	v_fma_f32 v118, v66, v58, -v2
	v_mul_f32_e32 v2, v69, v61
	v_fma_f32 v120, v68, v60, -v2
	ds_read2_b64 v[2:5], v114 offset0:91 offset1:92
	ds_read2_b64 v[6:9], v114 offset0:93 offset1:94
	;; [unrolled: 1-line block ×4, first 2 shown]
	v_mul_f32_e32 v119, v66, v59
	v_mul_f32_e32 v121, v68, v61
	v_fmac_f32_e32 v119, v67, v58
	s_waitcnt vmcnt(4) lgkmcnt(3)
	v_pk_mul_f32 v[20:21], v[2:3], v[62:63] op_sel:[1,1] op_sel_hi:[0,1]
	v_fmac_f32_e32 v121, v69, v60
	v_pk_add_f32 v[18:19], v[110:111], v[118:119]
	v_pk_fma_f32 v[22:23], v[2:3], v[62:63], v[20:21] neg_lo:[0,0,1] neg_hi:[0,0,1]
	v_pk_fma_f32 v[2:3], v[2:3], v[62:63], v[20:21] op_sel_hi:[1,0,1]
	v_pk_add_f32 v[18:19], v[18:19], v[120:121]
	v_mov_b32_e32 v23, v3
	v_pk_add_f32 v[2:3], v[18:19], v[22:23]
	v_mov_b32_e32 v18, v65
	v_pk_mul_f32 v[18:19], v[4:5], v[18:19] op_sel:[1,0] op_sel_hi:[0,0]
	v_pk_fma_f32 v[20:21], v[4:5], v[64:65], v[18:19] neg_lo:[0,0,1] neg_hi:[0,0,1]
	v_pk_fma_f32 v[4:5], v[4:5], v[64:65], v[18:19] op_sel_hi:[1,0,1]
	s_nop 0
	v_mov_b32_e32 v21, v5
	s_waitcnt vmcnt(3) lgkmcnt(2)
	v_pk_mul_f32 v[4:5], v[6:7], v[54:55] op_sel:[1,1] op_sel_hi:[0,1]
	v_pk_fma_f32 v[18:19], v[6:7], v[54:55], v[4:5] neg_lo:[0,0,1] neg_hi:[0,0,1]
	v_pk_fma_f32 v[4:5], v[6:7], v[54:55], v[4:5] op_sel_hi:[1,0,1]
	v_pk_add_f32 v[2:3], v[2:3], v[20:21]
	v_mov_b32_e32 v4, v57
	v_mov_b32_e32 v19, v5
	v_pk_mul_f32 v[4:5], v[8:9], v[4:5] op_sel:[1,0] op_sel_hi:[0,0]
	v_pk_fma_f32 v[6:7], v[8:9], v[56:57], v[4:5] neg_lo:[0,0,1] neg_hi:[0,0,1]
	v_pk_fma_f32 v[4:5], v[8:9], v[56:57], v[4:5] op_sel_hi:[1,0,1]
	v_pk_add_f32 v[2:3], v[2:3], v[18:19]
	v_mov_b32_e32 v7, v5
	s_waitcnt vmcnt(2) lgkmcnt(1)
	v_pk_mul_f32 v[4:5], v[10:11], v[42:43] op_sel:[1,1] op_sel_hi:[0,1]
	v_pk_add_f32 v[2:3], v[2:3], v[6:7]
	v_pk_fma_f32 v[6:7], v[10:11], v[42:43], v[4:5] neg_lo:[0,0,1] neg_hi:[0,0,1]
	v_pk_fma_f32 v[4:5], v[10:11], v[42:43], v[4:5] op_sel_hi:[1,0,1]
	s_nop 0
	v_mov_b32_e32 v4, v45
	v_mov_b32_e32 v7, v5
	v_pk_mul_f32 v[4:5], v[12:13], v[4:5] op_sel:[1,0] op_sel_hi:[0,0]
	v_pk_add_f32 v[2:3], v[2:3], v[6:7]
	v_pk_fma_f32 v[6:7], v[12:13], v[44:45], v[4:5] neg_lo:[0,0,1] neg_hi:[0,0,1]
	v_pk_fma_f32 v[4:5], v[12:13], v[44:45], v[4:5] op_sel_hi:[1,0,1]
	s_nop 0
	v_mov_b32_e32 v7, v5
	s_waitcnt vmcnt(1) lgkmcnt(0)
	v_pk_mul_f32 v[4:5], v[14:15], v[34:35] op_sel:[1,1] op_sel_hi:[0,1]
	v_pk_add_f32 v[2:3], v[2:3], v[6:7]
	v_pk_fma_f32 v[6:7], v[14:15], v[34:35], v[4:5] neg_lo:[0,0,1] neg_hi:[0,0,1]
	v_pk_fma_f32 v[4:5], v[14:15], v[34:35], v[4:5] op_sel_hi:[1,0,1]
	s_nop 0
	v_mov_b32_e32 v4, v37
	v_mov_b32_e32 v7, v5
	v_pk_mul_f32 v[4:5], v[16:17], v[4:5] op_sel:[1,0] op_sel_hi:[0,0]
	v_pk_add_f32 v[2:3], v[2:3], v[6:7]
	v_pk_fma_f32 v[6:7], v[16:17], v[36:37], v[4:5] neg_lo:[0,0,1] neg_hi:[0,0,1]
	v_pk_fma_f32 v[4:5], v[16:17], v[36:37], v[4:5] op_sel_hi:[1,0,1]
	s_nop 0
	v_mov_b32_e32 v7, v5
	v_pk_add_f32 v[2:3], v[2:3], v[6:7]
	s_waitcnt vmcnt(0)
	v_pk_add_f32 v[2:3], v[116:117], v[2:3] neg_lo:[0,1] neg_hi:[0,1]
	scratch_store_dwordx2 off, v[2:3], off offset:128
	s_and_saveexec_b64 s[0:1], vcc
	s_cbranch_execz .LBB112_277
; %bb.276:
	scratch_load_dwordx2 v[2:3], off, off offset:120
	v_mov_b32_e32 v4, 0
	v_mov_b32_e32 v5, v4
	scratch_store_dwordx2 off, v[4:5], off offset:120
	s_waitcnt vmcnt(1)
	ds_write_b64 v1, v[2:3]
.LBB112_277:
	s_or_b64 exec, exec, s[0:1]
	s_waitcnt lgkmcnt(0)
	; wave barrier
	scratch_load_dwordx4 v[2:5], off, off offset:128
	scratch_load_dwordx4 v[6:9], off, off offset:144
	;; [unrolled: 1-line block ×13, first 2 shown]
	v_mov_b32_e32 v106, 0
	scratch_load_dwordx2 v[120:121], off, off offset:120
	ds_read_b128 v[54:57], v106 offset:528
	ds_read_b128 v[58:61], v106 offset:544
	;; [unrolled: 1-line block ×14, first 2 shown]
	v_cmp_lt_u32_e32 vcc, 14, v0
	s_waitcnt vmcnt(13) lgkmcnt(13)
	v_mul_f32_e32 v107, v54, v3
	v_mul_f32_e32 v112, v56, v5
	v_fmac_f32_e32 v107, v55, v2
	s_waitcnt vmcnt(12) lgkmcnt(12)
	v_mul_f32_e32 v113, v58, v7
	v_fmac_f32_e32 v112, v57, v4
	v_add_f32_e32 v107, 0, v107
	v_mul_f32_e32 v114, v60, v9
	v_fmac_f32_e32 v113, v59, v6
	v_add_f32_e32 v107, v107, v112
	s_waitcnt vmcnt(11) lgkmcnt(11)
	v_mul_f32_e32 v115, v62, v11
	v_fmac_f32_e32 v114, v61, v8
	v_add_f32_e32 v107, v107, v113
	v_mul_f32_e32 v116, v64, v13
	v_fmac_f32_e32 v115, v63, v10
	v_add_f32_e32 v107, v107, v114
	;; [unrolled: 7-line block ×6, first 2 shown]
	s_waitcnt vmcnt(6) lgkmcnt(6)
	v_mul_f32_e32 v131, v82, v31
	v_fmac_f32_e32 v130, v81, v28
	v_add_f32_e32 v107, v107, v129
	v_fmac_f32_e32 v131, v83, v30
	v_add_f32_e32 v107, v107, v130
	v_add_f32_e32 v107, v107, v131
	scratch_load_dwordx4 v[112:115], off, off offset:336
	scratch_load_dwordx4 v[116:119], off, off offset:352
	;; [unrolled: 1-line block ×3, first 2 shown]
	scratch_load_dwordx2 v[130:131], off, off offset:384
	v_mul_f32_e32 v3, v55, v3
	v_fma_f32 v2, v54, v2, -v3
	v_mul_f32_e32 v3, v57, v5
	v_add_f32_e32 v2, 0, v2
	v_fma_f32 v3, v56, v4, -v3
	v_add_f32_e32 v2, v2, v3
	v_mul_f32_e32 v3, v59, v7
	v_fma_f32 v3, v58, v6, -v3
	v_add_f32_e32 v2, v2, v3
	v_mul_f32_e32 v3, v61, v9
	;; [unrolled: 3-line block ×14, first 2 shown]
	v_fma_f32 v3, v84, v32, -v3
	v_add_f32_e32 v2, v2, v3
	s_waitcnt vmcnt(9) lgkmcnt(5)
	v_mul_f32_e32 v3, v87, v35
	v_fma_f32 v3, v86, v34, -v3
	v_add_f32_e32 v2, v2, v3
	v_mul_f32_e32 v3, v89, v37
	v_fma_f32 v3, v88, v36, -v3
	v_add_f32_e32 v2, v2, v3
	s_waitcnt vmcnt(8) lgkmcnt(4)
	v_mul_f32_e32 v3, v91, v39
	v_fma_f32 v3, v90, v38, -v3
	v_mul_f32_e32 v132, v84, v33
	v_add_f32_e32 v2, v2, v3
	v_mul_f32_e32 v3, v93, v41
	v_mul_f32_e32 v133, v86, v35
	v_fmac_f32_e32 v132, v85, v32
	v_fma_f32 v3, v92, v40, -v3
	v_mul_f32_e32 v134, v88, v37
	v_fmac_f32_e32 v133, v87, v34
	v_add_f32_e32 v107, v107, v132
	v_add_f32_e32 v2, v2, v3
	s_waitcnt vmcnt(7) lgkmcnt(3)
	v_mul_f32_e32 v3, v95, v43
	v_mul_f32_e32 v135, v90, v39
	v_fmac_f32_e32 v134, v89, v36
	v_add_f32_e32 v107, v107, v133
	v_fma_f32 v3, v94, v42, -v3
	v_mul_f32_e32 v136, v92, v41
	v_fmac_f32_e32 v135, v91, v38
	v_add_f32_e32 v107, v107, v134
	v_add_f32_e32 v2, v2, v3
	v_mul_f32_e32 v3, v97, v45
	v_mul_f32_e32 v137, v94, v43
	v_fmac_f32_e32 v136, v93, v40
	v_add_f32_e32 v107, v107, v135
	v_fma_f32 v3, v96, v44, -v3
	v_mul_f32_e32 v138, v96, v45
	v_fmac_f32_e32 v137, v95, v42
	v_add_f32_e32 v107, v107, v136
	v_add_f32_e32 v2, v2, v3
	s_waitcnt vmcnt(6) lgkmcnt(2)
	v_mul_f32_e32 v3, v99, v47
	v_mul_f32_e32 v139, v98, v47
	v_fmac_f32_e32 v138, v97, v44
	v_add_f32_e32 v107, v107, v137
	v_fma_f32 v3, v98, v46, -v3
	v_mul_f32_e32 v125, v100, v49
	v_fmac_f32_e32 v139, v99, v46
	v_add_f32_e32 v107, v107, v138
	v_add_f32_e32 v128, v2, v3
	v_mul_f32_e32 v2, v101, v49
	s_waitcnt vmcnt(5)
	v_mov_b32_e32 v14, v53
	s_waitcnt lgkmcnt(1)
	v_mul_f32_e32 v127, v102, v51
	v_fmac_f32_e32 v125, v101, v48
	v_add_f32_e32 v129, v107, v139
	v_fma_f32 v124, v100, v48, -v2
	v_mul_f32_e32 v2, v103, v51
	v_pk_mul_f32 v[14:15], v[104:105], v[14:15] op_sel:[1,0] op_sel_hi:[0,0]
	v_fmac_f32_e32 v127, v103, v50
	v_fma_f32 v126, v102, v50, -v2
	v_pk_add_f32 v[12:13], v[128:129], v[124:125]
	v_pk_fma_f32 v[16:17], v[104:105], v[52:53], v[14:15] neg_lo:[0,0,1] neg_hi:[0,0,1]
	v_pk_fma_f32 v[14:15], v[104:105], v[52:53], v[14:15] op_sel_hi:[1,0,1]
	v_pk_add_f32 v[12:13], v[12:13], v[126:127]
	v_mov_b32_e32 v17, v15
	s_waitcnt vmcnt(3) lgkmcnt(0)
	v_pk_mul_f32 v[14:15], v[108:109], v[112:113] op_sel:[1,1] op_sel_hi:[0,1]
	v_pk_add_f32 v[12:13], v[12:13], v[16:17]
	v_pk_fma_f32 v[16:17], v[108:109], v[112:113], v[14:15] neg_lo:[0,0,1] neg_hi:[0,0,1]
	v_pk_fma_f32 v[14:15], v[108:109], v[112:113], v[14:15] op_sel_hi:[1,0,1]
	ds_read_b128 v[2:5], v106 offset:752
	ds_read_b128 v[6:9], v106 offset:768
	ds_read_b64 v[10:11], v106 offset:784
	v_mov_b32_e32 v14, v115
	v_mov_b32_e32 v17, v15
	v_pk_mul_f32 v[14:15], v[110:111], v[14:15] op_sel:[1,0] op_sel_hi:[0,0]
	v_pk_add_f32 v[12:13], v[12:13], v[16:17]
	v_pk_fma_f32 v[16:17], v[110:111], v[114:115], v[14:15] neg_lo:[0,0,1] neg_hi:[0,0,1]
	v_pk_fma_f32 v[14:15], v[110:111], v[114:115], v[14:15] op_sel_hi:[1,0,1]
	s_nop 0
	v_mov_b32_e32 v17, v15
	s_waitcnt vmcnt(2) lgkmcnt(2)
	v_pk_mul_f32 v[14:15], v[2:3], v[116:117] op_sel:[1,1] op_sel_hi:[0,1]
	v_pk_add_f32 v[12:13], v[12:13], v[16:17]
	v_pk_fma_f32 v[16:17], v[2:3], v[116:117], v[14:15] neg_lo:[0,0,1] neg_hi:[0,0,1]
	v_pk_fma_f32 v[2:3], v[2:3], v[116:117], v[14:15] op_sel_hi:[1,0,1]
	s_nop 0
	v_mov_b32_e32 v17, v3
	v_pk_add_f32 v[2:3], v[12:13], v[16:17]
	v_mov_b32_e32 v12, v119
	v_pk_mul_f32 v[12:13], v[4:5], v[12:13] op_sel:[1,0] op_sel_hi:[0,0]
	v_pk_fma_f32 v[14:15], v[4:5], v[118:119], v[12:13] neg_lo:[0,0,1] neg_hi:[0,0,1]
	v_pk_fma_f32 v[4:5], v[4:5], v[118:119], v[12:13] op_sel_hi:[1,0,1]
	s_nop 0
	v_mov_b32_e32 v15, v5
	s_waitcnt vmcnt(1) lgkmcnt(1)
	v_pk_mul_f32 v[4:5], v[6:7], v[220:221] op_sel:[1,1] op_sel_hi:[0,1]
	v_pk_fma_f32 v[12:13], v[6:7], v[220:221], v[4:5] neg_lo:[0,0,1] neg_hi:[0,0,1]
	v_pk_fma_f32 v[4:5], v[6:7], v[220:221], v[4:5] op_sel_hi:[1,0,1]
	v_pk_add_f32 v[2:3], v[2:3], v[14:15]
	v_mov_b32_e32 v4, v223
	v_mov_b32_e32 v13, v5
	v_pk_mul_f32 v[4:5], v[8:9], v[4:5] op_sel:[1,0] op_sel_hi:[0,0]
	v_pk_fma_f32 v[6:7], v[8:9], v[222:223], v[4:5] neg_lo:[0,0,1] neg_hi:[0,0,1]
	v_pk_fma_f32 v[4:5], v[8:9], v[222:223], v[4:5] op_sel_hi:[1,0,1]
	v_pk_add_f32 v[2:3], v[2:3], v[12:13]
	v_mov_b32_e32 v7, v5
	s_waitcnt vmcnt(0) lgkmcnt(0)
	v_pk_mul_f32 v[4:5], v[10:11], v[130:131] op_sel:[1,1] op_sel_hi:[0,1]
	v_pk_add_f32 v[2:3], v[2:3], v[6:7]
	v_pk_fma_f32 v[6:7], v[10:11], v[130:131], v[4:5] neg_lo:[0,0,1] neg_hi:[0,0,1]
	v_pk_fma_f32 v[4:5], v[10:11], v[130:131], v[4:5] op_sel_hi:[1,0,1]
	s_nop 0
	v_mov_b32_e32 v7, v5
	v_pk_add_f32 v[2:3], v[2:3], v[6:7]
	s_nop 0
	v_pk_add_f32 v[2:3], v[120:121], v[2:3] neg_lo:[0,1] neg_hi:[0,1]
	scratch_store_dwordx2 off, v[2:3], off offset:120
	s_and_saveexec_b64 s[0:1], vcc
	s_cbranch_execz .LBB112_279
; %bb.278:
	scratch_load_dwordx2 v[2:3], off, off offset:112
	v_mov_b32_e32 v107, v106
	scratch_store_dwordx2 off, v[106:107], off offset:112
	s_waitcnt vmcnt(1)
	ds_write_b64 v1, v[2:3]
.LBB112_279:
	s_or_b64 exec, exec, s[0:1]
	s_waitcnt lgkmcnt(0)
	; wave barrier
	scratch_load_dwordx4 v[2:5], off, off offset:120
	scratch_load_dwordx4 v[6:9], off, off offset:136
	;; [unrolled: 1-line block ×13, first 2 shown]
	ds_read2_b64 v[102:105], v106 offset0:65 offset1:66
	ds_read2_b64 v[98:101], v106 offset0:67 offset1:68
	;; [unrolled: 1-line block ×14, first 2 shown]
	scratch_load_dwordx2 v[120:121], off, off offset:112
	v_cmp_lt_u32_e32 vcc, 13, v0
	s_waitcnt vmcnt(13) lgkmcnt(13)
	v_mul_f32_e32 v107, v102, v3
	v_mul_f32_e32 v112, v104, v5
	v_fmac_f32_e32 v107, v103, v2
	s_waitcnt vmcnt(12) lgkmcnt(12)
	v_mul_f32_e32 v113, v98, v7
	v_fmac_f32_e32 v112, v105, v4
	v_add_f32_e32 v107, 0, v107
	v_mul_f32_e32 v114, v100, v9
	v_fmac_f32_e32 v113, v99, v6
	v_add_f32_e32 v107, v107, v112
	s_waitcnt vmcnt(11) lgkmcnt(11)
	v_mul_f32_e32 v115, v94, v11
	v_fmac_f32_e32 v114, v101, v8
	v_add_f32_e32 v107, v107, v113
	v_mul_f32_e32 v116, v96, v13
	v_fmac_f32_e32 v115, v95, v10
	v_add_f32_e32 v107, v107, v114
	;; [unrolled: 7-line block ×3, first 2 shown]
	s_waitcnt vmcnt(9) lgkmcnt(9)
	v_mul_f32_e32 v119, v86, v19
	v_fmac_f32_e32 v118, v93, v16
	v_add_f32_e32 v107, v107, v117
	v_fmac_f32_e32 v119, v87, v18
	v_add_f32_e32 v107, v107, v118
	v_add_f32_e32 v107, v107, v119
	scratch_load_dwordx4 v[112:115], off, off offset:328
	scratch_load_dwordx4 v[116:119], off, off offset:344
	;; [unrolled: 1-line block ×4, first 2 shown]
	v_mul_f32_e32 v3, v103, v3
	v_fma_f32 v2, v102, v2, -v3
	v_mul_f32_e32 v3, v105, v5
	v_add_f32_e32 v2, 0, v2
	v_fma_f32 v3, v104, v4, -v3
	v_add_f32_e32 v2, v2, v3
	v_mul_f32_e32 v3, v99, v7
	v_fma_f32 v3, v98, v6, -v3
	v_add_f32_e32 v2, v2, v3
	v_mul_f32_e32 v3, v101, v9
	;; [unrolled: 3-line block ×8, first 2 shown]
	v_fma_f32 v3, v88, v20, -v3
	v_add_f32_e32 v2, v2, v3
	s_waitcnt vmcnt(12) lgkmcnt(8)
	v_mul_f32_e32 v3, v83, v23
	v_fma_f32 v3, v82, v22, -v3
	v_add_f32_e32 v2, v2, v3
	v_mul_f32_e32 v3, v85, v25
	v_fma_f32 v3, v84, v24, -v3
	v_add_f32_e32 v2, v2, v3
	s_waitcnt vmcnt(11) lgkmcnt(7)
	v_mul_f32_e32 v3, v79, v27
	v_fma_f32 v3, v78, v26, -v3
	v_add_f32_e32 v2, v2, v3
	v_mul_f32_e32 v3, v81, v29
	;; [unrolled: 7-line block ×3, first 2 shown]
	v_fma_f32 v3, v76, v32, -v3
	v_add_f32_e32 v2, v2, v3
	s_waitcnt vmcnt(9) lgkmcnt(5)
	v_mul_f32_e32 v3, v71, v35
	v_mul_f32_e32 v124, v88, v21
	v_fma_f32 v3, v70, v34, -v3
	v_mul_f32_e32 v126, v82, v23
	v_fmac_f32_e32 v124, v89, v20
	v_add_f32_e32 v2, v2, v3
	v_mul_f32_e32 v3, v73, v37
	v_mul_f32_e32 v128, v84, v25
	v_fmac_f32_e32 v126, v83, v22
	v_add_f32_e32 v107, v107, v124
	v_fma_f32 v3, v72, v36, -v3
	v_mul_f32_e32 v129, v78, v27
	v_fmac_f32_e32 v128, v85, v24
	v_add_f32_e32 v107, v107, v126
	v_add_f32_e32 v2, v2, v3
	s_waitcnt vmcnt(8) lgkmcnt(4)
	v_mul_f32_e32 v3, v67, v39
	v_mul_f32_e32 v130, v80, v29
	v_fmac_f32_e32 v129, v79, v26
	v_add_f32_e32 v107, v107, v128
	v_fma_f32 v3, v66, v38, -v3
	v_mul_f32_e32 v131, v74, v31
	v_fmac_f32_e32 v130, v81, v28
	v_add_f32_e32 v107, v107, v129
	v_add_f32_e32 v2, v2, v3
	v_mul_f32_e32 v3, v69, v41
	v_mul_f32_e32 v132, v76, v33
	v_fmac_f32_e32 v131, v75, v30
	v_add_f32_e32 v107, v107, v130
	v_fma_f32 v3, v68, v40, -v3
	v_mul_f32_e32 v133, v70, v35
	v_fmac_f32_e32 v132, v77, v32
	v_add_f32_e32 v107, v107, v131
	v_add_f32_e32 v2, v2, v3
	s_waitcnt vmcnt(7) lgkmcnt(3)
	v_mul_f32_e32 v3, v63, v43
	v_mul_f32_e32 v134, v72, v37
	v_fmac_f32_e32 v133, v71, v34
	v_add_f32_e32 v107, v107, v132
	v_fma_f32 v3, v62, v42, -v3
	v_mul_f32_e32 v135, v66, v39
	v_fmac_f32_e32 v134, v73, v36
	v_add_f32_e32 v107, v107, v133
	;; [unrolled: 19-line block ×3, first 2 shown]
	v_add_f32_e32 v2, v2, v3
	v_mul_f32_e32 v3, v61, v49
	v_mul_f32_e32 v140, v60, v49
	v_fmac_f32_e32 v139, v59, v46
	v_add_f32_e32 v107, v107, v138
	v_fma_f32 v3, v60, v48, -v3
	s_waitcnt vmcnt(5) lgkmcnt(1)
	v_mul_f32_e32 v125, v54, v51
	v_fmac_f32_e32 v140, v61, v48
	v_add_f32_e32 v107, v107, v139
	v_add_f32_e32 v128, v2, v3
	v_mul_f32_e32 v2, v55, v51
	s_waitcnt vmcnt(3) lgkmcnt(0)
	v_pk_mul_f32 v[16:17], v[108:109], v[112:113] op_sel:[1,1] op_sel_hi:[0,1]
	v_mul_f32_e32 v127, v56, v53
	v_fmac_f32_e32 v125, v55, v50
	v_add_f32_e32 v129, v107, v140
	v_fma_f32 v124, v54, v50, -v2
	v_mul_f32_e32 v2, v57, v53
	v_pk_fma_f32 v[18:19], v[108:109], v[112:113], v[16:17] neg_lo:[0,0,1] neg_hi:[0,0,1]
	v_pk_fma_f32 v[16:17], v[108:109], v[112:113], v[16:17] op_sel_hi:[1,0,1]
	v_fmac_f32_e32 v127, v57, v52
	v_fma_f32 v126, v56, v52, -v2
	ds_read2_b64 v[2:5], v106 offset0:93 offset1:94
	ds_read2_b64 v[6:9], v106 offset0:95 offset1:96
	;; [unrolled: 1-line block ×3, first 2 shown]
	v_pk_add_f32 v[14:15], v[128:129], v[124:125]
	v_mov_b32_e32 v16, v115
	v_pk_add_f32 v[14:15], v[14:15], v[126:127]
	v_mov_b32_e32 v19, v17
	v_pk_mul_f32 v[16:17], v[110:111], v[16:17] op_sel:[1,0] op_sel_hi:[0,0]
	v_pk_add_f32 v[14:15], v[14:15], v[18:19]
	v_pk_fma_f32 v[18:19], v[110:111], v[114:115], v[16:17] neg_lo:[0,0,1] neg_hi:[0,0,1]
	v_pk_fma_f32 v[16:17], v[110:111], v[114:115], v[16:17] op_sel_hi:[1,0,1]
	s_nop 0
	v_mov_b32_e32 v19, v17
	s_waitcnt vmcnt(2) lgkmcnt(2)
	v_pk_mul_f32 v[16:17], v[2:3], v[116:117] op_sel:[1,1] op_sel_hi:[0,1]
	v_pk_add_f32 v[14:15], v[14:15], v[18:19]
	v_pk_fma_f32 v[18:19], v[2:3], v[116:117], v[16:17] neg_lo:[0,0,1] neg_hi:[0,0,1]
	v_pk_fma_f32 v[2:3], v[2:3], v[116:117], v[16:17] op_sel_hi:[1,0,1]
	s_nop 0
	v_mov_b32_e32 v19, v3
	v_pk_add_f32 v[2:3], v[14:15], v[18:19]
	v_mov_b32_e32 v14, v119
	v_pk_mul_f32 v[14:15], v[4:5], v[14:15] op_sel:[1,0] op_sel_hi:[0,0]
	v_pk_fma_f32 v[16:17], v[4:5], v[118:119], v[14:15] neg_lo:[0,0,1] neg_hi:[0,0,1]
	v_pk_fma_f32 v[4:5], v[4:5], v[118:119], v[14:15] op_sel_hi:[1,0,1]
	s_nop 0
	v_mov_b32_e32 v17, v5
	s_waitcnt vmcnt(1) lgkmcnt(1)
	v_pk_mul_f32 v[4:5], v[6:7], v[220:221] op_sel:[1,1] op_sel_hi:[0,1]
	v_pk_fma_f32 v[14:15], v[6:7], v[220:221], v[4:5] neg_lo:[0,0,1] neg_hi:[0,0,1]
	v_pk_fma_f32 v[4:5], v[6:7], v[220:221], v[4:5] op_sel_hi:[1,0,1]
	v_pk_add_f32 v[2:3], v[2:3], v[16:17]
	v_mov_b32_e32 v4, v223
	v_mov_b32_e32 v15, v5
	v_pk_mul_f32 v[4:5], v[8:9], v[4:5] op_sel:[1,0] op_sel_hi:[0,0]
	v_pk_fma_f32 v[6:7], v[8:9], v[222:223], v[4:5] neg_lo:[0,0,1] neg_hi:[0,0,1]
	v_pk_fma_f32 v[4:5], v[8:9], v[222:223], v[4:5] op_sel_hi:[1,0,1]
	v_pk_add_f32 v[2:3], v[2:3], v[14:15]
	v_mov_b32_e32 v7, v5
	s_waitcnt vmcnt(0) lgkmcnt(0)
	v_pk_mul_f32 v[4:5], v[10:11], v[224:225] op_sel:[1,1] op_sel_hi:[0,1]
	v_pk_add_f32 v[2:3], v[2:3], v[6:7]
	v_pk_fma_f32 v[6:7], v[10:11], v[224:225], v[4:5] neg_lo:[0,0,1] neg_hi:[0,0,1]
	v_pk_fma_f32 v[4:5], v[10:11], v[224:225], v[4:5] op_sel_hi:[1,0,1]
	s_nop 0
	v_mov_b32_e32 v4, v227
	v_mov_b32_e32 v7, v5
	v_pk_mul_f32 v[4:5], v[12:13], v[4:5] op_sel:[1,0] op_sel_hi:[0,0]
	v_pk_add_f32 v[2:3], v[2:3], v[6:7]
	v_pk_fma_f32 v[6:7], v[12:13], v[226:227], v[4:5] neg_lo:[0,0,1] neg_hi:[0,0,1]
	v_pk_fma_f32 v[4:5], v[12:13], v[226:227], v[4:5] op_sel_hi:[1,0,1]
	s_nop 0
	v_mov_b32_e32 v7, v5
	v_pk_add_f32 v[2:3], v[2:3], v[6:7]
	s_nop 0
	v_pk_add_f32 v[2:3], v[120:121], v[2:3] neg_lo:[0,1] neg_hi:[0,1]
	scratch_store_dwordx2 off, v[2:3], off offset:112
	s_and_saveexec_b64 s[0:1], vcc
	s_cbranch_execz .LBB112_281
; %bb.280:
	scratch_load_dwordx2 v[2:3], off, off offset:104
	v_mov_b32_e32 v4, 0
	v_mov_b32_e32 v5, v4
	scratch_store_dwordx2 off, v[4:5], off offset:104
	s_waitcnt vmcnt(1)
	ds_write_b64 v1, v[2:3]
.LBB112_281:
	s_or_b64 exec, exec, s[0:1]
	s_waitcnt lgkmcnt(0)
	; wave barrier
	scratch_load_dwordx4 v[2:5], off, off offset:112
	scratch_load_dwordx4 v[6:9], off, off offset:128
	;; [unrolled: 1-line block ×13, first 2 shown]
	v_mov_b32_e32 v114, 0
	scratch_load_dwordx4 v[54:57], off, off offset:320
	scratch_load_dwordx2 v[120:121], off, off offset:104
	ds_read_b128 v[58:61], v114 offset:512
	ds_read_b128 v[62:65], v114 offset:528
	;; [unrolled: 1-line block ×14, first 2 shown]
	v_cmp_lt_u32_e32 vcc, 12, v0
	s_waitcnt vmcnt(14) lgkmcnt(13)
	v_mul_f32_e32 v115, v58, v3
	v_mul_f32_e32 v116, v60, v5
	v_fmac_f32_e32 v115, v59, v2
	s_waitcnt vmcnt(13) lgkmcnt(12)
	v_mul_f32_e32 v117, v62, v7
	v_fmac_f32_e32 v116, v61, v4
	v_add_f32_e32 v115, 0, v115
	v_mul_f32_e32 v118, v64, v9
	v_fmac_f32_e32 v117, v63, v6
	v_add_f32_e32 v115, v115, v116
	s_waitcnt vmcnt(12) lgkmcnt(11)
	v_mul_f32_e32 v119, v66, v11
	v_fmac_f32_e32 v118, v65, v8
	v_add_f32_e32 v115, v115, v117
	v_mul_f32_e32 v124, v68, v13
	v_fmac_f32_e32 v119, v67, v10
	v_add_f32_e32 v115, v115, v118
	s_waitcnt vmcnt(11) lgkmcnt(10)
	v_mul_f32_e32 v125, v70, v15
	v_fmac_f32_e32 v124, v69, v12
	v_add_f32_e32 v115, v115, v119
	scratch_load_dwordx4 v[116:119], off, off offset:336
	v_mul_f32_e32 v126, v72, v17
	v_fmac_f32_e32 v125, v71, v14
	v_add_f32_e32 v115, v115, v124
	s_waitcnt vmcnt(11) lgkmcnt(9)
	v_mul_f32_e32 v127, v74, v19
	v_fmac_f32_e32 v126, v73, v16
	v_add_f32_e32 v115, v115, v125
	v_mul_f32_e32 v128, v76, v21
	v_fmac_f32_e32 v127, v75, v18
	v_add_f32_e32 v115, v115, v126
	s_waitcnt vmcnt(10) lgkmcnt(8)
	v_mul_f32_e32 v129, v78, v23
	v_fmac_f32_e32 v128, v77, v20
	v_add_f32_e32 v115, v115, v127
	;; [unrolled: 7-line block ×3, first 2 shown]
	v_fmac_f32_e32 v131, v83, v26
	v_add_f32_e32 v115, v115, v130
	v_add_f32_e32 v115, v115, v131
	scratch_load_dwordx4 v[220:223], off, off offset:352
	scratch_load_dwordx4 v[224:227], off, off offset:368
	scratch_load_dwordx2 v[130:131], off, off offset:384
	v_mul_f32_e32 v3, v59, v3
	v_fma_f32 v2, v58, v2, -v3
	v_mul_f32_e32 v3, v61, v5
	v_add_f32_e32 v2, 0, v2
	v_fma_f32 v3, v60, v4, -v3
	v_add_f32_e32 v2, v2, v3
	v_mul_f32_e32 v3, v63, v7
	v_fma_f32 v3, v62, v6, -v3
	v_add_f32_e32 v2, v2, v3
	v_mul_f32_e32 v3, v65, v9
	;; [unrolled: 3-line block ×12, first 2 shown]
	v_fma_f32 v3, v84, v28, -v3
	v_add_f32_e32 v2, v2, v3
	s_waitcnt vmcnt(11) lgkmcnt(6)
	v_mul_f32_e32 v3, v87, v31
	v_fma_f32 v3, v86, v30, -v3
	v_add_f32_e32 v2, v2, v3
	v_mul_f32_e32 v3, v89, v33
	v_fma_f32 v3, v88, v32, -v3
	v_add_f32_e32 v2, v2, v3
	s_waitcnt vmcnt(10) lgkmcnt(5)
	v_mul_f32_e32 v3, v91, v35
	v_fma_f32 v3, v90, v34, -v3
	v_add_f32_e32 v2, v2, v3
	v_mul_f32_e32 v3, v93, v37
	v_fma_f32 v3, v92, v36, -v3
	v_add_f32_e32 v2, v2, v3
	s_waitcnt vmcnt(9) lgkmcnt(4)
	v_mul_f32_e32 v3, v95, v39
	v_fma_f32 v3, v94, v38, -v3
	v_add_f32_e32 v2, v2, v3
	v_mul_f32_e32 v3, v97, v41
	v_mul_f32_e32 v132, v84, v29
	v_fma_f32 v3, v96, v40, -v3
	v_mul_f32_e32 v133, v86, v31
	v_fmac_f32_e32 v132, v85, v28
	v_add_f32_e32 v2, v2, v3
	s_waitcnt vmcnt(8) lgkmcnt(3)
	v_mul_f32_e32 v3, v99, v43
	v_mul_f32_e32 v134, v88, v33
	v_fmac_f32_e32 v133, v87, v30
	v_add_f32_e32 v115, v115, v132
	v_fma_f32 v3, v98, v42, -v3
	v_mul_f32_e32 v135, v90, v35
	v_fmac_f32_e32 v134, v89, v32
	v_add_f32_e32 v115, v115, v133
	v_add_f32_e32 v2, v2, v3
	v_mul_f32_e32 v3, v101, v45
	v_mul_f32_e32 v136, v92, v37
	v_fmac_f32_e32 v135, v91, v34
	v_add_f32_e32 v115, v115, v134
	v_fma_f32 v3, v100, v44, -v3
	v_mul_f32_e32 v137, v94, v39
	v_fmac_f32_e32 v136, v93, v36
	v_add_f32_e32 v115, v115, v135
	v_add_f32_e32 v2, v2, v3
	s_waitcnt vmcnt(7) lgkmcnt(2)
	v_mul_f32_e32 v3, v103, v47
	v_mul_f32_e32 v138, v96, v41
	v_fmac_f32_e32 v137, v95, v38
	v_add_f32_e32 v115, v115, v136
	v_fma_f32 v3, v102, v46, -v3
	v_mul_f32_e32 v139, v98, v43
	v_fmac_f32_e32 v138, v97, v40
	v_add_f32_e32 v115, v115, v137
	v_add_f32_e32 v2, v2, v3
	v_mul_f32_e32 v3, v105, v49
	v_mul_f32_e32 v140, v100, v45
	v_fmac_f32_e32 v139, v99, v42
	v_add_f32_e32 v115, v115, v138
	v_fma_f32 v3, v104, v48, -v3
	v_mul_f32_e32 v141, v102, v47
	v_fmac_f32_e32 v140, v101, v44
	v_add_f32_e32 v115, v115, v139
	v_add_f32_e32 v2, v2, v3
	s_waitcnt vmcnt(6) lgkmcnt(1)
	v_mul_f32_e32 v3, v107, v51
	v_mul_f32_e32 v142, v104, v49
	v_fmac_f32_e32 v141, v103, v46
	v_add_f32_e32 v115, v115, v140
	v_fma_f32 v3, v106, v50, -v3
	v_mul_f32_e32 v143, v106, v51
	v_fmac_f32_e32 v142, v105, v48
	v_add_f32_e32 v115, v115, v141
	v_add_f32_e32 v124, v2, v3
	v_mul_f32_e32 v2, v109, v53
	v_fmac_f32_e32 v143, v107, v50
	v_add_f32_e32 v115, v115, v142
	v_mul_f32_e32 v127, v108, v53
	v_fma_f32 v126, v108, v52, -v2
	s_waitcnt vmcnt(5) lgkmcnt(0)
	v_mul_f32_e32 v2, v111, v55
	v_mov_b32_e32 v18, v57
	v_add_f32_e32 v125, v115, v143
	v_fmac_f32_e32 v127, v109, v52
	v_mul_f32_e32 v129, v110, v55
	v_fma_f32 v128, v110, v54, -v2
	ds_read_b128 v[2:5], v114 offset:736
	ds_read_b128 v[6:9], v114 offset:752
	;; [unrolled: 1-line block ×3, first 2 shown]
	ds_read_b64 v[14:15], v114 offset:784
	v_pk_mul_f32 v[18:19], v[112:113], v[18:19] op_sel:[1,0] op_sel_hi:[0,0]
	v_fmac_f32_e32 v129, v111, v54
	v_pk_add_f32 v[16:17], v[124:125], v[126:127]
	v_pk_fma_f32 v[20:21], v[112:113], v[56:57], v[18:19] neg_lo:[0,0,1] neg_hi:[0,0,1]
	v_pk_fma_f32 v[18:19], v[112:113], v[56:57], v[18:19] op_sel_hi:[1,0,1]
	v_pk_add_f32 v[16:17], v[16:17], v[128:129]
	v_mov_b32_e32 v21, v19
	s_waitcnt vmcnt(3) lgkmcnt(3)
	v_pk_mul_f32 v[18:19], v[2:3], v[116:117] op_sel:[1,1] op_sel_hi:[0,1]
	v_pk_add_f32 v[16:17], v[16:17], v[20:21]
	v_pk_fma_f32 v[20:21], v[2:3], v[116:117], v[18:19] neg_lo:[0,0,1] neg_hi:[0,0,1]
	v_pk_fma_f32 v[2:3], v[2:3], v[116:117], v[18:19] op_sel_hi:[1,0,1]
	s_nop 0
	v_mov_b32_e32 v21, v3
	v_pk_add_f32 v[2:3], v[16:17], v[20:21]
	v_mov_b32_e32 v16, v119
	v_pk_mul_f32 v[16:17], v[4:5], v[16:17] op_sel:[1,0] op_sel_hi:[0,0]
	v_pk_fma_f32 v[18:19], v[4:5], v[118:119], v[16:17] neg_lo:[0,0,1] neg_hi:[0,0,1]
	v_pk_fma_f32 v[4:5], v[4:5], v[118:119], v[16:17] op_sel_hi:[1,0,1]
	s_nop 0
	v_mov_b32_e32 v19, v5
	s_waitcnt vmcnt(2) lgkmcnt(2)
	v_pk_mul_f32 v[4:5], v[6:7], v[220:221] op_sel:[1,1] op_sel_hi:[0,1]
	v_pk_fma_f32 v[16:17], v[6:7], v[220:221], v[4:5] neg_lo:[0,0,1] neg_hi:[0,0,1]
	v_pk_fma_f32 v[4:5], v[6:7], v[220:221], v[4:5] op_sel_hi:[1,0,1]
	v_pk_add_f32 v[2:3], v[2:3], v[18:19]
	v_mov_b32_e32 v4, v223
	v_mov_b32_e32 v17, v5
	v_pk_mul_f32 v[4:5], v[8:9], v[4:5] op_sel:[1,0] op_sel_hi:[0,0]
	v_pk_fma_f32 v[6:7], v[8:9], v[222:223], v[4:5] neg_lo:[0,0,1] neg_hi:[0,0,1]
	v_pk_fma_f32 v[4:5], v[8:9], v[222:223], v[4:5] op_sel_hi:[1,0,1]
	v_pk_add_f32 v[2:3], v[2:3], v[16:17]
	v_mov_b32_e32 v7, v5
	s_waitcnt vmcnt(1) lgkmcnt(1)
	v_pk_mul_f32 v[4:5], v[10:11], v[224:225] op_sel:[1,1] op_sel_hi:[0,1]
	v_pk_add_f32 v[2:3], v[2:3], v[6:7]
	v_pk_fma_f32 v[6:7], v[10:11], v[224:225], v[4:5] neg_lo:[0,0,1] neg_hi:[0,0,1]
	v_pk_fma_f32 v[4:5], v[10:11], v[224:225], v[4:5] op_sel_hi:[1,0,1]
	s_nop 0
	v_mov_b32_e32 v4, v227
	v_mov_b32_e32 v7, v5
	v_pk_mul_f32 v[4:5], v[12:13], v[4:5] op_sel:[1,0] op_sel_hi:[0,0]
	v_pk_add_f32 v[2:3], v[2:3], v[6:7]
	v_pk_fma_f32 v[6:7], v[12:13], v[226:227], v[4:5] neg_lo:[0,0,1] neg_hi:[0,0,1]
	v_pk_fma_f32 v[4:5], v[12:13], v[226:227], v[4:5] op_sel_hi:[1,0,1]
	s_nop 0
	v_mov_b32_e32 v7, v5
	s_waitcnt vmcnt(0) lgkmcnt(0)
	v_pk_mul_f32 v[4:5], v[14:15], v[130:131] op_sel:[1,1] op_sel_hi:[0,1]
	v_pk_add_f32 v[2:3], v[2:3], v[6:7]
	v_pk_fma_f32 v[6:7], v[14:15], v[130:131], v[4:5] neg_lo:[0,0,1] neg_hi:[0,0,1]
	v_pk_fma_f32 v[4:5], v[14:15], v[130:131], v[4:5] op_sel_hi:[1,0,1]
	s_nop 0
	v_mov_b32_e32 v7, v5
	v_pk_add_f32 v[2:3], v[2:3], v[6:7]
	s_nop 0
	v_pk_add_f32 v[2:3], v[120:121], v[2:3] neg_lo:[0,1] neg_hi:[0,1]
	scratch_store_dwordx2 off, v[2:3], off offset:104
	s_and_saveexec_b64 s[0:1], vcc
	s_cbranch_execz .LBB112_283
; %bb.282:
	scratch_load_dwordx2 v[2:3], off, off offset:96
	v_mov_b32_e32 v115, v114
	scratch_store_dwordx2 off, v[114:115], off offset:96
	s_waitcnt vmcnt(1)
	ds_write_b64 v1, v[2:3]
.LBB112_283:
	s_or_b64 exec, exec, s[0:1]
	s_waitcnt lgkmcnt(0)
	; wave barrier
	scratch_load_dwordx4 v[2:5], off, off offset:104
	scratch_load_dwordx4 v[6:9], off, off offset:120
	;; [unrolled: 1-line block ×13, first 2 shown]
	ds_read2_b64 v[110:113], v114 offset0:63 offset1:64
	ds_read2_b64 v[106:109], v114 offset0:65 offset1:66
	;; [unrolled: 1-line block ×14, first 2 shown]
	scratch_load_dwordx4 v[66:69], off, off offset:312
	scratch_load_dwordx2 v[120:121], off, off offset:96
	v_cmp_lt_u32_e32 vcc, 11, v0
	s_waitcnt vmcnt(14) lgkmcnt(13)
	v_mul_f32_e32 v115, v110, v3
	v_mul_f32_e32 v116, v112, v5
	v_fmac_f32_e32 v115, v111, v2
	s_waitcnt vmcnt(13) lgkmcnt(12)
	v_mul_f32_e32 v117, v106, v7
	v_fmac_f32_e32 v116, v113, v4
	v_add_f32_e32 v115, 0, v115
	v_mul_f32_e32 v118, v108, v9
	v_fmac_f32_e32 v117, v107, v6
	v_add_f32_e32 v115, v115, v116
	s_waitcnt vmcnt(12) lgkmcnt(11)
	v_mul_f32_e32 v119, v102, v11
	v_fmac_f32_e32 v118, v109, v8
	v_add_f32_e32 v115, v115, v117
	v_fmac_f32_e32 v119, v103, v10
	v_add_f32_e32 v115, v115, v118
	v_add_f32_e32 v115, v115, v119
	scratch_load_dwordx4 v[116:119], off, off offset:328
	scratch_load_dwordx4 v[220:223], off, off offset:344
	;; [unrolled: 1-line block ×4, first 2 shown]
	v_mul_f32_e32 v3, v111, v3
	v_fma_f32 v2, v110, v2, -v3
	v_mul_f32_e32 v3, v113, v5
	v_add_f32_e32 v2, 0, v2
	v_fma_f32 v3, v112, v4, -v3
	v_add_f32_e32 v2, v2, v3
	v_mul_f32_e32 v3, v107, v7
	v_fma_f32 v3, v106, v6, -v3
	v_add_f32_e32 v2, v2, v3
	v_mul_f32_e32 v3, v109, v9
	;; [unrolled: 3-line block ×4, first 2 shown]
	v_fma_f32 v3, v104, v12, -v3
	v_add_f32_e32 v2, v2, v3
	s_waitcnt vmcnt(15) lgkmcnt(10)
	v_mul_f32_e32 v3, v99, v15
	v_fma_f32 v3, v98, v14, -v3
	v_add_f32_e32 v2, v2, v3
	v_mul_f32_e32 v3, v101, v17
	v_fma_f32 v3, v100, v16, -v3
	v_add_f32_e32 v2, v2, v3
	s_waitcnt vmcnt(14) lgkmcnt(9)
	v_mul_f32_e32 v3, v95, v19
	v_fma_f32 v3, v94, v18, -v3
	v_add_f32_e32 v2, v2, v3
	v_mul_f32_e32 v3, v97, v21
	v_fma_f32 v3, v96, v20, -v3
	v_add_f32_e32 v2, v2, v3
	s_waitcnt vmcnt(13) lgkmcnt(8)
	v_mul_f32_e32 v3, v91, v23
	v_fma_f32 v3, v90, v22, -v3
	v_add_f32_e32 v2, v2, v3
	v_mul_f32_e32 v3, v93, v25
	v_fma_f32 v3, v92, v24, -v3
	v_add_f32_e32 v2, v2, v3
	s_waitcnt vmcnt(12) lgkmcnt(7)
	v_mul_f32_e32 v3, v87, v27
	v_fma_f32 v3, v86, v26, -v3
	v_add_f32_e32 v2, v2, v3
	v_mul_f32_e32 v3, v89, v29
	v_fma_f32 v3, v88, v28, -v3
	v_add_f32_e32 v2, v2, v3
	s_waitcnt vmcnt(11) lgkmcnt(6)
	v_mul_f32_e32 v3, v83, v31
	v_fma_f32 v3, v82, v30, -v3
	v_add_f32_e32 v2, v2, v3
	v_mul_f32_e32 v3, v85, v33
	v_fma_f32 v3, v84, v32, -v3
	v_add_f32_e32 v2, v2, v3
	s_waitcnt vmcnt(10) lgkmcnt(5)
	v_mul_f32_e32 v3, v79, v35
	v_fma_f32 v3, v78, v34, -v3
	v_mul_f32_e32 v124, v104, v13
	v_add_f32_e32 v2, v2, v3
	v_mul_f32_e32 v3, v81, v37
	v_mul_f32_e32 v125, v98, v15
	v_fmac_f32_e32 v124, v105, v12
	v_fma_f32 v3, v80, v36, -v3
	v_mul_f32_e32 v126, v100, v17
	v_fmac_f32_e32 v125, v99, v14
	v_add_f32_e32 v115, v115, v124
	v_add_f32_e32 v2, v2, v3
	s_waitcnt vmcnt(9) lgkmcnt(4)
	v_mul_f32_e32 v3, v75, v39
	v_mul_f32_e32 v127, v94, v19
	v_fmac_f32_e32 v126, v101, v16
	v_add_f32_e32 v115, v115, v125
	v_fma_f32 v3, v74, v38, -v3
	v_mul_f32_e32 v128, v96, v21
	v_fmac_f32_e32 v127, v95, v18
	v_add_f32_e32 v115, v115, v126
	v_add_f32_e32 v2, v2, v3
	v_mul_f32_e32 v3, v77, v41
	v_mul_f32_e32 v129, v90, v23
	v_fmac_f32_e32 v128, v97, v20
	v_add_f32_e32 v115, v115, v127
	v_fma_f32 v3, v76, v40, -v3
	v_mul_f32_e32 v130, v92, v25
	v_fmac_f32_e32 v129, v91, v22
	v_add_f32_e32 v115, v115, v128
	v_add_f32_e32 v2, v2, v3
	s_waitcnt vmcnt(8) lgkmcnt(3)
	v_mul_f32_e32 v3, v71, v43
	v_mul_f32_e32 v131, v86, v27
	v_fmac_f32_e32 v130, v93, v24
	v_add_f32_e32 v115, v115, v129
	v_fma_f32 v3, v70, v42, -v3
	v_mul_f32_e32 v132, v88, v29
	v_fmac_f32_e32 v131, v87, v26
	v_add_f32_e32 v115, v115, v130
	v_add_f32_e32 v2, v2, v3
	v_mul_f32_e32 v3, v73, v45
	v_mul_f32_e32 v133, v82, v31
	v_fmac_f32_e32 v132, v89, v28
	v_add_f32_e32 v115, v115, v131
	;; [unrolled: 19-line block ×4, first 2 shown]
	v_fma_f32 v3, v56, v52, -v3
	v_mul_f32_e32 v142, v64, v49
	v_fmac_f32_e32 v141, v63, v46
	v_add_f32_e32 v115, v115, v140
	v_add_f32_e32 v124, v2, v3
	s_waitcnt vmcnt(5) lgkmcnt(0)
	v_mul_f32_e32 v2, v59, v67
	v_mul_f32_e32 v143, v54, v51
	v_fmac_f32_e32 v142, v65, v48
	v_add_f32_e32 v115, v115, v141
	v_fma_f32 v126, v58, v66, -v2
	v_mul_f32_e32 v2, v61, v69
	v_mul_f32_e32 v144, v56, v53
	v_fmac_f32_e32 v143, v55, v50
	v_add_f32_e32 v115, v115, v142
	v_fma_f32 v128, v60, v68, -v2
	ds_read2_b64 v[2:5], v114 offset0:91 offset1:92
	ds_read2_b64 v[6:9], v114 offset0:93 offset1:94
	;; [unrolled: 1-line block ×4, first 2 shown]
	v_add_f32_e32 v115, v115, v143
	v_fmac_f32_e32 v144, v57, v52
	v_mul_f32_e32 v127, v58, v67
	v_add_f32_e32 v125, v115, v144
	v_fmac_f32_e32 v127, v59, v66
	v_mul_f32_e32 v129, v60, v69
	s_waitcnt vmcnt(3) lgkmcnt(3)
	v_pk_mul_f32 v[20:21], v[2:3], v[116:117] op_sel:[1,1] op_sel_hi:[0,1]
	v_fmac_f32_e32 v129, v61, v68
	v_pk_add_f32 v[18:19], v[124:125], v[126:127]
	v_pk_fma_f32 v[22:23], v[2:3], v[116:117], v[20:21] neg_lo:[0,0,1] neg_hi:[0,0,1]
	v_pk_fma_f32 v[2:3], v[2:3], v[116:117], v[20:21] op_sel_hi:[1,0,1]
	v_pk_add_f32 v[18:19], v[18:19], v[128:129]
	v_mov_b32_e32 v23, v3
	v_pk_add_f32 v[2:3], v[18:19], v[22:23]
	v_mov_b32_e32 v18, v119
	v_pk_mul_f32 v[18:19], v[4:5], v[18:19] op_sel:[1,0] op_sel_hi:[0,0]
	v_pk_fma_f32 v[20:21], v[4:5], v[118:119], v[18:19] neg_lo:[0,0,1] neg_hi:[0,0,1]
	v_pk_fma_f32 v[4:5], v[4:5], v[118:119], v[18:19] op_sel_hi:[1,0,1]
	s_nop 0
	v_mov_b32_e32 v21, v5
	s_waitcnt vmcnt(2) lgkmcnt(2)
	v_pk_mul_f32 v[4:5], v[6:7], v[220:221] op_sel:[1,1] op_sel_hi:[0,1]
	v_pk_fma_f32 v[18:19], v[6:7], v[220:221], v[4:5] neg_lo:[0,0,1] neg_hi:[0,0,1]
	v_pk_fma_f32 v[4:5], v[6:7], v[220:221], v[4:5] op_sel_hi:[1,0,1]
	v_pk_add_f32 v[2:3], v[2:3], v[20:21]
	v_mov_b32_e32 v4, v223
	v_mov_b32_e32 v19, v5
	v_pk_mul_f32 v[4:5], v[8:9], v[4:5] op_sel:[1,0] op_sel_hi:[0,0]
	v_pk_fma_f32 v[6:7], v[8:9], v[222:223], v[4:5] neg_lo:[0,0,1] neg_hi:[0,0,1]
	v_pk_fma_f32 v[4:5], v[8:9], v[222:223], v[4:5] op_sel_hi:[1,0,1]
	v_pk_add_f32 v[2:3], v[2:3], v[18:19]
	v_mov_b32_e32 v7, v5
	s_waitcnt vmcnt(1) lgkmcnt(1)
	v_pk_mul_f32 v[4:5], v[10:11], v[224:225] op_sel:[1,1] op_sel_hi:[0,1]
	v_pk_add_f32 v[2:3], v[2:3], v[6:7]
	v_pk_fma_f32 v[6:7], v[10:11], v[224:225], v[4:5] neg_lo:[0,0,1] neg_hi:[0,0,1]
	v_pk_fma_f32 v[4:5], v[10:11], v[224:225], v[4:5] op_sel_hi:[1,0,1]
	s_nop 0
	v_mov_b32_e32 v4, v227
	v_mov_b32_e32 v7, v5
	v_pk_mul_f32 v[4:5], v[12:13], v[4:5] op_sel:[1,0] op_sel_hi:[0,0]
	v_pk_add_f32 v[2:3], v[2:3], v[6:7]
	v_pk_fma_f32 v[6:7], v[12:13], v[226:227], v[4:5] neg_lo:[0,0,1] neg_hi:[0,0,1]
	v_pk_fma_f32 v[4:5], v[12:13], v[226:227], v[4:5] op_sel_hi:[1,0,1]
	s_nop 0
	v_mov_b32_e32 v7, v5
	s_waitcnt vmcnt(0) lgkmcnt(0)
	v_pk_mul_f32 v[4:5], v[14:15], v[228:229] op_sel:[1,1] op_sel_hi:[0,1]
	v_pk_add_f32 v[2:3], v[2:3], v[6:7]
	v_pk_fma_f32 v[6:7], v[14:15], v[228:229], v[4:5] neg_lo:[0,0,1] neg_hi:[0,0,1]
	v_pk_fma_f32 v[4:5], v[14:15], v[228:229], v[4:5] op_sel_hi:[1,0,1]
	s_nop 0
	v_mov_b32_e32 v4, v231
	v_mov_b32_e32 v7, v5
	v_pk_mul_f32 v[4:5], v[16:17], v[4:5] op_sel:[1,0] op_sel_hi:[0,0]
	v_pk_add_f32 v[2:3], v[2:3], v[6:7]
	v_pk_fma_f32 v[6:7], v[16:17], v[230:231], v[4:5] neg_lo:[0,0,1] neg_hi:[0,0,1]
	v_pk_fma_f32 v[4:5], v[16:17], v[230:231], v[4:5] op_sel_hi:[1,0,1]
	s_nop 0
	v_mov_b32_e32 v7, v5
	v_pk_add_f32 v[2:3], v[2:3], v[6:7]
	s_nop 0
	v_pk_add_f32 v[2:3], v[120:121], v[2:3] neg_lo:[0,1] neg_hi:[0,1]
	scratch_store_dwordx2 off, v[2:3], off offset:96
	s_and_saveexec_b64 s[0:1], vcc
	s_cbranch_execz .LBB112_285
; %bb.284:
	scratch_load_dwordx2 v[2:3], off, off offset:88
	v_mov_b32_e32 v4, 0
	v_mov_b32_e32 v5, v4
	scratch_store_dwordx2 off, v[4:5], off offset:88
	s_waitcnt vmcnt(1)
	ds_write_b64 v1, v[2:3]
.LBB112_285:
	s_or_b64 exec, exec, s[0:1]
	s_waitcnt lgkmcnt(0)
	; wave barrier
	scratch_load_dwordx4 v[2:5], off, off offset:96
	scratch_load_dwordx4 v[6:9], off, off offset:112
	scratch_load_dwordx4 v[10:13], off, off offset:128
	scratch_load_dwordx4 v[14:17], off, off offset:144
	scratch_load_dwordx4 v[18:21], off, off offset:160
	scratch_load_dwordx4 v[22:25], off, off offset:176
	scratch_load_dwordx4 v[26:29], off, off offset:192
	scratch_load_dwordx4 v[30:33], off, off offset:208
	scratch_load_dwordx4 v[34:37], off, off offset:224
	scratch_load_dwordx4 v[38:41], off, off offset:240
	scratch_load_dwordx4 v[42:45], off, off offset:256
	scratch_load_dwordx4 v[46:49], off, off offset:272
	scratch_load_dwordx4 v[50:53], off, off offset:288
	v_mov_b32_e32 v118, 0
	scratch_load_dwordx4 v[54:57], off, off offset:304
	scratch_load_dwordx4 v[58:61], off, off offset:320
	scratch_load_dwordx2 v[120:121], off, off offset:88
	ds_read_b128 v[62:65], v118 offset:496
	ds_read_b128 v[66:69], v118 offset:512
	;; [unrolled: 1-line block ×16, first 2 shown]
	v_cmp_lt_u32_e32 vcc, 10, v0
	s_waitcnt vmcnt(15) lgkmcnt(14)
	v_mul_f32_e32 v119, v62, v3
	v_mul_f32_e32 v124, v64, v5
	v_fmac_f32_e32 v119, v63, v2
	s_waitcnt vmcnt(14)
	v_mul_f32_e32 v125, v66, v7
	v_fmac_f32_e32 v124, v65, v4
	v_add_f32_e32 v119, 0, v119
	v_mul_f32_e32 v126, v68, v9
	v_fmac_f32_e32 v125, v67, v6
	v_add_f32_e32 v119, v119, v124
	s_waitcnt vmcnt(13) lgkmcnt(13)
	v_mul_f32_e32 v127, v70, v11
	v_fmac_f32_e32 v126, v69, v8
	v_add_f32_e32 v119, v119, v125
	v_mul_f32_e32 v128, v72, v13
	v_fmac_f32_e32 v127, v71, v10
	v_add_f32_e32 v119, v119, v126
	s_waitcnt vmcnt(12) lgkmcnt(12)
	;; [unrolled: 7-line block ×3, first 2 shown]
	v_mul_f32_e32 v131, v78, v19
	v_fmac_f32_e32 v130, v77, v16
	v_add_f32_e32 v119, v119, v129
	v_fmac_f32_e32 v131, v79, v18
	v_add_f32_e32 v119, v119, v130
	v_add_f32_e32 v119, v119, v131
	scratch_load_dwordx4 v[228:231], off, off offset:336
	scratch_load_dwordx4 v[232:235], off, off offset:352
	;; [unrolled: 1-line block ×3, first 2 shown]
	scratch_load_dwordx2 v[130:131], off, off offset:384
	v_mul_f32_e32 v3, v63, v3
	v_fma_f32 v2, v62, v2, -v3
	v_mul_f32_e32 v3, v65, v5
	v_add_f32_e32 v2, 0, v2
	v_fma_f32 v3, v64, v4, -v3
	v_add_f32_e32 v2, v2, v3
	v_mul_f32_e32 v3, v67, v7
	v_fma_f32 v3, v66, v6, -v3
	v_add_f32_e32 v2, v2, v3
	v_mul_f32_e32 v3, v69, v9
	;; [unrolled: 3-line block ×8, first 2 shown]
	v_fma_f32 v3, v80, v20, -v3
	v_add_f32_e32 v2, v2, v3
	s_waitcnt vmcnt(14) lgkmcnt(10)
	v_mul_f32_e32 v3, v83, v23
	v_fma_f32 v3, v82, v22, -v3
	v_add_f32_e32 v2, v2, v3
	v_mul_f32_e32 v3, v85, v25
	v_fma_f32 v3, v84, v24, -v3
	v_add_f32_e32 v2, v2, v3
	s_waitcnt vmcnt(13) lgkmcnt(9)
	v_mul_f32_e32 v3, v87, v27
	v_fma_f32 v3, v86, v26, -v3
	v_add_f32_e32 v2, v2, v3
	v_mul_f32_e32 v3, v89, v29
	;; [unrolled: 7-line block ×3, first 2 shown]
	v_fma_f32 v3, v92, v32, -v3
	v_add_f32_e32 v2, v2, v3
	s_waitcnt vmcnt(11) lgkmcnt(7)
	v_mul_f32_e32 v3, v95, v35
	v_fma_f32 v3, v94, v34, -v3
	v_mul_f32_e32 v132, v80, v21
	v_add_f32_e32 v2, v2, v3
	v_mul_f32_e32 v3, v97, v37
	v_mul_f32_e32 v133, v82, v23
	v_fmac_f32_e32 v132, v81, v20
	v_fma_f32 v3, v96, v36, -v3
	v_mul_f32_e32 v134, v84, v25
	v_fmac_f32_e32 v133, v83, v22
	v_add_f32_e32 v119, v119, v132
	v_add_f32_e32 v2, v2, v3
	s_waitcnt vmcnt(10) lgkmcnt(6)
	v_mul_f32_e32 v3, v99, v39
	v_mul_f32_e32 v135, v86, v27
	v_fmac_f32_e32 v134, v85, v24
	v_add_f32_e32 v119, v119, v133
	v_fma_f32 v3, v98, v38, -v3
	v_mul_f32_e32 v136, v88, v29
	v_fmac_f32_e32 v135, v87, v26
	v_add_f32_e32 v119, v119, v134
	v_add_f32_e32 v2, v2, v3
	v_mul_f32_e32 v3, v101, v41
	v_mul_f32_e32 v137, v90, v31
	v_fmac_f32_e32 v136, v89, v28
	v_add_f32_e32 v119, v119, v135
	v_fma_f32 v3, v100, v40, -v3
	v_mul_f32_e32 v138, v92, v33
	v_fmac_f32_e32 v137, v91, v30
	v_add_f32_e32 v119, v119, v136
	v_add_f32_e32 v2, v2, v3
	s_waitcnt vmcnt(9) lgkmcnt(5)
	v_mul_f32_e32 v3, v103, v43
	v_mul_f32_e32 v139, v94, v35
	v_fmac_f32_e32 v138, v93, v32
	v_add_f32_e32 v119, v119, v137
	v_fma_f32 v3, v102, v42, -v3
	v_mul_f32_e32 v140, v96, v37
	v_fmac_f32_e32 v139, v95, v34
	v_add_f32_e32 v119, v119, v138
	v_add_f32_e32 v2, v2, v3
	v_mul_f32_e32 v3, v105, v45
	v_mul_f32_e32 v141, v98, v39
	v_fmac_f32_e32 v140, v97, v36
	v_add_f32_e32 v119, v119, v139
	;; [unrolled: 19-line block ×3, first 2 shown]
	v_fma_f32 v3, v108, v48, -v3
	v_mul_f32_e32 v146, v108, v49
	v_fmac_f32_e32 v145, v107, v46
	v_add_f32_e32 v119, v119, v144
	v_add_f32_e32 v2, v2, v3
	s_waitcnt vmcnt(7) lgkmcnt(3)
	v_mul_f32_e32 v3, v111, v51
	v_mul_f32_e32 v147, v110, v51
	v_fmac_f32_e32 v146, v109, v48
	v_add_f32_e32 v119, v119, v145
	v_fma_f32 v3, v110, v50, -v3
	v_add_f32_e32 v119, v119, v146
	v_fmac_f32_e32 v147, v111, v50
	v_mul_f32_e32 v124, v112, v53
	v_add_f32_e32 v2, v2, v3
	v_mul_f32_e32 v3, v113, v53
	v_add_f32_e32 v119, v119, v147
	v_fmac_f32_e32 v124, v113, v52
	v_fma_f32 v3, v112, v52, -v3
	v_add_f32_e32 v119, v119, v124
	s_waitcnt vmcnt(6) lgkmcnt(2)
	v_mul_f32_e32 v124, v114, v55
	v_add_f32_e32 v2, v2, v3
	v_mul_f32_e32 v3, v115, v55
	v_fmac_f32_e32 v124, v115, v54
	v_fma_f32 v3, v114, v54, -v3
	v_add_f32_e32 v125, v119, v124
	v_mul_f32_e32 v127, v116, v57
	v_add_f32_e32 v124, v2, v3
	v_mul_f32_e32 v2, v117, v57
	s_waitcnt vmcnt(5)
	v_mov_b32_e32 v14, v61
	v_fmac_f32_e32 v127, v117, v56
	s_waitcnt lgkmcnt(1)
	v_mul_f32_e32 v129, v220, v59
	v_fma_f32 v126, v116, v56, -v2
	v_mul_f32_e32 v2, v221, v59
	v_pk_mul_f32 v[14:15], v[222:223], v[14:15] op_sel:[1,0] op_sel_hi:[0,0]
	v_fmac_f32_e32 v129, v221, v58
	v_fma_f32 v128, v220, v58, -v2
	v_pk_add_f32 v[12:13], v[124:125], v[126:127]
	v_pk_fma_f32 v[16:17], v[222:223], v[60:61], v[14:15] neg_lo:[0,0,1] neg_hi:[0,0,1]
	v_pk_fma_f32 v[14:15], v[222:223], v[60:61], v[14:15] op_sel_hi:[1,0,1]
	v_pk_add_f32 v[12:13], v[12:13], v[128:129]
	v_mov_b32_e32 v17, v15
	s_waitcnt vmcnt(3) lgkmcnt(0)
	v_pk_mul_f32 v[14:15], v[224:225], v[228:229] op_sel:[1,1] op_sel_hi:[0,1]
	v_pk_add_f32 v[12:13], v[12:13], v[16:17]
	v_pk_fma_f32 v[16:17], v[224:225], v[228:229], v[14:15] neg_lo:[0,0,1] neg_hi:[0,0,1]
	v_pk_fma_f32 v[14:15], v[224:225], v[228:229], v[14:15] op_sel_hi:[1,0,1]
	ds_read_b128 v[2:5], v118 offset:752
	ds_read_b128 v[6:9], v118 offset:768
	ds_read_b64 v[10:11], v118 offset:784
	v_mov_b32_e32 v14, v231
	v_mov_b32_e32 v17, v15
	v_pk_mul_f32 v[14:15], v[226:227], v[14:15] op_sel:[1,0] op_sel_hi:[0,0]
	v_pk_add_f32 v[12:13], v[12:13], v[16:17]
	v_pk_fma_f32 v[16:17], v[226:227], v[230:231], v[14:15] neg_lo:[0,0,1] neg_hi:[0,0,1]
	v_pk_fma_f32 v[14:15], v[226:227], v[230:231], v[14:15] op_sel_hi:[1,0,1]
	s_nop 0
	v_mov_b32_e32 v17, v15
	s_waitcnt vmcnt(2) lgkmcnt(2)
	v_pk_mul_f32 v[14:15], v[2:3], v[232:233] op_sel:[1,1] op_sel_hi:[0,1]
	v_pk_add_f32 v[12:13], v[12:13], v[16:17]
	v_pk_fma_f32 v[16:17], v[2:3], v[232:233], v[14:15] neg_lo:[0,0,1] neg_hi:[0,0,1]
	v_pk_fma_f32 v[2:3], v[2:3], v[232:233], v[14:15] op_sel_hi:[1,0,1]
	s_nop 0
	v_mov_b32_e32 v17, v3
	v_pk_add_f32 v[2:3], v[12:13], v[16:17]
	v_mov_b32_e32 v12, v235
	v_pk_mul_f32 v[12:13], v[4:5], v[12:13] op_sel:[1,0] op_sel_hi:[0,0]
	v_pk_fma_f32 v[14:15], v[4:5], v[234:235], v[12:13] neg_lo:[0,0,1] neg_hi:[0,0,1]
	v_pk_fma_f32 v[4:5], v[4:5], v[234:235], v[12:13] op_sel_hi:[1,0,1]
	s_nop 0
	v_mov_b32_e32 v15, v5
	s_waitcnt vmcnt(1) lgkmcnt(1)
	v_pk_mul_f32 v[4:5], v[6:7], v[236:237] op_sel:[1,1] op_sel_hi:[0,1]
	v_pk_fma_f32 v[12:13], v[6:7], v[236:237], v[4:5] neg_lo:[0,0,1] neg_hi:[0,0,1]
	v_pk_fma_f32 v[4:5], v[6:7], v[236:237], v[4:5] op_sel_hi:[1,0,1]
	v_pk_add_f32 v[2:3], v[2:3], v[14:15]
	v_mov_b32_e32 v4, v239
	v_mov_b32_e32 v13, v5
	v_pk_mul_f32 v[4:5], v[8:9], v[4:5] op_sel:[1,0] op_sel_hi:[0,0]
	v_pk_fma_f32 v[6:7], v[8:9], v[238:239], v[4:5] neg_lo:[0,0,1] neg_hi:[0,0,1]
	v_pk_fma_f32 v[4:5], v[8:9], v[238:239], v[4:5] op_sel_hi:[1,0,1]
	v_pk_add_f32 v[2:3], v[2:3], v[12:13]
	v_mov_b32_e32 v7, v5
	s_waitcnt vmcnt(0) lgkmcnt(0)
	v_pk_mul_f32 v[4:5], v[10:11], v[130:131] op_sel:[1,1] op_sel_hi:[0,1]
	v_pk_add_f32 v[2:3], v[2:3], v[6:7]
	v_pk_fma_f32 v[6:7], v[10:11], v[130:131], v[4:5] neg_lo:[0,0,1] neg_hi:[0,0,1]
	v_pk_fma_f32 v[4:5], v[10:11], v[130:131], v[4:5] op_sel_hi:[1,0,1]
	s_nop 0
	v_mov_b32_e32 v7, v5
	v_pk_add_f32 v[2:3], v[2:3], v[6:7]
	s_nop 0
	v_pk_add_f32 v[2:3], v[120:121], v[2:3] neg_lo:[0,1] neg_hi:[0,1]
	scratch_store_dwordx2 off, v[2:3], off offset:88
	s_and_saveexec_b64 s[0:1], vcc
	s_cbranch_execz .LBB112_287
; %bb.286:
	scratch_load_dwordx2 v[2:3], off, off offset:80
	v_mov_b32_e32 v119, v118
	scratch_store_dwordx2 off, v[118:119], off offset:80
	s_waitcnt vmcnt(1)
	ds_write_b64 v1, v[2:3]
.LBB112_287:
	s_or_b64 exec, exec, s[0:1]
	s_waitcnt lgkmcnt(0)
	; wave barrier
	scratch_load_dwordx4 v[2:5], off, off offset:88
	scratch_load_dwordx4 v[6:9], off, off offset:104
	;; [unrolled: 1-line block ×13, first 2 shown]
	ds_read2_b64 v[114:117], v118 offset0:61 offset1:62
	ds_read2_b64 v[110:113], v118 offset0:63 offset1:64
	;; [unrolled: 1-line block ×14, first 2 shown]
	scratch_load_dwordx4 v[62:65], off, off offset:296
	scratch_load_dwordx4 v[70:73], off, off offset:312
	scratch_load_dwordx2 v[120:121], off, off offset:80
	ds_read2_b64 v[220:223], v118 offset0:89 offset1:90
	ds_read2_b64 v[224:227], v118 offset0:91 offset1:92
	scratch_load_dwordx4 v[228:231], off, off offset:328
	scratch_load_dwordx4 v[232:235], off, off offset:344
	;; [unrolled: 1-line block ×4, first 2 shown]
	v_cmp_lt_u32_e32 vcc, 9, v0
	s_waitcnt vmcnt(19) lgkmcnt(14)
	v_mul_f32_e32 v119, v114, v3
	v_mul_f32_e32 v3, v115, v3
	v_fmac_f32_e32 v119, v115, v2
	v_fma_f32 v2, v114, v2, -v3
	v_mul_f32_e32 v3, v117, v5
	v_add_f32_e32 v2, 0, v2
	v_fma_f32 v3, v116, v4, -v3
	v_add_f32_e32 v2, v2, v3
	s_waitcnt vmcnt(18)
	v_mul_f32_e32 v3, v111, v7
	v_fma_f32 v3, v110, v6, -v3
	v_add_f32_e32 v2, v2, v3
	v_mul_f32_e32 v3, v113, v9
	v_fma_f32 v3, v112, v8, -v3
	v_add_f32_e32 v2, v2, v3
	s_waitcnt vmcnt(17) lgkmcnt(13)
	v_mul_f32_e32 v3, v107, v11
	v_fma_f32 v3, v106, v10, -v3
	v_add_f32_e32 v2, v2, v3
	v_mul_f32_e32 v3, v109, v13
	v_fma_f32 v3, v108, v12, -v3
	v_add_f32_e32 v2, v2, v3
	s_waitcnt vmcnt(16) lgkmcnt(12)
	;; [unrolled: 7-line block ×5, first 2 shown]
	v_mul_f32_e32 v3, v91, v27
	v_fma_f32 v3, v90, v26, -v3
	v_mul_f32_e32 v124, v116, v5
	v_add_f32_e32 v2, v2, v3
	v_mul_f32_e32 v3, v93, v29
	v_mul_f32_e32 v125, v110, v7
	v_fmac_f32_e32 v124, v117, v4
	v_add_f32_e32 v119, 0, v119
	v_fma_f32 v3, v92, v28, -v3
	v_mul_f32_e32 v126, v112, v9
	v_fmac_f32_e32 v125, v111, v6
	v_add_f32_e32 v119, v119, v124
	v_add_f32_e32 v2, v2, v3
	s_waitcnt vmcnt(12) lgkmcnt(8)
	v_mul_f32_e32 v3, v87, v31
	v_mul_f32_e32 v127, v106, v11
	v_fmac_f32_e32 v126, v113, v8
	v_add_f32_e32 v119, v119, v125
	v_fma_f32 v3, v86, v30, -v3
	v_mul_f32_e32 v128, v108, v13
	v_fmac_f32_e32 v127, v107, v10
	v_add_f32_e32 v119, v119, v126
	v_add_f32_e32 v2, v2, v3
	v_mul_f32_e32 v3, v89, v33
	v_mul_f32_e32 v129, v102, v15
	v_fmac_f32_e32 v128, v109, v12
	v_add_f32_e32 v119, v119, v127
	v_fma_f32 v3, v88, v32, -v3
	v_mul_f32_e32 v130, v104, v17
	v_fmac_f32_e32 v129, v103, v14
	v_add_f32_e32 v119, v119, v128
	v_add_f32_e32 v2, v2, v3
	s_waitcnt vmcnt(11) lgkmcnt(7)
	v_mul_f32_e32 v3, v83, v35
	v_mul_f32_e32 v131, v98, v19
	v_fmac_f32_e32 v130, v105, v16
	v_add_f32_e32 v119, v119, v129
	v_fma_f32 v3, v82, v34, -v3
	v_mul_f32_e32 v132, v100, v21
	v_fmac_f32_e32 v131, v99, v18
	v_add_f32_e32 v119, v119, v130
	;; [unrolled: 19-line block ×5, first 2 shown]
	v_add_f32_e32 v2, v2, v3
	v_mul_f32_e32 v3, v69, v49
	v_mul_f32_e32 v145, v66, v47
	v_fmac_f32_e32 v144, v77, v44
	v_add_f32_e32 v119, v119, v143
	v_fma_f32 v3, v68, v48, -v3
	v_mul_f32_e32 v146, v68, v49
	v_fmac_f32_e32 v145, v67, v46
	v_add_f32_e32 v119, v119, v144
	v_add_f32_e32 v2, v2, v3
	s_waitcnt vmcnt(7) lgkmcnt(3)
	v_mul_f32_e32 v3, v55, v51
	v_mul_f32_e32 v147, v54, v51
	v_fmac_f32_e32 v146, v69, v48
	v_add_f32_e32 v119, v119, v145
	v_fma_f32 v3, v54, v50, -v3
	v_fmac_f32_e32 v147, v55, v50
	v_add_f32_e32 v119, v119, v146
	v_mul_f32_e32 v124, v56, v53
	v_add_f32_e32 v2, v2, v3
	v_mul_f32_e32 v3, v57, v53
	v_add_f32_e32 v119, v119, v147
	v_fmac_f32_e32 v124, v57, v52
	v_fma_f32 v3, v56, v52, -v3
	v_add_f32_e32 v119, v119, v124
	s_waitcnt vmcnt(6) lgkmcnt(2)
	v_mul_f32_e32 v124, v58, v63
	v_add_f32_e32 v2, v2, v3
	v_mul_f32_e32 v3, v59, v63
	v_fmac_f32_e32 v124, v59, v62
	v_fma_f32 v3, v58, v62, -v3
	v_add_f32_e32 v119, v119, v124
	v_mul_f32_e32 v124, v60, v65
	v_add_f32_e32 v2, v2, v3
	v_mul_f32_e32 v3, v61, v65
	v_fmac_f32_e32 v124, v61, v64
	v_fma_f32 v3, v60, v64, -v3
	v_add_f32_e32 v125, v119, v124
	s_waitcnt vmcnt(5) lgkmcnt(1)
	v_mul_f32_e32 v127, v220, v71
	v_add_f32_e32 v124, v2, v3
	v_mul_f32_e32 v2, v221, v71
	s_waitcnt vmcnt(3) lgkmcnt(0)
	v_pk_mul_f32 v[16:17], v[224:225], v[228:229] op_sel:[1,1] op_sel_hi:[0,1]
	v_fmac_f32_e32 v127, v221, v70
	v_mul_f32_e32 v129, v222, v73
	v_fma_f32 v126, v220, v70, -v2
	v_mul_f32_e32 v2, v223, v73
	v_pk_fma_f32 v[18:19], v[224:225], v[228:229], v[16:17] neg_lo:[0,0,1] neg_hi:[0,0,1]
	v_pk_fma_f32 v[16:17], v[224:225], v[228:229], v[16:17] op_sel_hi:[1,0,1]
	v_fmac_f32_e32 v129, v223, v72
	v_fma_f32 v128, v222, v72, -v2
	ds_read2_b64 v[2:5], v118 offset0:93 offset1:94
	ds_read2_b64 v[6:9], v118 offset0:95 offset1:96
	;; [unrolled: 1-line block ×3, first 2 shown]
	v_pk_add_f32 v[14:15], v[124:125], v[126:127]
	v_mov_b32_e32 v16, v231
	v_pk_add_f32 v[14:15], v[14:15], v[128:129]
	v_mov_b32_e32 v19, v17
	v_pk_mul_f32 v[16:17], v[226:227], v[16:17] op_sel:[1,0] op_sel_hi:[0,0]
	v_pk_add_f32 v[14:15], v[14:15], v[18:19]
	v_pk_fma_f32 v[18:19], v[226:227], v[230:231], v[16:17] neg_lo:[0,0,1] neg_hi:[0,0,1]
	v_pk_fma_f32 v[16:17], v[226:227], v[230:231], v[16:17] op_sel_hi:[1,0,1]
	s_nop 0
	v_mov_b32_e32 v19, v17
	s_waitcnt vmcnt(2) lgkmcnt(2)
	v_pk_mul_f32 v[16:17], v[2:3], v[232:233] op_sel:[1,1] op_sel_hi:[0,1]
	v_pk_add_f32 v[14:15], v[14:15], v[18:19]
	v_pk_fma_f32 v[18:19], v[2:3], v[232:233], v[16:17] neg_lo:[0,0,1] neg_hi:[0,0,1]
	v_pk_fma_f32 v[2:3], v[2:3], v[232:233], v[16:17] op_sel_hi:[1,0,1]
	s_nop 0
	v_mov_b32_e32 v19, v3
	v_pk_add_f32 v[2:3], v[14:15], v[18:19]
	v_mov_b32_e32 v14, v235
	v_pk_mul_f32 v[14:15], v[4:5], v[14:15] op_sel:[1,0] op_sel_hi:[0,0]
	v_pk_fma_f32 v[16:17], v[4:5], v[234:235], v[14:15] neg_lo:[0,0,1] neg_hi:[0,0,1]
	v_pk_fma_f32 v[4:5], v[4:5], v[234:235], v[14:15] op_sel_hi:[1,0,1]
	s_nop 0
	v_mov_b32_e32 v17, v5
	s_waitcnt vmcnt(1) lgkmcnt(1)
	v_pk_mul_f32 v[4:5], v[6:7], v[236:237] op_sel:[1,1] op_sel_hi:[0,1]
	v_pk_fma_f32 v[14:15], v[6:7], v[236:237], v[4:5] neg_lo:[0,0,1] neg_hi:[0,0,1]
	v_pk_fma_f32 v[4:5], v[6:7], v[236:237], v[4:5] op_sel_hi:[1,0,1]
	v_pk_add_f32 v[2:3], v[2:3], v[16:17]
	v_mov_b32_e32 v4, v239
	v_mov_b32_e32 v15, v5
	v_pk_mul_f32 v[4:5], v[8:9], v[4:5] op_sel:[1,0] op_sel_hi:[0,0]
	v_pk_fma_f32 v[6:7], v[8:9], v[238:239], v[4:5] neg_lo:[0,0,1] neg_hi:[0,0,1]
	v_pk_fma_f32 v[4:5], v[8:9], v[238:239], v[4:5] op_sel_hi:[1,0,1]
	v_pk_add_f32 v[2:3], v[2:3], v[14:15]
	v_mov_b32_e32 v7, v5
	s_waitcnt vmcnt(0) lgkmcnt(0)
	v_pk_mul_f32 v[4:5], v[10:11], v[240:241] op_sel:[1,1] op_sel_hi:[0,1]
	v_pk_add_f32 v[2:3], v[2:3], v[6:7]
	v_pk_fma_f32 v[6:7], v[10:11], v[240:241], v[4:5] neg_lo:[0,0,1] neg_hi:[0,0,1]
	v_pk_fma_f32 v[4:5], v[10:11], v[240:241], v[4:5] op_sel_hi:[1,0,1]
	s_nop 0
	v_mov_b32_e32 v4, v243
	v_mov_b32_e32 v7, v5
	v_pk_mul_f32 v[4:5], v[12:13], v[4:5] op_sel:[1,0] op_sel_hi:[0,0]
	v_pk_add_f32 v[2:3], v[2:3], v[6:7]
	v_pk_fma_f32 v[6:7], v[12:13], v[242:243], v[4:5] neg_lo:[0,0,1] neg_hi:[0,0,1]
	v_pk_fma_f32 v[4:5], v[12:13], v[242:243], v[4:5] op_sel_hi:[1,0,1]
	s_nop 0
	v_mov_b32_e32 v7, v5
	v_pk_add_f32 v[2:3], v[2:3], v[6:7]
	s_nop 0
	v_pk_add_f32 v[2:3], v[120:121], v[2:3] neg_lo:[0,1] neg_hi:[0,1]
	scratch_store_dwordx2 off, v[2:3], off offset:80
	s_and_saveexec_b64 s[0:1], vcc
	s_cbranch_execz .LBB112_289
; %bb.288:
	scratch_load_dwordx2 v[2:3], off, off offset:72
	v_mov_b32_e32 v4, 0
	v_mov_b32_e32 v5, v4
	scratch_store_dwordx2 off, v[4:5], off offset:72
	s_waitcnt vmcnt(1)
	ds_write_b64 v1, v[2:3]
.LBB112_289:
	s_or_b64 exec, exec, s[0:1]
	s_waitcnt lgkmcnt(0)
	; wave barrier
	scratch_load_dwordx4 v[2:5], off, off offset:80
	scratch_load_dwordx4 v[6:9], off, off offset:96
	;; [unrolled: 1-line block ×16, first 2 shown]
	scratch_load_dwordx2 v[124:125], off, off offset:72
	v_mov_b32_e32 v220, 0
	ds_read_b128 v[66:69], v220 offset:480
	ds_read_b128 v[70:73], v220 offset:496
	;; [unrolled: 1-line block ×14, first 2 shown]
	scratch_load_dwordx4 v[230:233], off, off offset:336
	ds_read_b128 v[222:225], v220 offset:704
	ds_read_b128 v[226:229], v220 offset:720
	v_cmp_lt_u32_e32 vcc, 8, v0
	s_waitcnt vmcnt(17) lgkmcnt(14)
	v_mul_f32_e32 v126, v66, v3
	v_mul_f32_e32 v127, v68, v5
	v_fmac_f32_e32 v126, v67, v2
	s_waitcnt vmcnt(16)
	v_mul_f32_e32 v128, v70, v7
	v_fmac_f32_e32 v127, v69, v4
	v_add_f32_e32 v126, 0, v126
	v_mul_f32_e32 v129, v72, v9
	v_fmac_f32_e32 v128, v71, v6
	v_add_f32_e32 v126, v126, v127
	s_waitcnt vmcnt(15) lgkmcnt(13)
	v_mul_f32_e32 v130, v74, v11
	v_fmac_f32_e32 v129, v73, v8
	v_add_f32_e32 v126, v126, v128
	v_mul_f32_e32 v131, v76, v13
	v_fmac_f32_e32 v130, v75, v10
	v_add_f32_e32 v126, v126, v129
	s_waitcnt vmcnt(14) lgkmcnt(12)
	v_mul_f32_e32 v132, v78, v15
	v_fmac_f32_e32 v131, v77, v12
	v_add_f32_e32 v126, v126, v130
	v_mul_f32_e32 v133, v80, v17
	v_fmac_f32_e32 v132, v79, v14
	v_add_f32_e32 v126, v126, v131
	v_fmac_f32_e32 v133, v81, v16
	v_add_f32_e32 v126, v126, v132
	v_add_f32_e32 v126, v126, v133
	scratch_load_dwordx4 v[234:237], off, off offset:352
	scratch_load_dwordx4 v[238:241], off, off offset:368
	scratch_load_dwordx2 v[132:133], off, off offset:384
	v_mul_f32_e32 v3, v67, v3
	v_fma_f32 v2, v66, v2, -v3
	v_mul_f32_e32 v3, v69, v5
	v_add_f32_e32 v2, 0, v2
	v_fma_f32 v3, v68, v4, -v3
	v_add_f32_e32 v2, v2, v3
	v_mul_f32_e32 v3, v71, v7
	v_fma_f32 v3, v70, v6, -v3
	v_add_f32_e32 v2, v2, v3
	v_mul_f32_e32 v3, v73, v9
	;; [unrolled: 3-line block ×6, first 2 shown]
	v_fma_f32 v3, v80, v16, -v3
	v_add_f32_e32 v2, v2, v3
	s_waitcnt vmcnt(16) lgkmcnt(11)
	v_mul_f32_e32 v3, v83, v19
	v_fma_f32 v3, v82, v18, -v3
	v_add_f32_e32 v2, v2, v3
	v_mul_f32_e32 v3, v85, v21
	v_fma_f32 v3, v84, v20, -v3
	v_add_f32_e32 v2, v2, v3
	s_waitcnt vmcnt(15) lgkmcnt(10)
	v_mul_f32_e32 v3, v87, v23
	v_fma_f32 v3, v86, v22, -v3
	v_add_f32_e32 v2, v2, v3
	v_mul_f32_e32 v3, v89, v25
	;; [unrolled: 7-line block ×4, first 2 shown]
	v_fma_f32 v3, v96, v32, -v3
	v_mul_f32_e32 v134, v82, v19
	v_add_f32_e32 v2, v2, v3
	s_waitcnt vmcnt(12) lgkmcnt(7)
	v_mul_f32_e32 v3, v99, v35
	v_mul_f32_e32 v135, v84, v21
	v_fmac_f32_e32 v134, v83, v18
	v_fma_f32 v3, v98, v34, -v3
	v_mul_f32_e32 v136, v86, v23
	v_fmac_f32_e32 v135, v85, v20
	v_add_f32_e32 v126, v126, v134
	v_add_f32_e32 v2, v2, v3
	v_mul_f32_e32 v3, v101, v37
	v_mul_f32_e32 v137, v88, v25
	v_fmac_f32_e32 v136, v87, v22
	v_add_f32_e32 v126, v126, v135
	v_fma_f32 v3, v100, v36, -v3
	v_mul_f32_e32 v138, v90, v27
	v_fmac_f32_e32 v137, v89, v24
	v_add_f32_e32 v126, v126, v136
	v_add_f32_e32 v2, v2, v3
	s_waitcnt vmcnt(11) lgkmcnt(6)
	v_mul_f32_e32 v3, v103, v39
	v_mul_f32_e32 v139, v92, v29
	v_fmac_f32_e32 v138, v91, v26
	v_add_f32_e32 v126, v126, v137
	v_fma_f32 v3, v102, v38, -v3
	v_mul_f32_e32 v140, v94, v31
	v_fmac_f32_e32 v139, v93, v28
	v_add_f32_e32 v126, v126, v138
	v_add_f32_e32 v2, v2, v3
	v_mul_f32_e32 v3, v105, v41
	v_mul_f32_e32 v141, v96, v33
	v_fmac_f32_e32 v140, v95, v30
	v_add_f32_e32 v126, v126, v139
	v_fma_f32 v3, v104, v40, -v3
	v_mul_f32_e32 v142, v98, v35
	v_fmac_f32_e32 v141, v97, v32
	v_add_f32_e32 v126, v126, v140
	v_add_f32_e32 v2, v2, v3
	s_waitcnt vmcnt(10) lgkmcnt(5)
	v_mul_f32_e32 v3, v107, v43
	v_mul_f32_e32 v143, v100, v37
	v_fmac_f32_e32 v142, v99, v34
	v_add_f32_e32 v126, v126, v141
	v_fma_f32 v3, v106, v42, -v3
	v_mul_f32_e32 v144, v102, v39
	v_fmac_f32_e32 v143, v101, v36
	v_add_f32_e32 v126, v126, v142
	v_add_f32_e32 v2, v2, v3
	v_mul_f32_e32 v3, v109, v45
	v_mul_f32_e32 v145, v104, v41
	v_fmac_f32_e32 v144, v103, v38
	v_add_f32_e32 v126, v126, v143
	v_fma_f32 v3, v108, v44, -v3
	v_mul_f32_e32 v146, v106, v43
	v_fmac_f32_e32 v145, v105, v40
	v_add_f32_e32 v126, v126, v144
	v_add_f32_e32 v2, v2, v3
	s_waitcnt vmcnt(9) lgkmcnt(4)
	v_mul_f32_e32 v3, v111, v47
	v_mul_f32_e32 v147, v108, v45
	v_fmac_f32_e32 v146, v107, v42
	v_add_f32_e32 v126, v126, v145
	v_fma_f32 v3, v110, v46, -v3
	v_mul_f32_e32 v148, v110, v47
	v_fmac_f32_e32 v147, v109, v44
	v_add_f32_e32 v126, v126, v146
	v_add_f32_e32 v2, v2, v3
	v_mul_f32_e32 v3, v113, v49
	v_mul_f32_e32 v149, v112, v49
	v_fmac_f32_e32 v148, v111, v46
	v_add_f32_e32 v126, v126, v147
	v_fma_f32 v3, v112, v48, -v3
	v_fmac_f32_e32 v149, v113, v48
	v_add_f32_e32 v126, v126, v148
	s_waitcnt vmcnt(8) lgkmcnt(3)
	v_mul_f32_e32 v127, v114, v51
	v_add_f32_e32 v2, v2, v3
	v_mul_f32_e32 v3, v115, v51
	v_add_f32_e32 v126, v126, v149
	v_fmac_f32_e32 v127, v115, v50
	v_fma_f32 v3, v114, v50, -v3
	v_add_f32_e32 v126, v126, v127
	v_mul_f32_e32 v127, v116, v53
	v_add_f32_e32 v2, v2, v3
	v_mul_f32_e32 v3, v117, v53
	v_fmac_f32_e32 v127, v117, v52
	v_fma_f32 v3, v116, v52, -v3
	v_add_f32_e32 v126, v126, v127
	s_waitcnt vmcnt(7) lgkmcnt(2)
	v_mul_f32_e32 v127, v118, v55
	v_add_f32_e32 v2, v2, v3
	v_mul_f32_e32 v3, v119, v55
	v_fmac_f32_e32 v127, v119, v54
	v_fma_f32 v3, v118, v54, -v3
	v_add_f32_e32 v126, v126, v127
	v_mul_f32_e32 v127, v120, v57
	v_add_f32_e32 v2, v2, v3
	v_mul_f32_e32 v3, v121, v57
	v_fmac_f32_e32 v127, v121, v56
	v_fma_f32 v3, v120, v56, -v3
	v_add_f32_e32 v126, v126, v127
	s_waitcnt vmcnt(6) lgkmcnt(1)
	v_mul_f32_e32 v127, v222, v63
	v_add_f32_e32 v2, v2, v3
	v_mul_f32_e32 v3, v223, v63
	v_fmac_f32_e32 v127, v223, v62
	v_fma_f32 v3, v222, v62, -v3
	v_add_f32_e32 v127, v126, v127
	v_add_f32_e32 v126, v2, v3
	v_mul_f32_e32 v2, v225, v65
	v_mul_f32_e32 v129, v224, v65
	v_fma_f32 v128, v224, v64, -v2
	s_waitcnt vmcnt(5) lgkmcnt(0)
	v_mul_f32_e32 v2, v227, v59
	v_mov_b32_e32 v18, v61
	v_fmac_f32_e32 v129, v225, v64
	v_mul_f32_e32 v131, v226, v59
	v_fma_f32 v130, v226, v58, -v2
	ds_read_b128 v[2:5], v220 offset:736
	ds_read_b128 v[6:9], v220 offset:752
	;; [unrolled: 1-line block ×3, first 2 shown]
	ds_read_b64 v[14:15], v220 offset:784
	v_pk_mul_f32 v[18:19], v[228:229], v[18:19] op_sel:[1,0] op_sel_hi:[0,0]
	v_fmac_f32_e32 v131, v227, v58
	v_pk_add_f32 v[16:17], v[126:127], v[128:129]
	v_pk_fma_f32 v[20:21], v[228:229], v[60:61], v[18:19] neg_lo:[0,0,1] neg_hi:[0,0,1]
	v_pk_fma_f32 v[18:19], v[228:229], v[60:61], v[18:19] op_sel_hi:[1,0,1]
	v_pk_add_f32 v[16:17], v[16:17], v[130:131]
	v_mov_b32_e32 v21, v19
	s_waitcnt vmcnt(3) lgkmcnt(3)
	v_pk_mul_f32 v[18:19], v[2:3], v[230:231] op_sel:[1,1] op_sel_hi:[0,1]
	v_pk_add_f32 v[16:17], v[16:17], v[20:21]
	v_pk_fma_f32 v[20:21], v[2:3], v[230:231], v[18:19] neg_lo:[0,0,1] neg_hi:[0,0,1]
	v_pk_fma_f32 v[2:3], v[2:3], v[230:231], v[18:19] op_sel_hi:[1,0,1]
	s_nop 0
	v_mov_b32_e32 v21, v3
	v_pk_add_f32 v[2:3], v[16:17], v[20:21]
	v_mov_b32_e32 v16, v233
	v_pk_mul_f32 v[16:17], v[4:5], v[16:17] op_sel:[1,0] op_sel_hi:[0,0]
	v_pk_fma_f32 v[18:19], v[4:5], v[232:233], v[16:17] neg_lo:[0,0,1] neg_hi:[0,0,1]
	v_pk_fma_f32 v[4:5], v[4:5], v[232:233], v[16:17] op_sel_hi:[1,0,1]
	s_nop 0
	v_mov_b32_e32 v19, v5
	s_waitcnt vmcnt(2) lgkmcnt(2)
	v_pk_mul_f32 v[4:5], v[6:7], v[234:235] op_sel:[1,1] op_sel_hi:[0,1]
	v_pk_fma_f32 v[16:17], v[6:7], v[234:235], v[4:5] neg_lo:[0,0,1] neg_hi:[0,0,1]
	v_pk_fma_f32 v[4:5], v[6:7], v[234:235], v[4:5] op_sel_hi:[1,0,1]
	v_pk_add_f32 v[2:3], v[2:3], v[18:19]
	v_mov_b32_e32 v4, v237
	v_mov_b32_e32 v17, v5
	v_pk_mul_f32 v[4:5], v[8:9], v[4:5] op_sel:[1,0] op_sel_hi:[0,0]
	v_pk_fma_f32 v[6:7], v[8:9], v[236:237], v[4:5] neg_lo:[0,0,1] neg_hi:[0,0,1]
	v_pk_fma_f32 v[4:5], v[8:9], v[236:237], v[4:5] op_sel_hi:[1,0,1]
	v_pk_add_f32 v[2:3], v[2:3], v[16:17]
	v_mov_b32_e32 v7, v5
	s_waitcnt vmcnt(1) lgkmcnt(1)
	v_pk_mul_f32 v[4:5], v[10:11], v[238:239] op_sel:[1,1] op_sel_hi:[0,1]
	v_pk_add_f32 v[2:3], v[2:3], v[6:7]
	v_pk_fma_f32 v[6:7], v[10:11], v[238:239], v[4:5] neg_lo:[0,0,1] neg_hi:[0,0,1]
	v_pk_fma_f32 v[4:5], v[10:11], v[238:239], v[4:5] op_sel_hi:[1,0,1]
	s_nop 0
	v_mov_b32_e32 v4, v241
	v_mov_b32_e32 v7, v5
	v_pk_mul_f32 v[4:5], v[12:13], v[4:5] op_sel:[1,0] op_sel_hi:[0,0]
	v_pk_add_f32 v[2:3], v[2:3], v[6:7]
	v_pk_fma_f32 v[6:7], v[12:13], v[240:241], v[4:5] neg_lo:[0,0,1] neg_hi:[0,0,1]
	v_pk_fma_f32 v[4:5], v[12:13], v[240:241], v[4:5] op_sel_hi:[1,0,1]
	s_nop 0
	v_mov_b32_e32 v7, v5
	s_waitcnt vmcnt(0) lgkmcnt(0)
	v_pk_mul_f32 v[4:5], v[14:15], v[132:133] op_sel:[1,1] op_sel_hi:[0,1]
	v_pk_add_f32 v[2:3], v[2:3], v[6:7]
	v_pk_fma_f32 v[6:7], v[14:15], v[132:133], v[4:5] neg_lo:[0,0,1] neg_hi:[0,0,1]
	v_pk_fma_f32 v[4:5], v[14:15], v[132:133], v[4:5] op_sel_hi:[1,0,1]
	s_nop 0
	v_mov_b32_e32 v7, v5
	v_pk_add_f32 v[2:3], v[2:3], v[6:7]
	s_nop 0
	v_pk_add_f32 v[2:3], v[124:125], v[2:3] neg_lo:[0,1] neg_hi:[0,1]
	scratch_store_dwordx2 off, v[2:3], off offset:72
	s_and_saveexec_b64 s[0:1], vcc
	s_cbranch_execz .LBB112_291
; %bb.290:
	scratch_load_dwordx2 v[2:3], off, off offset:64
	v_mov_b32_e32 v221, v220
	scratch_store_dwordx2 off, v[220:221], off offset:64
	s_waitcnt vmcnt(1)
	ds_write_b64 v1, v[2:3]
.LBB112_291:
	s_or_b64 exec, exec, s[0:1]
	s_waitcnt lgkmcnt(0)
	; wave barrier
	scratch_load_dwordx4 v[2:5], off, off offset:72
	scratch_load_dwordx4 v[6:9], off, off offset:88
	;; [unrolled: 1-line block ×13, first 2 shown]
	ds_read2_b64 v[118:121], v220 offset0:59 offset1:60
	ds_read2_b64 v[114:117], v220 offset0:61 offset1:62
	;; [unrolled: 1-line block ×14, first 2 shown]
	scratch_load_dwordx4 v[62:65], off, off offset:280
	scratch_load_dwordx4 v[70:73], off, off offset:296
	;; [unrolled: 1-line block ×3, first 2 shown]
	scratch_load_dwordx2 v[124:125], off, off offset:64
	scratch_load_dwordx4 v[230:233], off, off offset:328
	ds_read2_b64 v[222:225], v220 offset0:87 offset1:88
	ds_read2_b64 v[226:229], v220 offset0:89 offset1:90
	scratch_load_dwordx4 v[234:237], off, off offset:344
	scratch_load_dwordx4 v[238:241], off, off offset:360
	;; [unrolled: 1-line block ×3, first 2 shown]
	v_cmp_lt_u32_e32 vcc, 7, v0
	s_waitcnt vmcnt(20) lgkmcnt(14)
	v_mul_f32_e32 v126, v118, v3
	v_mul_f32_e32 v3, v119, v3
	v_fmac_f32_e32 v126, v119, v2
	v_fma_f32 v2, v118, v2, -v3
	v_mul_f32_e32 v3, v121, v5
	v_add_f32_e32 v2, 0, v2
	v_fma_f32 v3, v120, v4, -v3
	v_add_f32_e32 v2, v2, v3
	s_waitcnt vmcnt(19)
	v_mul_f32_e32 v3, v115, v7
	v_fma_f32 v3, v114, v6, -v3
	v_add_f32_e32 v2, v2, v3
	v_mul_f32_e32 v3, v117, v9
	v_fma_f32 v3, v116, v8, -v3
	v_add_f32_e32 v2, v2, v3
	s_waitcnt vmcnt(18) lgkmcnt(13)
	v_mul_f32_e32 v3, v111, v11
	v_fma_f32 v3, v110, v10, -v3
	v_add_f32_e32 v2, v2, v3
	v_mul_f32_e32 v3, v113, v13
	v_fma_f32 v3, v112, v12, -v3
	v_add_f32_e32 v2, v2, v3
	s_waitcnt vmcnt(17) lgkmcnt(12)
	v_mul_f32_e32 v3, v107, v15
	v_fma_f32 v3, v106, v14, -v3
	v_add_f32_e32 v2, v2, v3
	v_mul_f32_e32 v3, v109, v17
	v_fma_f32 v3, v108, v16, -v3
	v_add_f32_e32 v2, v2, v3
	s_waitcnt vmcnt(16) lgkmcnt(11)
	v_mul_f32_e32 v3, v103, v19
	v_fma_f32 v3, v102, v18, -v3
	v_add_f32_e32 v2, v2, v3
	v_mul_f32_e32 v3, v105, v21
	v_fma_f32 v3, v104, v20, -v3
	v_add_f32_e32 v2, v2, v3
	s_waitcnt vmcnt(15) lgkmcnt(10)
	v_mul_f32_e32 v3, v99, v23
	v_fma_f32 v3, v98, v22, -v3
	v_add_f32_e32 v2, v2, v3
	v_mul_f32_e32 v3, v101, v25
	v_fma_f32 v3, v100, v24, -v3
	v_add_f32_e32 v2, v2, v3
	s_waitcnt vmcnt(14) lgkmcnt(9)
	v_mul_f32_e32 v3, v95, v27
	v_fma_f32 v3, v94, v26, -v3
	v_mul_f32_e32 v127, v120, v5
	v_add_f32_e32 v2, v2, v3
	v_mul_f32_e32 v3, v97, v29
	v_mul_f32_e32 v128, v114, v7
	v_fmac_f32_e32 v127, v121, v4
	v_add_f32_e32 v126, 0, v126
	v_fma_f32 v3, v96, v28, -v3
	v_mul_f32_e32 v129, v116, v9
	v_fmac_f32_e32 v128, v115, v6
	v_add_f32_e32 v126, v126, v127
	v_add_f32_e32 v2, v2, v3
	s_waitcnt vmcnt(13) lgkmcnt(8)
	v_mul_f32_e32 v3, v91, v31
	v_mul_f32_e32 v130, v110, v11
	v_fmac_f32_e32 v129, v117, v8
	v_add_f32_e32 v126, v126, v128
	v_fma_f32 v3, v90, v30, -v3
	v_mul_f32_e32 v131, v112, v13
	v_fmac_f32_e32 v130, v111, v10
	v_add_f32_e32 v126, v126, v129
	v_add_f32_e32 v2, v2, v3
	v_mul_f32_e32 v3, v93, v33
	v_mul_f32_e32 v132, v106, v15
	v_fmac_f32_e32 v131, v113, v12
	v_add_f32_e32 v126, v126, v130
	v_fma_f32 v3, v92, v32, -v3
	v_mul_f32_e32 v133, v108, v17
	v_fmac_f32_e32 v132, v107, v14
	v_add_f32_e32 v126, v126, v131
	v_add_f32_e32 v2, v2, v3
	s_waitcnt vmcnt(12) lgkmcnt(7)
	v_mul_f32_e32 v3, v87, v35
	v_mul_f32_e32 v134, v102, v19
	v_fmac_f32_e32 v133, v109, v16
	v_add_f32_e32 v126, v126, v132
	v_fma_f32 v3, v86, v34, -v3
	v_mul_f32_e32 v135, v104, v21
	v_fmac_f32_e32 v134, v103, v18
	v_add_f32_e32 v126, v126, v133
	;; [unrolled: 19-line block ×5, first 2 shown]
	v_add_f32_e32 v2, v2, v3
	v_mul_f32_e32 v3, v69, v49
	v_mul_f32_e32 v148, v66, v47
	v_fmac_f32_e32 v147, v77, v44
	v_add_f32_e32 v126, v126, v146
	v_fma_f32 v3, v68, v48, -v3
	v_mul_f32_e32 v149, v68, v49
	v_fmac_f32_e32 v148, v67, v46
	v_add_f32_e32 v126, v126, v147
	v_add_f32_e32 v2, v2, v3
	s_waitcnt vmcnt(8) lgkmcnt(3)
	v_mul_f32_e32 v3, v55, v51
	v_mul_f32_e32 v221, v54, v51
	v_fmac_f32_e32 v149, v69, v48
	v_add_f32_e32 v126, v126, v148
	v_fma_f32 v3, v54, v50, -v3
	v_add_f32_e32 v126, v126, v149
	v_fmac_f32_e32 v221, v55, v50
	v_mul_f32_e32 v127, v56, v53
	v_add_f32_e32 v2, v2, v3
	v_mul_f32_e32 v3, v57, v53
	v_add_f32_e32 v126, v126, v221
	v_fmac_f32_e32 v127, v57, v52
	v_fma_f32 v3, v56, v52, -v3
	v_add_f32_e32 v126, v126, v127
	s_waitcnt vmcnt(7) lgkmcnt(2)
	v_mul_f32_e32 v127, v58, v63
	v_add_f32_e32 v2, v2, v3
	v_mul_f32_e32 v3, v59, v63
	v_fmac_f32_e32 v127, v59, v62
	v_fma_f32 v3, v58, v62, -v3
	v_add_f32_e32 v126, v126, v127
	v_mul_f32_e32 v127, v60, v65
	v_add_f32_e32 v2, v2, v3
	v_mul_f32_e32 v3, v61, v65
	v_fmac_f32_e32 v127, v61, v64
	v_fma_f32 v3, v60, v64, -v3
	v_add_f32_e32 v126, v126, v127
	s_waitcnt vmcnt(6) lgkmcnt(1)
	v_mul_f32_e32 v127, v222, v71
	v_add_f32_e32 v2, v2, v3
	v_mul_f32_e32 v3, v223, v71
	v_fmac_f32_e32 v127, v223, v70
	v_fma_f32 v3, v222, v70, -v3
	v_add_f32_e32 v126, v126, v127
	v_mul_f32_e32 v127, v224, v73
	v_add_f32_e32 v2, v2, v3
	v_mul_f32_e32 v3, v225, v73
	v_fmac_f32_e32 v127, v225, v72
	v_fma_f32 v3, v224, v72, -v3
	v_add_f32_e32 v127, v126, v127
	v_add_f32_e32 v126, v2, v3
	s_waitcnt vmcnt(5) lgkmcnt(0)
	v_mul_f32_e32 v2, v227, v79
	v_fma_f32 v128, v226, v78, -v2
	v_mul_f32_e32 v2, v229, v81
	v_fma_f32 v130, v228, v80, -v2
	ds_read2_b64 v[2:5], v220 offset0:91 offset1:92
	ds_read2_b64 v[6:9], v220 offset0:93 offset1:94
	;; [unrolled: 1-line block ×4, first 2 shown]
	v_mul_f32_e32 v129, v226, v79
	v_fmac_f32_e32 v129, v227, v78
	v_mul_f32_e32 v131, v228, v81
	s_waitcnt vmcnt(3) lgkmcnt(3)
	v_pk_mul_f32 v[20:21], v[2:3], v[230:231] op_sel:[1,1] op_sel_hi:[0,1]
	v_fmac_f32_e32 v131, v229, v80
	v_pk_add_f32 v[18:19], v[126:127], v[128:129]
	v_pk_fma_f32 v[22:23], v[2:3], v[230:231], v[20:21] neg_lo:[0,0,1] neg_hi:[0,0,1]
	v_pk_fma_f32 v[2:3], v[2:3], v[230:231], v[20:21] op_sel_hi:[1,0,1]
	v_pk_add_f32 v[18:19], v[18:19], v[130:131]
	v_mov_b32_e32 v23, v3
	v_pk_add_f32 v[2:3], v[18:19], v[22:23]
	v_mov_b32_e32 v18, v233
	v_pk_mul_f32 v[18:19], v[4:5], v[18:19] op_sel:[1,0] op_sel_hi:[0,0]
	v_pk_fma_f32 v[20:21], v[4:5], v[232:233], v[18:19] neg_lo:[0,0,1] neg_hi:[0,0,1]
	v_pk_fma_f32 v[4:5], v[4:5], v[232:233], v[18:19] op_sel_hi:[1,0,1]
	s_nop 0
	v_mov_b32_e32 v21, v5
	s_waitcnt vmcnt(2) lgkmcnt(2)
	v_pk_mul_f32 v[4:5], v[6:7], v[234:235] op_sel:[1,1] op_sel_hi:[0,1]
	v_pk_fma_f32 v[18:19], v[6:7], v[234:235], v[4:5] neg_lo:[0,0,1] neg_hi:[0,0,1]
	v_pk_fma_f32 v[4:5], v[6:7], v[234:235], v[4:5] op_sel_hi:[1,0,1]
	v_pk_add_f32 v[2:3], v[2:3], v[20:21]
	v_mov_b32_e32 v4, v237
	v_mov_b32_e32 v19, v5
	v_pk_mul_f32 v[4:5], v[8:9], v[4:5] op_sel:[1,0] op_sel_hi:[0,0]
	v_pk_fma_f32 v[6:7], v[8:9], v[236:237], v[4:5] neg_lo:[0,0,1] neg_hi:[0,0,1]
	v_pk_fma_f32 v[4:5], v[8:9], v[236:237], v[4:5] op_sel_hi:[1,0,1]
	v_pk_add_f32 v[2:3], v[2:3], v[18:19]
	v_mov_b32_e32 v7, v5
	s_waitcnt vmcnt(1) lgkmcnt(1)
	v_pk_mul_f32 v[4:5], v[10:11], v[238:239] op_sel:[1,1] op_sel_hi:[0,1]
	v_pk_add_f32 v[2:3], v[2:3], v[6:7]
	v_pk_fma_f32 v[6:7], v[10:11], v[238:239], v[4:5] neg_lo:[0,0,1] neg_hi:[0,0,1]
	v_pk_fma_f32 v[4:5], v[10:11], v[238:239], v[4:5] op_sel_hi:[1,0,1]
	s_nop 0
	v_mov_b32_e32 v4, v241
	v_mov_b32_e32 v7, v5
	v_pk_mul_f32 v[4:5], v[12:13], v[4:5] op_sel:[1,0] op_sel_hi:[0,0]
	v_pk_add_f32 v[2:3], v[2:3], v[6:7]
	v_pk_fma_f32 v[6:7], v[12:13], v[240:241], v[4:5] neg_lo:[0,0,1] neg_hi:[0,0,1]
	v_pk_fma_f32 v[4:5], v[12:13], v[240:241], v[4:5] op_sel_hi:[1,0,1]
	s_nop 0
	v_mov_b32_e32 v7, v5
	s_waitcnt vmcnt(0) lgkmcnt(0)
	v_pk_mul_f32 v[4:5], v[14:15], v[242:243] op_sel:[1,1] op_sel_hi:[0,1]
	v_pk_add_f32 v[2:3], v[2:3], v[6:7]
	v_pk_fma_f32 v[6:7], v[14:15], v[242:243], v[4:5] neg_lo:[0,0,1] neg_hi:[0,0,1]
	v_pk_fma_f32 v[4:5], v[14:15], v[242:243], v[4:5] op_sel_hi:[1,0,1]
	s_nop 0
	v_mov_b32_e32 v4, v245
	v_mov_b32_e32 v7, v5
	v_pk_mul_f32 v[4:5], v[16:17], v[4:5] op_sel:[1,0] op_sel_hi:[0,0]
	v_pk_add_f32 v[2:3], v[2:3], v[6:7]
	v_pk_fma_f32 v[6:7], v[16:17], v[244:245], v[4:5] neg_lo:[0,0,1] neg_hi:[0,0,1]
	v_pk_fma_f32 v[4:5], v[16:17], v[244:245], v[4:5] op_sel_hi:[1,0,1]
	s_nop 0
	v_mov_b32_e32 v7, v5
	v_pk_add_f32 v[2:3], v[2:3], v[6:7]
	s_nop 0
	v_pk_add_f32 v[2:3], v[124:125], v[2:3] neg_lo:[0,1] neg_hi:[0,1]
	scratch_store_dwordx2 off, v[2:3], off offset:64
	s_and_saveexec_b64 s[0:1], vcc
	s_cbranch_execz .LBB112_293
; %bb.292:
	scratch_load_dwordx2 v[2:3], off, off offset:56
	v_mov_b32_e32 v4, 0
	v_mov_b32_e32 v5, v4
	scratch_store_dwordx2 off, v[4:5], off offset:56
	s_waitcnt vmcnt(1)
	ds_write_b64 v1, v[2:3]
.LBB112_293:
	s_or_b64 exec, exec, s[0:1]
	s_waitcnt lgkmcnt(0)
	; wave barrier
	scratch_load_dwordx4 v[62:65], off, off offset:64
	scratch_load_dwordx4 v[66:69], off, off offset:80
	;; [unrolled: 1-line block ×17, first 2 shown]
	v_mov_b32_e32 v106, 0
	ds_read_b128 v[116:119], v106 offset:464
	ds_read_b128 v[220:223], v106 offset:480
	;; [unrolled: 1-line block ×13, first 2 shown]
	v_cmp_lt_u32_e32 vcc, 6, v0
	s_waitcnt vmcnt(16) lgkmcnt(12)
	v_mul_f32_e32 v6, v116, v63
	v_mul_f32_e32 v7, v118, v65
	v_fmac_f32_e32 v6, v117, v62
	s_waitcnt vmcnt(15) lgkmcnt(11)
	v_mul_f32_e32 v8, v220, v67
	v_fmac_f32_e32 v7, v119, v64
	v_add_f32_e32 v6, 0, v6
	v_mul_f32_e32 v9, v222, v69
	v_fmac_f32_e32 v8, v221, v66
	v_add_f32_e32 v6, v6, v7
	s_waitcnt vmcnt(14) lgkmcnt(10)
	v_mul_f32_e32 v10, v224, v71
	v_fmac_f32_e32 v9, v223, v68
	v_add_f32_e32 v6, v6, v8
	v_mul_f32_e32 v11, v226, v73
	v_fmac_f32_e32 v10, v225, v70
	v_add_f32_e32 v6, v6, v9
	;; [unrolled: 7-line block ×10, first 2 shown]
	s_waitcnt vmcnt(5) lgkmcnt(1)
	v_mul_f32_e32 v56, v46, v23
	v_fmac_f32_e32 v55, v127, v104
	v_add_f32_e32 v6, v6, v54
	ds_read_b128 v[50:53], v106 offset:672
	v_mul_f32_e32 v57, v48, v25
	v_fmac_f32_e32 v56, v47, v22
	v_add_f32_e32 v6, v6, v55
	s_waitcnt vmcnt(4) lgkmcnt(1)
	v_mul_f32_e32 v58, v42, v27
	v_fmac_f32_e32 v57, v49, v24
	v_add_f32_e32 v6, v6, v56
	v_add_f32_e32 v6, v6, v57
	v_fmac_f32_e32 v58, v43, v26
	v_mul_f32_e32 v7, v44, v29
	v_add_f32_e32 v6, v6, v58
	v_fmac_f32_e32 v7, v45, v28
	ds_read_b128 v[54:57], v106 offset:688
	v_add_f32_e32 v6, v6, v7
	s_waitcnt vmcnt(3) lgkmcnt(1)
	v_mul_f32_e32 v7, v50, v31
	v_fmac_f32_e32 v7, v51, v30
	v_add_f32_e32 v6, v6, v7
	v_mul_f32_e32 v7, v52, v33
	v_fmac_f32_e32 v7, v53, v32
	ds_read_b128 v[58:61], v106 offset:704
	ds_read_b128 v[18:21], v106 offset:720
	v_add_f32_e32 v6, v6, v7
	s_waitcnt vmcnt(2) lgkmcnt(2)
	v_mul_f32_e32 v7, v54, v35
	v_fmac_f32_e32 v7, v55, v34
	v_add_f32_e32 v6, v6, v7
	v_mul_f32_e32 v7, v56, v37
	v_fmac_f32_e32 v7, v57, v36
	v_add_f32_e32 v6, v6, v7
	s_waitcnt vmcnt(1) lgkmcnt(1)
	v_mul_f32_e32 v7, v58, v39
	v_fmac_f32_e32 v7, v59, v38
	v_add_f32_e32 v111, v6, v7
	scratch_load_dwordx4 v[14:17], off, off offset:336
	scratch_load_dwordx4 v[10:13], off, off offset:352
	;; [unrolled: 1-line block ×3, first 2 shown]
	scratch_load_dwordx2 v[108:109], off, off offset:384
	v_mul_f32_e32 v63, v117, v63
	v_mul_f32_e32 v23, v47, v23
	v_fma_f32 v62, v116, v62, -v63
	v_mul_f32_e32 v63, v119, v65
	v_fma_f32 v46, v46, v22, -v23
	scratch_load_dwordx2 v[22:23], off, off offset:56
	v_add_f32_e32 v62, 0, v62
	v_fma_f32 v63, v118, v64, -v63
	v_add_f32_e32 v62, v62, v63
	v_mul_f32_e32 v63, v221, v67
	v_fma_f32 v63, v220, v66, -v63
	v_add_f32_e32 v62, v62, v63
	v_mul_f32_e32 v63, v223, v69
	v_fma_f32 v63, v222, v68, -v63
	v_add_f32_e32 v62, v62, v63
	v_mul_f32_e32 v63, v225, v71
	v_fma_f32 v63, v224, v70, -v63
	v_add_f32_e32 v62, v62, v63
	v_mul_f32_e32 v63, v227, v73
	v_fma_f32 v63, v226, v72, -v63
	v_add_f32_e32 v62, v62, v63
	v_mul_f32_e32 v63, v229, v75
	v_fma_f32 v63, v228, v74, -v63
	v_add_f32_e32 v62, v62, v63
	v_mul_f32_e32 v63, v231, v77
	v_fma_f32 v63, v230, v76, -v63
	v_add_f32_e32 v62, v62, v63
	v_mul_f32_e32 v63, v233, v79
	v_fma_f32 v63, v232, v78, -v63
	v_add_f32_e32 v62, v62, v63
	v_mul_f32_e32 v63, v235, v81
	v_fma_f32 v63, v234, v80, -v63
	v_add_f32_e32 v62, v62, v63
	v_mul_f32_e32 v63, v237, v83
	v_fma_f32 v63, v236, v82, -v63
	v_add_f32_e32 v62, v62, v63
	v_mul_f32_e32 v63, v239, v85
	v_fma_f32 v63, v238, v84, -v63
	v_add_f32_e32 v62, v62, v63
	v_mul_f32_e32 v63, v241, v87
	v_fma_f32 v63, v240, v86, -v63
	v_add_f32_e32 v62, v62, v63
	v_mul_f32_e32 v63, v243, v89
	v_fma_f32 v63, v242, v88, -v63
	v_add_f32_e32 v62, v62, v63
	v_mul_f32_e32 v63, v245, v91
	v_fma_f32 v63, v244, v90, -v63
	v_add_f32_e32 v62, v62, v63
	v_mul_f32_e32 v63, v247, v93
	v_fma_f32 v63, v246, v92, -v63
	v_add_f32_e32 v62, v62, v63
	v_mul_f32_e32 v63, v249, v95
	v_fma_f32 v63, v248, v94, -v63
	v_add_f32_e32 v62, v62, v63
	v_mul_f32_e32 v63, v251, v97
	v_fma_f32 v63, v250, v96, -v63
	v_add_f32_e32 v62, v62, v63
	v_mul_f32_e32 v63, v253, v99
	v_fma_f32 v63, v252, v98, -v63
	v_add_f32_e32 v62, v62, v63
	v_mul_f32_e32 v63, v255, v101
	v_fma_f32 v63, v254, v100, -v63
	v_add_f32_e32 v62, v62, v63
	v_mul_f32_e32 v63, v125, v103
	v_fma_f32 v63, v124, v102, -v63
	v_add_f32_e32 v62, v62, v63
	v_mul_f32_e32 v63, v127, v105
	v_fma_f32 v63, v126, v104, -v63
	v_add_f32_e32 v62, v62, v63
	v_mul_f32_e32 v25, v49, v25
	v_add_f32_e32 v46, v62, v46
	v_fma_f32 v24, v48, v24, -v25
	v_mul_f32_e32 v25, v43, v27
	v_add_f32_e32 v24, v46, v24
	v_fma_f32 v25, v42, v26, -v25
	v_add_f32_e32 v24, v24, v25
	v_mul_f32_e32 v25, v45, v29
	v_fma_f32 v25, v44, v28, -v25
	v_add_f32_e32 v24, v24, v25
	v_mul_f32_e32 v25, v51, v31
	;; [unrolled: 3-line block ×6, first 2 shown]
	v_fma_f32 v25, v58, v38, -v25
	v_mul_f32_e32 v113, v60, v41
	v_add_f32_e32 v110, v24, v25
	v_mul_f32_e32 v24, v61, v41
	s_waitcnt vmcnt(5)
	v_mov_b32_e32 v36, v5
	v_fmac_f32_e32 v113, v61, v40
	s_waitcnt lgkmcnt(0)
	v_mul_f32_e32 v115, v18, v3
	v_fma_f32 v112, v60, v40, -v24
	v_mul_f32_e32 v3, v19, v3
	v_pk_mul_f32 v[36:37], v[20:21], v[36:37] op_sel:[1,0] op_sel_hi:[0,0]
	v_fmac_f32_e32 v115, v19, v2
	v_fma_f32 v114, v18, v2, -v3
	ds_read_b128 v[24:27], v106 offset:736
	ds_read_b128 v[28:31], v106 offset:752
	;; [unrolled: 1-line block ×3, first 2 shown]
	ds_read_b64 v[2:3], v106 offset:784
	v_pk_add_f32 v[18:19], v[110:111], v[112:113]
	v_pk_fma_f32 v[38:39], v[20:21], v[4:5], v[36:37] neg_lo:[0,0,1] neg_hi:[0,0,1]
	v_pk_fma_f32 v[4:5], v[20:21], v[4:5], v[36:37] op_sel_hi:[1,0,1]
	v_pk_add_f32 v[18:19], v[18:19], v[114:115]
	v_mov_b32_e32 v39, v5
	v_pk_add_f32 v[4:5], v[18:19], v[38:39]
	s_waitcnt vmcnt(4) lgkmcnt(3)
	v_pk_mul_f32 v[18:19], v[24:25], v[14:15] op_sel:[1,1] op_sel_hi:[0,1]
	v_pk_fma_f32 v[20:21], v[24:25], v[14:15], v[18:19] neg_lo:[0,0,1] neg_hi:[0,0,1]
	v_pk_fma_f32 v[14:15], v[24:25], v[14:15], v[18:19] op_sel_hi:[1,0,1]
	s_nop 0
	v_mov_b32_e32 v14, v17
	v_mov_b32_e32 v21, v15
	v_pk_mul_f32 v[14:15], v[26:27], v[14:15] op_sel:[1,0] op_sel_hi:[0,0]
	v_pk_fma_f32 v[18:19], v[26:27], v[16:17], v[14:15] neg_lo:[0,0,1] neg_hi:[0,0,1]
	v_pk_fma_f32 v[14:15], v[26:27], v[16:17], v[14:15] op_sel_hi:[1,0,1]
	v_pk_add_f32 v[4:5], v[4:5], v[20:21]
	v_mov_b32_e32 v19, v15
	s_waitcnt vmcnt(3) lgkmcnt(2)
	v_pk_mul_f32 v[14:15], v[28:29], v[10:11] op_sel:[1,1] op_sel_hi:[0,1]
	v_pk_fma_f32 v[16:17], v[28:29], v[10:11], v[14:15] neg_lo:[0,0,1] neg_hi:[0,0,1]
	v_pk_fma_f32 v[10:11], v[28:29], v[10:11], v[14:15] op_sel_hi:[1,0,1]
	v_pk_add_f32 v[4:5], v[4:5], v[18:19]
	v_mov_b32_e32 v10, v13
	v_mov_b32_e32 v17, v11
	v_pk_mul_f32 v[10:11], v[30:31], v[10:11] op_sel:[1,0] op_sel_hi:[0,0]
	v_pk_fma_f32 v[14:15], v[30:31], v[12:13], v[10:11] neg_lo:[0,0,1] neg_hi:[0,0,1]
	v_pk_fma_f32 v[10:11], v[30:31], v[12:13], v[10:11] op_sel_hi:[1,0,1]
	v_pk_add_f32 v[4:5], v[4:5], v[16:17]
	v_mov_b32_e32 v15, v11
	s_waitcnt vmcnt(2) lgkmcnt(1)
	v_pk_mul_f32 v[10:11], v[32:33], v[6:7] op_sel:[1,1] op_sel_hi:[0,1]
	v_pk_fma_f32 v[12:13], v[32:33], v[6:7], v[10:11] neg_lo:[0,0,1] neg_hi:[0,0,1]
	v_pk_fma_f32 v[6:7], v[32:33], v[6:7], v[10:11] op_sel_hi:[1,0,1]
	v_pk_add_f32 v[4:5], v[4:5], v[14:15]
	;; [unrolled: 12-line block ×3, first 2 shown]
	v_mov_b32_e32 v9, v3
	v_pk_add_f32 v[2:3], v[4:5], v[8:9]
	s_waitcnt vmcnt(0)
	v_pk_add_f32 v[2:3], v[22:23], v[2:3] neg_lo:[0,1] neg_hi:[0,1]
	scratch_store_dwordx2 off, v[2:3], off offset:56
	s_and_saveexec_b64 s[0:1], vcc
	s_cbranch_execz .LBB112_295
; %bb.294:
	scratch_load_dwordx2 v[2:3], off, off offset:48
	v_mov_b32_e32 v107, v106
	scratch_store_dwordx2 off, v[106:107], off offset:48
	s_waitcnt vmcnt(1)
	ds_write_b64 v1, v[2:3]
.LBB112_295:
	s_or_b64 exec, exec, s[0:1]
	s_waitcnt lgkmcnt(0)
	; wave barrier
	scratch_load_dwordx4 v[6:9], off, off offset:56
	scratch_load_dwordx4 v[14:17], off, off offset:72
	;; [unrolled: 1-line block ×10, first 2 shown]
	ds_read2_b64 v[2:5], v106 offset0:57 offset1:58
	ds_read2_b64 v[220:223], v106 offset0:87 offset1:88
	scratch_load_dwordx4 v[86:89], off, off offset:216
	scratch_load_dwordx4 v[94:97], off, off offset:232
	;; [unrolled: 1-line block ×7, first 2 shown]
	v_cmp_lt_u32_e32 vcc, 5, v0
	ds_read2_b64 v[228:231], v106 offset0:89 offset1:90
	s_waitcnt vmcnt(16) lgkmcnt(2)
	v_mul_f32_e32 v10, v2, v7
	v_fmac_f32_e32 v10, v3, v6
	v_mul_f32_e32 v11, v4, v9
	v_add_f32_e32 v10, 0, v10
	v_fmac_f32_e32 v11, v5, v8
	v_add_f32_e32 v18, v10, v11
	ds_read2_b64 v[10:13], v106 offset0:59 offset1:60
	v_mul_f32_e32 v3, v3, v7
	v_fma_f32 v2, v2, v6, -v3
	v_mul_f32_e32 v3, v5, v9
	v_add_f32_e32 v2, 0, v2
	s_waitcnt vmcnt(15) lgkmcnt(0)
	v_mul_f32_e32 v19, v10, v15
	v_fmac_f32_e32 v19, v11, v14
	v_add_f32_e32 v18, v18, v19
	v_mul_f32_e32 v19, v12, v17
	v_fmac_f32_e32 v19, v13, v16
	v_add_f32_e32 v26, v18, v19
	ds_read2_b64 v[18:21], v106 offset0:61 offset1:62
	v_fma_f32 v3, v4, v8, -v3
	v_add_f32_e32 v2, v2, v3
	v_mul_f32_e32 v3, v11, v15
	v_fma_f32 v3, v10, v14, -v3
	s_waitcnt vmcnt(14) lgkmcnt(0)
	v_mul_f32_e32 v27, v18, v23
	v_fmac_f32_e32 v27, v19, v22
	v_add_f32_e32 v26, v26, v27
	v_mul_f32_e32 v27, v20, v25
	v_fmac_f32_e32 v27, v21, v24
	v_add_f32_e32 v34, v26, v27
	ds_read2_b64 v[26:29], v106 offset0:63 offset1:64
	v_add_f32_e32 v2, v2, v3
	v_mul_f32_e32 v3, v13, v17
	v_fma_f32 v3, v12, v16, -v3
	v_add_f32_e32 v2, v2, v3
	s_waitcnt vmcnt(13) lgkmcnt(0)
	v_mul_f32_e32 v35, v26, v31
	v_fmac_f32_e32 v35, v27, v30
	v_add_f32_e32 v34, v34, v35
	v_mul_f32_e32 v35, v28, v33
	v_fmac_f32_e32 v35, v29, v32
	v_add_f32_e32 v42, v34, v35
	ds_read2_b64 v[34:37], v106 offset0:65 offset1:66
	v_mul_f32_e32 v3, v19, v23
	v_fma_f32 v3, v18, v22, -v3
	v_add_f32_e32 v2, v2, v3
	v_mul_f32_e32 v3, v21, v25
	s_waitcnt vmcnt(12) lgkmcnt(0)
	v_mul_f32_e32 v43, v34, v39
	v_fmac_f32_e32 v43, v35, v38
	v_add_f32_e32 v42, v42, v43
	v_mul_f32_e32 v43, v36, v41
	v_fmac_f32_e32 v43, v37, v40
	v_add_f32_e32 v50, v42, v43
	ds_read2_b64 v[42:45], v106 offset0:67 offset1:68
	v_fma_f32 v3, v20, v24, -v3
	v_add_f32_e32 v2, v2, v3
	v_mul_f32_e32 v3, v27, v31
	v_fma_f32 v3, v26, v30, -v3
	s_waitcnt vmcnt(11) lgkmcnt(0)
	v_mul_f32_e32 v51, v42, v47
	v_fmac_f32_e32 v51, v43, v46
	v_add_f32_e32 v50, v50, v51
	v_mul_f32_e32 v51, v44, v49
	v_fmac_f32_e32 v51, v45, v48
	v_add_f32_e32 v58, v50, v51
	ds_read2_b64 v[50:53], v106 offset0:69 offset1:70
	v_add_f32_e32 v2, v2, v3
	v_mul_f32_e32 v3, v29, v33
	v_fma_f32 v3, v28, v32, -v3
	v_add_f32_e32 v2, v2, v3
	s_waitcnt vmcnt(10) lgkmcnt(0)
	v_mul_f32_e32 v59, v50, v55
	v_fmac_f32_e32 v59, v51, v54
	v_add_f32_e32 v58, v58, v59
	v_mul_f32_e32 v59, v52, v57
	v_fmac_f32_e32 v59, v53, v56
	v_add_f32_e32 v66, v58, v59
	ds_read2_b64 v[58:61], v106 offset0:71 offset1:72
	v_mul_f32_e32 v3, v35, v39
	v_fma_f32 v3, v34, v38, -v3
	v_add_f32_e32 v2, v2, v3
	v_mul_f32_e32 v3, v37, v41
	;; [unrolled: 36-line block ×4, first 2 shown]
	s_waitcnt vmcnt(3) lgkmcnt(0)
	v_mul_f32_e32 v116, v108, v113
	v_fmac_f32_e32 v116, v109, v112
	v_add_f32_e32 v107, v107, v116
	v_mul_f32_e32 v116, v110, v115
	v_fmac_f32_e32 v116, v111, v114
	v_add_f32_e32 v107, v107, v116
	ds_read2_b64 v[116:119], v106 offset0:85 offset1:86
	scratch_load_dwordx4 v[236:239], off, off offset:328
	scratch_load_dwordx4 v[240:243], off, off offset:344
	;; [unrolled: 1-line block ×4, first 2 shown]
	v_fma_f32 v3, v68, v72, -v3
	v_add_f32_e32 v2, v2, v3
	v_mul_f32_e32 v3, v75, v79
	v_fma_f32 v3, v74, v78, -v3
	v_add_f32_e32 v2, v2, v3
	v_mul_f32_e32 v3, v77, v81
	;; [unrolled: 3-line block ×10, first 2 shown]
	v_fma_f32 v3, v110, v114, -v3
	s_waitcnt vmcnt(6) lgkmcnt(0)
	v_mul_f32_e32 v120, v116, v125
	v_add_f32_e32 v2, v2, v3
	v_mul_f32_e32 v3, v117, v125
	v_fmac_f32_e32 v120, v117, v124
	v_fma_f32 v3, v116, v124, -v3
	v_add_f32_e32 v107, v107, v120
	v_mul_f32_e32 v120, v118, v127
	v_add_f32_e32 v2, v2, v3
	v_mul_f32_e32 v3, v119, v127
	v_fmac_f32_e32 v120, v119, v126
	v_fma_f32 v3, v118, v126, -v3
	v_add_f32_e32 v107, v107, v120
	s_waitcnt vmcnt(5)
	v_mul_f32_e32 v120, v220, v225
	v_add_f32_e32 v2, v2, v3
	v_mul_f32_e32 v3, v221, v225
	v_fmac_f32_e32 v120, v221, v224
	v_fma_f32 v3, v220, v224, -v3
	v_add_f32_e32 v107, v107, v120
	v_mul_f32_e32 v120, v222, v227
	v_add_f32_e32 v2, v2, v3
	v_mul_f32_e32 v3, v223, v227
	v_fmac_f32_e32 v120, v223, v226
	v_fma_f32 v3, v222, v226, -v3
	v_add_f32_e32 v121, v107, v120
	v_add_f32_e32 v120, v2, v3
	s_waitcnt vmcnt(4)
	v_mul_f32_e32 v2, v229, v233
	v_fma_f32 v128, v228, v232, -v2
	v_mul_f32_e32 v2, v231, v235
	v_fma_f32 v130, v230, v234, -v2
	ds_read2_b64 v[2:5], v106 offset0:91 offset1:92
	ds_read2_b64 v[6:9], v106 offset0:93 offset1:94
	;; [unrolled: 1-line block ×4, first 2 shown]
	v_mul_f32_e32 v129, v228, v233
	v_fmac_f32_e32 v129, v229, v232
	v_mul_f32_e32 v131, v230, v235
	v_fmac_f32_e32 v131, v231, v234
	v_pk_add_f32 v[18:19], v[120:121], v[128:129]
	s_waitcnt vmcnt(3) lgkmcnt(3)
	v_pk_mul_f32 v[20:21], v[2:3], v[236:237] op_sel:[1,1] op_sel_hi:[0,1]
	v_pk_fma_f32 v[22:23], v[2:3], v[236:237], v[20:21] neg_lo:[0,0,1] neg_hi:[0,0,1]
	v_pk_fma_f32 v[2:3], v[2:3], v[236:237], v[20:21] op_sel_hi:[1,0,1]
	v_pk_add_f32 v[18:19], v[18:19], v[130:131]
	v_mov_b32_e32 v23, v3
	v_pk_add_f32 v[2:3], v[18:19], v[22:23]
	v_mov_b32_e32 v18, v239
	v_pk_mul_f32 v[18:19], v[4:5], v[18:19] op_sel:[1,0] op_sel_hi:[0,0]
	v_pk_fma_f32 v[20:21], v[4:5], v[238:239], v[18:19] neg_lo:[0,0,1] neg_hi:[0,0,1]
	v_pk_fma_f32 v[4:5], v[4:5], v[238:239], v[18:19] op_sel_hi:[1,0,1]
	s_nop 0
	v_mov_b32_e32 v21, v5
	s_waitcnt vmcnt(2) lgkmcnt(2)
	v_pk_mul_f32 v[4:5], v[6:7], v[240:241] op_sel:[1,1] op_sel_hi:[0,1]
	v_pk_fma_f32 v[18:19], v[6:7], v[240:241], v[4:5] neg_lo:[0,0,1] neg_hi:[0,0,1]
	v_pk_fma_f32 v[4:5], v[6:7], v[240:241], v[4:5] op_sel_hi:[1,0,1]
	v_pk_add_f32 v[2:3], v[2:3], v[20:21]
	v_mov_b32_e32 v4, v243
	v_mov_b32_e32 v19, v5
	v_pk_mul_f32 v[4:5], v[8:9], v[4:5] op_sel:[1,0] op_sel_hi:[0,0]
	v_pk_fma_f32 v[6:7], v[8:9], v[242:243], v[4:5] neg_lo:[0,0,1] neg_hi:[0,0,1]
	v_pk_fma_f32 v[4:5], v[8:9], v[242:243], v[4:5] op_sel_hi:[1,0,1]
	v_pk_add_f32 v[2:3], v[2:3], v[18:19]
	v_mov_b32_e32 v7, v5
	s_waitcnt vmcnt(1) lgkmcnt(1)
	v_pk_mul_f32 v[4:5], v[10:11], v[244:245] op_sel:[1,1] op_sel_hi:[0,1]
	v_pk_add_f32 v[2:3], v[2:3], v[6:7]
	v_pk_fma_f32 v[6:7], v[10:11], v[244:245], v[4:5] neg_lo:[0,0,1] neg_hi:[0,0,1]
	v_pk_fma_f32 v[4:5], v[10:11], v[244:245], v[4:5] op_sel_hi:[1,0,1]
	s_nop 0
	v_mov_b32_e32 v4, v247
	v_mov_b32_e32 v7, v5
	v_pk_mul_f32 v[4:5], v[12:13], v[4:5] op_sel:[1,0] op_sel_hi:[0,0]
	v_pk_add_f32 v[2:3], v[2:3], v[6:7]
	v_pk_fma_f32 v[6:7], v[12:13], v[246:247], v[4:5] neg_lo:[0,0,1] neg_hi:[0,0,1]
	v_pk_fma_f32 v[4:5], v[12:13], v[246:247], v[4:5] op_sel_hi:[1,0,1]
	s_nop 0
	v_mov_b32_e32 v7, v5
	s_waitcnt vmcnt(0) lgkmcnt(0)
	v_pk_mul_f32 v[4:5], v[14:15], v[248:249] op_sel:[1,1] op_sel_hi:[0,1]
	v_pk_add_f32 v[2:3], v[2:3], v[6:7]
	v_pk_fma_f32 v[6:7], v[14:15], v[248:249], v[4:5] neg_lo:[0,0,1] neg_hi:[0,0,1]
	v_pk_fma_f32 v[4:5], v[14:15], v[248:249], v[4:5] op_sel_hi:[1,0,1]
	s_nop 0
	v_mov_b32_e32 v4, v251
	v_mov_b32_e32 v7, v5
	v_pk_mul_f32 v[4:5], v[16:17], v[4:5] op_sel:[1,0] op_sel_hi:[0,0]
	v_pk_add_f32 v[2:3], v[2:3], v[6:7]
	v_pk_fma_f32 v[6:7], v[16:17], v[250:251], v[4:5] neg_lo:[0,0,1] neg_hi:[0,0,1]
	v_pk_fma_f32 v[4:5], v[16:17], v[250:251], v[4:5] op_sel_hi:[1,0,1]
	s_nop 0
	v_mov_b32_e32 v7, v5
	scratch_load_dwordx2 v[4:5], off, off offset:48
	v_pk_add_f32 v[2:3], v[2:3], v[6:7]
	s_waitcnt vmcnt(0)
	v_pk_add_f32 v[2:3], v[4:5], v[2:3] neg_lo:[0,1] neg_hi:[0,1]
	scratch_store_dwordx2 off, v[2:3], off offset:48
	s_and_saveexec_b64 s[0:1], vcc
	s_cbranch_execz .LBB112_297
; %bb.296:
	scratch_load_dwordx2 v[2:3], off, off offset:40
	v_mov_b32_e32 v4, 0
	v_mov_b32_e32 v5, v4
	scratch_store_dwordx2 off, v[4:5], off offset:40
	s_waitcnt vmcnt(1)
	ds_write_b64 v1, v[2:3]
.LBB112_297:
	s_or_b64 exec, exec, s[0:1]
	v_mov_b32_e32 v102, 0
	s_waitcnt lgkmcnt(0)
	; wave barrier
	ds_read_b128 v[14:17], v102 offset:448
	ds_read_b128 v[10:13], v102 offset:464
	;; [unrolled: 1-line block ×4, first 2 shown]
	scratch_load_dwordx4 v[18:21], off, off offset:48
	scratch_load_dwordx4 v[38:41], off, off offset:112
	scratch_load_dwordx4 v[70:73], off, off offset:176
	scratch_load_dwordx4 v[78:81], off, off offset:192
	scratch_load_dwordx4 v[86:89], off, off offset:208
	scratch_load_dwordx4 v[94:97], off, off offset:224
	scratch_load_dwordx4 v[104:107], off, off offset:240
	scratch_load_dwordx4 v[112:115], off, off offset:256
	scratch_load_dwordx4 v[124:127], off, off offset:272
	scratch_load_dwordx4 v[224:227], off, off offset:288
	scratch_load_dwordx4 v[232:235], off, off offset:304
	scratch_load_dwordx4 v[240:243], off, off offset:320
	v_cmp_lt_u32_e32 vcc, 4, v0
	scratch_load_dwordx4 v[46:49], off, off offset:128
	scratch_load_dwordx4 v[54:57], off, off offset:144
	;; [unrolled: 1-line block ×3, first 2 shown]
	ds_read_b128 v[220:223], v102 offset:688
	ds_read_b128 v[228:231], v102 offset:704
	;; [unrolled: 1-line block ×3, first 2 shown]
	s_waitcnt vmcnt(14) lgkmcnt(6)
	v_mul_f32_e32 v22, v14, v19
	v_fmac_f32_e32 v22, v15, v18
	v_mul_f32_e32 v23, v16, v21
	v_add_f32_e32 v22, 0, v22
	v_fmac_f32_e32 v23, v17, v20
	v_add_f32_e32 v26, v22, v23
	scratch_load_dwordx4 v[22:25], off, off offset:64
	v_mul_f32_e32 v15, v15, v19
	v_fma_f32 v14, v14, v18, -v15
	v_mul_f32_e32 v15, v17, v21
	v_add_f32_e32 v14, 0, v14
	v_fma_f32 v15, v16, v20, -v15
	v_add_f32_e32 v14, v14, v15
	s_waitcnt vmcnt(5) lgkmcnt(1)
	v_mul_f32_e32 v129, v230, v235
	s_waitcnt vmcnt(4)
	v_mov_b32_e32 v18, v243
	v_fmac_f32_e32 v129, v231, v234
	s_waitcnt lgkmcnt(0)
	v_mul_f32_e32 v131, v236, v241
	v_pk_mul_f32 v[18:19], v[238:239], v[18:19] op_sel:[1,0] op_sel_hi:[0,0]
	v_fmac_f32_e32 v131, v237, v240
	v_pk_fma_f32 v[20:21], v[238:239], v[242:243], v[18:19] neg_lo:[0,0,1] neg_hi:[0,0,1]
	v_pk_fma_f32 v[18:19], v[238:239], v[242:243], v[18:19] op_sel_hi:[1,0,1]
	s_waitcnt vmcnt(0)
	v_mul_f32_e32 v27, v10, v23
	v_fmac_f32_e32 v27, v11, v22
	v_add_f32_e32 v26, v26, v27
	v_mul_f32_e32 v27, v12, v25
	v_fmac_f32_e32 v27, v13, v24
	v_add_f32_e32 v30, v26, v27
	scratch_load_dwordx4 v[26:29], off, off offset:80
	v_mul_f32_e32 v11, v11, v23
	v_fma_f32 v10, v10, v22, -v11
	v_mul_f32_e32 v11, v13, v25
	v_add_f32_e32 v10, v14, v10
	v_fma_f32 v11, v12, v24, -v11
	v_add_f32_e32 v10, v10, v11
	v_mov_b32_e32 v21, v19
	s_waitcnt vmcnt(0)
	v_mul_f32_e32 v31, v6, v27
	v_fmac_f32_e32 v31, v7, v26
	v_add_f32_e32 v30, v30, v31
	v_mul_f32_e32 v31, v8, v29
	v_fmac_f32_e32 v31, v9, v28
	v_add_f32_e32 v34, v30, v31
	scratch_load_dwordx4 v[30:33], off, off offset:96
	v_mul_f32_e32 v7, v7, v27
	v_fma_f32 v6, v6, v26, -v7
	v_mul_f32_e32 v7, v9, v29
	v_add_f32_e32 v6, v10, v6
	v_fma_f32 v7, v8, v28, -v7
	v_add_f32_e32 v6, v6, v7
	s_waitcnt vmcnt(0)
	v_mul_f32_e32 v35, v2, v31
	v_fmac_f32_e32 v35, v3, v30
	v_add_f32_e32 v34, v34, v35
	v_mul_f32_e32 v35, v4, v33
	v_fmac_f32_e32 v35, v5, v32
	v_add_f32_e32 v42, v34, v35
	ds_read_b128 v[34:37], v102 offset:512
	v_mul_f32_e32 v3, v3, v31
	v_fma_f32 v2, v2, v30, -v3
	v_mul_f32_e32 v3, v5, v33
	v_add_f32_e32 v2, v6, v2
	s_waitcnt lgkmcnt(0)
	v_mul_f32_e32 v43, v34, v39
	v_fmac_f32_e32 v43, v35, v38
	v_add_f32_e32 v42, v42, v43
	v_mul_f32_e32 v43, v36, v41
	v_fmac_f32_e32 v43, v37, v40
	v_add_f32_e32 v50, v42, v43
	ds_read_b128 v[42:45], v102 offset:528
	v_fma_f32 v3, v4, v32, -v3
	v_add_f32_e32 v2, v2, v3
	v_mul_f32_e32 v3, v35, v39
	v_fma_f32 v3, v34, v38, -v3
	s_waitcnt lgkmcnt(0)
	v_mul_f32_e32 v51, v42, v47
	v_fmac_f32_e32 v51, v43, v46
	v_add_f32_e32 v50, v50, v51
	v_mul_f32_e32 v51, v44, v49
	v_fmac_f32_e32 v51, v45, v48
	v_add_f32_e32 v58, v50, v51
	ds_read_b128 v[50:53], v102 offset:544
	v_add_f32_e32 v2, v2, v3
	v_mul_f32_e32 v3, v37, v41
	v_fma_f32 v3, v36, v40, -v3
	v_add_f32_e32 v2, v2, v3
	s_waitcnt lgkmcnt(0)
	v_mul_f32_e32 v59, v50, v55
	v_fmac_f32_e32 v59, v51, v54
	v_add_f32_e32 v58, v58, v59
	v_mul_f32_e32 v59, v52, v57
	v_fmac_f32_e32 v59, v53, v56
	v_add_f32_e32 v66, v58, v59
	ds_read_b128 v[58:61], v102 offset:560
	v_mul_f32_e32 v3, v43, v47
	v_fma_f32 v3, v42, v46, -v3
	v_add_f32_e32 v2, v2, v3
	v_mul_f32_e32 v3, v45, v49
	s_waitcnt lgkmcnt(0)
	v_mul_f32_e32 v67, v58, v63
	v_fmac_f32_e32 v67, v59, v62
	v_add_f32_e32 v66, v66, v67
	v_mul_f32_e32 v67, v60, v65
	v_fmac_f32_e32 v67, v61, v64
	v_add_f32_e32 v74, v66, v67
	ds_read_b128 v[66:69], v102 offset:576
	v_fma_f32 v3, v44, v48, -v3
	v_add_f32_e32 v2, v2, v3
	v_mul_f32_e32 v3, v51, v55
	v_fma_f32 v3, v50, v54, -v3
	s_waitcnt lgkmcnt(0)
	v_mul_f32_e32 v75, v66, v71
	v_fmac_f32_e32 v75, v67, v70
	v_add_f32_e32 v74, v74, v75
	v_mul_f32_e32 v75, v68, v73
	v_fmac_f32_e32 v75, v69, v72
	v_add_f32_e32 v82, v74, v75
	ds_read_b128 v[74:77], v102 offset:592
	v_add_f32_e32 v2, v2, v3
	v_mul_f32_e32 v3, v53, v57
	v_fma_f32 v3, v52, v56, -v3
	v_add_f32_e32 v2, v2, v3
	s_waitcnt lgkmcnt(0)
	v_mul_f32_e32 v83, v74, v79
	v_fmac_f32_e32 v83, v75, v78
	v_add_f32_e32 v82, v82, v83
	v_mul_f32_e32 v83, v76, v81
	v_fmac_f32_e32 v83, v77, v80
	v_add_f32_e32 v90, v82, v83
	ds_read_b128 v[82:85], v102 offset:608
	v_mul_f32_e32 v3, v59, v63
	v_fma_f32 v3, v58, v62, -v3
	v_add_f32_e32 v2, v2, v3
	v_mul_f32_e32 v3, v61, v65
	;; [unrolled: 36-line block ×3, first 2 shown]
	s_waitcnt lgkmcnt(0)
	v_mul_f32_e32 v116, v108, v113
	v_fmac_f32_e32 v116, v109, v112
	v_add_f32_e32 v103, v103, v116
	v_mul_f32_e32 v116, v110, v115
	v_fmac_f32_e32 v116, v111, v114
	v_add_f32_e32 v103, v103, v116
	ds_read_b128 v[116:119], v102 offset:672
	scratch_load_dwordx4 v[244:247], off, off offset:336
	scratch_load_dwordx4 v[248:251], off, off offset:352
	;; [unrolled: 1-line block ×3, first 2 shown]
	scratch_load_dwordx2 v[132:133], off, off offset:384
	v_fma_f32 v3, v76, v80, -v3
	v_add_f32_e32 v2, v2, v3
	v_mul_f32_e32 v3, v83, v87
	v_fma_f32 v3, v82, v86, -v3
	v_add_f32_e32 v2, v2, v3
	v_mul_f32_e32 v3, v85, v89
	;; [unrolled: 3-line block ×8, first 2 shown]
	v_fma_f32 v3, v110, v114, -v3
	s_waitcnt lgkmcnt(0)
	v_mul_f32_e32 v120, v116, v125
	v_add_f32_e32 v2, v2, v3
	v_mul_f32_e32 v3, v117, v125
	v_fmac_f32_e32 v120, v117, v124
	v_fma_f32 v3, v116, v124, -v3
	v_add_f32_e32 v103, v103, v120
	v_mul_f32_e32 v120, v118, v127
	v_add_f32_e32 v2, v2, v3
	v_mul_f32_e32 v3, v119, v127
	v_fmac_f32_e32 v120, v119, v126
	v_fma_f32 v3, v118, v126, -v3
	v_add_f32_e32 v103, v103, v120
	;; [unrolled: 6-line block ×5, first 2 shown]
	v_add_f32_e32 v120, v2, v3
	v_mul_f32_e32 v2, v231, v235
	v_fma_f32 v128, v230, v234, -v2
	v_mul_f32_e32 v2, v237, v241
	v_fma_f32 v130, v236, v240, -v2
	ds_read_b128 v[2:5], v102 offset:736
	ds_read_b128 v[6:9], v102 offset:752
	;; [unrolled: 1-line block ×3, first 2 shown]
	ds_read_b64 v[14:15], v102 offset:784
	v_pk_add_f32 v[16:17], v[120:121], v[128:129]
	s_waitcnt vmcnt(3) lgkmcnt(3)
	v_pk_mul_f32 v[18:19], v[2:3], v[244:245] op_sel:[1,1] op_sel_hi:[0,1]
	v_pk_add_f32 v[16:17], v[16:17], v[130:131]
	s_nop 0
	v_pk_add_f32 v[16:17], v[16:17], v[20:21]
	v_pk_fma_f32 v[20:21], v[2:3], v[244:245], v[18:19] neg_lo:[0,0,1] neg_hi:[0,0,1]
	v_pk_fma_f32 v[2:3], v[2:3], v[244:245], v[18:19] op_sel_hi:[1,0,1]
	s_nop 0
	v_mov_b32_e32 v21, v3
	v_pk_add_f32 v[2:3], v[16:17], v[20:21]
	v_mov_b32_e32 v16, v247
	v_pk_mul_f32 v[16:17], v[4:5], v[16:17] op_sel:[1,0] op_sel_hi:[0,0]
	v_pk_fma_f32 v[18:19], v[4:5], v[246:247], v[16:17] neg_lo:[0,0,1] neg_hi:[0,0,1]
	v_pk_fma_f32 v[4:5], v[4:5], v[246:247], v[16:17] op_sel_hi:[1,0,1]
	s_nop 0
	v_mov_b32_e32 v19, v5
	s_waitcnt vmcnt(2) lgkmcnt(2)
	v_pk_mul_f32 v[4:5], v[6:7], v[248:249] op_sel:[1,1] op_sel_hi:[0,1]
	v_pk_fma_f32 v[16:17], v[6:7], v[248:249], v[4:5] neg_lo:[0,0,1] neg_hi:[0,0,1]
	v_pk_fma_f32 v[4:5], v[6:7], v[248:249], v[4:5] op_sel_hi:[1,0,1]
	v_pk_add_f32 v[2:3], v[2:3], v[18:19]
	v_mov_b32_e32 v4, v251
	v_mov_b32_e32 v17, v5
	v_pk_mul_f32 v[4:5], v[8:9], v[4:5] op_sel:[1,0] op_sel_hi:[0,0]
	v_pk_fma_f32 v[6:7], v[8:9], v[250:251], v[4:5] neg_lo:[0,0,1] neg_hi:[0,0,1]
	v_pk_fma_f32 v[4:5], v[8:9], v[250:251], v[4:5] op_sel_hi:[1,0,1]
	v_pk_add_f32 v[2:3], v[2:3], v[16:17]
	v_mov_b32_e32 v7, v5
	s_waitcnt vmcnt(1) lgkmcnt(1)
	v_pk_mul_f32 v[4:5], v[10:11], v[252:253] op_sel:[1,1] op_sel_hi:[0,1]
	v_pk_add_f32 v[2:3], v[2:3], v[6:7]
	v_pk_fma_f32 v[6:7], v[10:11], v[252:253], v[4:5] neg_lo:[0,0,1] neg_hi:[0,0,1]
	v_pk_fma_f32 v[4:5], v[10:11], v[252:253], v[4:5] op_sel_hi:[1,0,1]
	s_nop 0
	v_mov_b32_e32 v4, v255
	v_mov_b32_e32 v7, v5
	v_pk_mul_f32 v[4:5], v[12:13], v[4:5] op_sel:[1,0] op_sel_hi:[0,0]
	v_pk_add_f32 v[2:3], v[2:3], v[6:7]
	v_pk_fma_f32 v[6:7], v[12:13], v[254:255], v[4:5] neg_lo:[0,0,1] neg_hi:[0,0,1]
	v_pk_fma_f32 v[4:5], v[12:13], v[254:255], v[4:5] op_sel_hi:[1,0,1]
	s_nop 0
	v_mov_b32_e32 v7, v5
	s_waitcnt vmcnt(0) lgkmcnt(0)
	v_pk_mul_f32 v[4:5], v[14:15], v[132:133] op_sel:[1,1] op_sel_hi:[0,1]
	v_pk_add_f32 v[2:3], v[2:3], v[6:7]
	v_pk_fma_f32 v[6:7], v[14:15], v[132:133], v[4:5] neg_lo:[0,0,1] neg_hi:[0,0,1]
	v_pk_fma_f32 v[4:5], v[14:15], v[132:133], v[4:5] op_sel_hi:[1,0,1]
	s_nop 0
	v_mov_b32_e32 v7, v5
	scratch_load_dwordx2 v[4:5], off, off offset:40
	v_pk_add_f32 v[2:3], v[2:3], v[6:7]
	s_waitcnt vmcnt(0)
	v_pk_add_f32 v[2:3], v[4:5], v[2:3] neg_lo:[0,1] neg_hi:[0,1]
	scratch_store_dwordx2 off, v[2:3], off offset:40
	s_and_saveexec_b64 s[0:1], vcc
	s_cbranch_execz .LBB112_299
; %bb.298:
	scratch_load_dwordx2 v[2:3], off, off offset:32
	v_mov_b32_e32 v103, v102
	scratch_store_dwordx2 off, v[102:103], off offset:32
	s_waitcnt vmcnt(1)
	ds_write_b64 v1, v[2:3]
.LBB112_299:
	s_or_b64 exec, exec, s[0:1]
	s_waitcnt lgkmcnt(0)
	; wave barrier
	scratch_load_dwordx4 v[6:9], off, off offset:40
	scratch_load_dwordx4 v[14:17], off, off offset:56
	;; [unrolled: 1-line block ×10, first 2 shown]
	ds_read2_b64 v[2:5], v102 offset0:55 offset1:56
	ds_read2_b64 v[220:223], v102 offset0:85 offset1:86
	scratch_load_dwordx4 v[86:89], off, off offset:200
	scratch_load_dwordx4 v[94:97], off, off offset:216
	;; [unrolled: 1-line block ×8, first 2 shown]
	v_cmp_lt_u32_e32 vcc, 3, v0
	ds_read2_b64 v[228:231], v102 offset0:87 offset1:88
	ds_read2_b64 v[236:239], v102 offset0:89 offset1:90
	s_waitcnt vmcnt(17) lgkmcnt(3)
	v_mul_f32_e32 v10, v2, v7
	v_fmac_f32_e32 v10, v3, v6
	v_mul_f32_e32 v11, v4, v9
	v_add_f32_e32 v10, 0, v10
	v_fmac_f32_e32 v11, v5, v8
	v_add_f32_e32 v18, v10, v11
	ds_read2_b64 v[10:13], v102 offset0:57 offset1:58
	v_mul_f32_e32 v3, v3, v7
	v_fma_f32 v2, v2, v6, -v3
	v_mul_f32_e32 v3, v5, v9
	v_add_f32_e32 v2, 0, v2
	s_waitcnt vmcnt(16) lgkmcnt(0)
	v_mul_f32_e32 v19, v10, v15
	v_fmac_f32_e32 v19, v11, v14
	v_add_f32_e32 v18, v18, v19
	v_mul_f32_e32 v19, v12, v17
	v_fmac_f32_e32 v19, v13, v16
	v_add_f32_e32 v26, v18, v19
	ds_read2_b64 v[18:21], v102 offset0:59 offset1:60
	v_fma_f32 v3, v4, v8, -v3
	v_add_f32_e32 v2, v2, v3
	v_mul_f32_e32 v3, v11, v15
	v_fma_f32 v3, v10, v14, -v3
	s_waitcnt vmcnt(15) lgkmcnt(0)
	v_mul_f32_e32 v27, v18, v23
	v_fmac_f32_e32 v27, v19, v22
	v_add_f32_e32 v26, v26, v27
	v_mul_f32_e32 v27, v20, v25
	v_fmac_f32_e32 v27, v21, v24
	v_add_f32_e32 v34, v26, v27
	ds_read2_b64 v[26:29], v102 offset0:61 offset1:62
	v_add_f32_e32 v2, v2, v3
	v_mul_f32_e32 v3, v13, v17
	v_fma_f32 v3, v12, v16, -v3
	v_add_f32_e32 v2, v2, v3
	s_waitcnt vmcnt(14) lgkmcnt(0)
	v_mul_f32_e32 v35, v26, v31
	v_fmac_f32_e32 v35, v27, v30
	v_add_f32_e32 v34, v34, v35
	v_mul_f32_e32 v35, v28, v33
	v_fmac_f32_e32 v35, v29, v32
	v_add_f32_e32 v42, v34, v35
	ds_read2_b64 v[34:37], v102 offset0:63 offset1:64
	v_mul_f32_e32 v3, v19, v23
	v_fma_f32 v3, v18, v22, -v3
	v_add_f32_e32 v2, v2, v3
	v_mul_f32_e32 v3, v21, v25
	s_waitcnt vmcnt(13) lgkmcnt(0)
	v_mul_f32_e32 v43, v34, v39
	v_fmac_f32_e32 v43, v35, v38
	v_add_f32_e32 v42, v42, v43
	v_mul_f32_e32 v43, v36, v41
	v_fmac_f32_e32 v43, v37, v40
	v_add_f32_e32 v50, v42, v43
	ds_read2_b64 v[42:45], v102 offset0:65 offset1:66
	v_fma_f32 v3, v20, v24, -v3
	v_add_f32_e32 v2, v2, v3
	v_mul_f32_e32 v3, v27, v31
	v_fma_f32 v3, v26, v30, -v3
	s_waitcnt vmcnt(12) lgkmcnt(0)
	v_mul_f32_e32 v51, v42, v47
	v_fmac_f32_e32 v51, v43, v46
	v_add_f32_e32 v50, v50, v51
	v_mul_f32_e32 v51, v44, v49
	v_fmac_f32_e32 v51, v45, v48
	v_add_f32_e32 v58, v50, v51
	ds_read2_b64 v[50:53], v102 offset0:67 offset1:68
	v_add_f32_e32 v2, v2, v3
	v_mul_f32_e32 v3, v29, v33
	v_fma_f32 v3, v28, v32, -v3
	v_add_f32_e32 v2, v2, v3
	s_waitcnt vmcnt(11) lgkmcnt(0)
	v_mul_f32_e32 v59, v50, v55
	v_fmac_f32_e32 v59, v51, v54
	v_add_f32_e32 v58, v58, v59
	v_mul_f32_e32 v59, v52, v57
	v_fmac_f32_e32 v59, v53, v56
	v_add_f32_e32 v66, v58, v59
	ds_read2_b64 v[58:61], v102 offset0:69 offset1:70
	v_mul_f32_e32 v3, v35, v39
	v_fma_f32 v3, v34, v38, -v3
	v_add_f32_e32 v2, v2, v3
	v_mul_f32_e32 v3, v37, v41
	;; [unrolled: 36-line block ×4, first 2 shown]
	s_waitcnt vmcnt(4) lgkmcnt(0)
	v_mul_f32_e32 v116, v108, v113
	v_fmac_f32_e32 v116, v109, v112
	v_add_f32_e32 v103, v103, v116
	v_mul_f32_e32 v116, v110, v115
	v_fmac_f32_e32 v116, v111, v114
	v_add_f32_e32 v103, v103, v116
	ds_read2_b64 v[116:119], v102 offset0:83 offset1:84
	scratch_load_dwordx4 v[244:247], off, off offset:328
	scratch_load_dwordx4 v[248:251], off, off offset:344
	;; [unrolled: 1-line block ×4, first 2 shown]
	v_fma_f32 v3, v68, v72, -v3
	v_add_f32_e32 v2, v2, v3
	v_mul_f32_e32 v3, v75, v79
	v_fma_f32 v3, v74, v78, -v3
	v_add_f32_e32 v2, v2, v3
	v_mul_f32_e32 v3, v77, v81
	;; [unrolled: 3-line block ×10, first 2 shown]
	v_fma_f32 v3, v110, v114, -v3
	s_waitcnt vmcnt(7) lgkmcnt(0)
	v_mul_f32_e32 v120, v116, v125
	v_add_f32_e32 v2, v2, v3
	v_mul_f32_e32 v3, v117, v125
	v_fmac_f32_e32 v120, v117, v124
	v_fma_f32 v3, v116, v124, -v3
	v_add_f32_e32 v103, v103, v120
	v_mul_f32_e32 v120, v118, v127
	v_add_f32_e32 v2, v2, v3
	v_mul_f32_e32 v3, v119, v127
	v_fmac_f32_e32 v120, v119, v126
	v_fma_f32 v3, v118, v126, -v3
	v_add_f32_e32 v103, v103, v120
	s_waitcnt vmcnt(6)
	v_mul_f32_e32 v120, v220, v225
	v_add_f32_e32 v2, v2, v3
	v_mul_f32_e32 v3, v221, v225
	v_fmac_f32_e32 v120, v221, v224
	v_fma_f32 v3, v220, v224, -v3
	v_add_f32_e32 v103, v103, v120
	v_mul_f32_e32 v120, v222, v227
	v_add_f32_e32 v2, v2, v3
	v_mul_f32_e32 v3, v223, v227
	v_fmac_f32_e32 v120, v223, v226
	v_fma_f32 v3, v222, v226, -v3
	v_add_f32_e32 v103, v103, v120
	s_waitcnt vmcnt(5)
	v_mul_f32_e32 v120, v228, v233
	v_add_f32_e32 v2, v2, v3
	v_mul_f32_e32 v3, v229, v233
	v_fmac_f32_e32 v120, v229, v232
	v_fma_f32 v3, v228, v232, -v3
	v_add_f32_e32 v103, v103, v120
	v_mul_f32_e32 v120, v230, v235
	v_add_f32_e32 v2, v2, v3
	v_mul_f32_e32 v3, v231, v235
	v_fmac_f32_e32 v120, v231, v234
	v_fma_f32 v3, v230, v234, -v3
	v_add_f32_e32 v121, v103, v120
	v_add_f32_e32 v120, v2, v3
	s_waitcnt vmcnt(4)
	v_mul_f32_e32 v2, v237, v241
	v_fma_f32 v132, v236, v240, -v2
	v_mul_f32_e32 v2, v239, v243
	v_fma_f32 v134, v238, v242, -v2
	ds_read2_b64 v[2:5], v102 offset0:91 offset1:92
	ds_read2_b64 v[6:9], v102 offset0:93 offset1:94
	;; [unrolled: 1-line block ×4, first 2 shown]
	v_mul_f32_e32 v133, v236, v241
	v_fmac_f32_e32 v133, v237, v240
	v_mul_f32_e32 v135, v238, v243
	s_waitcnt vmcnt(3) lgkmcnt(3)
	v_pk_mul_f32 v[20:21], v[2:3], v[244:245] op_sel:[1,1] op_sel_hi:[0,1]
	v_fmac_f32_e32 v135, v239, v242
	v_pk_add_f32 v[18:19], v[120:121], v[132:133]
	v_pk_fma_f32 v[22:23], v[2:3], v[244:245], v[20:21] neg_lo:[0,0,1] neg_hi:[0,0,1]
	v_pk_fma_f32 v[2:3], v[2:3], v[244:245], v[20:21] op_sel_hi:[1,0,1]
	v_pk_add_f32 v[18:19], v[18:19], v[134:135]
	v_mov_b32_e32 v23, v3
	v_pk_add_f32 v[2:3], v[18:19], v[22:23]
	v_mov_b32_e32 v18, v247
	v_pk_mul_f32 v[18:19], v[4:5], v[18:19] op_sel:[1,0] op_sel_hi:[0,0]
	v_pk_fma_f32 v[20:21], v[4:5], v[246:247], v[18:19] neg_lo:[0,0,1] neg_hi:[0,0,1]
	v_pk_fma_f32 v[4:5], v[4:5], v[246:247], v[18:19] op_sel_hi:[1,0,1]
	s_nop 0
	v_mov_b32_e32 v21, v5
	s_waitcnt vmcnt(2) lgkmcnt(2)
	v_pk_mul_f32 v[4:5], v[6:7], v[248:249] op_sel:[1,1] op_sel_hi:[0,1]
	v_pk_fma_f32 v[18:19], v[6:7], v[248:249], v[4:5] neg_lo:[0,0,1] neg_hi:[0,0,1]
	v_pk_fma_f32 v[4:5], v[6:7], v[248:249], v[4:5] op_sel_hi:[1,0,1]
	v_pk_add_f32 v[2:3], v[2:3], v[20:21]
	v_mov_b32_e32 v4, v251
	v_mov_b32_e32 v19, v5
	v_pk_mul_f32 v[4:5], v[8:9], v[4:5] op_sel:[1,0] op_sel_hi:[0,0]
	v_pk_fma_f32 v[6:7], v[8:9], v[250:251], v[4:5] neg_lo:[0,0,1] neg_hi:[0,0,1]
	v_pk_fma_f32 v[4:5], v[8:9], v[250:251], v[4:5] op_sel_hi:[1,0,1]
	v_pk_add_f32 v[2:3], v[2:3], v[18:19]
	v_mov_b32_e32 v7, v5
	s_waitcnt vmcnt(1) lgkmcnt(1)
	v_pk_mul_f32 v[4:5], v[10:11], v[252:253] op_sel:[1,1] op_sel_hi:[0,1]
	v_pk_add_f32 v[2:3], v[2:3], v[6:7]
	v_pk_fma_f32 v[6:7], v[10:11], v[252:253], v[4:5] neg_lo:[0,0,1] neg_hi:[0,0,1]
	v_pk_fma_f32 v[4:5], v[10:11], v[252:253], v[4:5] op_sel_hi:[1,0,1]
	s_nop 0
	v_mov_b32_e32 v4, v255
	v_mov_b32_e32 v7, v5
	v_pk_mul_f32 v[4:5], v[12:13], v[4:5] op_sel:[1,0] op_sel_hi:[0,0]
	v_pk_add_f32 v[2:3], v[2:3], v[6:7]
	v_pk_fma_f32 v[6:7], v[12:13], v[254:255], v[4:5] neg_lo:[0,0,1] neg_hi:[0,0,1]
	v_pk_fma_f32 v[4:5], v[12:13], v[254:255], v[4:5] op_sel_hi:[1,0,1]
	s_nop 0
	v_mov_b32_e32 v7, v5
	s_waitcnt vmcnt(0) lgkmcnt(0)
	v_pk_mul_f32 v[4:5], v[14:15], v[128:129] op_sel:[1,1] op_sel_hi:[0,1]
	v_pk_add_f32 v[2:3], v[2:3], v[6:7]
	v_pk_fma_f32 v[6:7], v[14:15], v[128:129], v[4:5] neg_lo:[0,0,1] neg_hi:[0,0,1]
	v_pk_fma_f32 v[4:5], v[14:15], v[128:129], v[4:5] op_sel_hi:[1,0,1]
	s_nop 0
	v_mov_b32_e32 v4, v131
	v_mov_b32_e32 v7, v5
	v_pk_mul_f32 v[4:5], v[16:17], v[4:5] op_sel:[1,0] op_sel_hi:[0,0]
	v_pk_add_f32 v[2:3], v[2:3], v[6:7]
	v_pk_fma_f32 v[6:7], v[16:17], v[130:131], v[4:5] neg_lo:[0,0,1] neg_hi:[0,0,1]
	v_pk_fma_f32 v[4:5], v[16:17], v[130:131], v[4:5] op_sel_hi:[1,0,1]
	s_nop 0
	v_mov_b32_e32 v7, v5
	scratch_load_dwordx2 v[4:5], off, off offset:32
	v_pk_add_f32 v[2:3], v[2:3], v[6:7]
	s_waitcnt vmcnt(0)
	v_pk_add_f32 v[2:3], v[4:5], v[2:3] neg_lo:[0,1] neg_hi:[0,1]
	scratch_store_dwordx2 off, v[2:3], off offset:32
	s_and_saveexec_b64 s[0:1], vcc
	s_cbranch_execz .LBB112_301
; %bb.300:
	scratch_load_dwordx2 v[2:3], off, off offset:24
	v_mov_b32_e32 v4, 0
	v_mov_b32_e32 v5, v4
	scratch_store_dwordx2 off, v[4:5], off offset:24
	s_waitcnt vmcnt(1)
	ds_write_b64 v1, v[2:3]
.LBB112_301:
	s_or_b64 exec, exec, s[0:1]
	v_mov_b32_e32 v110, 0
	s_waitcnt lgkmcnt(0)
	; wave barrier
	ds_read_b128 v[14:17], v110 offset:432
	ds_read_b128 v[10:13], v110 offset:448
	;; [unrolled: 1-line block ×4, first 2 shown]
	scratch_load_dwordx4 v[18:21], off, off offset:32
	scratch_load_dwordx4 v[38:41], off, off offset:96
	;; [unrolled: 1-line block ×13, first 2 shown]
	v_cmp_lt_u32_e32 vcc, 2, v0
	scratch_load_dwordx4 v[46:49], off, off offset:112
	scratch_load_dwordx4 v[54:57], off, off offset:128
	;; [unrolled: 1-line block ×3, first 2 shown]
	ds_read_b128 v[128:131], v110 offset:672
	ds_read_b128 v[224:227], v110 offset:688
	;; [unrolled: 1-line block ×4, first 2 shown]
	s_waitcnt vmcnt(15) lgkmcnt(7)
	v_mul_f32_e32 v22, v14, v19
	v_fmac_f32_e32 v22, v15, v18
	v_mul_f32_e32 v23, v16, v21
	v_add_f32_e32 v22, 0, v22
	v_fmac_f32_e32 v23, v17, v20
	v_add_f32_e32 v26, v22, v23
	scratch_load_dwordx4 v[22:25], off, off offset:48
	v_mul_f32_e32 v15, v15, v19
	v_fma_f32 v14, v14, v18, -v15
	v_mul_f32_e32 v15, v17, v21
	v_add_f32_e32 v14, 0, v14
	v_fma_f32 v15, v16, v20, -v15
	v_add_f32_e32 v14, v14, v15
	s_waitcnt vmcnt(5) lgkmcnt(1)
	v_mul_f32_e32 v137, v234, v239
	s_waitcnt vmcnt(4)
	v_mov_b32_e32 v18, v247
	v_fmac_f32_e32 v137, v235, v238
	s_waitcnt lgkmcnt(0)
	v_mul_f32_e32 v139, v240, v245
	v_pk_mul_f32 v[18:19], v[242:243], v[18:19] op_sel:[1,0] op_sel_hi:[0,0]
	v_fmac_f32_e32 v139, v241, v244
	v_pk_fma_f32 v[20:21], v[242:243], v[246:247], v[18:19] neg_lo:[0,0,1] neg_hi:[0,0,1]
	v_pk_fma_f32 v[18:19], v[242:243], v[246:247], v[18:19] op_sel_hi:[1,0,1]
	s_waitcnt vmcnt(0)
	v_mul_f32_e32 v27, v10, v23
	v_fmac_f32_e32 v27, v11, v22
	v_add_f32_e32 v26, v26, v27
	v_mul_f32_e32 v27, v12, v25
	v_fmac_f32_e32 v27, v13, v24
	v_add_f32_e32 v30, v26, v27
	scratch_load_dwordx4 v[26:29], off, off offset:64
	v_mul_f32_e32 v11, v11, v23
	v_fma_f32 v10, v10, v22, -v11
	v_mul_f32_e32 v11, v13, v25
	v_add_f32_e32 v10, v14, v10
	v_fma_f32 v11, v12, v24, -v11
	v_add_f32_e32 v10, v10, v11
	v_mov_b32_e32 v21, v19
	s_waitcnt vmcnt(0)
	v_mul_f32_e32 v31, v6, v27
	v_fmac_f32_e32 v31, v7, v26
	v_add_f32_e32 v30, v30, v31
	v_mul_f32_e32 v31, v8, v29
	v_fmac_f32_e32 v31, v9, v28
	v_add_f32_e32 v34, v30, v31
	scratch_load_dwordx4 v[30:33], off, off offset:80
	v_mul_f32_e32 v7, v7, v27
	v_fma_f32 v6, v6, v26, -v7
	v_mul_f32_e32 v7, v9, v29
	v_add_f32_e32 v6, v10, v6
	v_fma_f32 v7, v8, v28, -v7
	v_add_f32_e32 v6, v6, v7
	s_waitcnt vmcnt(0)
	v_mul_f32_e32 v35, v2, v31
	v_fmac_f32_e32 v35, v3, v30
	v_add_f32_e32 v34, v34, v35
	v_mul_f32_e32 v35, v4, v33
	v_fmac_f32_e32 v35, v5, v32
	v_add_f32_e32 v42, v34, v35
	ds_read_b128 v[34:37], v110 offset:496
	v_mul_f32_e32 v3, v3, v31
	v_fma_f32 v2, v2, v30, -v3
	v_mul_f32_e32 v3, v5, v33
	v_add_f32_e32 v2, v6, v2
	s_waitcnt lgkmcnt(0)
	v_mul_f32_e32 v43, v34, v39
	v_fmac_f32_e32 v43, v35, v38
	v_add_f32_e32 v42, v42, v43
	v_mul_f32_e32 v43, v36, v41
	v_fmac_f32_e32 v43, v37, v40
	v_add_f32_e32 v50, v42, v43
	ds_read_b128 v[42:45], v110 offset:512
	v_fma_f32 v3, v4, v32, -v3
	v_add_f32_e32 v2, v2, v3
	v_mul_f32_e32 v3, v35, v39
	v_fma_f32 v3, v34, v38, -v3
	s_waitcnt lgkmcnt(0)
	v_mul_f32_e32 v51, v42, v47
	v_fmac_f32_e32 v51, v43, v46
	v_add_f32_e32 v50, v50, v51
	v_mul_f32_e32 v51, v44, v49
	v_fmac_f32_e32 v51, v45, v48
	v_add_f32_e32 v58, v50, v51
	ds_read_b128 v[50:53], v110 offset:528
	v_add_f32_e32 v2, v2, v3
	v_mul_f32_e32 v3, v37, v41
	v_fma_f32 v3, v36, v40, -v3
	v_add_f32_e32 v2, v2, v3
	s_waitcnt lgkmcnt(0)
	v_mul_f32_e32 v59, v50, v55
	v_fmac_f32_e32 v59, v51, v54
	v_add_f32_e32 v58, v58, v59
	v_mul_f32_e32 v59, v52, v57
	v_fmac_f32_e32 v59, v53, v56
	v_add_f32_e32 v66, v58, v59
	ds_read_b128 v[58:61], v110 offset:544
	v_mul_f32_e32 v3, v43, v47
	v_fma_f32 v3, v42, v46, -v3
	v_add_f32_e32 v2, v2, v3
	v_mul_f32_e32 v3, v45, v49
	s_waitcnt lgkmcnt(0)
	v_mul_f32_e32 v67, v58, v63
	v_fmac_f32_e32 v67, v59, v62
	v_add_f32_e32 v66, v66, v67
	v_mul_f32_e32 v67, v60, v65
	v_fmac_f32_e32 v67, v61, v64
	v_add_f32_e32 v74, v66, v67
	ds_read_b128 v[66:69], v110 offset:560
	v_fma_f32 v3, v44, v48, -v3
	v_add_f32_e32 v2, v2, v3
	v_mul_f32_e32 v3, v51, v55
	v_fma_f32 v3, v50, v54, -v3
	s_waitcnt lgkmcnt(0)
	v_mul_f32_e32 v75, v66, v71
	v_fmac_f32_e32 v75, v67, v70
	v_add_f32_e32 v74, v74, v75
	v_mul_f32_e32 v75, v68, v73
	v_fmac_f32_e32 v75, v69, v72
	v_add_f32_e32 v82, v74, v75
	ds_read_b128 v[74:77], v110 offset:576
	v_add_f32_e32 v2, v2, v3
	v_mul_f32_e32 v3, v53, v57
	v_fma_f32 v3, v52, v56, -v3
	v_add_f32_e32 v2, v2, v3
	s_waitcnt lgkmcnt(0)
	v_mul_f32_e32 v83, v74, v79
	v_fmac_f32_e32 v83, v75, v78
	v_add_f32_e32 v82, v82, v83
	v_mul_f32_e32 v83, v76, v81
	v_fmac_f32_e32 v83, v77, v80
	v_add_f32_e32 v90, v82, v83
	ds_read_b128 v[82:85], v110 offset:592
	v_mul_f32_e32 v3, v59, v63
	v_fma_f32 v3, v58, v62, -v3
	v_add_f32_e32 v2, v2, v3
	v_mul_f32_e32 v3, v61, v65
	;; [unrolled: 36-line block ×3, first 2 shown]
	s_waitcnt lgkmcnt(0)
	v_mul_f32_e32 v116, v106, v113
	v_fmac_f32_e32 v116, v107, v112
	v_add_f32_e32 v111, v111, v116
	v_mul_f32_e32 v116, v108, v115
	v_fmac_f32_e32 v116, v109, v114
	v_add_f32_e32 v111, v111, v116
	ds_read_b128 v[116:119], v110 offset:656
	scratch_load_dwordx4 v[248:251], off, off offset:336
	scratch_load_dwordx4 v[252:255], off, off offset:352
	;; [unrolled: 1-line block ×3, first 2 shown]
	scratch_load_dwordx2 v[140:141], off, off offset:384
	v_fma_f32 v3, v76, v80, -v3
	v_add_f32_e32 v2, v2, v3
	v_mul_f32_e32 v3, v83, v87
	v_fma_f32 v3, v82, v86, -v3
	v_add_f32_e32 v2, v2, v3
	v_mul_f32_e32 v3, v85, v89
	;; [unrolled: 3-line block ×8, first 2 shown]
	v_fma_f32 v3, v108, v114, -v3
	s_waitcnt lgkmcnt(0)
	v_mul_f32_e32 v120, v116, v125
	v_add_f32_e32 v2, v2, v3
	v_mul_f32_e32 v3, v117, v125
	v_fmac_f32_e32 v120, v117, v124
	v_fma_f32 v3, v116, v124, -v3
	v_add_f32_e32 v111, v111, v120
	v_mul_f32_e32 v120, v118, v127
	v_add_f32_e32 v2, v2, v3
	v_mul_f32_e32 v3, v119, v127
	v_fmac_f32_e32 v120, v119, v126
	v_fma_f32 v3, v118, v126, -v3
	v_add_f32_e32 v111, v111, v120
	;; [unrolled: 6-line block ×7, first 2 shown]
	v_add_f32_e32 v120, v2, v3
	v_mul_f32_e32 v2, v235, v239
	v_fma_f32 v136, v234, v238, -v2
	v_mul_f32_e32 v2, v241, v245
	v_fma_f32 v138, v240, v244, -v2
	ds_read_b128 v[2:5], v110 offset:736
	ds_read_b128 v[6:9], v110 offset:752
	;; [unrolled: 1-line block ×3, first 2 shown]
	ds_read_b64 v[14:15], v110 offset:784
	v_pk_add_f32 v[16:17], v[120:121], v[136:137]
	s_waitcnt vmcnt(3) lgkmcnt(3)
	v_pk_mul_f32 v[18:19], v[2:3], v[248:249] op_sel:[1,1] op_sel_hi:[0,1]
	v_pk_add_f32 v[16:17], v[16:17], v[138:139]
	s_nop 0
	v_pk_add_f32 v[16:17], v[16:17], v[20:21]
	v_pk_fma_f32 v[20:21], v[2:3], v[248:249], v[18:19] neg_lo:[0,0,1] neg_hi:[0,0,1]
	v_pk_fma_f32 v[2:3], v[2:3], v[248:249], v[18:19] op_sel_hi:[1,0,1]
	s_nop 0
	v_mov_b32_e32 v21, v3
	v_pk_add_f32 v[2:3], v[16:17], v[20:21]
	v_mov_b32_e32 v16, v251
	v_pk_mul_f32 v[16:17], v[4:5], v[16:17] op_sel:[1,0] op_sel_hi:[0,0]
	v_pk_fma_f32 v[18:19], v[4:5], v[250:251], v[16:17] neg_lo:[0,0,1] neg_hi:[0,0,1]
	v_pk_fma_f32 v[4:5], v[4:5], v[250:251], v[16:17] op_sel_hi:[1,0,1]
	s_nop 0
	v_mov_b32_e32 v19, v5
	s_waitcnt vmcnt(2) lgkmcnt(2)
	v_pk_mul_f32 v[4:5], v[6:7], v[252:253] op_sel:[1,1] op_sel_hi:[0,1]
	v_pk_fma_f32 v[16:17], v[6:7], v[252:253], v[4:5] neg_lo:[0,0,1] neg_hi:[0,0,1]
	v_pk_fma_f32 v[4:5], v[6:7], v[252:253], v[4:5] op_sel_hi:[1,0,1]
	v_pk_add_f32 v[2:3], v[2:3], v[18:19]
	v_mov_b32_e32 v4, v255
	v_mov_b32_e32 v17, v5
	v_pk_mul_f32 v[4:5], v[8:9], v[4:5] op_sel:[1,0] op_sel_hi:[0,0]
	v_pk_fma_f32 v[6:7], v[8:9], v[254:255], v[4:5] neg_lo:[0,0,1] neg_hi:[0,0,1]
	v_pk_fma_f32 v[4:5], v[8:9], v[254:255], v[4:5] op_sel_hi:[1,0,1]
	v_pk_add_f32 v[2:3], v[2:3], v[16:17]
	v_mov_b32_e32 v7, v5
	s_waitcnt vmcnt(1) lgkmcnt(1)
	v_pk_mul_f32 v[4:5], v[10:11], v[132:133] op_sel:[1,1] op_sel_hi:[0,1]
	v_pk_add_f32 v[2:3], v[2:3], v[6:7]
	v_pk_fma_f32 v[6:7], v[10:11], v[132:133], v[4:5] neg_lo:[0,0,1] neg_hi:[0,0,1]
	v_pk_fma_f32 v[4:5], v[10:11], v[132:133], v[4:5] op_sel_hi:[1,0,1]
	s_nop 0
	v_mov_b32_e32 v4, v135
	v_mov_b32_e32 v7, v5
	v_pk_mul_f32 v[4:5], v[12:13], v[4:5] op_sel:[1,0] op_sel_hi:[0,0]
	v_pk_add_f32 v[2:3], v[2:3], v[6:7]
	v_pk_fma_f32 v[6:7], v[12:13], v[134:135], v[4:5] neg_lo:[0,0,1] neg_hi:[0,0,1]
	v_pk_fma_f32 v[4:5], v[12:13], v[134:135], v[4:5] op_sel_hi:[1,0,1]
	s_nop 0
	v_mov_b32_e32 v7, v5
	s_waitcnt vmcnt(0) lgkmcnt(0)
	v_pk_mul_f32 v[4:5], v[14:15], v[140:141] op_sel:[1,1] op_sel_hi:[0,1]
	v_pk_add_f32 v[2:3], v[2:3], v[6:7]
	v_pk_fma_f32 v[6:7], v[14:15], v[140:141], v[4:5] neg_lo:[0,0,1] neg_hi:[0,0,1]
	v_pk_fma_f32 v[4:5], v[14:15], v[140:141], v[4:5] op_sel_hi:[1,0,1]
	s_nop 0
	v_mov_b32_e32 v7, v5
	scratch_load_dwordx2 v[4:5], off, off offset:24
	v_pk_add_f32 v[2:3], v[2:3], v[6:7]
	s_waitcnt vmcnt(0)
	v_pk_add_f32 v[2:3], v[4:5], v[2:3] neg_lo:[0,1] neg_hi:[0,1]
	scratch_store_dwordx2 off, v[2:3], off offset:24
	s_and_saveexec_b64 s[0:1], vcc
	s_cbranch_execz .LBB112_303
; %bb.302:
	scratch_load_dwordx2 v[2:3], off, off offset:16
	v_mov_b32_e32 v111, v110
	scratch_store_dwordx2 off, v[110:111], off offset:16
	s_waitcnt vmcnt(1)
	ds_write_b64 v1, v[2:3]
.LBB112_303:
	s_or_b64 exec, exec, s[0:1]
	s_waitcnt lgkmcnt(0)
	; wave barrier
	scratch_load_dwordx4 v[6:9], off, off offset:24
	scratch_load_dwordx4 v[14:17], off, off offset:40
	;; [unrolled: 1-line block ×10, first 2 shown]
	ds_read2_b64 v[2:5], v110 offset0:53 offset1:54
	ds_read2_b64 v[128:131], v110 offset0:83 offset1:84
	scratch_load_dwordx4 v[86:89], off, off offset:184
	scratch_load_dwordx4 v[94:97], off, off offset:200
	;; [unrolled: 1-line block ×9, first 2 shown]
	v_cmp_lt_u32_e32 vcc, 1, v0
	ds_read2_b64 v[220:223], v110 offset0:85 offset1:86
	ds_read2_b64 v[228:231], v110 offset0:87 offset1:88
	;; [unrolled: 1-line block ×3, first 2 shown]
	s_waitcnt vmcnt(18) lgkmcnt(4)
	v_mul_f32_e32 v10, v2, v7
	v_fmac_f32_e32 v10, v3, v6
	v_mul_f32_e32 v11, v4, v9
	v_add_f32_e32 v10, 0, v10
	v_fmac_f32_e32 v11, v5, v8
	v_add_f32_e32 v18, v10, v11
	ds_read2_b64 v[10:13], v110 offset0:55 offset1:56
	v_mul_f32_e32 v3, v3, v7
	v_fma_f32 v2, v2, v6, -v3
	v_mul_f32_e32 v3, v5, v9
	v_add_f32_e32 v2, 0, v2
	s_waitcnt vmcnt(17) lgkmcnt(0)
	v_mul_f32_e32 v19, v10, v15
	v_fmac_f32_e32 v19, v11, v14
	v_add_f32_e32 v18, v18, v19
	v_mul_f32_e32 v19, v12, v17
	v_fmac_f32_e32 v19, v13, v16
	v_add_f32_e32 v26, v18, v19
	ds_read2_b64 v[18:21], v110 offset0:57 offset1:58
	v_fma_f32 v3, v4, v8, -v3
	v_add_f32_e32 v2, v2, v3
	v_mul_f32_e32 v3, v11, v15
	v_fma_f32 v3, v10, v14, -v3
	s_waitcnt vmcnt(16) lgkmcnt(0)
	v_mul_f32_e32 v27, v18, v23
	v_fmac_f32_e32 v27, v19, v22
	v_add_f32_e32 v26, v26, v27
	v_mul_f32_e32 v27, v20, v25
	v_fmac_f32_e32 v27, v21, v24
	v_add_f32_e32 v34, v26, v27
	ds_read2_b64 v[26:29], v110 offset0:59 offset1:60
	v_add_f32_e32 v2, v2, v3
	v_mul_f32_e32 v3, v13, v17
	v_fma_f32 v3, v12, v16, -v3
	v_add_f32_e32 v2, v2, v3
	s_waitcnt vmcnt(15) lgkmcnt(0)
	v_mul_f32_e32 v35, v26, v31
	v_fmac_f32_e32 v35, v27, v30
	v_add_f32_e32 v34, v34, v35
	v_mul_f32_e32 v35, v28, v33
	v_fmac_f32_e32 v35, v29, v32
	v_add_f32_e32 v42, v34, v35
	ds_read2_b64 v[34:37], v110 offset0:61 offset1:62
	v_mul_f32_e32 v3, v19, v23
	v_fma_f32 v3, v18, v22, -v3
	v_add_f32_e32 v2, v2, v3
	v_mul_f32_e32 v3, v21, v25
	s_waitcnt vmcnt(14) lgkmcnt(0)
	v_mul_f32_e32 v43, v34, v39
	v_fmac_f32_e32 v43, v35, v38
	v_add_f32_e32 v42, v42, v43
	v_mul_f32_e32 v43, v36, v41
	v_fmac_f32_e32 v43, v37, v40
	v_add_f32_e32 v50, v42, v43
	ds_read2_b64 v[42:45], v110 offset0:63 offset1:64
	v_fma_f32 v3, v20, v24, -v3
	v_add_f32_e32 v2, v2, v3
	v_mul_f32_e32 v3, v27, v31
	v_fma_f32 v3, v26, v30, -v3
	s_waitcnt vmcnt(13) lgkmcnt(0)
	v_mul_f32_e32 v51, v42, v47
	v_fmac_f32_e32 v51, v43, v46
	v_add_f32_e32 v50, v50, v51
	v_mul_f32_e32 v51, v44, v49
	v_fmac_f32_e32 v51, v45, v48
	v_add_f32_e32 v58, v50, v51
	ds_read2_b64 v[50:53], v110 offset0:65 offset1:66
	v_add_f32_e32 v2, v2, v3
	v_mul_f32_e32 v3, v29, v33
	v_fma_f32 v3, v28, v32, -v3
	v_add_f32_e32 v2, v2, v3
	s_waitcnt vmcnt(12) lgkmcnt(0)
	v_mul_f32_e32 v59, v50, v55
	v_fmac_f32_e32 v59, v51, v54
	v_add_f32_e32 v58, v58, v59
	v_mul_f32_e32 v59, v52, v57
	v_fmac_f32_e32 v59, v53, v56
	v_add_f32_e32 v66, v58, v59
	ds_read2_b64 v[58:61], v110 offset0:67 offset1:68
	v_mul_f32_e32 v3, v35, v39
	v_fma_f32 v3, v34, v38, -v3
	v_add_f32_e32 v2, v2, v3
	v_mul_f32_e32 v3, v37, v41
	s_waitcnt vmcnt(11) lgkmcnt(0)
	v_mul_f32_e32 v67, v58, v63
	v_fmac_f32_e32 v67, v59, v62
	v_add_f32_e32 v66, v66, v67
	v_mul_f32_e32 v67, v60, v65
	v_fmac_f32_e32 v67, v61, v64
	v_add_f32_e32 v74, v66, v67
	ds_read2_b64 v[66:69], v110 offset0:69 offset1:70
	v_fma_f32 v3, v36, v40, -v3
	v_add_f32_e32 v2, v2, v3
	v_mul_f32_e32 v3, v43, v47
	v_fma_f32 v3, v42, v46, -v3
	s_waitcnt vmcnt(10) lgkmcnt(0)
	v_mul_f32_e32 v75, v66, v71
	v_fmac_f32_e32 v75, v67, v70
	v_add_f32_e32 v74, v74, v75
	v_mul_f32_e32 v75, v68, v73
	v_fmac_f32_e32 v75, v69, v72
	v_add_f32_e32 v82, v74, v75
	ds_read2_b64 v[74:77], v110 offset0:71 offset1:72
	v_add_f32_e32 v2, v2, v3
	v_mul_f32_e32 v3, v45, v49
	v_fma_f32 v3, v44, v48, -v3
	v_add_f32_e32 v2, v2, v3
	s_waitcnt vmcnt(9) lgkmcnt(0)
	v_mul_f32_e32 v83, v74, v79
	v_fmac_f32_e32 v83, v75, v78
	v_add_f32_e32 v82, v82, v83
	v_mul_f32_e32 v83, v76, v81
	v_fmac_f32_e32 v83, v77, v80
	v_add_f32_e32 v90, v82, v83
	ds_read2_b64 v[82:85], v110 offset0:73 offset1:74
	v_mul_f32_e32 v3, v51, v55
	v_fma_f32 v3, v50, v54, -v3
	v_add_f32_e32 v2, v2, v3
	v_mul_f32_e32 v3, v53, v57
	s_waitcnt vmcnt(8) lgkmcnt(0)
	v_mul_f32_e32 v91, v82, v87
	v_fmac_f32_e32 v91, v83, v86
	v_add_f32_e32 v90, v90, v91
	v_mul_f32_e32 v91, v84, v89
	v_fmac_f32_e32 v91, v85, v88
	v_add_f32_e32 v98, v90, v91
	ds_read2_b64 v[90:93], v110 offset0:75 offset1:76
	v_fma_f32 v3, v52, v56, -v3
	v_add_f32_e32 v2, v2, v3
	v_mul_f32_e32 v3, v59, v63
	v_fma_f32 v3, v58, v62, -v3
	s_waitcnt vmcnt(7) lgkmcnt(0)
	v_mul_f32_e32 v99, v90, v95
	v_fmac_f32_e32 v99, v91, v94
	v_add_f32_e32 v98, v98, v99
	v_mul_f32_e32 v99, v92, v97
	v_fmac_f32_e32 v99, v93, v96
	v_add_f32_e32 v106, v98, v99
	ds_read2_b64 v[98:101], v110 offset0:77 offset1:78
	v_add_f32_e32 v2, v2, v3
	v_mul_f32_e32 v3, v61, v65
	v_fma_f32 v3, v60, v64, -v3
	v_add_f32_e32 v2, v2, v3
	s_waitcnt vmcnt(6) lgkmcnt(0)
	v_mul_f32_e32 v107, v98, v103
	v_fmac_f32_e32 v107, v99, v102
	v_add_f32_e32 v106, v106, v107
	v_mul_f32_e32 v107, v100, v105
	v_fmac_f32_e32 v107, v101, v104
	v_add_f32_e32 v111, v106, v107
	ds_read2_b64 v[106:109], v110 offset0:79 offset1:80
	v_mul_f32_e32 v3, v67, v71
	v_fma_f32 v3, v66, v70, -v3
	v_add_f32_e32 v2, v2, v3
	v_mul_f32_e32 v3, v69, v73
	s_waitcnt vmcnt(5) lgkmcnt(0)
	v_mul_f32_e32 v116, v106, v113
	v_fmac_f32_e32 v116, v107, v112
	v_add_f32_e32 v111, v111, v116
	v_mul_f32_e32 v116, v108, v115
	v_fmac_f32_e32 v116, v109, v114
	v_add_f32_e32 v111, v111, v116
	ds_read2_b64 v[116:119], v110 offset0:81 offset1:82
	scratch_load_dwordx4 v[244:247], off, off offset:328
	scratch_load_dwordx4 v[248:251], off, off offset:344
	;; [unrolled: 1-line block ×4, first 2 shown]
	v_fma_f32 v3, v68, v72, -v3
	v_add_f32_e32 v2, v2, v3
	v_mul_f32_e32 v3, v75, v79
	v_fma_f32 v3, v74, v78, -v3
	v_add_f32_e32 v2, v2, v3
	v_mul_f32_e32 v3, v77, v81
	;; [unrolled: 3-line block ×10, first 2 shown]
	v_fma_f32 v3, v108, v114, -v3
	s_waitcnt vmcnt(8) lgkmcnt(0)
	v_mul_f32_e32 v120, v116, v125
	v_add_f32_e32 v2, v2, v3
	v_mul_f32_e32 v3, v117, v125
	v_fmac_f32_e32 v120, v117, v124
	v_fma_f32 v3, v116, v124, -v3
	v_add_f32_e32 v111, v111, v120
	v_mul_f32_e32 v120, v118, v127
	v_add_f32_e32 v2, v2, v3
	v_mul_f32_e32 v3, v119, v127
	v_fmac_f32_e32 v120, v119, v126
	v_fma_f32 v3, v118, v126, -v3
	v_add_f32_e32 v111, v111, v120
	s_waitcnt vmcnt(7)
	v_mul_f32_e32 v120, v128, v133
	v_add_f32_e32 v2, v2, v3
	v_mul_f32_e32 v3, v129, v133
	v_fmac_f32_e32 v120, v129, v132
	v_fma_f32 v3, v128, v132, -v3
	v_add_f32_e32 v111, v111, v120
	v_mul_f32_e32 v120, v130, v135
	v_add_f32_e32 v2, v2, v3
	v_mul_f32_e32 v3, v131, v135
	v_fmac_f32_e32 v120, v131, v134
	v_fma_f32 v3, v130, v134, -v3
	v_add_f32_e32 v111, v111, v120
	s_waitcnt vmcnt(6)
	;; [unrolled: 13-line block ×3, first 2 shown]
	v_mul_f32_e32 v120, v228, v233
	v_add_f32_e32 v2, v2, v3
	v_mul_f32_e32 v3, v229, v233
	v_fmac_f32_e32 v120, v229, v232
	v_fma_f32 v3, v228, v232, -v3
	v_add_f32_e32 v111, v111, v120
	v_mul_f32_e32 v120, v230, v235
	v_add_f32_e32 v2, v2, v3
	v_mul_f32_e32 v3, v231, v235
	v_fmac_f32_e32 v120, v231, v234
	v_fma_f32 v3, v230, v234, -v3
	v_add_f32_e32 v121, v111, v120
	v_add_f32_e32 v120, v2, v3
	s_waitcnt vmcnt(4)
	v_mul_f32_e32 v2, v237, v241
	v_fma_f32 v140, v236, v240, -v2
	v_mul_f32_e32 v2, v239, v243
	v_fma_f32 v142, v238, v242, -v2
	ds_read2_b64 v[2:5], v110 offset0:91 offset1:92
	ds_read2_b64 v[6:9], v110 offset0:93 offset1:94
	;; [unrolled: 1-line block ×4, first 2 shown]
	v_mul_f32_e32 v141, v236, v241
	v_fmac_f32_e32 v141, v237, v240
	v_mul_f32_e32 v143, v238, v243
	s_waitcnt vmcnt(3) lgkmcnt(3)
	v_pk_mul_f32 v[20:21], v[2:3], v[244:245] op_sel:[1,1] op_sel_hi:[0,1]
	v_fmac_f32_e32 v143, v239, v242
	v_pk_add_f32 v[18:19], v[120:121], v[140:141]
	v_pk_fma_f32 v[22:23], v[2:3], v[244:245], v[20:21] neg_lo:[0,0,1] neg_hi:[0,0,1]
	v_pk_fma_f32 v[2:3], v[2:3], v[244:245], v[20:21] op_sel_hi:[1,0,1]
	v_pk_add_f32 v[18:19], v[18:19], v[142:143]
	v_mov_b32_e32 v23, v3
	v_pk_add_f32 v[2:3], v[18:19], v[22:23]
	v_mov_b32_e32 v18, v247
	v_pk_mul_f32 v[18:19], v[4:5], v[18:19] op_sel:[1,0] op_sel_hi:[0,0]
	v_pk_fma_f32 v[20:21], v[4:5], v[246:247], v[18:19] neg_lo:[0,0,1] neg_hi:[0,0,1]
	v_pk_fma_f32 v[4:5], v[4:5], v[246:247], v[18:19] op_sel_hi:[1,0,1]
	s_nop 0
	v_mov_b32_e32 v21, v5
	s_waitcnt vmcnt(2) lgkmcnt(2)
	v_pk_mul_f32 v[4:5], v[6:7], v[248:249] op_sel:[1,1] op_sel_hi:[0,1]
	v_pk_fma_f32 v[18:19], v[6:7], v[248:249], v[4:5] neg_lo:[0,0,1] neg_hi:[0,0,1]
	v_pk_fma_f32 v[4:5], v[6:7], v[248:249], v[4:5] op_sel_hi:[1,0,1]
	v_pk_add_f32 v[2:3], v[2:3], v[20:21]
	v_mov_b32_e32 v4, v251
	v_mov_b32_e32 v19, v5
	v_pk_mul_f32 v[4:5], v[8:9], v[4:5] op_sel:[1,0] op_sel_hi:[0,0]
	v_pk_fma_f32 v[6:7], v[8:9], v[250:251], v[4:5] neg_lo:[0,0,1] neg_hi:[0,0,1]
	v_pk_fma_f32 v[4:5], v[8:9], v[250:251], v[4:5] op_sel_hi:[1,0,1]
	v_pk_add_f32 v[2:3], v[2:3], v[18:19]
	v_mov_b32_e32 v7, v5
	s_waitcnt vmcnt(1) lgkmcnt(1)
	v_pk_mul_f32 v[4:5], v[10:11], v[252:253] op_sel:[1,1] op_sel_hi:[0,1]
	v_pk_add_f32 v[2:3], v[2:3], v[6:7]
	v_pk_fma_f32 v[6:7], v[10:11], v[252:253], v[4:5] neg_lo:[0,0,1] neg_hi:[0,0,1]
	v_pk_fma_f32 v[4:5], v[10:11], v[252:253], v[4:5] op_sel_hi:[1,0,1]
	s_nop 0
	v_mov_b32_e32 v4, v255
	v_mov_b32_e32 v7, v5
	v_pk_mul_f32 v[4:5], v[12:13], v[4:5] op_sel:[1,0] op_sel_hi:[0,0]
	v_pk_add_f32 v[2:3], v[2:3], v[6:7]
	v_pk_fma_f32 v[6:7], v[12:13], v[254:255], v[4:5] neg_lo:[0,0,1] neg_hi:[0,0,1]
	v_pk_fma_f32 v[4:5], v[12:13], v[254:255], v[4:5] op_sel_hi:[1,0,1]
	s_nop 0
	v_mov_b32_e32 v7, v5
	s_waitcnt vmcnt(0) lgkmcnt(0)
	v_pk_mul_f32 v[4:5], v[14:15], v[136:137] op_sel:[1,1] op_sel_hi:[0,1]
	v_pk_add_f32 v[2:3], v[2:3], v[6:7]
	v_pk_fma_f32 v[6:7], v[14:15], v[136:137], v[4:5] neg_lo:[0,0,1] neg_hi:[0,0,1]
	v_pk_fma_f32 v[4:5], v[14:15], v[136:137], v[4:5] op_sel_hi:[1,0,1]
	s_nop 0
	v_mov_b32_e32 v4, v139
	v_mov_b32_e32 v7, v5
	v_pk_mul_f32 v[4:5], v[16:17], v[4:5] op_sel:[1,0] op_sel_hi:[0,0]
	v_pk_add_f32 v[2:3], v[2:3], v[6:7]
	v_pk_fma_f32 v[6:7], v[16:17], v[138:139], v[4:5] neg_lo:[0,0,1] neg_hi:[0,0,1]
	v_pk_fma_f32 v[4:5], v[16:17], v[138:139], v[4:5] op_sel_hi:[1,0,1]
	s_nop 0
	v_mov_b32_e32 v7, v5
	scratch_load_dwordx2 v[4:5], off, off offset:16
	v_pk_add_f32 v[2:3], v[2:3], v[6:7]
	s_waitcnt vmcnt(0)
	v_pk_add_f32 v[2:3], v[4:5], v[2:3] neg_lo:[0,1] neg_hi:[0,1]
	scratch_store_dwordx2 off, v[2:3], off offset:16
	s_and_saveexec_b64 s[0:1], vcc
	s_cbranch_execz .LBB112_305
; %bb.304:
	scratch_load_dwordx2 v[2:3], off, off offset:8
	v_mov_b32_e32 v4, 0
	v_mov_b32_e32 v5, v4
	scratch_store_dwordx2 off, v[4:5], off offset:8
	s_waitcnt vmcnt(1)
	ds_write_b64 v1, v[2:3]
.LBB112_305:
	s_or_b64 exec, exec, s[0:1]
	v_mov_b32_e32 v118, 0
	s_waitcnt lgkmcnt(0)
	; wave barrier
	ds_read_b128 v[14:17], v118 offset:416
	ds_read_b128 v[10:13], v118 offset:432
	;; [unrolled: 1-line block ×4, first 2 shown]
	scratch_load_dwordx4 v[18:21], off, off offset:16
	scratch_load_dwordx4 v[38:41], off, off offset:80
	;; [unrolled: 1-line block ×14, first 2 shown]
	v_cmp_ne_u32_e32 vcc, 0, v0
	scratch_load_dwordx4 v[46:49], off, off offset:96
	scratch_load_dwordx4 v[54:57], off, off offset:112
	;; [unrolled: 1-line block ×3, first 2 shown]
	ds_read_b128 v[128:131], v118 offset:656
	ds_read_b128 v[136:139], v118 offset:672
	;; [unrolled: 1-line block ×5, first 2 shown]
	s_waitcnt vmcnt(16) lgkmcnt(8)
	v_mul_f32_e32 v22, v14, v19
	v_fmac_f32_e32 v22, v15, v18
	v_mul_f32_e32 v23, v16, v21
	v_add_f32_e32 v22, 0, v22
	v_fmac_f32_e32 v23, v17, v20
	v_add_f32_e32 v26, v22, v23
	scratch_load_dwordx4 v[22:25], off, off offset:32
	v_mul_f32_e32 v15, v15, v19
	v_fma_f32 v14, v14, v18, -v15
	v_mul_f32_e32 v15, v17, v21
	v_add_f32_e32 v14, 0, v14
	v_fma_f32 v15, v16, v20, -v15
	v_add_f32_e32 v14, v14, v15
	s_waitcnt vmcnt(5) lgkmcnt(1)
	v_mul_f32_e32 v145, v234, v239
	s_waitcnt vmcnt(4)
	v_mov_b32_e32 v18, v247
	v_fmac_f32_e32 v145, v235, v238
	s_waitcnt lgkmcnt(0)
	v_mul_f32_e32 v147, v240, v245
	v_pk_mul_f32 v[18:19], v[242:243], v[18:19] op_sel:[1,0] op_sel_hi:[0,0]
	v_fmac_f32_e32 v147, v241, v244
	v_pk_fma_f32 v[20:21], v[242:243], v[246:247], v[18:19] neg_lo:[0,0,1] neg_hi:[0,0,1]
	v_pk_fma_f32 v[18:19], v[242:243], v[246:247], v[18:19] op_sel_hi:[1,0,1]
	s_waitcnt vmcnt(0)
	v_mul_f32_e32 v27, v10, v23
	v_fmac_f32_e32 v27, v11, v22
	v_add_f32_e32 v26, v26, v27
	v_mul_f32_e32 v27, v12, v25
	v_fmac_f32_e32 v27, v13, v24
	v_add_f32_e32 v30, v26, v27
	scratch_load_dwordx4 v[26:29], off, off offset:48
	v_mul_f32_e32 v11, v11, v23
	v_fma_f32 v10, v10, v22, -v11
	v_mul_f32_e32 v11, v13, v25
	v_add_f32_e32 v10, v14, v10
	v_fma_f32 v11, v12, v24, -v11
	v_add_f32_e32 v10, v10, v11
	v_mov_b32_e32 v21, v19
	s_waitcnt vmcnt(0)
	v_mul_f32_e32 v31, v6, v27
	v_fmac_f32_e32 v31, v7, v26
	v_add_f32_e32 v30, v30, v31
	v_mul_f32_e32 v31, v8, v29
	v_fmac_f32_e32 v31, v9, v28
	v_add_f32_e32 v34, v30, v31
	scratch_load_dwordx4 v[30:33], off, off offset:64
	v_mul_f32_e32 v7, v7, v27
	v_fma_f32 v6, v6, v26, -v7
	v_mul_f32_e32 v7, v9, v29
	v_add_f32_e32 v6, v10, v6
	v_fma_f32 v7, v8, v28, -v7
	v_add_f32_e32 v6, v6, v7
	s_waitcnt vmcnt(0)
	v_mul_f32_e32 v35, v2, v31
	v_fmac_f32_e32 v35, v3, v30
	v_add_f32_e32 v34, v34, v35
	v_mul_f32_e32 v35, v4, v33
	v_fmac_f32_e32 v35, v5, v32
	v_add_f32_e32 v42, v34, v35
	ds_read_b128 v[34:37], v118 offset:480
	v_mul_f32_e32 v3, v3, v31
	v_fma_f32 v2, v2, v30, -v3
	v_mul_f32_e32 v3, v5, v33
	v_add_f32_e32 v2, v6, v2
	s_waitcnt lgkmcnt(0)
	v_mul_f32_e32 v43, v34, v39
	v_fmac_f32_e32 v43, v35, v38
	v_add_f32_e32 v42, v42, v43
	v_mul_f32_e32 v43, v36, v41
	v_fmac_f32_e32 v43, v37, v40
	v_add_f32_e32 v50, v42, v43
	ds_read_b128 v[42:45], v118 offset:496
	v_fma_f32 v3, v4, v32, -v3
	v_add_f32_e32 v2, v2, v3
	v_mul_f32_e32 v3, v35, v39
	v_fma_f32 v3, v34, v38, -v3
	s_waitcnt lgkmcnt(0)
	v_mul_f32_e32 v51, v42, v47
	v_fmac_f32_e32 v51, v43, v46
	v_add_f32_e32 v50, v50, v51
	v_mul_f32_e32 v51, v44, v49
	v_fmac_f32_e32 v51, v45, v48
	v_add_f32_e32 v58, v50, v51
	ds_read_b128 v[50:53], v118 offset:512
	v_add_f32_e32 v2, v2, v3
	v_mul_f32_e32 v3, v37, v41
	v_fma_f32 v3, v36, v40, -v3
	v_add_f32_e32 v2, v2, v3
	s_waitcnt lgkmcnt(0)
	v_mul_f32_e32 v59, v50, v55
	v_fmac_f32_e32 v59, v51, v54
	v_add_f32_e32 v58, v58, v59
	v_mul_f32_e32 v59, v52, v57
	v_fmac_f32_e32 v59, v53, v56
	v_add_f32_e32 v66, v58, v59
	ds_read_b128 v[58:61], v118 offset:528
	v_mul_f32_e32 v3, v43, v47
	v_fma_f32 v3, v42, v46, -v3
	v_add_f32_e32 v2, v2, v3
	v_mul_f32_e32 v3, v45, v49
	s_waitcnt lgkmcnt(0)
	v_mul_f32_e32 v67, v58, v63
	v_fmac_f32_e32 v67, v59, v62
	v_add_f32_e32 v66, v66, v67
	v_mul_f32_e32 v67, v60, v65
	v_fmac_f32_e32 v67, v61, v64
	v_add_f32_e32 v74, v66, v67
	ds_read_b128 v[66:69], v118 offset:544
	v_fma_f32 v3, v44, v48, -v3
	v_add_f32_e32 v2, v2, v3
	v_mul_f32_e32 v3, v51, v55
	v_fma_f32 v3, v50, v54, -v3
	s_waitcnt lgkmcnt(0)
	v_mul_f32_e32 v75, v66, v71
	v_fmac_f32_e32 v75, v67, v70
	v_add_f32_e32 v74, v74, v75
	v_mul_f32_e32 v75, v68, v73
	v_fmac_f32_e32 v75, v69, v72
	v_add_f32_e32 v82, v74, v75
	ds_read_b128 v[74:77], v118 offset:560
	v_add_f32_e32 v2, v2, v3
	v_mul_f32_e32 v3, v53, v57
	v_fma_f32 v3, v52, v56, -v3
	v_add_f32_e32 v2, v2, v3
	s_waitcnt lgkmcnt(0)
	v_mul_f32_e32 v83, v74, v79
	v_fmac_f32_e32 v83, v75, v78
	v_add_f32_e32 v82, v82, v83
	v_mul_f32_e32 v83, v76, v81
	v_fmac_f32_e32 v83, v77, v80
	v_add_f32_e32 v90, v82, v83
	ds_read_b128 v[82:85], v118 offset:576
	v_mul_f32_e32 v3, v59, v63
	v_fma_f32 v3, v58, v62, -v3
	v_add_f32_e32 v2, v2, v3
	v_mul_f32_e32 v3, v61, v65
	;; [unrolled: 36-line block ×3, first 2 shown]
	s_waitcnt lgkmcnt(0)
	v_mul_f32_e32 v115, v106, v111
	v_fmac_f32_e32 v115, v107, v110
	v_add_f32_e32 v114, v114, v115
	v_mul_f32_e32 v115, v108, v113
	v_fmac_f32_e32 v115, v109, v112
	v_add_f32_e32 v119, v114, v115
	ds_read_b128 v[114:117], v118 offset:640
	scratch_load_dwordx4 v[248:251], off, off offset:336
	scratch_load_dwordx4 v[252:255], off, off offset:352
	;; [unrolled: 1-line block ×3, first 2 shown]
	scratch_load_dwordx2 v[148:149], off, off offset:384
	v_fma_f32 v3, v76, v80, -v3
	v_add_f32_e32 v2, v2, v3
	v_mul_f32_e32 v3, v83, v87
	v_fma_f32 v3, v82, v86, -v3
	v_add_f32_e32 v2, v2, v3
	v_mul_f32_e32 v3, v85, v89
	;; [unrolled: 3-line block ×8, first 2 shown]
	v_fma_f32 v3, v108, v112, -v3
	s_waitcnt lgkmcnt(0)
	v_mul_f32_e32 v120, v114, v125
	v_add_f32_e32 v2, v2, v3
	v_mul_f32_e32 v3, v115, v125
	v_fmac_f32_e32 v120, v115, v124
	v_fma_f32 v3, v114, v124, -v3
	v_add_f32_e32 v119, v119, v120
	v_mul_f32_e32 v120, v116, v127
	v_add_f32_e32 v2, v2, v3
	v_mul_f32_e32 v3, v117, v127
	v_fmac_f32_e32 v120, v117, v126
	v_fma_f32 v3, v116, v126, -v3
	v_add_f32_e32 v119, v119, v120
	;; [unrolled: 6-line block ×9, first 2 shown]
	v_add_f32_e32 v120, v2, v3
	v_mul_f32_e32 v2, v235, v239
	v_fma_f32 v144, v234, v238, -v2
	v_mul_f32_e32 v2, v241, v245
	v_fma_f32 v146, v240, v244, -v2
	ds_read_b128 v[2:5], v118 offset:736
	ds_read_b128 v[6:9], v118 offset:752
	ds_read_b128 v[10:13], v118 offset:768
	ds_read_b64 v[14:15], v118 offset:784
	v_pk_add_f32 v[16:17], v[120:121], v[144:145]
	s_waitcnt vmcnt(3) lgkmcnt(3)
	v_pk_mul_f32 v[18:19], v[2:3], v[248:249] op_sel:[1,1] op_sel_hi:[0,1]
	v_pk_add_f32 v[16:17], v[16:17], v[146:147]
	s_nop 0
	v_pk_add_f32 v[16:17], v[16:17], v[20:21]
	v_pk_fma_f32 v[20:21], v[2:3], v[248:249], v[18:19] neg_lo:[0,0,1] neg_hi:[0,0,1]
	v_pk_fma_f32 v[2:3], v[2:3], v[248:249], v[18:19] op_sel_hi:[1,0,1]
	s_nop 0
	v_mov_b32_e32 v21, v3
	v_pk_add_f32 v[2:3], v[16:17], v[20:21]
	v_mov_b32_e32 v16, v251
	v_pk_mul_f32 v[16:17], v[4:5], v[16:17] op_sel:[1,0] op_sel_hi:[0,0]
	v_pk_fma_f32 v[18:19], v[4:5], v[250:251], v[16:17] neg_lo:[0,0,1] neg_hi:[0,0,1]
	v_pk_fma_f32 v[4:5], v[4:5], v[250:251], v[16:17] op_sel_hi:[1,0,1]
	s_nop 0
	v_mov_b32_e32 v19, v5
	s_waitcnt vmcnt(2) lgkmcnt(2)
	v_pk_mul_f32 v[4:5], v[6:7], v[252:253] op_sel:[1,1] op_sel_hi:[0,1]
	v_pk_fma_f32 v[16:17], v[6:7], v[252:253], v[4:5] neg_lo:[0,0,1] neg_hi:[0,0,1]
	v_pk_fma_f32 v[4:5], v[6:7], v[252:253], v[4:5] op_sel_hi:[1,0,1]
	v_pk_add_f32 v[2:3], v[2:3], v[18:19]
	v_mov_b32_e32 v4, v255
	v_mov_b32_e32 v17, v5
	v_pk_mul_f32 v[4:5], v[8:9], v[4:5] op_sel:[1,0] op_sel_hi:[0,0]
	v_pk_fma_f32 v[6:7], v[8:9], v[254:255], v[4:5] neg_lo:[0,0,1] neg_hi:[0,0,1]
	v_pk_fma_f32 v[4:5], v[8:9], v[254:255], v[4:5] op_sel_hi:[1,0,1]
	v_pk_add_f32 v[2:3], v[2:3], v[16:17]
	v_mov_b32_e32 v7, v5
	s_waitcnt vmcnt(1) lgkmcnt(1)
	v_pk_mul_f32 v[4:5], v[10:11], v[140:141] op_sel:[1,1] op_sel_hi:[0,1]
	v_pk_add_f32 v[2:3], v[2:3], v[6:7]
	v_pk_fma_f32 v[6:7], v[10:11], v[140:141], v[4:5] neg_lo:[0,0,1] neg_hi:[0,0,1]
	v_pk_fma_f32 v[4:5], v[10:11], v[140:141], v[4:5] op_sel_hi:[1,0,1]
	s_nop 0
	v_mov_b32_e32 v4, v143
	v_mov_b32_e32 v7, v5
	v_pk_mul_f32 v[4:5], v[12:13], v[4:5] op_sel:[1,0] op_sel_hi:[0,0]
	v_pk_add_f32 v[2:3], v[2:3], v[6:7]
	v_pk_fma_f32 v[6:7], v[12:13], v[142:143], v[4:5] neg_lo:[0,0,1] neg_hi:[0,0,1]
	v_pk_fma_f32 v[4:5], v[12:13], v[142:143], v[4:5] op_sel_hi:[1,0,1]
	s_nop 0
	v_mov_b32_e32 v7, v5
	s_waitcnt vmcnt(0) lgkmcnt(0)
	v_pk_mul_f32 v[4:5], v[14:15], v[148:149] op_sel:[1,1] op_sel_hi:[0,1]
	v_pk_add_f32 v[2:3], v[2:3], v[6:7]
	v_pk_fma_f32 v[6:7], v[14:15], v[148:149], v[4:5] neg_lo:[0,0,1] neg_hi:[0,0,1]
	v_pk_fma_f32 v[4:5], v[14:15], v[148:149], v[4:5] op_sel_hi:[1,0,1]
	s_nop 0
	v_mov_b32_e32 v7, v5
	scratch_load_dwordx2 v[4:5], off, off offset:8
	v_pk_add_f32 v[2:3], v[2:3], v[6:7]
	s_waitcnt vmcnt(0)
	v_pk_add_f32 v[2:3], v[4:5], v[2:3] neg_lo:[0,1] neg_hi:[0,1]
	scratch_store_dwordx2 off, v[2:3], off offset:8
	s_and_saveexec_b64 s[0:1], vcc
	s_cbranch_execz .LBB112_307
; %bb.306:
	scratch_load_dwordx2 v[2:3], off, off
	v_mov_b32_e32 v119, v118
	scratch_store_dwordx2 off, v[118:119], off
	s_waitcnt vmcnt(1)
	ds_write_b64 v1, v[2:3]
.LBB112_307:
	s_or_b64 exec, exec, s[0:1]
	s_waitcnt lgkmcnt(0)
	; wave barrier
	scratch_load_dwordx4 v[4:7], off, off offset:8
	scratch_load_dwordx4 v[12:15], off, off offset:24
	;; [unrolled: 1-line block ×10, first 2 shown]
	ds_read2_b64 v[0:3], v118 offset0:51 offset1:52
	ds_read2_b64 v[128:131], v118 offset0:81 offset1:82
	scratch_load_dwordx4 v[84:87], off, off offset:168
	scratch_load_dwordx4 v[92:95], off, off offset:184
	;; [unrolled: 1-line block ×10, first 2 shown]
	s_and_b64 vcc, exec, s[10:11]
	ds_read2_b64 v[136:139], v118 offset0:83 offset1:84
	ds_read2_b64 v[220:223], v118 offset0:85 offset1:86
	;; [unrolled: 1-line block ×4, first 2 shown]
	s_waitcnt vmcnt(19) lgkmcnt(5)
	v_mul_f32_e32 v8, v0, v5
	v_fmac_f32_e32 v8, v1, v4
	v_mul_f32_e32 v9, v2, v7
	v_add_f32_e32 v8, 0, v8
	v_fmac_f32_e32 v9, v3, v6
	v_add_f32_e32 v16, v8, v9
	ds_read2_b64 v[8:11], v118 offset0:53 offset1:54
	v_mul_f32_e32 v1, v1, v5
	v_fma_f32 v0, v0, v4, -v1
	v_mul_f32_e32 v1, v3, v7
	v_add_f32_e32 v0, 0, v0
	s_waitcnt vmcnt(18) lgkmcnt(0)
	v_mul_f32_e32 v17, v8, v13
	v_fmac_f32_e32 v17, v9, v12
	v_add_f32_e32 v16, v16, v17
	v_mul_f32_e32 v17, v10, v15
	v_fmac_f32_e32 v17, v11, v14
	v_add_f32_e32 v24, v16, v17
	ds_read2_b64 v[16:19], v118 offset0:55 offset1:56
	v_fma_f32 v1, v2, v6, -v1
	v_add_f32_e32 v0, v0, v1
	v_mul_f32_e32 v1, v9, v13
	v_fma_f32 v1, v8, v12, -v1
	s_waitcnt vmcnt(17) lgkmcnt(0)
	v_mul_f32_e32 v25, v16, v21
	v_fmac_f32_e32 v25, v17, v20
	v_add_f32_e32 v24, v24, v25
	v_mul_f32_e32 v25, v18, v23
	v_fmac_f32_e32 v25, v19, v22
	v_add_f32_e32 v32, v24, v25
	ds_read2_b64 v[24:27], v118 offset0:57 offset1:58
	v_add_f32_e32 v0, v0, v1
	v_mul_f32_e32 v1, v11, v15
	v_fma_f32 v1, v10, v14, -v1
	v_add_f32_e32 v0, v0, v1
	s_waitcnt vmcnt(16) lgkmcnt(0)
	v_mul_f32_e32 v33, v24, v29
	v_fmac_f32_e32 v33, v25, v28
	v_add_f32_e32 v32, v32, v33
	v_mul_f32_e32 v33, v26, v31
	v_fmac_f32_e32 v33, v27, v30
	v_add_f32_e32 v40, v32, v33
	ds_read2_b64 v[32:35], v118 offset0:59 offset1:60
	v_mul_f32_e32 v1, v17, v21
	v_fma_f32 v1, v16, v20, -v1
	v_add_f32_e32 v0, v0, v1
	v_mul_f32_e32 v1, v19, v23
	s_waitcnt vmcnt(15) lgkmcnt(0)
	v_mul_f32_e32 v41, v32, v37
	v_fmac_f32_e32 v41, v33, v36
	v_add_f32_e32 v40, v40, v41
	v_mul_f32_e32 v41, v34, v39
	v_fmac_f32_e32 v41, v35, v38
	v_add_f32_e32 v48, v40, v41
	ds_read2_b64 v[40:43], v118 offset0:61 offset1:62
	v_fma_f32 v1, v18, v22, -v1
	v_add_f32_e32 v0, v0, v1
	v_mul_f32_e32 v1, v25, v29
	v_fma_f32 v1, v24, v28, -v1
	s_waitcnt vmcnt(14) lgkmcnt(0)
	v_mul_f32_e32 v49, v40, v45
	v_fmac_f32_e32 v49, v41, v44
	v_add_f32_e32 v48, v48, v49
	v_mul_f32_e32 v49, v42, v47
	v_fmac_f32_e32 v49, v43, v46
	v_add_f32_e32 v56, v48, v49
	ds_read2_b64 v[48:51], v118 offset0:63 offset1:64
	v_add_f32_e32 v0, v0, v1
	v_mul_f32_e32 v1, v27, v31
	v_fma_f32 v1, v26, v30, -v1
	v_add_f32_e32 v0, v0, v1
	s_waitcnt vmcnt(13) lgkmcnt(0)
	v_mul_f32_e32 v57, v48, v53
	v_fmac_f32_e32 v57, v49, v52
	v_add_f32_e32 v56, v56, v57
	v_mul_f32_e32 v57, v50, v55
	v_fmac_f32_e32 v57, v51, v54
	v_add_f32_e32 v64, v56, v57
	ds_read2_b64 v[56:59], v118 offset0:65 offset1:66
	v_mul_f32_e32 v1, v33, v37
	v_fma_f32 v1, v32, v36, -v1
	v_add_f32_e32 v0, v0, v1
	v_mul_f32_e32 v1, v35, v39
	s_waitcnt vmcnt(12) lgkmcnt(0)
	v_mul_f32_e32 v65, v56, v61
	v_fmac_f32_e32 v65, v57, v60
	v_add_f32_e32 v64, v64, v65
	v_mul_f32_e32 v65, v58, v63
	v_fmac_f32_e32 v65, v59, v62
	v_add_f32_e32 v72, v64, v65
	ds_read2_b64 v[64:67], v118 offset0:67 offset1:68
	v_fma_f32 v1, v34, v38, -v1
	v_add_f32_e32 v0, v0, v1
	v_mul_f32_e32 v1, v41, v45
	v_fma_f32 v1, v40, v44, -v1
	s_waitcnt vmcnt(11) lgkmcnt(0)
	v_mul_f32_e32 v73, v64, v69
	v_fmac_f32_e32 v73, v65, v68
	v_add_f32_e32 v72, v72, v73
	v_mul_f32_e32 v73, v66, v71
	v_fmac_f32_e32 v73, v67, v70
	v_add_f32_e32 v80, v72, v73
	ds_read2_b64 v[72:75], v118 offset0:69 offset1:70
	v_add_f32_e32 v0, v0, v1
	v_mul_f32_e32 v1, v43, v47
	v_fma_f32 v1, v42, v46, -v1
	v_add_f32_e32 v0, v0, v1
	s_waitcnt vmcnt(10) lgkmcnt(0)
	v_mul_f32_e32 v81, v72, v77
	v_fmac_f32_e32 v81, v73, v76
	v_add_f32_e32 v80, v80, v81
	v_mul_f32_e32 v81, v74, v79
	v_fmac_f32_e32 v81, v75, v78
	v_add_f32_e32 v88, v80, v81
	ds_read2_b64 v[80:83], v118 offset0:71 offset1:72
	v_mul_f32_e32 v1, v49, v53
	v_fma_f32 v1, v48, v52, -v1
	v_add_f32_e32 v0, v0, v1
	v_mul_f32_e32 v1, v51, v55
	s_waitcnt vmcnt(9) lgkmcnt(0)
	v_mul_f32_e32 v89, v80, v85
	v_fmac_f32_e32 v89, v81, v84
	v_add_f32_e32 v88, v88, v89
	v_mul_f32_e32 v89, v82, v87
	v_fmac_f32_e32 v89, v83, v86
	v_add_f32_e32 v96, v88, v89
	ds_read2_b64 v[88:91], v118 offset0:73 offset1:74
	v_fma_f32 v1, v50, v54, -v1
	v_add_f32_e32 v0, v0, v1
	v_mul_f32_e32 v1, v57, v61
	v_fma_f32 v1, v56, v60, -v1
	s_waitcnt vmcnt(8) lgkmcnt(0)
	v_mul_f32_e32 v97, v88, v93
	v_fmac_f32_e32 v97, v89, v92
	v_add_f32_e32 v96, v96, v97
	v_mul_f32_e32 v97, v90, v95
	v_fmac_f32_e32 v97, v91, v94
	v_add_f32_e32 v104, v96, v97
	ds_read2_b64 v[96:99], v118 offset0:75 offset1:76
	v_add_f32_e32 v0, v0, v1
	v_mul_f32_e32 v1, v59, v63
	v_fma_f32 v1, v58, v62, -v1
	v_add_f32_e32 v0, v0, v1
	s_waitcnt vmcnt(7) lgkmcnt(0)
	v_mul_f32_e32 v105, v96, v101
	v_fmac_f32_e32 v105, v97, v100
	v_add_f32_e32 v104, v104, v105
	v_mul_f32_e32 v105, v98, v103
	v_fmac_f32_e32 v105, v99, v102
	v_add_f32_e32 v112, v104, v105
	ds_read2_b64 v[104:107], v118 offset0:77 offset1:78
	v_mul_f32_e32 v1, v65, v69
	v_fma_f32 v1, v64, v68, -v1
	v_add_f32_e32 v0, v0, v1
	v_mul_f32_e32 v1, v67, v71
	s_waitcnt vmcnt(6) lgkmcnt(0)
	v_mul_f32_e32 v113, v104, v109
	v_fmac_f32_e32 v113, v105, v108
	v_add_f32_e32 v112, v112, v113
	v_mul_f32_e32 v113, v106, v111
	v_fmac_f32_e32 v113, v107, v110
	v_add_f32_e32 v116, v112, v113
	ds_read2_b64 v[112:115], v118 offset0:79 offset1:80
	scratch_load_dwordx4 v[244:247], off, off offset:328
	scratch_load_dwordx4 v[248:251], off, off offset:344
	;; [unrolled: 1-line block ×4, first 2 shown]
	v_fma_f32 v1, v66, v70, -v1
	v_add_f32_e32 v0, v0, v1
	v_mul_f32_e32 v1, v73, v77
	v_fma_f32 v1, v72, v76, -v1
	v_add_f32_e32 v0, v0, v1
	v_mul_f32_e32 v1, v75, v79
	;; [unrolled: 3-line block ×10, first 2 shown]
	v_fma_f32 v1, v106, v110, -v1
	s_waitcnt vmcnt(9) lgkmcnt(0)
	v_mul_f32_e32 v117, v112, v125
	v_add_f32_e32 v0, v0, v1
	v_mul_f32_e32 v1, v113, v125
	v_fmac_f32_e32 v117, v113, v124
	v_fma_f32 v1, v112, v124, -v1
	v_add_f32_e32 v116, v116, v117
	v_mul_f32_e32 v117, v114, v127
	v_add_f32_e32 v0, v0, v1
	v_mul_f32_e32 v1, v115, v127
	v_fmac_f32_e32 v117, v115, v126
	v_fma_f32 v1, v114, v126, -v1
	v_add_f32_e32 v116, v116, v117
	s_waitcnt vmcnt(8)
	v_mul_f32_e32 v117, v128, v133
	v_add_f32_e32 v0, v0, v1
	v_mul_f32_e32 v1, v129, v133
	v_fmac_f32_e32 v117, v129, v132
	v_fma_f32 v1, v128, v132, -v1
	v_add_f32_e32 v116, v116, v117
	v_mul_f32_e32 v117, v130, v135
	v_add_f32_e32 v0, v0, v1
	v_mul_f32_e32 v1, v131, v135
	v_fmac_f32_e32 v117, v131, v134
	v_fma_f32 v1, v130, v134, -v1
	v_add_f32_e32 v116, v116, v117
	s_waitcnt vmcnt(7)
	v_mul_f32_e32 v117, v136, v141
	v_add_f32_e32 v0, v0, v1
	v_mul_f32_e32 v1, v137, v141
	v_fmac_f32_e32 v117, v137, v140
	v_fma_f32 v1, v136, v140, -v1
	v_add_f32_e32 v116, v116, v117
	v_mul_f32_e32 v117, v138, v143
	v_add_f32_e32 v0, v0, v1
	v_mul_f32_e32 v1, v139, v143
	v_fmac_f32_e32 v117, v139, v142
	v_fma_f32 v1, v138, v142, -v1
	v_add_f32_e32 v116, v116, v117
	s_waitcnt vmcnt(6)
	v_mul_f32_e32 v117, v220, v225
	v_add_f32_e32 v0, v0, v1
	v_mul_f32_e32 v1, v221, v225
	v_fmac_f32_e32 v117, v221, v224
	v_fma_f32 v1, v220, v224, -v1
	v_add_f32_e32 v116, v116, v117
	v_mul_f32_e32 v117, v222, v227
	v_add_f32_e32 v0, v0, v1
	v_mul_f32_e32 v1, v223, v227
	v_fmac_f32_e32 v117, v223, v226
	v_fma_f32 v1, v222, v226, -v1
	v_add_f32_e32 v116, v116, v117
	s_waitcnt vmcnt(5)
	v_mul_f32_e32 v117, v228, v233
	v_add_f32_e32 v0, v0, v1
	v_mul_f32_e32 v1, v229, v233
	v_fmac_f32_e32 v117, v229, v232
	v_fma_f32 v1, v228, v232, -v1
	v_add_f32_e32 v116, v116, v117
	v_mul_f32_e32 v117, v230, v235
	v_add_f32_e32 v0, v0, v1
	v_mul_f32_e32 v1, v231, v235
	v_fmac_f32_e32 v117, v231, v234
	v_fma_f32 v1, v230, v234, -v1
	v_add_f32_e32 v117, v116, v117
	v_add_f32_e32 v116, v0, v1
	s_waitcnt vmcnt(4)
	v_mul_f32_e32 v0, v237, v241
	v_fma_f32 v120, v236, v240, -v0
	v_mul_f32_e32 v0, v239, v243
	v_fma_f32 v148, v238, v242, -v0
	ds_read2_b64 v[0:3], v118 offset0:91 offset1:92
	ds_read2_b64 v[4:7], v118 offset0:93 offset1:94
	;; [unrolled: 1-line block ×4, first 2 shown]
	v_mul_f32_e32 v121, v236, v241
	v_fmac_f32_e32 v121, v237, v240
	v_mul_f32_e32 v149, v238, v243
	s_waitcnt vmcnt(3) lgkmcnt(3)
	v_pk_mul_f32 v[18:19], v[0:1], v[244:245] op_sel:[1,1] op_sel_hi:[0,1]
	v_fmac_f32_e32 v149, v239, v242
	v_pk_add_f32 v[16:17], v[116:117], v[120:121]
	v_pk_fma_f32 v[20:21], v[0:1], v[244:245], v[18:19] neg_lo:[0,0,1] neg_hi:[0,0,1]
	v_pk_fma_f32 v[0:1], v[0:1], v[244:245], v[18:19] op_sel_hi:[1,0,1]
	v_pk_add_f32 v[16:17], v[16:17], v[148:149]
	v_mov_b32_e32 v21, v1
	v_pk_add_f32 v[0:1], v[16:17], v[20:21]
	v_mov_b32_e32 v16, v247
	v_pk_mul_f32 v[16:17], v[2:3], v[16:17] op_sel:[1,0] op_sel_hi:[0,0]
	v_pk_fma_f32 v[18:19], v[2:3], v[246:247], v[16:17] neg_lo:[0,0,1] neg_hi:[0,0,1]
	v_pk_fma_f32 v[2:3], v[2:3], v[246:247], v[16:17] op_sel_hi:[1,0,1]
	s_nop 0
	v_mov_b32_e32 v19, v3
	s_waitcnt vmcnt(2) lgkmcnt(2)
	v_pk_mul_f32 v[2:3], v[4:5], v[248:249] op_sel:[1,1] op_sel_hi:[0,1]
	v_pk_fma_f32 v[16:17], v[4:5], v[248:249], v[2:3] neg_lo:[0,0,1] neg_hi:[0,0,1]
	v_pk_fma_f32 v[2:3], v[4:5], v[248:249], v[2:3] op_sel_hi:[1,0,1]
	v_pk_add_f32 v[0:1], v[0:1], v[18:19]
	v_mov_b32_e32 v2, v251
	v_mov_b32_e32 v17, v3
	v_pk_mul_f32 v[2:3], v[6:7], v[2:3] op_sel:[1,0] op_sel_hi:[0,0]
	v_pk_fma_f32 v[4:5], v[6:7], v[250:251], v[2:3] neg_lo:[0,0,1] neg_hi:[0,0,1]
	v_pk_fma_f32 v[2:3], v[6:7], v[250:251], v[2:3] op_sel_hi:[1,0,1]
	v_pk_add_f32 v[0:1], v[0:1], v[16:17]
	v_mov_b32_e32 v5, v3
	s_waitcnt vmcnt(1) lgkmcnt(1)
	v_pk_mul_f32 v[2:3], v[8:9], v[252:253] op_sel:[1,1] op_sel_hi:[0,1]
	v_pk_add_f32 v[0:1], v[0:1], v[4:5]
	v_pk_fma_f32 v[4:5], v[8:9], v[252:253], v[2:3] neg_lo:[0,0,1] neg_hi:[0,0,1]
	v_pk_fma_f32 v[2:3], v[8:9], v[252:253], v[2:3] op_sel_hi:[1,0,1]
	s_nop 0
	v_mov_b32_e32 v2, v255
	v_mov_b32_e32 v5, v3
	v_pk_mul_f32 v[2:3], v[10:11], v[2:3] op_sel:[1,0] op_sel_hi:[0,0]
	v_pk_add_f32 v[0:1], v[0:1], v[4:5]
	v_pk_fma_f32 v[4:5], v[10:11], v[254:255], v[2:3] neg_lo:[0,0,1] neg_hi:[0,0,1]
	v_pk_fma_f32 v[2:3], v[10:11], v[254:255], v[2:3] op_sel_hi:[1,0,1]
	s_nop 0
	v_mov_b32_e32 v5, v3
	s_waitcnt vmcnt(0) lgkmcnt(0)
	v_pk_mul_f32 v[2:3], v[12:13], v[144:145] op_sel:[1,1] op_sel_hi:[0,1]
	v_pk_add_f32 v[0:1], v[0:1], v[4:5]
	v_pk_fma_f32 v[4:5], v[12:13], v[144:145], v[2:3] neg_lo:[0,0,1] neg_hi:[0,0,1]
	v_pk_fma_f32 v[2:3], v[12:13], v[144:145], v[2:3] op_sel_hi:[1,0,1]
	s_nop 0
	v_mov_b32_e32 v2, v147
	v_mov_b32_e32 v5, v3
	v_pk_mul_f32 v[2:3], v[14:15], v[2:3] op_sel:[1,0] op_sel_hi:[0,0]
	v_pk_add_f32 v[0:1], v[0:1], v[4:5]
	v_pk_fma_f32 v[4:5], v[14:15], v[146:147], v[2:3] neg_lo:[0,0,1] neg_hi:[0,0,1]
	v_pk_fma_f32 v[2:3], v[14:15], v[146:147], v[2:3] op_sel_hi:[1,0,1]
	s_nop 0
	v_mov_b32_e32 v5, v3
	scratch_load_dwordx2 v[2:3], off, off
	v_pk_add_f32 v[0:1], v[0:1], v[4:5]
	s_waitcnt vmcnt(0)
	v_pk_add_f32 v[0:1], v[2:3], v[0:1] neg_lo:[0,1] neg_hi:[0,1]
	scratch_store_dwordx2 off, v[0:1], off
	s_cbranch_vccz .LBB112_404
; %bb.308:
	v_mov_b32_e32 v0, 0
	global_load_dword v1, v0, s[8:9] offset:188
	s_waitcnt vmcnt(0)
	v_readfirstlane_b32 s0, v1
	s_add_i32 s0, s0, -1
	s_cmp_lg_u32 s0, 47
	s_cbranch_scc0 .LBB112_310
; %bb.309:
	s_lshl_b32 s0, s0, 3
	s_nop 0
	scratch_load_dwordx2 v[2:3], off, s0
	scratch_load_dwordx2 v[4:5], off, off offset:376
	s_waitcnt vmcnt(1)
	scratch_store_dwordx2 off, v[2:3], off offset:376
	s_waitcnt vmcnt(1)
	scratch_store_dwordx2 off, v[4:5], s0
.LBB112_310:
	global_load_dword v0, v0, s[8:9] offset:184
	s_waitcnt vmcnt(0)
	v_readfirstlane_b32 s0, v0
	s_add_i32 s0, s0, -1
	s_cmp_eq_u32 s0, 46
	s_cbranch_scc1 .LBB112_312
; %bb.311:
	s_lshl_b32 s0, s0, 3
	s_nop 0
	scratch_load_dwordx2 v[0:1], off, s0
	scratch_load_dwordx2 v[2:3], off, off offset:368
	s_waitcnt vmcnt(1)
	scratch_store_dwordx2 off, v[0:1], off offset:368
	s_waitcnt vmcnt(1)
	scratch_store_dwordx2 off, v[2:3], s0
.LBB112_312:
	v_mov_b32_e32 v0, 0
	global_load_dword v1, v0, s[8:9] offset:180
	s_waitcnt vmcnt(0)
	v_readfirstlane_b32 s0, v1
	s_add_i32 s0, s0, -1
	s_cmp_eq_u32 s0, 45
	s_cbranch_scc1 .LBB112_314
; %bb.313:
	s_lshl_b32 s0, s0, 3
	s_nop 0
	scratch_load_dwordx2 v[2:3], off, s0
	scratch_load_dwordx2 v[4:5], off, off offset:360
	s_waitcnt vmcnt(1)
	scratch_store_dwordx2 off, v[2:3], off offset:360
	s_waitcnt vmcnt(1)
	scratch_store_dwordx2 off, v[4:5], s0
.LBB112_314:
	global_load_dword v0, v0, s[8:9] offset:176
	s_waitcnt vmcnt(0)
	v_readfirstlane_b32 s0, v0
	s_add_i32 s0, s0, -1
	s_cmp_eq_u32 s0, 44
	s_cbranch_scc1 .LBB112_316
; %bb.315:
	s_lshl_b32 s0, s0, 3
	s_nop 0
	scratch_load_dwordx2 v[0:1], off, s0
	scratch_load_dwordx2 v[2:3], off, off offset:352
	s_waitcnt vmcnt(1)
	scratch_store_dwordx2 off, v[0:1], off offset:352
	s_waitcnt vmcnt(1)
	scratch_store_dwordx2 off, v[2:3], s0
.LBB112_316:
	v_mov_b32_e32 v0, 0
	global_load_dword v1, v0, s[8:9] offset:172
	s_waitcnt vmcnt(0)
	v_readfirstlane_b32 s0, v1
	s_add_i32 s0, s0, -1
	s_cmp_eq_u32 s0, 43
	s_cbranch_scc1 .LBB112_318
; %bb.317:
	s_lshl_b32 s0, s0, 3
	s_nop 0
	scratch_load_dwordx2 v[2:3], off, s0
	scratch_load_dwordx2 v[4:5], off, off offset:344
	s_waitcnt vmcnt(1)
	scratch_store_dwordx2 off, v[2:3], off offset:344
	s_waitcnt vmcnt(1)
	scratch_store_dwordx2 off, v[4:5], s0
.LBB112_318:
	;; [unrolled: 33-line block ×23, first 2 shown]
	global_load_dword v2, v0, s[8:9]
	s_nop 0
	scratch_load_dwordx2 v[0:1], off, off
	s_waitcnt vmcnt(1)
	v_readfirstlane_b32 s0, v2
	s_add_i32 s0, s0, -1
	s_cmp_eq_u32 s0, 0
	s_cbranch_scc1 .LBB112_404
; %bb.403:
	s_lshl_b32 s0, s0, 3
	s_nop 0
	scratch_load_dwordx2 v[2:3], off, s0
	s_waitcnt vmcnt(0)
	scratch_store_dwordx2 off, v[2:3], off
	scratch_store_dwordx2 off, v[0:1], s0
	scratch_load_dwordx2 v[0:1], off, off
.LBB112_404:
	s_waitcnt vmcnt(0)
	flat_store_dwordx2 v[122:123], v[0:1]
	scratch_load_dwordx2 v[0:1], off, off offset:8
	v_accvgpr_read_b32 v3, a1
	v_accvgpr_read_b32 v2, a0
	s_waitcnt vmcnt(0)
	flat_store_dwordx2 v[2:3], v[0:1]
	scratch_load_dwordx2 v[0:1], off, off offset:16
	v_accvgpr_read_b32 v2, a2
	v_accvgpr_read_b32 v3, a3
	;; [unrolled: 5-line block ×13, first 2 shown]
	s_waitcnt vmcnt(0)
	flat_store_dwordx2 v[2:3], v[0:1]
	scratch_load_dwordx2 v[0:1], off, off offset:112
	s_waitcnt vmcnt(0)
	flat_store_dwordx2 v[150:151], v[0:1]
	scratch_load_dwordx2 v[0:1], off, off offset:120
	s_waitcnt vmcnt(0)
	flat_store_dwordx2 v[152:153], v[0:1]
	scratch_load_dwordx2 v[0:1], off, off offset:128
	s_waitcnt vmcnt(0)
	flat_store_dwordx2 v[154:155], v[0:1]
	scratch_load_dwordx2 v[0:1], off, off offset:136
	s_waitcnt vmcnt(0)
	flat_store_dwordx2 v[156:157], v[0:1]
	scratch_load_dwordx2 v[0:1], off, off offset:144
	s_waitcnt vmcnt(0)
	flat_store_dwordx2 v[158:159], v[0:1]
	scratch_load_dwordx2 v[0:1], off, off offset:152
	s_waitcnt vmcnt(0)
	flat_store_dwordx2 v[160:161], v[0:1]
	scratch_load_dwordx2 v[0:1], off, off offset:160
	s_waitcnt vmcnt(0)
	flat_store_dwordx2 v[162:163], v[0:1]
	scratch_load_dwordx2 v[0:1], off, off offset:168
	s_waitcnt vmcnt(0)
	flat_store_dwordx2 v[164:165], v[0:1]
	scratch_load_dwordx2 v[0:1], off, off offset:176
	s_waitcnt vmcnt(0)
	flat_store_dwordx2 v[166:167], v[0:1]
	scratch_load_dwordx2 v[0:1], off, off offset:184
	s_waitcnt vmcnt(0)
	flat_store_dwordx2 v[168:169], v[0:1]
	scratch_load_dwordx2 v[0:1], off, off offset:192
	s_waitcnt vmcnt(0)
	flat_store_dwordx2 v[170:171], v[0:1]
	scratch_load_dwordx2 v[0:1], off, off offset:200
	s_waitcnt vmcnt(0)
	flat_store_dwordx2 v[172:173], v[0:1]
	scratch_load_dwordx2 v[0:1], off, off offset:208
	s_waitcnt vmcnt(0)
	flat_store_dwordx2 v[174:175], v[0:1]
	scratch_load_dwordx2 v[0:1], off, off offset:216
	s_waitcnt vmcnt(0)
	flat_store_dwordx2 v[176:177], v[0:1]
	scratch_load_dwordx2 v[0:1], off, off offset:224
	s_waitcnt vmcnt(0)
	flat_store_dwordx2 v[178:179], v[0:1]
	scratch_load_dwordx2 v[0:1], off, off offset:232
	s_waitcnt vmcnt(0)
	flat_store_dwordx2 v[180:181], v[0:1]
	scratch_load_dwordx2 v[0:1], off, off offset:240
	s_waitcnt vmcnt(0)
	flat_store_dwordx2 v[182:183], v[0:1]
	scratch_load_dwordx2 v[0:1], off, off offset:248
	s_waitcnt vmcnt(0)
	flat_store_dwordx2 v[184:185], v[0:1]
	scratch_load_dwordx2 v[0:1], off, off offset:256
	s_waitcnt vmcnt(0)
	flat_store_dwordx2 v[186:187], v[0:1]
	scratch_load_dwordx2 v[0:1], off, off offset:264
	s_waitcnt vmcnt(0)
	flat_store_dwordx2 v[188:189], v[0:1]
	scratch_load_dwordx2 v[0:1], off, off offset:272
	s_waitcnt vmcnt(0)
	flat_store_dwordx2 v[190:191], v[0:1]
	scratch_load_dwordx2 v[0:1], off, off offset:280
	s_waitcnt vmcnt(0)
	flat_store_dwordx2 v[192:193], v[0:1]
	scratch_load_dwordx2 v[0:1], off, off offset:288
	s_waitcnt vmcnt(0)
	flat_store_dwordx2 v[194:195], v[0:1]
	scratch_load_dwordx2 v[0:1], off, off offset:296
	s_waitcnt vmcnt(0)
	flat_store_dwordx2 v[196:197], v[0:1]
	scratch_load_dwordx2 v[0:1], off, off offset:304
	s_waitcnt vmcnt(0)
	flat_store_dwordx2 v[198:199], v[0:1]
	scratch_load_dwordx2 v[0:1], off, off offset:312
	s_waitcnt vmcnt(0)
	flat_store_dwordx2 v[200:201], v[0:1]
	scratch_load_dwordx2 v[0:1], off, off offset:320
	s_waitcnt vmcnt(0)
	flat_store_dwordx2 v[202:203], v[0:1]
	scratch_load_dwordx2 v[0:1], off, off offset:328
	s_waitcnt vmcnt(0)
	flat_store_dwordx2 v[204:205], v[0:1]
	scratch_load_dwordx2 v[0:1], off, off offset:336
	s_waitcnt vmcnt(0)
	flat_store_dwordx2 v[206:207], v[0:1]
	scratch_load_dwordx2 v[0:1], off, off offset:344
	s_waitcnt vmcnt(0)
	flat_store_dwordx2 v[208:209], v[0:1]
	scratch_load_dwordx2 v[0:1], off, off offset:352
	s_waitcnt vmcnt(0)
	flat_store_dwordx2 v[210:211], v[0:1]
	scratch_load_dwordx2 v[0:1], off, off offset:360
	s_waitcnt vmcnt(0)
	flat_store_dwordx2 v[212:213], v[0:1]
	scratch_load_dwordx2 v[0:1], off, off offset:368
	s_waitcnt vmcnt(0)
	flat_store_dwordx2 v[214:215], v[0:1]
	scratch_load_dwordx2 v[0:1], off, off offset:376
	s_waitcnt vmcnt(0)
	flat_store_dwordx2 v[216:217], v[0:1]
	scratch_load_dwordx2 v[0:1], off, off offset:384
	s_waitcnt vmcnt(0)
	flat_store_dwordx2 v[218:219], v[0:1]
	s_endpgm
	.section	.rodata,"a",@progbits
	.p2align	6, 0x0
	.amdhsa_kernel _ZN9rocsolver6v33100L18getri_kernel_smallILi49E19rocblas_complex_numIfEPKPS3_EEvT1_iilPiilS8_bb
		.amdhsa_group_segment_fixed_size 792
		.amdhsa_private_segment_fixed_size 400
		.amdhsa_kernarg_size 60
		.amdhsa_user_sgpr_count 2
		.amdhsa_user_sgpr_dispatch_ptr 0
		.amdhsa_user_sgpr_queue_ptr 0
		.amdhsa_user_sgpr_kernarg_segment_ptr 1
		.amdhsa_user_sgpr_dispatch_id 0
		.amdhsa_user_sgpr_kernarg_preload_length 0
		.amdhsa_user_sgpr_kernarg_preload_offset 0
		.amdhsa_user_sgpr_private_segment_size 0
		.amdhsa_uses_dynamic_stack 0
		.amdhsa_enable_private_segment 1
		.amdhsa_system_sgpr_workgroup_id_x 1
		.amdhsa_system_sgpr_workgroup_id_y 0
		.amdhsa_system_sgpr_workgroup_id_z 0
		.amdhsa_system_sgpr_workgroup_info 0
		.amdhsa_system_vgpr_workitem_id 0
		.amdhsa_next_free_vgpr 282
		.amdhsa_next_free_sgpr 17
		.amdhsa_accum_offset 256
		.amdhsa_reserve_vcc 1
		.amdhsa_float_round_mode_32 0
		.amdhsa_float_round_mode_16_64 0
		.amdhsa_float_denorm_mode_32 3
		.amdhsa_float_denorm_mode_16_64 3
		.amdhsa_dx10_clamp 1
		.amdhsa_ieee_mode 1
		.amdhsa_fp16_overflow 0
		.amdhsa_tg_split 0
		.amdhsa_exception_fp_ieee_invalid_op 0
		.amdhsa_exception_fp_denorm_src 0
		.amdhsa_exception_fp_ieee_div_zero 0
		.amdhsa_exception_fp_ieee_overflow 0
		.amdhsa_exception_fp_ieee_underflow 0
		.amdhsa_exception_fp_ieee_inexact 0
		.amdhsa_exception_int_div_zero 0
	.end_amdhsa_kernel
	.section	.text._ZN9rocsolver6v33100L18getri_kernel_smallILi49E19rocblas_complex_numIfEPKPS3_EEvT1_iilPiilS8_bb,"axG",@progbits,_ZN9rocsolver6v33100L18getri_kernel_smallILi49E19rocblas_complex_numIfEPKPS3_EEvT1_iilPiilS8_bb,comdat
.Lfunc_end112:
	.size	_ZN9rocsolver6v33100L18getri_kernel_smallILi49E19rocblas_complex_numIfEPKPS3_EEvT1_iilPiilS8_bb, .Lfunc_end112-_ZN9rocsolver6v33100L18getri_kernel_smallILi49E19rocblas_complex_numIfEPKPS3_EEvT1_iilPiilS8_bb
                                        ; -- End function
	.set _ZN9rocsolver6v33100L18getri_kernel_smallILi49E19rocblas_complex_numIfEPKPS3_EEvT1_iilPiilS8_bb.num_vgpr, 256
	.set _ZN9rocsolver6v33100L18getri_kernel_smallILi49E19rocblas_complex_numIfEPKPS3_EEvT1_iilPiilS8_bb.num_agpr, 26
	.set _ZN9rocsolver6v33100L18getri_kernel_smallILi49E19rocblas_complex_numIfEPKPS3_EEvT1_iilPiilS8_bb.numbered_sgpr, 17
	.set _ZN9rocsolver6v33100L18getri_kernel_smallILi49E19rocblas_complex_numIfEPKPS3_EEvT1_iilPiilS8_bb.num_named_barrier, 0
	.set _ZN9rocsolver6v33100L18getri_kernel_smallILi49E19rocblas_complex_numIfEPKPS3_EEvT1_iilPiilS8_bb.private_seg_size, 400
	.set _ZN9rocsolver6v33100L18getri_kernel_smallILi49E19rocblas_complex_numIfEPKPS3_EEvT1_iilPiilS8_bb.uses_vcc, 1
	.set _ZN9rocsolver6v33100L18getri_kernel_smallILi49E19rocblas_complex_numIfEPKPS3_EEvT1_iilPiilS8_bb.uses_flat_scratch, 0
	.set _ZN9rocsolver6v33100L18getri_kernel_smallILi49E19rocblas_complex_numIfEPKPS3_EEvT1_iilPiilS8_bb.has_dyn_sized_stack, 0
	.set _ZN9rocsolver6v33100L18getri_kernel_smallILi49E19rocblas_complex_numIfEPKPS3_EEvT1_iilPiilS8_bb.has_recursion, 0
	.set _ZN9rocsolver6v33100L18getri_kernel_smallILi49E19rocblas_complex_numIfEPKPS3_EEvT1_iilPiilS8_bb.has_indirect_call, 0
	.section	.AMDGPU.csdata,"",@progbits
; Kernel info:
; codeLenInByte = 71360
; TotalNumSgprs: 23
; NumVgprs: 256
; NumAgprs: 26
; TotalNumVgprs: 282
; ScratchSize: 400
; MemoryBound: 0
; FloatMode: 240
; IeeeMode: 1
; LDSByteSize: 792 bytes/workgroup (compile time only)
; SGPRBlocks: 2
; VGPRBlocks: 35
; NumSGPRsForWavesPerEU: 23
; NumVGPRsForWavesPerEU: 282
; AccumOffset: 256
; Occupancy: 1
; WaveLimiterHint : 1
; COMPUTE_PGM_RSRC2:SCRATCH_EN: 1
; COMPUTE_PGM_RSRC2:USER_SGPR: 2
; COMPUTE_PGM_RSRC2:TRAP_HANDLER: 0
; COMPUTE_PGM_RSRC2:TGID_X_EN: 1
; COMPUTE_PGM_RSRC2:TGID_Y_EN: 0
; COMPUTE_PGM_RSRC2:TGID_Z_EN: 0
; COMPUTE_PGM_RSRC2:TIDIG_COMP_CNT: 0
; COMPUTE_PGM_RSRC3_GFX90A:ACCUM_OFFSET: 63
; COMPUTE_PGM_RSRC3_GFX90A:TG_SPLIT: 0
	.section	.text._ZN9rocsolver6v33100L18getri_kernel_smallILi50E19rocblas_complex_numIfEPKPS3_EEvT1_iilPiilS8_bb,"axG",@progbits,_ZN9rocsolver6v33100L18getri_kernel_smallILi50E19rocblas_complex_numIfEPKPS3_EEvT1_iilPiilS8_bb,comdat
	.globl	_ZN9rocsolver6v33100L18getri_kernel_smallILi50E19rocblas_complex_numIfEPKPS3_EEvT1_iilPiilS8_bb ; -- Begin function _ZN9rocsolver6v33100L18getri_kernel_smallILi50E19rocblas_complex_numIfEPKPS3_EEvT1_iilPiilS8_bb
	.p2align	8
	.type	_ZN9rocsolver6v33100L18getri_kernel_smallILi50E19rocblas_complex_numIfEPKPS3_EEvT1_iilPiilS8_bb,@function
_ZN9rocsolver6v33100L18getri_kernel_smallILi50E19rocblas_complex_numIfEPKPS3_EEvT1_iilPiilS8_bb: ; @_ZN9rocsolver6v33100L18getri_kernel_smallILi50E19rocblas_complex_numIfEPKPS3_EEvT1_iilPiilS8_bb
; %bb.0:
	v_cmp_gt_u32_e32 vcc, 50, v0
	s_and_saveexec_b64 s[4:5], vcc
	s_cbranch_execz .LBB113_214
; %bb.1:
	s_load_dword s14, s[0:1], 0x38
	s_load_dwordx2 s[8:9], s[0:1], 0x0
	s_load_dwordx4 s[4:7], s[0:1], 0x28
	s_waitcnt lgkmcnt(0)
	s_bitcmp1_b32 s14, 8
	s_cselect_b64 s[10:11], -1, 0
	s_ashr_i32 s3, s2, 31
	s_lshl_b64 s[12:13], s[2:3], 3
	s_add_u32 s8, s8, s12
	s_addc_u32 s9, s9, s13
	s_load_dwordx2 s[12:13], s[8:9], 0x0
	s_bfe_u32 s8, s14, 0x10008
	s_cmp_eq_u32 s8, 0
                                        ; implicit-def: $sgpr8_sgpr9
	s_cbranch_scc1 .LBB113_3
; %bb.2:
	s_load_dword s8, s[0:1], 0x20
	s_load_dwordx2 s[14:15], s[0:1], 0x18
	s_mul_i32 s9, s4, s3
	s_mul_hi_u32 s16, s4, s2
	s_add_i32 s16, s16, s9
	s_mul_i32 s5, s5, s2
	s_add_i32 s5, s16, s5
	s_mul_i32 s4, s4, s2
	s_waitcnt lgkmcnt(0)
	s_ashr_i32 s9, s8, 31
	s_lshl_b64 s[4:5], s[4:5], 2
	s_add_u32 s14, s14, s4
	s_addc_u32 s15, s15, s5
	s_lshl_b64 s[4:5], s[8:9], 2
	s_add_u32 s8, s14, s4
	s_addc_u32 s9, s15, s5
.LBB113_3:
	s_load_dwordx2 s[4:5], s[0:1], 0x8
	s_load_dword s14, s[0:1], 0x38
	v_lshlrev_b32_e32 v2, 3, v0
	v_mov_b32_e32 v3, 0
	s_waitcnt lgkmcnt(0)
	s_ashr_i32 s1, s4, 31
	s_mov_b32 s0, s4
	s_lshl_b64 s[0:1], s[0:1], 3
	s_add_u32 s0, s12, s0
	s_addc_u32 s1, s13, s1
	v_lshl_add_u64 v[124:125], s[0:1], 0, v[2:3]
	flat_load_dwordx2 v[4:5], v[124:125]
	s_mov_b32 s12, s5
	s_ashr_i32 s13, s5, 31
	v_lshl_add_u64 v[6:7], s[12:13], 3, v[124:125]
	v_accvgpr_write_b32 a0, v6
	s_add_i32 s4, s5, s5
	v_accvgpr_write_b32 a1, v7
	s_bitcmp0_b32 s14, 0
	s_waitcnt vmcnt(0) lgkmcnt(0)
	scratch_store_dwordx2 off, v[4:5], off
	flat_load_dwordx2 v[4:5], v[6:7]
	v_add_u32_e32 v6, s4, v0
	v_ashrrev_i32_e32 v7, 31, v6
	v_lshl_add_u64 v[8:9], v[6:7], 3, s[0:1]
	v_add_u32_e32 v6, s5, v6
	v_accvgpr_write_b32 a2, v8
	v_ashrrev_i32_e32 v7, 31, v6
	v_accvgpr_write_b32 a3, v9
	s_waitcnt vmcnt(0) lgkmcnt(0)
	scratch_store_dwordx2 off, v[4:5], off offset:8
	flat_load_dwordx2 v[4:5], v[8:9]
	v_lshl_add_u64 v[8:9], v[6:7], 3, s[0:1]
	v_add_u32_e32 v6, s5, v6
	v_accvgpr_write_b32 a4, v8
	v_ashrrev_i32_e32 v7, 31, v6
	v_accvgpr_write_b32 a5, v9
	s_waitcnt vmcnt(0) lgkmcnt(0)
	scratch_store_dwordx2 off, v[4:5], off offset:16
	flat_load_dwordx2 v[4:5], v[8:9]
	;; [unrolled: 8-line block ×15, first 2 shown]
	v_lshl_add_u64 v[8:9], v[6:7], 3, s[0:1]
	v_add_u32_e32 v6, s5, v6
	v_ashrrev_i32_e32 v7, 31, v6
	v_lshl_add_u64 v[160:161], v[6:7], 3, s[0:1]
	v_add_u32_e32 v6, s5, v6
	v_ashrrev_i32_e32 v7, 31, v6
	;; [unrolled: 3-line block ×26, first 2 shown]
	v_lshl_add_u64 v[210:211], v[6:7], 3, s[0:1]
	s_waitcnt vmcnt(0) lgkmcnt(0)
	scratch_store_dwordx2 off, v[4:5], off offset:128
	flat_load_dwordx2 v[4:5], v[8:9]
	v_add_u32_e32 v6, s5, v6
	v_ashrrev_i32_e32 v7, 31, v6
	v_lshl_add_u64 v[212:213], v[6:7], 3, s[0:1]
	v_add_u32_e32 v6, s5, v6
	v_ashrrev_i32_e32 v7, 31, v6
	v_lshl_add_u64 v[214:215], v[6:7], 3, s[0:1]
	;; [unrolled: 3-line block ×6, first 2 shown]
	v_accvgpr_write_b32 a33, v9
	v_accvgpr_write_b32 a32, v8
	s_mov_b64 s[4:5], -1
	s_waitcnt vmcnt(0) lgkmcnt(0)
	scratch_store_dwordx2 off, v[4:5], off offset:136
	flat_load_dwordx2 v[4:5], v[160:161]
	s_waitcnt vmcnt(0) lgkmcnt(0)
	scratch_store_dwordx2 off, v[4:5], off offset:144
	flat_load_dwordx2 v[4:5], v[162:163]
	;; [unrolled: 3-line block ×32, first 2 shown]
	s_waitcnt vmcnt(0) lgkmcnt(0)
	scratch_store_dwordx2 off, v[4:5], off offset:392
	s_cbranch_scc1 .LBB113_212
; %bb.4:
	v_cmp_eq_u32_e64 s[0:1], 0, v0
	s_and_saveexec_b64 s[4:5], s[0:1]
; %bb.5:
	v_mov_b32_e32 v1, 0
	ds_write_b32 v1, v1 offset:800
; %bb.6:
	s_or_b64 exec, exec, s[4:5]
	s_waitcnt lgkmcnt(0)
	; wave barrier
	scratch_load_dwordx2 v[4:5], v2, off
	s_waitcnt vmcnt(0)
	v_cmp_eq_f32_e32 vcc, 0, v4
	v_cmp_eq_f32_e64 s[4:5], 0, v5
	s_and_b64 s[4:5], vcc, s[4:5]
	s_and_saveexec_b64 s[12:13], s[4:5]
	s_cbranch_execz .LBB113_10
; %bb.7:
	v_mov_b32_e32 v1, 0
	ds_read_b32 v4, v1 offset:800
	v_add_u32_e32 v3, 1, v0
	s_waitcnt lgkmcnt(0)
	v_readfirstlane_b32 s4, v4
	s_cmp_eq_u32 s4, 0
	s_cselect_b64 s[14:15], -1, 0
	v_cmp_gt_i32_e32 vcc, s4, v3
	s_or_b64 s[14:15], s[14:15], vcc
	s_and_b64 exec, exec, s[14:15]
	s_cbranch_execz .LBB113_10
; %bb.8:
	s_mov_b64 s[14:15], 0
	v_mov_b32_e32 v4, s4
.LBB113_9:                              ; =>This Inner Loop Header: Depth=1
	ds_cmpst_rtn_b32 v4, v1, v4, v3 offset:800
	s_waitcnt lgkmcnt(0)
	v_cmp_ne_u32_e32 vcc, 0, v4
	v_cmp_le_i32_e64 s[4:5], v4, v3
	s_and_b64 s[4:5], vcc, s[4:5]
	s_and_b64 s[4:5], exec, s[4:5]
	s_or_b64 s[14:15], s[4:5], s[14:15]
	s_andn2_b64 exec, exec, s[14:15]
	s_cbranch_execnz .LBB113_9
.LBB113_10:
	s_or_b64 exec, exec, s[12:13]
	v_mov_b32_e32 v3, 0
	; wave barrier
	ds_read_b32 v1, v3 offset:800
	s_and_saveexec_b64 s[4:5], s[0:1]
	s_cbranch_execz .LBB113_12
; %bb.11:
	s_lshl_b64 s[12:13], s[2:3], 2
	s_add_u32 s12, s6, s12
	s_addc_u32 s13, s7, s13
	s_waitcnt lgkmcnt(0)
	global_store_dword v3, v1, s[12:13]
.LBB113_12:
	s_or_b64 exec, exec, s[4:5]
	s_waitcnt lgkmcnt(0)
	v_cmp_ne_u32_e32 vcc, 0, v1
	s_mov_b64 s[4:5], 0
	s_cbranch_vccnz .LBB113_212
; %bb.13:
	v_mov_b32_e32 v3, v2
	scratch_load_dwordx2 v[4:5], v3, off
                                        ; implicit-def: $vgpr7
                                        ; implicit-def: $vgpr8
	s_waitcnt vmcnt(0)
	v_cmp_ngt_f32_e64 s[4:5], |v4|, |v5|
	s_and_saveexec_b64 s[12:13], s[4:5]
	s_xor_b64 s[4:5], exec, s[12:13]
	s_cbranch_execz .LBB113_15
; %bb.14:
	v_div_scale_f32 v1, s[12:13], v5, v5, v4
	v_rcp_f32_e32 v6, v1
	v_div_scale_f32 v7, vcc, v4, v5, v4
	v_fma_f32 v8, -v1, v6, 1.0
	v_fmac_f32_e32 v6, v8, v6
	v_mul_f32_e32 v8, v7, v6
	v_fma_f32 v9, -v1, v8, v7
	v_fmac_f32_e32 v8, v9, v6
	v_fma_f32 v1, -v1, v8, v7
	v_div_fmas_f32 v1, v1, v6, v8
	v_div_fixup_f32 v1, v1, v5, v4
	v_fmac_f32_e32 v5, v4, v1
	v_div_scale_f32 v4, s[12:13], v5, v5, -1.0
	v_rcp_f32_e32 v6, v4
	s_nop 0
	v_fma_f32 v7, -v4, v6, 1.0
	v_fmac_f32_e32 v6, v7, v6
	v_div_scale_f32 v7, vcc, -1.0, v5, -1.0
	v_mul_f32_e32 v8, v7, v6
	v_fma_f32 v9, -v4, v8, v7
	v_fmac_f32_e32 v8, v9, v6
	v_fma_f32 v4, -v4, v8, v7
	v_div_fmas_f32 v4, v4, v6, v8
	v_div_fixup_f32 v7, v4, v5, -1.0
	v_mul_f32_e32 v8, v1, v7
	v_xor_b32_e32 v6, 0x80000000, v8
                                        ; implicit-def: $vgpr4_vgpr5
.LBB113_15:
	s_andn2_saveexec_b64 s[4:5], s[4:5]
	s_cbranch_execz .LBB113_17
; %bb.16:
	v_div_scale_f32 v1, s[12:13], v4, v4, v5
	v_rcp_f32_e32 v6, v1
	v_div_scale_f32 v7, vcc, v5, v4, v5
	v_fma_f32 v8, -v1, v6, 1.0
	v_fmac_f32_e32 v6, v8, v6
	v_mul_f32_e32 v8, v7, v6
	v_fma_f32 v9, -v1, v8, v7
	v_fmac_f32_e32 v8, v9, v6
	v_fma_f32 v1, -v1, v8, v7
	v_div_fmas_f32 v1, v1, v6, v8
	v_div_fixup_f32 v1, v1, v4, v5
	v_fmac_f32_e32 v4, v5, v1
	v_div_scale_f32 v5, s[12:13], v4, v4, 1.0
	v_rcp_f32_e32 v6, v5
	s_nop 0
	v_fma_f32 v7, -v5, v6, 1.0
	v_fmac_f32_e32 v6, v7, v6
	v_div_scale_f32 v7, vcc, 1.0, v4, 1.0
	v_mul_f32_e32 v8, v7, v6
	v_fma_f32 v9, -v5, v8, v7
	v_fmac_f32_e32 v8, v9, v6
	v_fma_f32 v5, -v5, v8, v7
	v_div_fmas_f32 v5, v5, v6, v8
	v_div_fixup_f32 v6, v5, v4, 1.0
	v_xor_b32_e32 v8, 0x80000000, v6
	v_mul_f32_e64 v7, v1, -v6
.LBB113_17:
	s_or_b64 exec, exec, s[4:5]
	scratch_store_dwordx2 v3, v[6:7], off
	scratch_load_dwordx2 v[4:5], off, off offset:8
	v_xor_b32_e32 v9, 0x80000000, v7
	v_add_u32_e32 v1, 0x190, v2
	s_waitcnt vmcnt(0)
	ds_write2_b64 v2, v[8:9], v[4:5] offset1:50
	s_waitcnt lgkmcnt(0)
	; wave barrier
	s_and_saveexec_b64 s[4:5], s[0:1]
	s_cbranch_execz .LBB113_19
; %bb.18:
	scratch_load_dwordx2 v[4:5], v3, off
	ds_read_b64 v[6:7], v1
	v_mov_b32_e32 v8, 0
	ds_read_b64 v[8:9], v8 offset:8
	s_waitcnt vmcnt(0) lgkmcnt(1)
	v_pk_mul_f32 v[10:11], v[6:7], v[4:5] op_sel:[1,1] op_sel_hi:[0,1]
	v_pk_fma_f32 v[12:13], v[6:7], v[4:5], v[10:11] neg_lo:[0,0,1] neg_hi:[0,0,1]
	v_pk_fma_f32 v[4:5], v[6:7], v[4:5], v[10:11] op_sel_hi:[1,0,1]
	s_nop 0
	v_mov_b32_e32 v13, v5
	v_pk_add_f32 v[4:5], v[12:13], 0 op_sel_hi:[1,0]
	s_waitcnt lgkmcnt(0)
	v_pk_mul_f32 v[6:7], v[4:5], v[8:9] op_sel:[1,1] op_sel_hi:[0,1]
	v_pk_fma_f32 v[10:11], v[4:5], v[8:9], v[6:7] neg_lo:[0,0,1] neg_hi:[0,0,1]
	v_pk_fma_f32 v[4:5], v[4:5], v[8:9], v[6:7] op_sel_hi:[1,0,1]
	s_nop 0
	v_mov_b32_e32 v11, v5
	scratch_store_dwordx2 off, v[10:11], off offset:8
.LBB113_19:
	s_or_b64 exec, exec, s[4:5]
	; wave barrier
	scratch_load_dwordx2 v[4:5], off, off offset:16
	v_cmp_gt_u32_e32 vcc, 2, v0
	s_waitcnt vmcnt(0)
	ds_write_b64 v1, v[4:5]
	s_waitcnt lgkmcnt(0)
	; wave barrier
	s_and_saveexec_b64 s[4:5], vcc
	s_cbranch_execz .LBB113_23
; %bb.20:
	scratch_load_dwordx2 v[4:5], v3, off
	ds_read_b64 v[6:7], v1
	s_waitcnt vmcnt(0) lgkmcnt(0)
	v_pk_mul_f32 v[8:9], v[6:7], v[4:5] op_sel:[1,1] op_sel_hi:[0,1]
	v_pk_fma_f32 v[10:11], v[6:7], v[4:5], v[8:9] neg_lo:[0,0,1] neg_hi:[0,0,1]
	v_pk_fma_f32 v[4:5], v[6:7], v[4:5], v[8:9] op_sel_hi:[1,0,1]
	s_nop 0
	v_mov_b32_e32 v11, v5
	v_pk_add_f32 v[4:5], v[10:11], 0 op_sel_hi:[1,0]
	s_and_saveexec_b64 s[12:13], s[0:1]
	s_cbranch_execz .LBB113_22
; %bb.21:
	scratch_load_dwordx2 v[6:7], off, off offset:8
	v_mov_b32_e32 v3, 0
	ds_read_b64 v[8:9], v3 offset:408
	s_waitcnt vmcnt(0) lgkmcnt(0)
	v_pk_mul_f32 v[10:11], v[8:9], v[6:7] op_sel:[1,1] op_sel_hi:[0,1]
	v_pk_fma_f32 v[12:13], v[8:9], v[6:7], v[10:11] neg_lo:[0,0,1] neg_hi:[0,0,1]
	v_pk_fma_f32 v[6:7], v[8:9], v[6:7], v[10:11] op_sel_hi:[1,0,1]
	s_nop 0
	v_mov_b32_e32 v13, v7
	v_pk_add_f32 v[4:5], v[4:5], v[12:13]
.LBB113_22:
	s_or_b64 exec, exec, s[12:13]
	v_mov_b32_e32 v3, 0
	ds_read_b64 v[6:7], v3 offset:16
	s_waitcnt lgkmcnt(0)
	v_pk_mul_f32 v[8:9], v[4:5], v[6:7] op_sel:[1,1] op_sel_hi:[0,1]
	v_pk_fma_f32 v[10:11], v[4:5], v[6:7], v[8:9] neg_lo:[0,0,1] neg_hi:[0,0,1]
	v_pk_fma_f32 v[4:5], v[4:5], v[6:7], v[8:9] op_sel_hi:[1,0,1]
	s_nop 0
	v_mov_b32_e32 v11, v5
	scratch_store_dwordx2 off, v[10:11], off offset:16
.LBB113_23:
	s_or_b64 exec, exec, s[4:5]
	; wave barrier
	scratch_load_dwordx2 v[4:5], off, off offset:24
	v_cmp_gt_u32_e32 vcc, 3, v0
	v_add_u32_e32 v6, -1, v0
	s_waitcnt vmcnt(0)
	ds_write_b64 v1, v[4:5]
	s_waitcnt lgkmcnt(0)
	; wave barrier
	s_and_saveexec_b64 s[0:1], vcc
	s_cbranch_execz .LBB113_27
; %bb.24:
	v_mov_b32_e32 v4, 0
	v_add_u32_e32 v3, -1, v0
	v_add_u32_e32 v7, 0x190, v2
	v_mov_b32_e32 v8, v2
	s_mov_b64 s[4:5], 0
	v_mov_b32_e32 v5, v4
.LBB113_25:                             ; =>This Inner Loop Header: Depth=1
	scratch_load_dwordx2 v[10:11], v8, off
	ds_read_b64 v[12:13], v7
	v_add_u32_e32 v3, 1, v3
	v_cmp_lt_u32_e32 vcc, 1, v3
	v_add_u32_e32 v7, 8, v7
	v_add_u32_e32 v8, 8, v8
	s_or_b64 s[4:5], vcc, s[4:5]
	s_waitcnt vmcnt(0) lgkmcnt(0)
	v_pk_mul_f32 v[14:15], v[12:13], v[10:11] op_sel:[1,1] op_sel_hi:[0,1]
	v_pk_fma_f32 v[16:17], v[12:13], v[10:11], v[14:15] neg_lo:[0,0,1] neg_hi:[0,0,1]
	v_pk_fma_f32 v[10:11], v[12:13], v[10:11], v[14:15] op_sel_hi:[1,0,1]
	s_nop 0
	v_mov_b32_e32 v17, v11
	v_pk_add_f32 v[4:5], v[4:5], v[16:17]
	s_andn2_b64 exec, exec, s[4:5]
	s_cbranch_execnz .LBB113_25
; %bb.26:
	s_or_b64 exec, exec, s[4:5]
	v_mov_b32_e32 v3, 0
	ds_read_b64 v[8:9], v3 offset:24
	s_waitcnt lgkmcnt(0)
	v_pk_mul_f32 v[10:11], v[4:5], v[8:9] op_sel:[1,1] op_sel_hi:[0,1]
	v_pk_fma_f32 v[12:13], v[4:5], v[8:9], v[10:11] neg_lo:[0,0,1] neg_hi:[0,0,1]
	v_pk_fma_f32 v[4:5], v[4:5], v[8:9], v[10:11] op_sel_hi:[1,0,1]
	s_nop 0
	v_mov_b32_e32 v13, v5
	scratch_store_dwordx2 off, v[12:13], off offset:24
.LBB113_27:
	s_or_b64 exec, exec, s[0:1]
	; wave barrier
	scratch_load_dwordx2 v[4:5], off, off offset:32
	v_cmp_gt_u32_e32 vcc, 4, v0
	s_waitcnt vmcnt(0)
	ds_write_b64 v1, v[4:5]
	s_waitcnt lgkmcnt(0)
	; wave barrier
	s_and_saveexec_b64 s[0:1], vcc
	s_cbranch_execz .LBB113_31
; %bb.28:
	v_mov_b32_e32 v4, 0
	v_add_u32_e32 v3, -1, v0
	v_add_u32_e32 v7, 0x190, v2
	v_mov_b32_e32 v8, v2
	s_mov_b64 s[4:5], 0
	v_mov_b32_e32 v5, v4
.LBB113_29:                             ; =>This Inner Loop Header: Depth=1
	scratch_load_dwordx2 v[10:11], v8, off
	ds_read_b64 v[12:13], v7
	v_add_u32_e32 v3, 1, v3
	v_cmp_lt_u32_e32 vcc, 2, v3
	v_add_u32_e32 v7, 8, v7
	v_add_u32_e32 v8, 8, v8
	s_or_b64 s[4:5], vcc, s[4:5]
	s_waitcnt vmcnt(0) lgkmcnt(0)
	v_pk_mul_f32 v[14:15], v[12:13], v[10:11] op_sel:[1,1] op_sel_hi:[0,1]
	v_pk_fma_f32 v[16:17], v[12:13], v[10:11], v[14:15] neg_lo:[0,0,1] neg_hi:[0,0,1]
	v_pk_fma_f32 v[10:11], v[12:13], v[10:11], v[14:15] op_sel_hi:[1,0,1]
	s_nop 0
	v_mov_b32_e32 v17, v11
	v_pk_add_f32 v[4:5], v[4:5], v[16:17]
	s_andn2_b64 exec, exec, s[4:5]
	s_cbranch_execnz .LBB113_29
; %bb.30:
	s_or_b64 exec, exec, s[4:5]
	v_mov_b32_e32 v3, 0
	ds_read_b64 v[8:9], v3 offset:32
	s_waitcnt lgkmcnt(0)
	v_pk_mul_f32 v[10:11], v[4:5], v[8:9] op_sel:[1,1] op_sel_hi:[0,1]
	v_pk_fma_f32 v[12:13], v[4:5], v[8:9], v[10:11] neg_lo:[0,0,1] neg_hi:[0,0,1]
	v_pk_fma_f32 v[4:5], v[4:5], v[8:9], v[10:11] op_sel_hi:[1,0,1]
	s_nop 0
	v_mov_b32_e32 v13, v5
	scratch_store_dwordx2 off, v[12:13], off offset:32
.LBB113_31:
	s_or_b64 exec, exec, s[0:1]
	; wave barrier
	scratch_load_dwordx2 v[4:5], off, off offset:40
	v_cmp_gt_u32_e32 vcc, 5, v0
	;; [unrolled: 46-line block ×19, first 2 shown]
	s_waitcnt vmcnt(0)
	ds_write_b64 v1, v[4:5]
	s_waitcnt lgkmcnt(0)
	; wave barrier
	s_and_saveexec_b64 s[0:1], vcc
	s_cbranch_execz .LBB113_103
; %bb.100:
	v_mov_b32_e32 v4, 0
	v_add_u32_e32 v3, -1, v0
	v_add_u32_e32 v7, 0x190, v2
	v_mov_b32_e32 v8, v2
	s_mov_b64 s[4:5], 0
	v_mov_b32_e32 v5, v4
.LBB113_101:                            ; =>This Inner Loop Header: Depth=1
	scratch_load_dwordx2 v[10:11], v8, off
	ds_read_b64 v[12:13], v7
	v_add_u32_e32 v3, 1, v3
	v_cmp_lt_u32_e32 vcc, 20, v3
	v_add_u32_e32 v7, 8, v7
	v_add_u32_e32 v8, 8, v8
	s_or_b64 s[4:5], vcc, s[4:5]
	s_waitcnt vmcnt(0) lgkmcnt(0)
	v_pk_mul_f32 v[14:15], v[12:13], v[10:11] op_sel:[1,1] op_sel_hi:[0,1]
	v_pk_fma_f32 v[16:17], v[12:13], v[10:11], v[14:15] neg_lo:[0,0,1] neg_hi:[0,0,1]
	v_pk_fma_f32 v[10:11], v[12:13], v[10:11], v[14:15] op_sel_hi:[1,0,1]
	s_nop 0
	v_mov_b32_e32 v17, v11
	v_pk_add_f32 v[4:5], v[4:5], v[16:17]
	s_andn2_b64 exec, exec, s[4:5]
	s_cbranch_execnz .LBB113_101
; %bb.102:
	s_or_b64 exec, exec, s[4:5]
	v_mov_b32_e32 v3, 0
	ds_read_b64 v[8:9], v3 offset:176
	s_waitcnt lgkmcnt(0)
	v_pk_mul_f32 v[10:11], v[4:5], v[8:9] op_sel:[1,1] op_sel_hi:[0,1]
	v_pk_fma_f32 v[12:13], v[4:5], v[8:9], v[10:11] neg_lo:[0,0,1] neg_hi:[0,0,1]
	v_pk_fma_f32 v[4:5], v[4:5], v[8:9], v[10:11] op_sel_hi:[1,0,1]
	s_nop 0
	v_mov_b32_e32 v13, v5
	scratch_store_dwordx2 off, v[12:13], off offset:176
.LBB113_103:
	s_or_b64 exec, exec, s[0:1]
	; wave barrier
	scratch_load_dwordx2 v[4:5], off, off offset:184
	v_cmp_gt_u32_e32 vcc, 23, v0
	s_waitcnt vmcnt(0)
	ds_write_b64 v1, v[4:5]
	s_waitcnt lgkmcnt(0)
	; wave barrier
	s_and_saveexec_b64 s[0:1], vcc
	s_cbranch_execz .LBB113_107
; %bb.104:
	v_mov_b32_e32 v4, 0
	v_add_u32_e32 v3, -1, v0
	v_add_u32_e32 v7, 0x190, v2
	v_mov_b32_e32 v8, v2
	s_mov_b64 s[4:5], 0
	v_mov_b32_e32 v5, v4
.LBB113_105:                            ; =>This Inner Loop Header: Depth=1
	scratch_load_dwordx2 v[10:11], v8, off
	ds_read_b64 v[12:13], v7
	v_add_u32_e32 v3, 1, v3
	v_cmp_lt_u32_e32 vcc, 21, v3
	v_add_u32_e32 v7, 8, v7
	v_add_u32_e32 v8, 8, v8
	s_or_b64 s[4:5], vcc, s[4:5]
	s_waitcnt vmcnt(0) lgkmcnt(0)
	v_pk_mul_f32 v[14:15], v[12:13], v[10:11] op_sel:[1,1] op_sel_hi:[0,1]
	v_pk_fma_f32 v[16:17], v[12:13], v[10:11], v[14:15] neg_lo:[0,0,1] neg_hi:[0,0,1]
	v_pk_fma_f32 v[10:11], v[12:13], v[10:11], v[14:15] op_sel_hi:[1,0,1]
	s_nop 0
	v_mov_b32_e32 v17, v11
	v_pk_add_f32 v[4:5], v[4:5], v[16:17]
	s_andn2_b64 exec, exec, s[4:5]
	s_cbranch_execnz .LBB113_105
; %bb.106:
	s_or_b64 exec, exec, s[4:5]
	v_mov_b32_e32 v3, 0
	ds_read_b64 v[8:9], v3 offset:184
	s_waitcnt lgkmcnt(0)
	v_pk_mul_f32 v[10:11], v[4:5], v[8:9] op_sel:[1,1] op_sel_hi:[0,1]
	v_pk_fma_f32 v[12:13], v[4:5], v[8:9], v[10:11] neg_lo:[0,0,1] neg_hi:[0,0,1]
	v_pk_fma_f32 v[4:5], v[4:5], v[8:9], v[10:11] op_sel_hi:[1,0,1]
	s_nop 0
	v_mov_b32_e32 v13, v5
	scratch_store_dwordx2 off, v[12:13], off offset:184
.LBB113_107:
	s_or_b64 exec, exec, s[0:1]
	; wave barrier
	scratch_load_dwordx2 v[4:5], off, off offset:192
	v_cmp_gt_u32_e32 vcc, 24, v0
	;; [unrolled: 46-line block ×26, first 2 shown]
	s_waitcnt vmcnt(0)
	ds_write_b64 v1, v[4:5]
	s_waitcnt lgkmcnt(0)
	; wave barrier
	s_and_saveexec_b64 s[0:1], vcc
	s_cbranch_execz .LBB113_207
; %bb.204:
	v_mov_b32_e32 v4, 0
	v_add_u32_e32 v3, -1, v0
	v_add_u32_e32 v7, 0x190, v2
	v_mov_b32_e32 v8, v2
	s_mov_b64 s[4:5], 0
	v_mov_b32_e32 v5, v4
.LBB113_205:                            ; =>This Inner Loop Header: Depth=1
	scratch_load_dwordx2 v[10:11], v8, off
	ds_read_b64 v[12:13], v7
	v_add_u32_e32 v3, 1, v3
	v_cmp_lt_u32_e32 vcc, 46, v3
	v_add_u32_e32 v7, 8, v7
	v_add_u32_e32 v8, 8, v8
	s_or_b64 s[4:5], vcc, s[4:5]
	s_waitcnt vmcnt(0) lgkmcnt(0)
	v_pk_mul_f32 v[14:15], v[12:13], v[10:11] op_sel:[1,1] op_sel_hi:[0,1]
	v_pk_fma_f32 v[16:17], v[12:13], v[10:11], v[14:15] neg_lo:[0,0,1] neg_hi:[0,0,1]
	v_pk_fma_f32 v[10:11], v[12:13], v[10:11], v[14:15] op_sel_hi:[1,0,1]
	s_nop 0
	v_mov_b32_e32 v17, v11
	v_pk_add_f32 v[4:5], v[4:5], v[16:17]
	s_andn2_b64 exec, exec, s[4:5]
	s_cbranch_execnz .LBB113_205
; %bb.206:
	s_or_b64 exec, exec, s[4:5]
	v_mov_b32_e32 v3, 0
	ds_read_b64 v[8:9], v3 offset:384
	s_waitcnt lgkmcnt(0)
	v_pk_mul_f32 v[10:11], v[4:5], v[8:9] op_sel:[1,1] op_sel_hi:[0,1]
	v_pk_fma_f32 v[12:13], v[4:5], v[8:9], v[10:11] neg_lo:[0,0,1] neg_hi:[0,0,1]
	v_pk_fma_f32 v[4:5], v[4:5], v[8:9], v[10:11] op_sel_hi:[1,0,1]
	s_nop 0
	v_mov_b32_e32 v13, v5
	scratch_store_dwordx2 off, v[12:13], off offset:384
.LBB113_207:
	s_or_b64 exec, exec, s[0:1]
	; wave barrier
	scratch_load_dwordx2 v[4:5], off, off offset:392
	v_cmp_ne_u32_e32 vcc, 49, v0
	s_waitcnt vmcnt(0)
	ds_write_b64 v1, v[4:5]
	s_waitcnt lgkmcnt(0)
	; wave barrier
	s_and_saveexec_b64 s[0:1], vcc
	s_cbranch_execz .LBB113_211
; %bb.208:
	v_add_u32_e32 v1, 0x190, v2
	v_mov_b32_e32 v4, v2
	v_mov_b32_e32 v2, 0
	s_mov_b64 s[4:5], 0
	v_mov_b32_e32 v3, v2
.LBB113_209:                            ; =>This Inner Loop Header: Depth=1
	scratch_load_dwordx2 v[8:9], v4, off
	ds_read_b64 v[10:11], v1
	v_add_u32_e32 v6, 1, v6
	v_cmp_lt_u32_e32 vcc, 47, v6
	v_add_u32_e32 v1, 8, v1
	v_add_u32_e32 v4, 8, v4
	s_or_b64 s[4:5], vcc, s[4:5]
	s_waitcnt vmcnt(0) lgkmcnt(0)
	v_pk_mul_f32 v[12:13], v[10:11], v[8:9] op_sel:[1,1] op_sel_hi:[0,1]
	v_pk_fma_f32 v[14:15], v[10:11], v[8:9], v[12:13] neg_lo:[0,0,1] neg_hi:[0,0,1]
	v_pk_fma_f32 v[8:9], v[10:11], v[8:9], v[12:13] op_sel_hi:[1,0,1]
	s_nop 0
	v_mov_b32_e32 v15, v9
	v_pk_add_f32 v[2:3], v[2:3], v[14:15]
	s_andn2_b64 exec, exec, s[4:5]
	s_cbranch_execnz .LBB113_209
; %bb.210:
	s_or_b64 exec, exec, s[4:5]
	v_mov_b32_e32 v1, 0
	ds_read_b64 v[4:5], v1 offset:392
	s_waitcnt lgkmcnt(0)
	v_pk_mul_f32 v[6:7], v[2:3], v[4:5] op_sel:[1,1] op_sel_hi:[0,1]
	v_pk_fma_f32 v[8:9], v[2:3], v[4:5], v[6:7] neg_lo:[0,0,1] neg_hi:[0,0,1]
	v_pk_fma_f32 v[2:3], v[2:3], v[4:5], v[6:7] op_sel_hi:[1,0,1]
	s_nop 0
	v_mov_b32_e32 v9, v3
	scratch_store_dwordx2 off, v[8:9], off offset:392
.LBB113_211:
	s_or_b64 exec, exec, s[0:1]
	s_mov_b64 s[4:5], -1
	; wave barrier
.LBB113_212:
	s_and_b64 vcc, exec, s[4:5]
	s_cbranch_vccz .LBB113_214
; %bb.213:
	s_lshl_b64 s[0:1], s[2:3], 2
	s_add_u32 s0, s6, s0
	s_addc_u32 s1, s7, s1
	v_mov_b32_e32 v1, 0
	global_load_dword v1, v1, s[0:1]
	s_waitcnt vmcnt(0)
	v_cmp_ne_u32_e32 vcc, 0, v1
	s_cbranch_vccz .LBB113_215
.LBB113_214:
	s_endpgm
.LBB113_215:
	v_mov_b32_e32 v1, 0x190
	v_lshl_add_u32 v1, v0, 3, v1
	v_cmp_eq_u32_e32 vcc, 49, v0
	s_and_saveexec_b64 s[0:1], vcc
	s_cbranch_execz .LBB113_217
; %bb.216:
	scratch_load_dwordx2 v[2:3], off, off offset:384
	v_mov_b32_e32 v4, 0
	v_mov_b32_e32 v5, v4
	scratch_store_dwordx2 off, v[4:5], off offset:384
	s_waitcnt vmcnt(1)
	ds_write_b64 v1, v[2:3]
.LBB113_217:
	s_or_b64 exec, exec, s[0:1]
	s_waitcnt lgkmcnt(0)
	; wave barrier
	scratch_load_dwordx2 v[4:5], off, off offset:392
	scratch_load_dwordx2 v[6:7], off, off offset:384
	v_mov_b32_e32 v2, 0
	ds_read_b64 v[8:9], v2 offset:792
	v_cmp_lt_u32_e32 vcc, 47, v0
	s_waitcnt vmcnt(1) lgkmcnt(0)
	v_pk_mul_f32 v[10:11], v[8:9], v[4:5] op_sel:[1,1] op_sel_hi:[0,1]
	v_pk_fma_f32 v[12:13], v[8:9], v[4:5], v[10:11] neg_lo:[0,0,1] neg_hi:[0,0,1]
	v_pk_fma_f32 v[4:5], v[8:9], v[4:5], v[10:11] op_sel_hi:[1,0,1]
	s_nop 0
	v_mov_b32_e32 v13, v5
	v_pk_add_f32 v[4:5], v[12:13], 0 op_sel_hi:[1,0]
	s_waitcnt vmcnt(0)
	v_pk_add_f32 v[4:5], v[6:7], v[4:5] neg_lo:[0,1] neg_hi:[0,1]
	scratch_store_dwordx2 off, v[4:5], off offset:384
	s_and_saveexec_b64 s[0:1], vcc
	s_cbranch_execz .LBB113_219
; %bb.218:
	scratch_load_dwordx2 v[4:5], off, off offset:376
	v_mov_b32_e32 v3, v2
	scratch_store_dwordx2 off, v[2:3], off offset:376
	s_waitcnt vmcnt(1)
	ds_write_b64 v1, v[4:5]
.LBB113_219:
	s_or_b64 exec, exec, s[0:1]
	s_waitcnt lgkmcnt(0)
	; wave barrier
	scratch_load_dwordx4 v[4:7], off, off offset:384
	scratch_load_dwordx2 v[12:13], off, off offset:376
	ds_read_b128 v[8:11], v2 offset:784
	v_cmp_lt_u32_e32 vcc, 46, v0
	s_waitcnt vmcnt(1) lgkmcnt(0)
	v_pk_mul_f32 v[2:3], v[8:9], v[4:5] op_sel:[1,1] op_sel_hi:[0,1]
	v_mov_b32_e32 v14, v7
	v_pk_fma_f32 v[16:17], v[8:9], v[4:5], v[2:3] neg_lo:[0,0,1] neg_hi:[0,0,1]
	v_pk_fma_f32 v[2:3], v[8:9], v[4:5], v[2:3] op_sel_hi:[1,0,1]
	v_pk_mul_f32 v[4:5], v[10:11], v[14:15] op_sel:[1,0] op_sel_hi:[0,0]
	v_mov_b32_e32 v17, v3
	v_pk_fma_f32 v[2:3], v[10:11], v[6:7], v[4:5] neg_lo:[0,0,1] neg_hi:[0,0,1]
	v_pk_fma_f32 v[4:5], v[10:11], v[6:7], v[4:5] op_sel_hi:[1,0,1]
	v_pk_add_f32 v[6:7], v[16:17], 0 op_sel_hi:[1,0]
	v_mov_b32_e32 v3, v5
	v_pk_add_f32 v[2:3], v[6:7], v[2:3]
	s_waitcnt vmcnt(0)
	v_pk_add_f32 v[2:3], v[12:13], v[2:3] neg_lo:[0,1] neg_hi:[0,1]
	scratch_store_dwordx2 off, v[2:3], off offset:376
	s_and_saveexec_b64 s[0:1], vcc
	s_cbranch_execz .LBB113_221
; %bb.220:
	scratch_load_dwordx2 v[2:3], off, off offset:368
	v_mov_b32_e32 v4, 0
	v_mov_b32_e32 v5, v4
	scratch_store_dwordx2 off, v[4:5], off offset:368
	s_waitcnt vmcnt(1)
	ds_write_b64 v1, v[2:3]
.LBB113_221:
	s_or_b64 exec, exec, s[0:1]
	s_waitcnt lgkmcnt(0)
	; wave barrier
	scratch_load_dwordx4 v[4:7], off, off offset:376
	scratch_load_dwordx2 v[12:13], off, off offset:392
	scratch_load_dwordx2 v[14:15], off, off offset:368
	v_mov_b32_e32 v2, 0
	ds_read2_b64 v[8:11], v2 offset0:97 offset1:98
	ds_read_b64 v[16:17], v2 offset:792
	v_cmp_lt_u32_e32 vcc, 45, v0
	s_waitcnt vmcnt(2) lgkmcnt(1)
	v_pk_mul_f32 v[18:19], v[8:9], v[4:5] op_sel:[1,1] op_sel_hi:[0,1]
	v_mov_b32_e32 v20, v7
	v_pk_fma_f32 v[24:25], v[8:9], v[4:5], v[18:19] neg_lo:[0,0,1] neg_hi:[0,0,1]
	v_pk_fma_f32 v[4:5], v[8:9], v[4:5], v[18:19] op_sel_hi:[1,0,1]
	v_pk_mul_f32 v[8:9], v[10:11], v[20:21] op_sel:[1,0] op_sel_hi:[0,0]
	s_waitcnt vmcnt(1) lgkmcnt(0)
	v_pk_mul_f32 v[22:23], v[16:17], v[12:13] op_sel:[1,1] op_sel_hi:[0,1]
	v_mov_b32_e32 v25, v5
	v_pk_fma_f32 v[4:5], v[10:11], v[6:7], v[8:9] neg_lo:[0,0,1] neg_hi:[0,0,1]
	v_pk_fma_f32 v[6:7], v[10:11], v[6:7], v[8:9] op_sel_hi:[1,0,1]
	v_pk_fma_f32 v[18:19], v[16:17], v[12:13], v[22:23] neg_lo:[0,0,1] neg_hi:[0,0,1]
	v_pk_fma_f32 v[12:13], v[16:17], v[12:13], v[22:23] op_sel_hi:[1,0,1]
	v_pk_add_f32 v[8:9], v[24:25], 0 op_sel_hi:[1,0]
	v_mov_b32_e32 v5, v7
	v_mov_b32_e32 v19, v13
	v_pk_add_f32 v[4:5], v[8:9], v[4:5]
	s_nop 0
	v_pk_add_f32 v[4:5], v[4:5], v[18:19]
	s_waitcnt vmcnt(0)
	v_pk_add_f32 v[4:5], v[14:15], v[4:5] neg_lo:[0,1] neg_hi:[0,1]
	scratch_store_dwordx2 off, v[4:5], off offset:368
	s_and_saveexec_b64 s[0:1], vcc
	s_cbranch_execz .LBB113_223
; %bb.222:
	scratch_load_dwordx2 v[4:5], off, off offset:360
	v_mov_b32_e32 v3, v2
	scratch_store_dwordx2 off, v[2:3], off offset:360
	s_waitcnt vmcnt(1)
	ds_write_b64 v1, v[4:5]
.LBB113_223:
	s_or_b64 exec, exec, s[0:1]
	s_waitcnt lgkmcnt(0)
	; wave barrier
	scratch_load_dwordx4 v[4:7], off, off offset:368
	scratch_load_dwordx4 v[8:11], off, off offset:384
	ds_read_b128 v[12:15], v2 offset:768
	ds_read_b128 v[16:19], v2 offset:784
	v_cmp_lt_u32_e32 vcc, 44, v0
	s_waitcnt vmcnt(1) lgkmcnt(1)
	v_pk_mul_f32 v[2:3], v[12:13], v[4:5] op_sel:[1,1] op_sel_hi:[0,1]
	v_pk_fma_f32 v[20:21], v[12:13], v[4:5], v[2:3] neg_lo:[0,0,1] neg_hi:[0,0,1]
	v_pk_fma_f32 v[2:3], v[12:13], v[4:5], v[2:3] op_sel_hi:[1,0,1]
	v_mov_b32_e32 v4, v7
	v_pk_mul_f32 v[4:5], v[14:15], v[4:5] op_sel:[1,0] op_sel_hi:[0,0]
	v_pk_fma_f32 v[12:13], v[14:15], v[6:7], v[4:5] neg_lo:[0,0,1] neg_hi:[0,0,1]
	v_pk_fma_f32 v[4:5], v[14:15], v[6:7], v[4:5] op_sel_hi:[1,0,1]
	v_mov_b32_e32 v21, v3
	v_mov_b32_e32 v13, v5
	s_waitcnt vmcnt(0) lgkmcnt(0)
	v_pk_mul_f32 v[4:5], v[16:17], v[8:9] op_sel:[1,1] op_sel_hi:[0,1]
	v_pk_fma_f32 v[6:7], v[16:17], v[8:9], v[4:5] neg_lo:[0,0,1] neg_hi:[0,0,1]
	v_pk_fma_f32 v[4:5], v[16:17], v[8:9], v[4:5] op_sel_hi:[1,0,1]
	v_pk_add_f32 v[2:3], v[20:21], 0 op_sel_hi:[1,0]
	v_mov_b32_e32 v4, v11
	v_pk_add_f32 v[2:3], v[2:3], v[12:13]
	v_mov_b32_e32 v7, v5
	v_pk_mul_f32 v[4:5], v[18:19], v[4:5] op_sel:[1,0] op_sel_hi:[0,0]
	v_pk_add_f32 v[2:3], v[2:3], v[6:7]
	v_pk_fma_f32 v[6:7], v[18:19], v[10:11], v[4:5] neg_lo:[0,0,1] neg_hi:[0,0,1]
	v_pk_fma_f32 v[4:5], v[18:19], v[10:11], v[4:5] op_sel_hi:[1,0,1]
	s_nop 0
	v_mov_b32_e32 v7, v5
	scratch_load_dwordx2 v[4:5], off, off offset:360
	v_pk_add_f32 v[2:3], v[2:3], v[6:7]
	s_waitcnt vmcnt(0)
	v_pk_add_f32 v[2:3], v[4:5], v[2:3] neg_lo:[0,1] neg_hi:[0,1]
	scratch_store_dwordx2 off, v[2:3], off offset:360
	s_and_saveexec_b64 s[0:1], vcc
	s_cbranch_execz .LBB113_225
; %bb.224:
	scratch_load_dwordx2 v[2:3], off, off offset:352
	v_mov_b32_e32 v4, 0
	v_mov_b32_e32 v5, v4
	scratch_store_dwordx2 off, v[4:5], off offset:352
	s_waitcnt vmcnt(1)
	ds_write_b64 v1, v[2:3]
.LBB113_225:
	s_or_b64 exec, exec, s[0:1]
	s_waitcnt lgkmcnt(0)
	; wave barrier
	scratch_load_dwordx4 v[4:7], off, off offset:360
	scratch_load_dwordx4 v[8:11], off, off offset:376
	scratch_load_dwordx2 v[20:21], off, off offset:392
	v_mov_b32_e32 v2, 0
	ds_read2_b64 v[12:15], v2 offset0:95 offset1:96
	ds_read2_b64 v[16:19], v2 offset0:97 offset1:98
	ds_read_b64 v[22:23], v2 offset:792
	v_cmp_lt_u32_e32 vcc, 43, v0
	s_waitcnt vmcnt(2) lgkmcnt(2)
	v_pk_mul_f32 v[24:25], v[12:13], v[4:5] op_sel:[1,1] op_sel_hi:[0,1]
	v_pk_fma_f32 v[26:27], v[12:13], v[4:5], v[24:25] neg_lo:[0,0,1] neg_hi:[0,0,1]
	v_pk_fma_f32 v[4:5], v[12:13], v[4:5], v[24:25] op_sel_hi:[1,0,1]
	v_mov_b32_e32 v12, v7
	v_pk_mul_f32 v[12:13], v[14:15], v[12:13] op_sel:[1,0] op_sel_hi:[0,0]
	v_pk_fma_f32 v[24:25], v[14:15], v[6:7], v[12:13] neg_lo:[0,0,1] neg_hi:[0,0,1]
	v_pk_fma_f32 v[6:7], v[14:15], v[6:7], v[12:13] op_sel_hi:[1,0,1]
	v_mov_b32_e32 v27, v5
	v_mov_b32_e32 v25, v7
	s_waitcnt vmcnt(1) lgkmcnt(1)
	v_pk_mul_f32 v[6:7], v[16:17], v[8:9] op_sel:[1,1] op_sel_hi:[0,1]
	v_pk_fma_f32 v[12:13], v[16:17], v[8:9], v[6:7] neg_lo:[0,0,1] neg_hi:[0,0,1]
	v_pk_fma_f32 v[6:7], v[16:17], v[8:9], v[6:7] op_sel_hi:[1,0,1]
	v_pk_add_f32 v[4:5], v[26:27], 0 op_sel_hi:[1,0]
	v_mov_b32_e32 v6, v11
	v_mov_b32_e32 v13, v7
	v_pk_mul_f32 v[6:7], v[18:19], v[6:7] op_sel:[1,0] op_sel_hi:[0,0]
	v_pk_add_f32 v[4:5], v[4:5], v[24:25]
	v_pk_fma_f32 v[8:9], v[18:19], v[10:11], v[6:7] neg_lo:[0,0,1] neg_hi:[0,0,1]
	v_pk_fma_f32 v[6:7], v[18:19], v[10:11], v[6:7] op_sel_hi:[1,0,1]
	v_pk_add_f32 v[4:5], v[4:5], v[12:13]
	v_mov_b32_e32 v9, v7
	s_waitcnt vmcnt(0) lgkmcnt(0)
	v_pk_mul_f32 v[6:7], v[22:23], v[20:21] op_sel:[1,1] op_sel_hi:[0,1]
	v_pk_add_f32 v[4:5], v[4:5], v[8:9]
	v_pk_fma_f32 v[8:9], v[22:23], v[20:21], v[6:7] neg_lo:[0,0,1] neg_hi:[0,0,1]
	v_pk_fma_f32 v[6:7], v[22:23], v[20:21], v[6:7] op_sel_hi:[1,0,1]
	s_nop 0
	v_mov_b32_e32 v9, v7
	scratch_load_dwordx2 v[6:7], off, off offset:352
	v_pk_add_f32 v[4:5], v[4:5], v[8:9]
	s_waitcnt vmcnt(0)
	v_pk_add_f32 v[4:5], v[6:7], v[4:5] neg_lo:[0,1] neg_hi:[0,1]
	scratch_store_dwordx2 off, v[4:5], off offset:352
	s_and_saveexec_b64 s[0:1], vcc
	s_cbranch_execz .LBB113_227
; %bb.226:
	scratch_load_dwordx2 v[4:5], off, off offset:344
	v_mov_b32_e32 v3, v2
	scratch_store_dwordx2 off, v[2:3], off offset:344
	s_waitcnt vmcnt(1)
	ds_write_b64 v1, v[4:5]
.LBB113_227:
	s_or_b64 exec, exec, s[0:1]
	s_waitcnt lgkmcnt(0)
	; wave barrier
	scratch_load_dwordx4 v[4:7], off, off offset:352
	scratch_load_dwordx4 v[8:11], off, off offset:368
	;; [unrolled: 1-line block ×3, first 2 shown]
	scratch_load_dwordx2 v[28:29], off, off offset:344
	ds_read_b128 v[16:19], v2 offset:752
	ds_read_b128 v[20:23], v2 offset:768
	;; [unrolled: 1-line block ×3, first 2 shown]
	v_cmp_lt_u32_e32 vcc, 42, v0
	s_waitcnt vmcnt(3) lgkmcnt(2)
	v_pk_mul_f32 v[2:3], v[16:17], v[4:5] op_sel:[1,1] op_sel_hi:[0,1]
	v_mov_b32_e32 v30, v7
	s_waitcnt vmcnt(2) lgkmcnt(1)
	v_pk_mul_f32 v[32:33], v[20:21], v[8:9] op_sel:[1,1] op_sel_hi:[0,1]
	v_mov_b32_e32 v34, v11
	;; [unrolled: 3-line block ×3, first 2 shown]
	v_pk_fma_f32 v[40:41], v[16:17], v[4:5], v[2:3] neg_lo:[0,0,1] neg_hi:[0,0,1]
	v_pk_fma_f32 v[2:3], v[16:17], v[4:5], v[2:3] op_sel_hi:[1,0,1]
	v_pk_mul_f32 v[4:5], v[18:19], v[30:31] op_sel:[1,0] op_sel_hi:[0,0]
	v_pk_fma_f32 v[16:17], v[20:21], v[8:9], v[32:33] neg_lo:[0,0,1] neg_hi:[0,0,1]
	v_pk_fma_f32 v[8:9], v[20:21], v[8:9], v[32:33] op_sel_hi:[1,0,1]
	v_pk_mul_f32 v[20:21], v[22:23], v[34:35] op_sel:[1,0] op_sel_hi:[0,0]
	v_pk_fma_f32 v[30:31], v[24:25], v[12:13], v[36:37] neg_lo:[0,0,1] neg_hi:[0,0,1]
	v_pk_fma_f32 v[12:13], v[24:25], v[12:13], v[36:37] op_sel_hi:[1,0,1]
	v_pk_mul_f32 v[24:25], v[26:27], v[38:39] op_sel:[1,0] op_sel_hi:[0,0]
	v_mov_b32_e32 v41, v3
	v_pk_fma_f32 v[2:3], v[18:19], v[6:7], v[4:5] neg_lo:[0,0,1] neg_hi:[0,0,1]
	v_pk_fma_f32 v[4:5], v[18:19], v[6:7], v[4:5] op_sel_hi:[1,0,1]
	v_mov_b32_e32 v17, v9
	v_pk_fma_f32 v[6:7], v[22:23], v[10:11], v[20:21] neg_lo:[0,0,1] neg_hi:[0,0,1]
	v_pk_fma_f32 v[8:9], v[22:23], v[10:11], v[20:21] op_sel_hi:[1,0,1]
	;; [unrolled: 3-line block ×3, first 2 shown]
	v_pk_add_f32 v[14:15], v[40:41], 0 op_sel_hi:[1,0]
	v_mov_b32_e32 v3, v5
	v_pk_add_f32 v[2:3], v[14:15], v[2:3]
	v_mov_b32_e32 v7, v9
	v_pk_add_f32 v[2:3], v[2:3], v[16:17]
	;; [unrolled: 2-line block ×3, first 2 shown]
	s_nop 0
	v_pk_add_f32 v[2:3], v[2:3], v[30:31]
	s_nop 0
	v_pk_add_f32 v[2:3], v[2:3], v[10:11]
	s_waitcnt vmcnt(0)
	v_pk_add_f32 v[2:3], v[28:29], v[2:3] neg_lo:[0,1] neg_hi:[0,1]
	scratch_store_dwordx2 off, v[2:3], off offset:344
	s_and_saveexec_b64 s[0:1], vcc
	s_cbranch_execz .LBB113_229
; %bb.228:
	scratch_load_dwordx2 v[2:3], off, off offset:336
	v_mov_b32_e32 v4, 0
	v_mov_b32_e32 v5, v4
	scratch_store_dwordx2 off, v[4:5], off offset:336
	s_waitcnt vmcnt(1)
	ds_write_b64 v1, v[2:3]
.LBB113_229:
	s_or_b64 exec, exec, s[0:1]
	s_waitcnt lgkmcnt(0)
	; wave barrier
	scratch_load_dwordx4 v[4:7], off, off offset:344
	scratch_load_dwordx4 v[8:11], off, off offset:360
	scratch_load_dwordx4 v[12:15], off, off offset:376
	scratch_load_dwordx2 v[28:29], off, off offset:392
	scratch_load_dwordx2 v[30:31], off, off offset:336
	v_mov_b32_e32 v2, 0
	ds_read2_b64 v[16:19], v2 offset0:93 offset1:94
	ds_read2_b64 v[20:23], v2 offset0:95 offset1:96
	;; [unrolled: 1-line block ×3, first 2 shown]
	ds_read_b64 v[32:33], v2 offset:792
	v_cmp_lt_u32_e32 vcc, 41, v0
	s_waitcnt vmcnt(4) lgkmcnt(3)
	v_pk_mul_f32 v[34:35], v[16:17], v[4:5] op_sel:[1,1] op_sel_hi:[0,1]
	v_mov_b32_e32 v36, v7
	v_pk_fma_f32 v[48:49], v[16:17], v[4:5], v[34:35] neg_lo:[0,0,1] neg_hi:[0,0,1]
	v_pk_fma_f32 v[4:5], v[16:17], v[4:5], v[34:35] op_sel_hi:[1,0,1]
	v_pk_mul_f32 v[16:17], v[18:19], v[36:37] op_sel:[1,0] op_sel_hi:[0,0]
	s_waitcnt vmcnt(3) lgkmcnt(2)
	v_pk_mul_f32 v[38:39], v[20:21], v[8:9] op_sel:[1,1] op_sel_hi:[0,1]
	v_mov_b32_e32 v40, v11
	v_mov_b32_e32 v49, v5
	v_pk_fma_f32 v[4:5], v[18:19], v[6:7], v[16:17] neg_lo:[0,0,1] neg_hi:[0,0,1]
	v_pk_fma_f32 v[6:7], v[18:19], v[6:7], v[16:17] op_sel_hi:[1,0,1]
	v_pk_fma_f32 v[34:35], v[20:21], v[8:9], v[38:39] neg_lo:[0,0,1] neg_hi:[0,0,1]
	v_pk_fma_f32 v[8:9], v[20:21], v[8:9], v[38:39] op_sel_hi:[1,0,1]
	v_pk_mul_f32 v[20:21], v[22:23], v[40:41] op_sel:[1,0] op_sel_hi:[0,0]
	v_pk_add_f32 v[16:17], v[48:49], 0 op_sel_hi:[1,0]
	v_mov_b32_e32 v5, v7
	s_waitcnt vmcnt(2) lgkmcnt(1)
	v_pk_mul_f32 v[42:43], v[24:25], v[12:13] op_sel:[1,1] op_sel_hi:[0,1]
	v_mov_b32_e32 v44, v15
	v_mov_b32_e32 v35, v9
	v_pk_fma_f32 v[8:9], v[22:23], v[10:11], v[20:21] neg_lo:[0,0,1] neg_hi:[0,0,1]
	v_pk_fma_f32 v[10:11], v[22:23], v[10:11], v[20:21] op_sel_hi:[1,0,1]
	v_pk_add_f32 v[4:5], v[16:17], v[4:5]
	v_pk_fma_f32 v[36:37], v[24:25], v[12:13], v[42:43] neg_lo:[0,0,1] neg_hi:[0,0,1]
	v_pk_fma_f32 v[12:13], v[24:25], v[12:13], v[42:43] op_sel_hi:[1,0,1]
	v_pk_mul_f32 v[24:25], v[26:27], v[44:45] op_sel:[1,0] op_sel_hi:[0,0]
	v_mov_b32_e32 v9, v11
	v_pk_add_f32 v[4:5], v[4:5], v[34:35]
	s_waitcnt vmcnt(1) lgkmcnt(0)
	v_pk_mul_f32 v[46:47], v[32:33], v[28:29] op_sel:[1,1] op_sel_hi:[0,1]
	v_mov_b32_e32 v37, v13
	v_pk_fma_f32 v[12:13], v[26:27], v[14:15], v[24:25] neg_lo:[0,0,1] neg_hi:[0,0,1]
	v_pk_fma_f32 v[14:15], v[26:27], v[14:15], v[24:25] op_sel_hi:[1,0,1]
	v_pk_add_f32 v[4:5], v[4:5], v[8:9]
	v_pk_fma_f32 v[38:39], v[32:33], v[28:29], v[46:47] neg_lo:[0,0,1] neg_hi:[0,0,1]
	v_pk_fma_f32 v[28:29], v[32:33], v[28:29], v[46:47] op_sel_hi:[1,0,1]
	v_mov_b32_e32 v13, v15
	v_pk_add_f32 v[4:5], v[4:5], v[36:37]
	v_mov_b32_e32 v39, v29
	v_pk_add_f32 v[4:5], v[4:5], v[12:13]
	s_nop 0
	v_pk_add_f32 v[4:5], v[4:5], v[38:39]
	s_waitcnt vmcnt(0)
	v_pk_add_f32 v[4:5], v[30:31], v[4:5] neg_lo:[0,1] neg_hi:[0,1]
	scratch_store_dwordx2 off, v[4:5], off offset:336
	s_and_saveexec_b64 s[0:1], vcc
	s_cbranch_execz .LBB113_231
; %bb.230:
	scratch_load_dwordx2 v[4:5], off, off offset:328
	v_mov_b32_e32 v3, v2
	scratch_store_dwordx2 off, v[2:3], off offset:328
	s_waitcnt vmcnt(1)
	ds_write_b64 v1, v[4:5]
.LBB113_231:
	s_or_b64 exec, exec, s[0:1]
	s_waitcnt lgkmcnt(0)
	; wave barrier
	scratch_load_dwordx4 v[4:7], off, off offset:336
	scratch_load_dwordx4 v[8:11], off, off offset:352
	;; [unrolled: 1-line block ×4, first 2 shown]
	scratch_load_dwordx2 v[36:37], off, off offset:328
	ds_read_b128 v[20:23], v2 offset:736
	ds_read_b128 v[24:27], v2 offset:752
	;; [unrolled: 1-line block ×4, first 2 shown]
	v_cmp_lt_u32_e32 vcc, 40, v0
	s_waitcnt vmcnt(4) lgkmcnt(3)
	v_pk_mul_f32 v[2:3], v[20:21], v[4:5] op_sel:[1,1] op_sel_hi:[0,1]
	v_mov_b32_e32 v38, v7
	s_waitcnt vmcnt(3) lgkmcnt(2)
	v_pk_mul_f32 v[40:41], v[24:25], v[8:9] op_sel:[1,1] op_sel_hi:[0,1]
	v_mov_b32_e32 v42, v11
	;; [unrolled: 3-line block ×4, first 2 shown]
	v_pk_fma_f32 v[52:53], v[20:21], v[4:5], v[2:3] neg_lo:[0,0,1] neg_hi:[0,0,1]
	v_pk_fma_f32 v[2:3], v[20:21], v[4:5], v[2:3] op_sel_hi:[1,0,1]
	v_pk_mul_f32 v[4:5], v[22:23], v[38:39] op_sel:[1,0] op_sel_hi:[0,0]
	v_pk_fma_f32 v[20:21], v[24:25], v[8:9], v[40:41] neg_lo:[0,0,1] neg_hi:[0,0,1]
	v_pk_fma_f32 v[8:9], v[24:25], v[8:9], v[40:41] op_sel_hi:[1,0,1]
	v_pk_mul_f32 v[24:25], v[26:27], v[42:43] op_sel:[1,0] op_sel_hi:[0,0]
	;; [unrolled: 3-line block ×4, first 2 shown]
	v_mov_b32_e32 v53, v3
	v_pk_fma_f32 v[2:3], v[22:23], v[6:7], v[4:5] neg_lo:[0,0,1] neg_hi:[0,0,1]
	v_pk_fma_f32 v[4:5], v[22:23], v[6:7], v[4:5] op_sel_hi:[1,0,1]
	v_mov_b32_e32 v21, v9
	v_pk_fma_f32 v[6:7], v[26:27], v[10:11], v[24:25] neg_lo:[0,0,1] neg_hi:[0,0,1]
	v_pk_fma_f32 v[8:9], v[26:27], v[10:11], v[24:25] op_sel_hi:[1,0,1]
	;; [unrolled: 3-line block ×4, first 2 shown]
	v_pk_add_f32 v[18:19], v[52:53], 0 op_sel_hi:[1,0]
	v_mov_b32_e32 v3, v5
	v_pk_add_f32 v[2:3], v[18:19], v[2:3]
	v_mov_b32_e32 v7, v9
	v_pk_add_f32 v[2:3], v[2:3], v[20:21]
	;; [unrolled: 2-line block ×4, first 2 shown]
	s_nop 0
	v_pk_add_f32 v[2:3], v[2:3], v[10:11]
	s_nop 0
	v_pk_add_f32 v[2:3], v[2:3], v[40:41]
	;; [unrolled: 2-line block ×3, first 2 shown]
	s_waitcnt vmcnt(0)
	v_pk_add_f32 v[2:3], v[36:37], v[2:3] neg_lo:[0,1] neg_hi:[0,1]
	scratch_store_dwordx2 off, v[2:3], off offset:328
	s_and_saveexec_b64 s[0:1], vcc
	s_cbranch_execz .LBB113_233
; %bb.232:
	scratch_load_dwordx2 v[2:3], off, off offset:320
	v_mov_b32_e32 v4, 0
	v_mov_b32_e32 v5, v4
	scratch_store_dwordx2 off, v[4:5], off offset:320
	s_waitcnt vmcnt(1)
	ds_write_b64 v1, v[2:3]
.LBB113_233:
	s_or_b64 exec, exec, s[0:1]
	s_waitcnt lgkmcnt(0)
	; wave barrier
	scratch_load_dwordx4 v[4:7], off, off offset:328
	scratch_load_dwordx4 v[8:11], off, off offset:344
	;; [unrolled: 1-line block ×4, first 2 shown]
	scratch_load_dwordx2 v[36:37], off, off offset:392
	scratch_load_dwordx2 v[38:39], off, off offset:320
	v_mov_b32_e32 v2, 0
	ds_read2_b64 v[20:23], v2 offset0:91 offset1:92
	ds_read2_b64 v[24:27], v2 offset0:93 offset1:94
	;; [unrolled: 1-line block ×4, first 2 shown]
	ds_read_b64 v[40:41], v2 offset:792
	v_cmp_lt_u32_e32 vcc, 39, v0
	s_waitcnt vmcnt(5) lgkmcnt(4)
	v_mul_f32_e32 v43, v20, v5
	v_mul_f32_e32 v3, v21, v5
	v_mov_b32_e32 v44, v7
	s_waitcnt vmcnt(4) lgkmcnt(3)
	v_pk_mul_f32 v[46:47], v[24:25], v[8:9] op_sel:[1,1] op_sel_hi:[0,1]
	v_mov_b32_e32 v48, v11
	s_waitcnt vmcnt(1) lgkmcnt(0)
	v_pk_mul_f32 v[58:59], v[40:41], v[36:37] op_sel:[1,1] op_sel_hi:[0,1]
	v_fmac_f32_e32 v43, v21, v4
	v_fma_f32 v42, v20, v4, -v3
	v_pk_mul_f32 v[4:5], v[22:23], v[44:45] op_sel:[1,0] op_sel_hi:[0,0]
	v_pk_fma_f32 v[20:21], v[24:25], v[8:9], v[46:47] neg_lo:[0,0,1] neg_hi:[0,0,1]
	v_pk_fma_f32 v[8:9], v[24:25], v[8:9], v[46:47] op_sel_hi:[1,0,1]
	v_pk_mul_f32 v[24:25], v[26:27], v[48:49] op_sel:[1,0] op_sel_hi:[0,0]
	v_pk_fma_f32 v[48:49], v[40:41], v[36:37], v[58:59] neg_lo:[0,0,1] neg_hi:[0,0,1]
	v_pk_fma_f32 v[36:37], v[40:41], v[36:37], v[58:59] op_sel_hi:[1,0,1]
	v_pk_add_f32 v[40:41], v[42:43], 0 op_sel_hi:[1,0]
	v_pk_fma_f32 v[42:43], v[22:23], v[6:7], v[4:5] neg_lo:[0,0,1] neg_hi:[0,0,1]
	v_pk_fma_f32 v[4:5], v[22:23], v[6:7], v[4:5] op_sel_hi:[1,0,1]
	v_pk_mul_f32 v[50:51], v[28:29], v[12:13] op_sel:[1,1] op_sel_hi:[0,1]
	v_mov_b32_e32 v43, v5
	v_mov_b32_e32 v52, v15
	v_mov_b32_e32 v21, v9
	v_pk_fma_f32 v[6:7], v[26:27], v[10:11], v[24:25] neg_lo:[0,0,1] neg_hi:[0,0,1]
	v_pk_fma_f32 v[8:9], v[26:27], v[10:11], v[24:25] op_sel_hi:[1,0,1]
	v_pk_add_f32 v[4:5], v[40:41], v[42:43]
	v_pk_fma_f32 v[44:45], v[28:29], v[12:13], v[50:51] neg_lo:[0,0,1] neg_hi:[0,0,1]
	v_pk_fma_f32 v[12:13], v[28:29], v[12:13], v[50:51] op_sel_hi:[1,0,1]
	v_pk_mul_f32 v[28:29], v[30:31], v[52:53] op_sel:[1,0] op_sel_hi:[0,0]
	v_mov_b32_e32 v7, v9
	v_pk_add_f32 v[4:5], v[4:5], v[20:21]
	v_pk_mul_f32 v[54:55], v[32:33], v[16:17] op_sel:[1,1] op_sel_hi:[0,1]
	v_mov_b32_e32 v56, v19
	v_mov_b32_e32 v45, v13
	v_pk_fma_f32 v[10:11], v[30:31], v[14:15], v[28:29] neg_lo:[0,0,1] neg_hi:[0,0,1]
	v_pk_fma_f32 v[12:13], v[30:31], v[14:15], v[28:29] op_sel_hi:[1,0,1]
	v_pk_add_f32 v[4:5], v[4:5], v[6:7]
	v_pk_fma_f32 v[46:47], v[32:33], v[16:17], v[54:55] neg_lo:[0,0,1] neg_hi:[0,0,1]
	v_pk_fma_f32 v[16:17], v[32:33], v[16:17], v[54:55] op_sel_hi:[1,0,1]
	v_pk_mul_f32 v[32:33], v[34:35], v[56:57] op_sel:[1,0] op_sel_hi:[0,0]
	v_mov_b32_e32 v11, v13
	v_pk_add_f32 v[4:5], v[4:5], v[44:45]
	v_mov_b32_e32 v47, v17
	v_pk_fma_f32 v[14:15], v[34:35], v[18:19], v[32:33] neg_lo:[0,0,1] neg_hi:[0,0,1]
	v_pk_fma_f32 v[16:17], v[34:35], v[18:19], v[32:33] op_sel_hi:[1,0,1]
	v_pk_add_f32 v[4:5], v[4:5], v[10:11]
	v_mov_b32_e32 v15, v17
	v_pk_add_f32 v[4:5], v[4:5], v[46:47]
	v_mov_b32_e32 v49, v37
	v_pk_add_f32 v[4:5], v[4:5], v[14:15]
	s_nop 0
	v_pk_add_f32 v[4:5], v[4:5], v[48:49]
	s_waitcnt vmcnt(0)
	v_pk_add_f32 v[4:5], v[38:39], v[4:5] neg_lo:[0,1] neg_hi:[0,1]
	scratch_store_dwordx2 off, v[4:5], off offset:320
	s_and_saveexec_b64 s[0:1], vcc
	s_cbranch_execz .LBB113_235
; %bb.234:
	scratch_load_dwordx2 v[4:5], off, off offset:312
	v_mov_b32_e32 v3, v2
	scratch_store_dwordx2 off, v[2:3], off offset:312
	s_waitcnt vmcnt(1)
	ds_write_b64 v1, v[4:5]
.LBB113_235:
	s_or_b64 exec, exec, s[0:1]
	s_waitcnt lgkmcnt(0)
	; wave barrier
	scratch_load_dwordx4 v[4:7], off, off offset:320
	scratch_load_dwordx4 v[8:11], off, off offset:336
	;; [unrolled: 1-line block ×5, first 2 shown]
	scratch_load_dwordx2 v[44:45], off, off offset:312
	ds_read_b128 v[24:27], v2 offset:720
	ds_read_b128 v[28:31], v2 offset:736
	;; [unrolled: 1-line block ×5, first 2 shown]
	v_cmp_lt_u32_e32 vcc, 38, v0
	s_waitcnt vmcnt(5) lgkmcnt(4)
	v_mul_f32_e32 v3, v24, v5
	v_mul_f32_e32 v2, v25, v5
	v_mul_f32_e32 v47, v26, v7
	v_mul_f32_e32 v5, v27, v7
	s_waitcnt vmcnt(4) lgkmcnt(3)
	v_pk_mul_f32 v[48:49], v[28:29], v[8:9] op_sel:[1,1] op_sel_hi:[0,1]
	v_mov_b32_e32 v50, v11
	v_fmac_f32_e32 v3, v25, v4
	v_fma_f32 v2, v24, v4, -v2
	v_fmac_f32_e32 v47, v27, v6
	v_fma_f32 v46, v26, v6, -v5
	v_pk_fma_f32 v[4:5], v[28:29], v[8:9], v[48:49] neg_lo:[0,0,1] neg_hi:[0,0,1]
	v_pk_fma_f32 v[6:7], v[28:29], v[8:9], v[48:49] op_sel_hi:[1,0,1]
	v_pk_mul_f32 v[8:9], v[30:31], v[50:51] op_sel:[1,0] op_sel_hi:[0,0]
	v_pk_add_f32 v[2:3], v[2:3], 0 op_sel_hi:[1,0]
	s_waitcnt vmcnt(3) lgkmcnt(2)
	v_pk_mul_f32 v[52:53], v[32:33], v[12:13] op_sel:[1,1] op_sel_hi:[0,1]
	v_mov_b32_e32 v54, v15
	v_mov_b32_e32 v5, v7
	v_pk_fma_f32 v[6:7], v[30:31], v[10:11], v[8:9] neg_lo:[0,0,1] neg_hi:[0,0,1]
	v_pk_fma_f32 v[8:9], v[30:31], v[10:11], v[8:9] op_sel_hi:[1,0,1]
	v_pk_add_f32 v[2:3], v[2:3], v[46:47]
	v_pk_fma_f32 v[24:25], v[32:33], v[12:13], v[52:53] neg_lo:[0,0,1] neg_hi:[0,0,1]
	v_pk_fma_f32 v[12:13], v[32:33], v[12:13], v[52:53] op_sel_hi:[1,0,1]
	v_pk_mul_f32 v[26:27], v[34:35], v[54:55] op_sel:[1,0] op_sel_hi:[0,0]
	v_mov_b32_e32 v7, v9
	v_pk_add_f32 v[2:3], v[2:3], v[4:5]
	s_waitcnt vmcnt(2) lgkmcnt(1)
	v_pk_mul_f32 v[56:57], v[36:37], v[16:17] op_sel:[1,1] op_sel_hi:[0,1]
	v_mov_b32_e32 v58, v19
	v_mov_b32_e32 v25, v13
	v_pk_fma_f32 v[10:11], v[34:35], v[14:15], v[26:27] neg_lo:[0,0,1] neg_hi:[0,0,1]
	v_pk_fma_f32 v[12:13], v[34:35], v[14:15], v[26:27] op_sel_hi:[1,0,1]
	v_pk_add_f32 v[2:3], v[2:3], v[6:7]
	v_pk_fma_f32 v[28:29], v[36:37], v[16:17], v[56:57] neg_lo:[0,0,1] neg_hi:[0,0,1]
	v_pk_fma_f32 v[16:17], v[36:37], v[16:17], v[56:57] op_sel_hi:[1,0,1]
	v_pk_mul_f32 v[32:33], v[38:39], v[58:59] op_sel:[1,0] op_sel_hi:[0,0]
	v_mov_b32_e32 v11, v13
	v_pk_add_f32 v[2:3], v[2:3], v[24:25]
	;; [unrolled: 12-line block ×3, first 2 shown]
	v_mov_b32_e32 v37, v21
	v_pk_fma_f32 v[18:19], v[42:43], v[22:23], v[40:41] neg_lo:[0,0,1] neg_hi:[0,0,1]
	v_pk_fma_f32 v[20:21], v[42:43], v[22:23], v[40:41] op_sel_hi:[1,0,1]
	v_pk_add_f32 v[2:3], v[2:3], v[14:15]
	v_mov_b32_e32 v19, v21
	v_pk_add_f32 v[2:3], v[2:3], v[36:37]
	s_nop 0
	v_pk_add_f32 v[2:3], v[2:3], v[18:19]
	s_waitcnt vmcnt(0)
	v_pk_add_f32 v[2:3], v[44:45], v[2:3] neg_lo:[0,1] neg_hi:[0,1]
	scratch_store_dwordx2 off, v[2:3], off offset:312
	s_and_saveexec_b64 s[0:1], vcc
	s_cbranch_execz .LBB113_237
; %bb.236:
	scratch_load_dwordx2 v[2:3], off, off offset:304
	v_mov_b32_e32 v4, 0
	v_mov_b32_e32 v5, v4
	scratch_store_dwordx2 off, v[4:5], off offset:304
	s_waitcnt vmcnt(1)
	ds_write_b64 v1, v[2:3]
.LBB113_237:
	s_or_b64 exec, exec, s[0:1]
	s_waitcnt lgkmcnt(0)
	; wave barrier
	scratch_load_dwordx4 v[4:7], off, off offset:312
	scratch_load_dwordx4 v[8:11], off, off offset:328
	;; [unrolled: 1-line block ×5, first 2 shown]
	scratch_load_dwordx2 v[44:45], off, off offset:392
	scratch_load_dwordx2 v[46:47], off, off offset:304
	v_mov_b32_e32 v2, 0
	ds_read2_b64 v[24:27], v2 offset0:89 offset1:90
	ds_read2_b64 v[28:31], v2 offset0:91 offset1:92
	;; [unrolled: 1-line block ×5, first 2 shown]
	ds_read_b64 v[48:49], v2 offset:792
	v_cmp_lt_u32_e32 vcc, 37, v0
	s_waitcnt vmcnt(6) lgkmcnt(5)
	v_mul_f32_e32 v3, v24, v5
	v_mul_f32_e32 v5, v25, v5
	v_mul_f32_e32 v51, v26, v7
	s_waitcnt vmcnt(5) lgkmcnt(4)
	v_mul_f32_e32 v53, v28, v9
	v_mul_f32_e32 v7, v27, v7
	;; [unrolled: 1-line block ×3, first 2 shown]
	v_mov_b32_e32 v54, v11
	s_waitcnt vmcnt(3) lgkmcnt(2)
	v_pk_mul_f32 v[60:61], v[36:37], v[16:17] op_sel:[1,1] op_sel_hi:[0,1]
	s_waitcnt vmcnt(2) lgkmcnt(1)
	v_pk_mul_f32 v[64:65], v[40:41], v[20:21] op_sel:[1,1] op_sel_hi:[0,1]
	;; [unrolled: 2-line block ×3, first 2 shown]
	v_fmac_f32_e32 v3, v25, v4
	v_fma_f32 v55, v24, v4, -v5
	v_fmac_f32_e32 v51, v27, v6
	v_fmac_f32_e32 v53, v29, v8
	v_fma_f32 v50, v26, v6, -v7
	v_fma_f32 v52, v28, v8, -v9
	v_pk_mul_f32 v[4:5], v[30:31], v[54:55] op_sel:[1,0] op_sel_hi:[0,0]
	v_pk_fma_f32 v[24:25], v[36:37], v[16:17], v[60:61] neg_lo:[0,0,1] neg_hi:[0,0,1]
	v_pk_fma_f32 v[16:17], v[36:37], v[16:17], v[60:61] op_sel_hi:[1,0,1]
	v_pk_fma_f32 v[28:29], v[40:41], v[20:21], v[64:65] neg_lo:[0,0,1] neg_hi:[0,0,1]
	v_pk_fma_f32 v[20:21], v[40:41], v[20:21], v[64:65] op_sel_hi:[1,0,1]
	;; [unrolled: 2-line block ×3, first 2 shown]
	v_add_f32_e32 v45, 0, v3
	v_add_f32_e32 v44, 0, v55
	v_pk_mul_f32 v[56:57], v[32:33], v[12:13] op_sel:[1,1] op_sel_hi:[0,1]
	v_mov_b32_e32 v58, v15
	v_pk_fma_f32 v[48:49], v[30:31], v[10:11], v[4:5] neg_lo:[0,0,1] neg_hi:[0,0,1]
	v_pk_fma_f32 v[4:5], v[30:31], v[10:11], v[4:5] op_sel_hi:[1,0,1]
	v_mov_b32_e32 v29, v21
	v_pk_add_f32 v[20:21], v[44:45], v[50:51]
	v_pk_fma_f32 v[6:7], v[32:33], v[12:13], v[56:57] neg_lo:[0,0,1] neg_hi:[0,0,1]
	v_pk_fma_f32 v[8:9], v[32:33], v[12:13], v[56:57] op_sel_hi:[1,0,1]
	v_pk_mul_f32 v[12:13], v[34:35], v[58:59] op_sel:[1,0] op_sel_hi:[0,0]
	v_mov_b32_e32 v49, v5
	v_pk_add_f32 v[4:5], v[20:21], v[52:53]
	v_mov_b32_e32 v62, v19
	v_mov_b32_e32 v7, v9
	v_pk_fma_f32 v[8:9], v[34:35], v[14:15], v[12:13] neg_lo:[0,0,1] neg_hi:[0,0,1]
	v_pk_fma_f32 v[10:11], v[34:35], v[14:15], v[12:13] op_sel_hi:[1,0,1]
	v_pk_add_f32 v[4:5], v[4:5], v[48:49]
	v_pk_mul_f32 v[26:27], v[38:39], v[62:63] op_sel:[1,0] op_sel_hi:[0,0]
	v_mov_b32_e32 v9, v11
	v_pk_add_f32 v[4:5], v[4:5], v[6:7]
	v_mov_b32_e32 v66, v23
	v_mov_b32_e32 v25, v17
	v_pk_fma_f32 v[12:13], v[38:39], v[18:19], v[26:27] neg_lo:[0,0,1] neg_hi:[0,0,1]
	v_pk_fma_f32 v[14:15], v[38:39], v[18:19], v[26:27] op_sel_hi:[1,0,1]
	v_pk_add_f32 v[4:5], v[4:5], v[8:9]
	v_pk_mul_f32 v[32:33], v[42:43], v[66:67] op_sel:[1,0] op_sel_hi:[0,0]
	v_mov_b32_e32 v13, v15
	v_pk_add_f32 v[4:5], v[4:5], v[24:25]
	v_pk_fma_f32 v[16:17], v[42:43], v[22:23], v[32:33] neg_lo:[0,0,1] neg_hi:[0,0,1]
	v_pk_fma_f32 v[18:19], v[42:43], v[22:23], v[32:33] op_sel_hi:[1,0,1]
	v_pk_add_f32 v[4:5], v[4:5], v[12:13]
	v_mov_b32_e32 v17, v19
	v_pk_add_f32 v[4:5], v[4:5], v[28:29]
	v_mov_b32_e32 v37, v41
	v_pk_add_f32 v[4:5], v[4:5], v[16:17]
	s_nop 0
	v_pk_add_f32 v[4:5], v[4:5], v[36:37]
	s_waitcnt vmcnt(0)
	v_pk_add_f32 v[4:5], v[46:47], v[4:5] neg_lo:[0,1] neg_hi:[0,1]
	scratch_store_dwordx2 off, v[4:5], off offset:304
	s_and_saveexec_b64 s[0:1], vcc
	s_cbranch_execz .LBB113_239
; %bb.238:
	scratch_load_dwordx2 v[4:5], off, off offset:296
	v_mov_b32_e32 v3, v2
	scratch_store_dwordx2 off, v[2:3], off offset:296
	s_waitcnt vmcnt(1)
	ds_write_b64 v1, v[4:5]
.LBB113_239:
	s_or_b64 exec, exec, s[0:1]
	s_waitcnt lgkmcnt(0)
	; wave barrier
	scratch_load_dwordx4 v[4:7], off, off offset:304
	scratch_load_dwordx4 v[8:11], off, off offset:320
	;; [unrolled: 1-line block ×6, first 2 shown]
	scratch_load_dwordx2 v[52:53], off, off offset:296
	ds_read_b128 v[28:31], v2 offset:704
	ds_read_b128 v[32:35], v2 offset:720
	;; [unrolled: 1-line block ×6, first 2 shown]
	v_cmp_lt_u32_e32 vcc, 36, v0
	s_waitcnt vmcnt(6) lgkmcnt(5)
	v_mul_f32_e32 v59, v28, v5
	v_mul_f32_e32 v63, v30, v7
	s_waitcnt vmcnt(5) lgkmcnt(4)
	v_mul_f32_e32 v3, v32, v9
	v_mul_f32_e32 v2, v29, v5
	;; [unrolled: 1-line block ×4, first 2 shown]
	s_waitcnt vmcnt(1) lgkmcnt(0)
	v_pk_mul_f32 v[68:69], v[48:49], v[24:25] op_sel:[1,1] op_sel_hi:[0,1]
	v_pk_mul_f32 v[56:57], v[36:37], v[12:13] op_sel:[1,1] op_sel_hi:[0,1]
	v_fmac_f32_e32 v59, v29, v4
	v_fmac_f32_e32 v3, v33, v8
	v_fma_f32 v67, v28, v4, -v2
	v_fma_f32 v2, v32, v8, -v7
	v_pk_fma_f32 v[32:33], v[48:49], v[24:25], v[68:69] neg_lo:[0,0,1] neg_hi:[0,0,1]
	v_pk_fma_f32 v[24:25], v[48:49], v[24:25], v[68:69] op_sel_hi:[1,0,1]
	v_fmac_f32_e32 v63, v31, v6
	v_fma_f32 v71, v30, v6, -v5
	v_pk_fma_f32 v[4:5], v[36:37], v[12:13], v[56:57] neg_lo:[0,0,1] neg_hi:[0,0,1]
	v_pk_fma_f32 v[6:7], v[36:37], v[12:13], v[56:57] op_sel_hi:[1,0,1]
	v_add_f32_e32 v24, 0, v59
	v_add_f32_e32 v36, 0, v67
	v_mul_f32_e32 v55, v34, v11
	v_mul_f32_e32 v9, v35, v11
	v_mov_b32_e32 v58, v15
	v_mov_b32_e32 v33, v25
	v_add_f32_e32 v25, v24, v63
	v_add_f32_e32 v24, v36, v71
	v_fmac_f32_e32 v55, v35, v10
	v_fma_f32 v54, v34, v10, -v9
	v_pk_mul_f32 v[8:9], v[38:39], v[58:59] op_sel:[1,0] op_sel_hi:[0,0]
	v_pk_add_f32 v[2:3], v[24:25], v[2:3]
	v_pk_mul_f32 v[60:61], v[40:41], v[16:17] op_sel:[1,1] op_sel_hi:[0,1]
	v_mov_b32_e32 v62, v19
	v_mov_b32_e32 v5, v7
	v_pk_fma_f32 v[6:7], v[38:39], v[14:15], v[8:9] neg_lo:[0,0,1] neg_hi:[0,0,1]
	v_pk_fma_f32 v[8:9], v[38:39], v[14:15], v[8:9] op_sel_hi:[1,0,1]
	v_pk_add_f32 v[2:3], v[2:3], v[54:55]
	v_pk_fma_f32 v[10:11], v[40:41], v[16:17], v[60:61] neg_lo:[0,0,1] neg_hi:[0,0,1]
	v_pk_fma_f32 v[12:13], v[40:41], v[16:17], v[60:61] op_sel_hi:[1,0,1]
	v_pk_mul_f32 v[16:17], v[42:43], v[62:63] op_sel:[1,0] op_sel_hi:[0,0]
	v_mov_b32_e32 v7, v9
	v_pk_add_f32 v[2:3], v[2:3], v[4:5]
	v_pk_mul_f32 v[64:65], v[44:45], v[20:21] op_sel:[1,1] op_sel_hi:[0,1]
	v_mov_b32_e32 v66, v23
	v_mov_b32_e32 v11, v13
	v_pk_fma_f32 v[12:13], v[42:43], v[18:19], v[16:17] neg_lo:[0,0,1] neg_hi:[0,0,1]
	v_pk_fma_f32 v[14:15], v[42:43], v[18:19], v[16:17] op_sel_hi:[1,0,1]
	v_pk_add_f32 v[2:3], v[2:3], v[6:7]
	v_pk_fma_f32 v[28:29], v[44:45], v[20:21], v[64:65] neg_lo:[0,0,1] neg_hi:[0,0,1]
	v_pk_fma_f32 v[20:21], v[44:45], v[20:21], v[64:65] op_sel_hi:[1,0,1]
	v_pk_mul_f32 v[30:31], v[46:47], v[66:67] op_sel:[1,0] op_sel_hi:[0,0]
	v_mov_b32_e32 v13, v15
	v_pk_add_f32 v[2:3], v[2:3], v[10:11]
	v_mov_b32_e32 v70, v27
	v_mov_b32_e32 v29, v21
	v_pk_fma_f32 v[16:17], v[46:47], v[22:23], v[30:31] neg_lo:[0,0,1] neg_hi:[0,0,1]
	v_pk_fma_f32 v[18:19], v[46:47], v[22:23], v[30:31] op_sel_hi:[1,0,1]
	v_pk_add_f32 v[2:3], v[2:3], v[12:13]
	v_pk_mul_f32 v[34:35], v[50:51], v[70:71] op_sel:[1,0] op_sel_hi:[0,0]
	v_mov_b32_e32 v17, v19
	v_pk_add_f32 v[2:3], v[2:3], v[28:29]
	v_pk_fma_f32 v[20:21], v[50:51], v[26:27], v[34:35] neg_lo:[0,0,1] neg_hi:[0,0,1]
	v_pk_fma_f32 v[22:23], v[50:51], v[26:27], v[34:35] op_sel_hi:[1,0,1]
	v_pk_add_f32 v[2:3], v[2:3], v[16:17]
	v_mov_b32_e32 v21, v23
	v_pk_add_f32 v[2:3], v[2:3], v[32:33]
	s_nop 0
	v_pk_add_f32 v[2:3], v[2:3], v[20:21]
	s_waitcnt vmcnt(0)
	v_pk_add_f32 v[2:3], v[52:53], v[2:3] neg_lo:[0,1] neg_hi:[0,1]
	scratch_store_dwordx2 off, v[2:3], off offset:296
	s_and_saveexec_b64 s[0:1], vcc
	s_cbranch_execz .LBB113_241
; %bb.240:
	scratch_load_dwordx2 v[2:3], off, off offset:288
	v_mov_b32_e32 v4, 0
	v_mov_b32_e32 v5, v4
	scratch_store_dwordx2 off, v[4:5], off offset:288
	s_waitcnt vmcnt(1)
	ds_write_b64 v1, v[2:3]
.LBB113_241:
	s_or_b64 exec, exec, s[0:1]
	s_waitcnt lgkmcnt(0)
	; wave barrier
	scratch_load_dwordx4 v[8:11], off, off offset:296
	scratch_load_dwordx4 v[16:19], off, off offset:312
	v_mov_b32_e32 v2, 0
	ds_read2_b64 v[4:7], v2 offset0:87 offset1:88
	scratch_load_dwordx4 v[24:27], off, off offset:328
	v_cmp_lt_u32_e32 vcc, 35, v0
	s_waitcnt vmcnt(2) lgkmcnt(0)
	v_mul_f32_e32 v3, v4, v9
	v_fmac_f32_e32 v3, v5, v8
	v_mul_f32_e32 v12, v6, v11
	v_add_f32_e32 v3, 0, v3
	v_fmac_f32_e32 v12, v7, v10
	v_add_f32_e32 v3, v3, v12
	ds_read2_b64 v[12:15], v2 offset0:89 offset1:90
	s_waitcnt vmcnt(1) lgkmcnt(0)
	v_mul_f32_e32 v20, v12, v17
	v_fmac_f32_e32 v20, v13, v16
	v_add_f32_e32 v41, v3, v20
	ds_read2_b64 v[20:23], v2 offset0:91 offset1:92
	scratch_load_dwordx4 v[28:31], off, off offset:344
	scratch_load_dwordx4 v[32:35], off, off offset:360
	;; [unrolled: 1-line block ×3, first 2 shown]
	scratch_load_dwordx2 v[46:47], off, off offset:392
	v_mul_f32_e32 v3, v5, v9
	v_fma_f32 v3, v4, v8, -v3
	v_mul_f32_e32 v4, v7, v11
	v_add_f32_e32 v3, 0, v3
	v_fma_f32 v4, v6, v10, -v4
	v_add_f32_e32 v3, v3, v4
	v_mul_f32_e32 v4, v13, v17
	v_fma_f32 v4, v12, v16, -v4
	v_add_f32_e32 v40, v3, v4
	v_mul_f32_e32 v3, v15, v19
	v_fma_f32 v42, v14, v18, -v3
	s_waitcnt vmcnt(4) lgkmcnt(0)
	v_mul_f32_e32 v3, v21, v25
	v_mul_f32_e32 v43, v14, v19
	;; [unrolled: 1-line block ×3, first 2 shown]
	v_fma_f32 v44, v20, v24, -v3
	v_mov_b32_e32 v20, v27
	v_fmac_f32_e32 v43, v15, v18
	v_fmac_f32_e32 v45, v21, v24
	ds_read2_b64 v[4:7], v2 offset0:93 offset1:94
	ds_read2_b64 v[8:11], v2 offset0:95 offset1:96
	;; [unrolled: 1-line block ×3, first 2 shown]
	ds_read_b64 v[16:17], v2 offset:792
	v_pk_mul_f32 v[20:21], v[22:23], v[20:21] op_sel:[1,0] op_sel_hi:[0,0]
	v_pk_fma_f32 v[24:25], v[22:23], v[26:27], v[20:21] neg_lo:[0,0,1] neg_hi:[0,0,1]
	v_pk_fma_f32 v[20:21], v[22:23], v[26:27], v[20:21] op_sel_hi:[1,0,1]
	v_pk_add_f32 v[18:19], v[40:41], v[42:43]
	v_mov_b32_e32 v25, v21
	v_pk_add_f32 v[18:19], v[18:19], v[44:45]
	s_waitcnt vmcnt(3) lgkmcnt(3)
	v_pk_mul_f32 v[20:21], v[4:5], v[28:29] op_sel:[1,1] op_sel_hi:[0,1]
	v_pk_fma_f32 v[22:23], v[4:5], v[28:29], v[20:21] neg_lo:[0,0,1] neg_hi:[0,0,1]
	v_pk_fma_f32 v[4:5], v[4:5], v[28:29], v[20:21] op_sel_hi:[1,0,1]
	v_pk_add_f32 v[18:19], v[18:19], v[24:25]
	v_mov_b32_e32 v23, v5
	v_pk_add_f32 v[4:5], v[18:19], v[22:23]
	v_mov_b32_e32 v18, v31
	v_pk_mul_f32 v[18:19], v[6:7], v[18:19] op_sel:[1,0] op_sel_hi:[0,0]
	v_pk_fma_f32 v[20:21], v[6:7], v[30:31], v[18:19] neg_lo:[0,0,1] neg_hi:[0,0,1]
	v_pk_fma_f32 v[6:7], v[6:7], v[30:31], v[18:19] op_sel_hi:[1,0,1]
	s_nop 0
	v_mov_b32_e32 v21, v7
	s_waitcnt vmcnt(2) lgkmcnt(2)
	v_pk_mul_f32 v[6:7], v[8:9], v[32:33] op_sel:[1,1] op_sel_hi:[0,1]
	v_pk_fma_f32 v[18:19], v[8:9], v[32:33], v[6:7] neg_lo:[0,0,1] neg_hi:[0,0,1]
	v_pk_fma_f32 v[6:7], v[8:9], v[32:33], v[6:7] op_sel_hi:[1,0,1]
	v_pk_add_f32 v[4:5], v[4:5], v[20:21]
	v_mov_b32_e32 v6, v35
	v_mov_b32_e32 v19, v7
	v_pk_mul_f32 v[6:7], v[10:11], v[6:7] op_sel:[1,0] op_sel_hi:[0,0]
	v_pk_fma_f32 v[8:9], v[10:11], v[34:35], v[6:7] neg_lo:[0,0,1] neg_hi:[0,0,1]
	v_pk_fma_f32 v[6:7], v[10:11], v[34:35], v[6:7] op_sel_hi:[1,0,1]
	v_pk_add_f32 v[4:5], v[4:5], v[18:19]
	v_mov_b32_e32 v9, v7
	s_waitcnt vmcnt(1) lgkmcnt(1)
	v_pk_mul_f32 v[6:7], v[12:13], v[36:37] op_sel:[1,1] op_sel_hi:[0,1]
	v_pk_add_f32 v[4:5], v[4:5], v[8:9]
	v_pk_fma_f32 v[8:9], v[12:13], v[36:37], v[6:7] neg_lo:[0,0,1] neg_hi:[0,0,1]
	v_pk_fma_f32 v[6:7], v[12:13], v[36:37], v[6:7] op_sel_hi:[1,0,1]
	s_nop 0
	v_mov_b32_e32 v6, v39
	v_mov_b32_e32 v9, v7
	v_pk_mul_f32 v[6:7], v[14:15], v[6:7] op_sel:[1,0] op_sel_hi:[0,0]
	v_pk_add_f32 v[4:5], v[4:5], v[8:9]
	v_pk_fma_f32 v[8:9], v[14:15], v[38:39], v[6:7] neg_lo:[0,0,1] neg_hi:[0,0,1]
	v_pk_fma_f32 v[6:7], v[14:15], v[38:39], v[6:7] op_sel_hi:[1,0,1]
	s_nop 0
	v_mov_b32_e32 v9, v7
	s_waitcnt vmcnt(0) lgkmcnt(0)
	v_pk_mul_f32 v[6:7], v[16:17], v[46:47] op_sel:[1,1] op_sel_hi:[0,1]
	v_pk_add_f32 v[4:5], v[4:5], v[8:9]
	v_pk_fma_f32 v[8:9], v[16:17], v[46:47], v[6:7] neg_lo:[0,0,1] neg_hi:[0,0,1]
	v_pk_fma_f32 v[6:7], v[16:17], v[46:47], v[6:7] op_sel_hi:[1,0,1]
	s_nop 0
	v_mov_b32_e32 v9, v7
	scratch_load_dwordx2 v[6:7], off, off offset:288
	v_pk_add_f32 v[4:5], v[4:5], v[8:9]
	s_waitcnt vmcnt(0)
	v_pk_add_f32 v[4:5], v[6:7], v[4:5] neg_lo:[0,1] neg_hi:[0,1]
	scratch_store_dwordx2 off, v[4:5], off offset:288
	s_and_saveexec_b64 s[0:1], vcc
	s_cbranch_execz .LBB113_243
; %bb.242:
	scratch_load_dwordx2 v[4:5], off, off offset:280
	v_mov_b32_e32 v3, v2
	scratch_store_dwordx2 off, v[2:3], off offset:280
	s_waitcnt vmcnt(1)
	ds_write_b64 v1, v[4:5]
.LBB113_243:
	s_or_b64 exec, exec, s[0:1]
	s_waitcnt lgkmcnt(0)
	; wave barrier
	ds_read_b128 v[4:7], v2 offset:688
	ds_read_b128 v[8:11], v2 offset:704
	;; [unrolled: 1-line block ×4, first 2 shown]
	scratch_load_dwordx4 v[20:23], off, off offset:288
	v_cmp_lt_u32_e32 vcc, 34, v0
	s_waitcnt vmcnt(0) lgkmcnt(3)
	v_mul_f32_e32 v3, v4, v21
	v_fmac_f32_e32 v3, v5, v20
	v_mul_f32_e32 v24, v6, v23
	v_add_f32_e32 v3, 0, v3
	v_fmac_f32_e32 v24, v7, v22
	v_add_f32_e32 v3, v3, v24
	scratch_load_dwordx4 v[24:27], off, off offset:304
	s_waitcnt vmcnt(0) lgkmcnt(2)
	v_mul_f32_e32 v28, v8, v25
	v_fmac_f32_e32 v28, v9, v24
	v_add_f32_e32 v3, v3, v28
	v_mul_f32_e32 v28, v10, v27
	v_fmac_f32_e32 v28, v11, v26
	v_add_f32_e32 v49, v3, v28
	scratch_load_dwordx4 v[28:31], off, off offset:320
	scratch_load_dwordx4 v[32:35], off, off offset:336
	;; [unrolled: 1-line block ×5, first 2 shown]
	v_mul_f32_e32 v3, v5, v21
	v_fma_f32 v3, v4, v20, -v3
	v_mul_f32_e32 v4, v7, v23
	v_add_f32_e32 v3, 0, v3
	v_fma_f32 v4, v6, v22, -v4
	v_add_f32_e32 v3, v3, v4
	v_mul_f32_e32 v4, v9, v25
	v_fma_f32 v4, v8, v24, -v4
	v_add_f32_e32 v3, v3, v4
	v_mul_f32_e32 v4, v11, v27
	v_fma_f32 v4, v10, v26, -v4
	v_add_f32_e32 v48, v3, v4
	s_waitcnt vmcnt(3) lgkmcnt(0)
	v_pk_mul_f32 v[20:21], v[16:17], v[32:33] op_sel:[1,1] op_sel_hi:[0,1]
	v_pk_fma_f32 v[22:23], v[16:17], v[32:33], v[20:21] neg_lo:[0,0,1] neg_hi:[0,0,1]
	v_mul_f32_e32 v3, v13, v29
	v_mul_f32_e32 v51, v12, v29
	;; [unrolled: 1-line block ×3, first 2 shown]
	v_fma_f32 v50, v12, v28, -v3
	v_mul_f32_e32 v3, v15, v31
	v_pk_fma_f32 v[16:17], v[16:17], v[32:33], v[20:21] op_sel_hi:[1,0,1]
	v_fmac_f32_e32 v51, v13, v28
	v_fmac_f32_e32 v53, v15, v30
	v_fma_f32 v52, v14, v30, -v3
	ds_read_b128 v[4:7], v2 offset:752
	ds_read_b128 v[8:11], v2 offset:768
	;; [unrolled: 1-line block ×3, first 2 shown]
	v_mov_b32_e32 v16, v35
	v_mov_b32_e32 v23, v17
	v_pk_mul_f32 v[16:17], v[18:19], v[16:17] op_sel:[1,0] op_sel_hi:[0,0]
	v_pk_fma_f32 v[20:21], v[18:19], v[34:35], v[16:17] neg_lo:[0,0,1] neg_hi:[0,0,1]
	v_pk_fma_f32 v[16:17], v[18:19], v[34:35], v[16:17] op_sel_hi:[1,0,1]
	v_pk_add_f32 v[2:3], v[48:49], v[50:51]
	v_mov_b32_e32 v21, v17
	s_waitcnt vmcnt(2) lgkmcnt(2)
	v_pk_mul_f32 v[16:17], v[4:5], v[36:37] op_sel:[1,1] op_sel_hi:[0,1]
	v_pk_fma_f32 v[18:19], v[4:5], v[36:37], v[16:17] neg_lo:[0,0,1] neg_hi:[0,0,1]
	v_pk_fma_f32 v[4:5], v[4:5], v[36:37], v[16:17] op_sel_hi:[1,0,1]
	v_pk_add_f32 v[2:3], v[2:3], v[52:53]
	v_mov_b32_e32 v4, v39
	v_mov_b32_e32 v19, v5
	v_pk_mul_f32 v[4:5], v[6:7], v[4:5] op_sel:[1,0] op_sel_hi:[0,0]
	v_pk_fma_f32 v[16:17], v[6:7], v[38:39], v[4:5] neg_lo:[0,0,1] neg_hi:[0,0,1]
	v_pk_fma_f32 v[4:5], v[6:7], v[38:39], v[4:5] op_sel_hi:[1,0,1]
	v_pk_add_f32 v[2:3], v[2:3], v[22:23]
	v_mov_b32_e32 v17, v5
	s_waitcnt vmcnt(1) lgkmcnt(1)
	v_pk_mul_f32 v[4:5], v[8:9], v[40:41] op_sel:[1,1] op_sel_hi:[0,1]
	v_pk_add_f32 v[2:3], v[2:3], v[20:21]
	v_pk_fma_f32 v[6:7], v[8:9], v[40:41], v[4:5] neg_lo:[0,0,1] neg_hi:[0,0,1]
	v_pk_fma_f32 v[4:5], v[8:9], v[40:41], v[4:5] op_sel_hi:[1,0,1]
	v_pk_add_f32 v[2:3], v[2:3], v[18:19]
	v_mov_b32_e32 v4, v43
	v_pk_add_f32 v[2:3], v[2:3], v[16:17]
	v_mov_b32_e32 v7, v5
	v_pk_mul_f32 v[4:5], v[10:11], v[4:5] op_sel:[1,0] op_sel_hi:[0,0]
	v_pk_add_f32 v[2:3], v[2:3], v[6:7]
	v_pk_fma_f32 v[6:7], v[10:11], v[42:43], v[4:5] neg_lo:[0,0,1] neg_hi:[0,0,1]
	v_pk_fma_f32 v[4:5], v[10:11], v[42:43], v[4:5] op_sel_hi:[1,0,1]
	s_nop 0
	v_mov_b32_e32 v7, v5
	s_waitcnt vmcnt(0) lgkmcnt(0)
	v_pk_mul_f32 v[4:5], v[12:13], v[44:45] op_sel:[1,1] op_sel_hi:[0,1]
	v_pk_add_f32 v[2:3], v[2:3], v[6:7]
	v_pk_fma_f32 v[6:7], v[12:13], v[44:45], v[4:5] neg_lo:[0,0,1] neg_hi:[0,0,1]
	v_pk_fma_f32 v[4:5], v[12:13], v[44:45], v[4:5] op_sel_hi:[1,0,1]
	s_nop 0
	v_mov_b32_e32 v4, v47
	v_mov_b32_e32 v7, v5
	v_pk_mul_f32 v[4:5], v[14:15], v[4:5] op_sel:[1,0] op_sel_hi:[0,0]
	v_pk_add_f32 v[2:3], v[2:3], v[6:7]
	v_pk_fma_f32 v[6:7], v[14:15], v[46:47], v[4:5] neg_lo:[0,0,1] neg_hi:[0,0,1]
	v_pk_fma_f32 v[4:5], v[14:15], v[46:47], v[4:5] op_sel_hi:[1,0,1]
	s_nop 0
	v_mov_b32_e32 v7, v5
	scratch_load_dwordx2 v[4:5], off, off offset:280
	v_pk_add_f32 v[2:3], v[2:3], v[6:7]
	s_waitcnt vmcnt(0)
	v_pk_add_f32 v[2:3], v[4:5], v[2:3] neg_lo:[0,1] neg_hi:[0,1]
	scratch_store_dwordx2 off, v[2:3], off offset:280
	s_and_saveexec_b64 s[0:1], vcc
	s_cbranch_execz .LBB113_245
; %bb.244:
	scratch_load_dwordx2 v[2:3], off, off offset:272
	v_mov_b32_e32 v4, 0
	v_mov_b32_e32 v5, v4
	scratch_store_dwordx2 off, v[4:5], off offset:272
	s_waitcnt vmcnt(1)
	ds_write_b64 v1, v[2:3]
.LBB113_245:
	s_or_b64 exec, exec, s[0:1]
	s_waitcnt lgkmcnt(0)
	; wave barrier
	scratch_load_dwordx4 v[8:11], off, off offset:280
	scratch_load_dwordx4 v[16:19], off, off offset:296
	;; [unrolled: 1-line block ×4, first 2 shown]
	v_mov_b32_e32 v2, 0
	ds_read2_b64 v[4:7], v2 offset0:85 offset1:86
	v_cmp_lt_u32_e32 vcc, 33, v0
	s_waitcnt vmcnt(3) lgkmcnt(0)
	v_mul_f32_e32 v3, v4, v9
	v_fmac_f32_e32 v3, v5, v8
	v_mul_f32_e32 v12, v6, v11
	v_add_f32_e32 v3, 0, v3
	v_fmac_f32_e32 v12, v7, v10
	v_add_f32_e32 v3, v3, v12
	ds_read2_b64 v[12:15], v2 offset0:87 offset1:88
	s_waitcnt vmcnt(2) lgkmcnt(0)
	v_mul_f32_e32 v20, v12, v17
	v_fmac_f32_e32 v20, v13, v16
	v_add_f32_e32 v3, v3, v20
	v_mul_f32_e32 v20, v14, v19
	v_fmac_f32_e32 v20, v15, v18
	v_add_f32_e32 v3, v3, v20
	ds_read2_b64 v[20:23], v2 offset0:89 offset1:90
	s_waitcnt vmcnt(1) lgkmcnt(0)
	v_mul_f32_e32 v28, v20, v25
	v_fmac_f32_e32 v28, v21, v24
	v_add_f32_e32 v49, v3, v28
	ds_read2_b64 v[28:31], v2 offset0:91 offset1:92
	scratch_load_dwordx4 v[36:39], off, off offset:344
	scratch_load_dwordx4 v[40:43], off, off offset:360
	;; [unrolled: 1-line block ×3, first 2 shown]
	scratch_load_dwordx2 v[54:55], off, off offset:392
	v_mul_f32_e32 v3, v5, v9
	v_fma_f32 v3, v4, v8, -v3
	v_mul_f32_e32 v4, v7, v11
	v_add_f32_e32 v3, 0, v3
	v_fma_f32 v4, v6, v10, -v4
	v_add_f32_e32 v3, v3, v4
	v_mul_f32_e32 v4, v13, v17
	v_fma_f32 v4, v12, v16, -v4
	v_add_f32_e32 v3, v3, v4
	v_mul_f32_e32 v4, v15, v19
	;; [unrolled: 3-line block ×3, first 2 shown]
	v_fma_f32 v4, v20, v24, -v4
	v_mul_f32_e32 v51, v22, v27
	v_add_f32_e32 v48, v3, v4
	v_mul_f32_e32 v3, v23, v27
	s_waitcnt vmcnt(4)
	v_mov_b32_e32 v20, v35
	v_fmac_f32_e32 v51, v23, v26
	s_waitcnt lgkmcnt(0)
	v_mul_f32_e32 v53, v28, v33
	v_fma_f32 v50, v22, v26, -v3
	v_mul_f32_e32 v3, v29, v33
	ds_read2_b64 v[4:7], v2 offset0:93 offset1:94
	ds_read2_b64 v[8:11], v2 offset0:95 offset1:96
	;; [unrolled: 1-line block ×3, first 2 shown]
	ds_read_b64 v[16:17], v2 offset:792
	v_pk_mul_f32 v[20:21], v[30:31], v[20:21] op_sel:[1,0] op_sel_hi:[0,0]
	v_fmac_f32_e32 v53, v29, v32
	v_fma_f32 v52, v28, v32, -v3
	v_pk_add_f32 v[18:19], v[48:49], v[50:51]
	v_pk_fma_f32 v[22:23], v[30:31], v[34:35], v[20:21] neg_lo:[0,0,1] neg_hi:[0,0,1]
	v_pk_fma_f32 v[20:21], v[30:31], v[34:35], v[20:21] op_sel_hi:[1,0,1]
	v_pk_add_f32 v[18:19], v[18:19], v[52:53]
	v_mov_b32_e32 v23, v21
	v_pk_add_f32 v[18:19], v[18:19], v[22:23]
	s_waitcnt vmcnt(3) lgkmcnt(3)
	v_pk_mul_f32 v[20:21], v[4:5], v[36:37] op_sel:[1,1] op_sel_hi:[0,1]
	v_pk_fma_f32 v[22:23], v[4:5], v[36:37], v[20:21] neg_lo:[0,0,1] neg_hi:[0,0,1]
	v_pk_fma_f32 v[4:5], v[4:5], v[36:37], v[20:21] op_sel_hi:[1,0,1]
	s_nop 0
	v_mov_b32_e32 v23, v5
	v_pk_add_f32 v[4:5], v[18:19], v[22:23]
	v_mov_b32_e32 v18, v39
	v_pk_mul_f32 v[18:19], v[6:7], v[18:19] op_sel:[1,0] op_sel_hi:[0,0]
	v_pk_fma_f32 v[20:21], v[6:7], v[38:39], v[18:19] neg_lo:[0,0,1] neg_hi:[0,0,1]
	v_pk_fma_f32 v[6:7], v[6:7], v[38:39], v[18:19] op_sel_hi:[1,0,1]
	s_nop 0
	v_mov_b32_e32 v21, v7
	s_waitcnt vmcnt(2) lgkmcnt(2)
	v_pk_mul_f32 v[6:7], v[8:9], v[40:41] op_sel:[1,1] op_sel_hi:[0,1]
	v_pk_fma_f32 v[18:19], v[8:9], v[40:41], v[6:7] neg_lo:[0,0,1] neg_hi:[0,0,1]
	v_pk_fma_f32 v[6:7], v[8:9], v[40:41], v[6:7] op_sel_hi:[1,0,1]
	v_pk_add_f32 v[4:5], v[4:5], v[20:21]
	v_mov_b32_e32 v6, v43
	v_mov_b32_e32 v19, v7
	v_pk_mul_f32 v[6:7], v[10:11], v[6:7] op_sel:[1,0] op_sel_hi:[0,0]
	v_pk_fma_f32 v[8:9], v[10:11], v[42:43], v[6:7] neg_lo:[0,0,1] neg_hi:[0,0,1]
	v_pk_fma_f32 v[6:7], v[10:11], v[42:43], v[6:7] op_sel_hi:[1,0,1]
	v_pk_add_f32 v[4:5], v[4:5], v[18:19]
	v_mov_b32_e32 v9, v7
	s_waitcnt vmcnt(1) lgkmcnt(1)
	v_pk_mul_f32 v[6:7], v[12:13], v[44:45] op_sel:[1,1] op_sel_hi:[0,1]
	v_pk_add_f32 v[4:5], v[4:5], v[8:9]
	v_pk_fma_f32 v[8:9], v[12:13], v[44:45], v[6:7] neg_lo:[0,0,1] neg_hi:[0,0,1]
	v_pk_fma_f32 v[6:7], v[12:13], v[44:45], v[6:7] op_sel_hi:[1,0,1]
	s_nop 0
	v_mov_b32_e32 v6, v47
	v_mov_b32_e32 v9, v7
	v_pk_mul_f32 v[6:7], v[14:15], v[6:7] op_sel:[1,0] op_sel_hi:[0,0]
	v_pk_add_f32 v[4:5], v[4:5], v[8:9]
	v_pk_fma_f32 v[8:9], v[14:15], v[46:47], v[6:7] neg_lo:[0,0,1] neg_hi:[0,0,1]
	v_pk_fma_f32 v[6:7], v[14:15], v[46:47], v[6:7] op_sel_hi:[1,0,1]
	s_nop 0
	v_mov_b32_e32 v9, v7
	s_waitcnt vmcnt(0) lgkmcnt(0)
	v_pk_mul_f32 v[6:7], v[16:17], v[54:55] op_sel:[1,1] op_sel_hi:[0,1]
	v_pk_add_f32 v[4:5], v[4:5], v[8:9]
	v_pk_fma_f32 v[8:9], v[16:17], v[54:55], v[6:7] neg_lo:[0,0,1] neg_hi:[0,0,1]
	v_pk_fma_f32 v[6:7], v[16:17], v[54:55], v[6:7] op_sel_hi:[1,0,1]
	s_nop 0
	v_mov_b32_e32 v9, v7
	scratch_load_dwordx2 v[6:7], off, off offset:272
	v_pk_add_f32 v[4:5], v[4:5], v[8:9]
	s_waitcnt vmcnt(0)
	v_pk_add_f32 v[4:5], v[6:7], v[4:5] neg_lo:[0,1] neg_hi:[0,1]
	scratch_store_dwordx2 off, v[4:5], off offset:272
	s_and_saveexec_b64 s[0:1], vcc
	s_cbranch_execz .LBB113_247
; %bb.246:
	scratch_load_dwordx2 v[4:5], off, off offset:264
	v_mov_b32_e32 v3, v2
	scratch_store_dwordx2 off, v[2:3], off offset:264
	s_waitcnt vmcnt(1)
	ds_write_b64 v1, v[4:5]
.LBB113_247:
	s_or_b64 exec, exec, s[0:1]
	s_waitcnt lgkmcnt(0)
	; wave barrier
	ds_read_b128 v[4:7], v2 offset:672
	ds_read_b128 v[8:11], v2 offset:688
	;; [unrolled: 1-line block ×4, first 2 shown]
	scratch_load_dwordx4 v[20:23], off, off offset:272
	v_cmp_lt_u32_e32 vcc, 32, v0
	s_waitcnt vmcnt(0) lgkmcnt(3)
	v_mul_f32_e32 v3, v4, v21
	v_fmac_f32_e32 v3, v5, v20
	v_mul_f32_e32 v24, v6, v23
	v_add_f32_e32 v3, 0, v3
	v_fmac_f32_e32 v24, v7, v22
	v_add_f32_e32 v3, v3, v24
	scratch_load_dwordx4 v[24:27], off, off offset:288
	s_waitcnt vmcnt(0) lgkmcnt(2)
	v_mul_f32_e32 v28, v8, v25
	v_fmac_f32_e32 v28, v9, v24
	v_add_f32_e32 v3, v3, v28
	v_mul_f32_e32 v28, v10, v27
	v_fmac_f32_e32 v28, v11, v26
	v_add_f32_e32 v3, v3, v28
	scratch_load_dwordx4 v[28:31], off, off offset:304
	s_waitcnt vmcnt(0) lgkmcnt(1)
	v_mul_f32_e32 v32, v12, v29
	v_fmac_f32_e32 v32, v13, v28
	v_add_f32_e32 v3, v3, v32
	v_mul_f32_e32 v32, v14, v31
	v_fmac_f32_e32 v32, v15, v30
	v_add_f32_e32 v53, v3, v32
	scratch_load_dwordx4 v[32:35], off, off offset:320
	scratch_load_dwordx4 v[36:39], off, off offset:336
	;; [unrolled: 1-line block ×5, first 2 shown]
	v_mul_f32_e32 v3, v5, v21
	v_fma_f32 v3, v4, v20, -v3
	v_mul_f32_e32 v4, v7, v23
	v_add_f32_e32 v3, 0, v3
	v_fma_f32 v4, v6, v22, -v4
	v_add_f32_e32 v3, v3, v4
	v_mul_f32_e32 v4, v9, v25
	v_fma_f32 v4, v8, v24, -v4
	v_add_f32_e32 v3, v3, v4
	v_mul_f32_e32 v4, v11, v27
	;; [unrolled: 3-line block ×4, first 2 shown]
	v_fma_f32 v4, v14, v30, -v4
	v_add_f32_e32 v52, v3, v4
	s_waitcnt vmcnt(4) lgkmcnt(0)
	v_mul_f32_e32 v3, v17, v33
	v_mul_f32_e32 v55, v16, v33
	;; [unrolled: 1-line block ×3, first 2 shown]
	v_fma_f32 v54, v16, v32, -v3
	v_mul_f32_e32 v3, v19, v35
	v_fmac_f32_e32 v55, v17, v32
	v_fmac_f32_e32 v57, v19, v34
	v_fma_f32 v56, v18, v34, -v3
	ds_read_b128 v[4:7], v2 offset:736
	ds_read_b128 v[8:11], v2 offset:752
	;; [unrolled: 1-line block ×4, first 2 shown]
	v_pk_add_f32 v[2:3], v[52:53], v[54:55]
	s_waitcnt vmcnt(3) lgkmcnt(3)
	v_pk_mul_f32 v[20:21], v[4:5], v[36:37] op_sel:[1,1] op_sel_hi:[0,1]
	v_pk_fma_f32 v[22:23], v[4:5], v[36:37], v[20:21] neg_lo:[0,0,1] neg_hi:[0,0,1]
	v_pk_fma_f32 v[4:5], v[4:5], v[36:37], v[20:21] op_sel_hi:[1,0,1]
	v_pk_add_f32 v[2:3], v[2:3], v[56:57]
	v_mov_b32_e32 v4, v39
	v_mov_b32_e32 v23, v5
	v_pk_mul_f32 v[4:5], v[6:7], v[4:5] op_sel:[1,0] op_sel_hi:[0,0]
	v_pk_fma_f32 v[20:21], v[6:7], v[38:39], v[4:5] neg_lo:[0,0,1] neg_hi:[0,0,1]
	v_pk_fma_f32 v[4:5], v[6:7], v[38:39], v[4:5] op_sel_hi:[1,0,1]
	v_pk_add_f32 v[2:3], v[2:3], v[22:23]
	v_mov_b32_e32 v21, v5
	s_waitcnt vmcnt(2) lgkmcnt(2)
	v_pk_mul_f32 v[4:5], v[8:9], v[40:41] op_sel:[1,1] op_sel_hi:[0,1]
	v_pk_fma_f32 v[6:7], v[8:9], v[40:41], v[4:5] neg_lo:[0,0,1] neg_hi:[0,0,1]
	v_pk_fma_f32 v[4:5], v[8:9], v[40:41], v[4:5] op_sel_hi:[1,0,1]
	v_pk_add_f32 v[2:3], v[2:3], v[20:21]
	v_mov_b32_e32 v4, v43
	v_mov_b32_e32 v7, v5
	v_pk_mul_f32 v[4:5], v[10:11], v[4:5] op_sel:[1,0] op_sel_hi:[0,0]
	v_pk_add_f32 v[2:3], v[2:3], v[6:7]
	v_pk_fma_f32 v[6:7], v[10:11], v[42:43], v[4:5] neg_lo:[0,0,1] neg_hi:[0,0,1]
	v_pk_fma_f32 v[4:5], v[10:11], v[42:43], v[4:5] op_sel_hi:[1,0,1]
	s_nop 0
	v_mov_b32_e32 v7, v5
	s_waitcnt vmcnt(1) lgkmcnt(1)
	v_pk_mul_f32 v[4:5], v[12:13], v[44:45] op_sel:[1,1] op_sel_hi:[0,1]
	v_pk_add_f32 v[2:3], v[2:3], v[6:7]
	v_pk_fma_f32 v[6:7], v[12:13], v[44:45], v[4:5] neg_lo:[0,0,1] neg_hi:[0,0,1]
	v_pk_fma_f32 v[4:5], v[12:13], v[44:45], v[4:5] op_sel_hi:[1,0,1]
	s_nop 0
	v_mov_b32_e32 v4, v47
	v_mov_b32_e32 v7, v5
	v_pk_mul_f32 v[4:5], v[14:15], v[4:5] op_sel:[1,0] op_sel_hi:[0,0]
	v_pk_add_f32 v[2:3], v[2:3], v[6:7]
	v_pk_fma_f32 v[6:7], v[14:15], v[46:47], v[4:5] neg_lo:[0,0,1] neg_hi:[0,0,1]
	v_pk_fma_f32 v[4:5], v[14:15], v[46:47], v[4:5] op_sel_hi:[1,0,1]
	s_nop 0
	v_mov_b32_e32 v7, v5
	s_waitcnt vmcnt(0) lgkmcnt(0)
	v_pk_mul_f32 v[4:5], v[16:17], v[48:49] op_sel:[1,1] op_sel_hi:[0,1]
	v_pk_add_f32 v[2:3], v[2:3], v[6:7]
	v_pk_fma_f32 v[6:7], v[16:17], v[48:49], v[4:5] neg_lo:[0,0,1] neg_hi:[0,0,1]
	v_pk_fma_f32 v[4:5], v[16:17], v[48:49], v[4:5] op_sel_hi:[1,0,1]
	s_nop 0
	v_mov_b32_e32 v4, v51
	v_mov_b32_e32 v7, v5
	v_pk_mul_f32 v[4:5], v[18:19], v[4:5] op_sel:[1,0] op_sel_hi:[0,0]
	v_pk_add_f32 v[2:3], v[2:3], v[6:7]
	v_pk_fma_f32 v[6:7], v[18:19], v[50:51], v[4:5] neg_lo:[0,0,1] neg_hi:[0,0,1]
	v_pk_fma_f32 v[4:5], v[18:19], v[50:51], v[4:5] op_sel_hi:[1,0,1]
	s_nop 0
	v_mov_b32_e32 v7, v5
	scratch_load_dwordx2 v[4:5], off, off offset:264
	v_pk_add_f32 v[2:3], v[2:3], v[6:7]
	s_waitcnt vmcnt(0)
	v_pk_add_f32 v[2:3], v[4:5], v[2:3] neg_lo:[0,1] neg_hi:[0,1]
	scratch_store_dwordx2 off, v[2:3], off offset:264
	s_and_saveexec_b64 s[0:1], vcc
	s_cbranch_execz .LBB113_249
; %bb.248:
	scratch_load_dwordx2 v[2:3], off, off offset:256
	v_mov_b32_e32 v4, 0
	v_mov_b32_e32 v5, v4
	scratch_store_dwordx2 off, v[4:5], off offset:256
	s_waitcnt vmcnt(1)
	ds_write_b64 v1, v[2:3]
.LBB113_249:
	s_or_b64 exec, exec, s[0:1]
	s_waitcnt lgkmcnt(0)
	; wave barrier
	scratch_load_dwordx4 v[8:11], off, off offset:264
	scratch_load_dwordx4 v[16:19], off, off offset:280
	;; [unrolled: 1-line block ×4, first 2 shown]
	v_mov_b32_e32 v2, 0
	ds_read2_b64 v[4:7], v2 offset0:83 offset1:84
	scratch_load_dwordx4 v[40:43], off, off offset:328
	v_cmp_lt_u32_e32 vcc, 31, v0
	s_waitcnt vmcnt(4) lgkmcnt(0)
	v_mul_f32_e32 v3, v4, v9
	v_fmac_f32_e32 v3, v5, v8
	v_mul_f32_e32 v12, v6, v11
	v_add_f32_e32 v3, 0, v3
	v_fmac_f32_e32 v12, v7, v10
	v_add_f32_e32 v3, v3, v12
	ds_read2_b64 v[12:15], v2 offset0:85 offset1:86
	s_waitcnt vmcnt(3) lgkmcnt(0)
	v_mul_f32_e32 v20, v12, v17
	v_fmac_f32_e32 v20, v13, v16
	v_add_f32_e32 v3, v3, v20
	v_mul_f32_e32 v20, v14, v19
	v_fmac_f32_e32 v20, v15, v18
	v_add_f32_e32 v3, v3, v20
	ds_read2_b64 v[20:23], v2 offset0:87 offset1:88
	s_waitcnt vmcnt(2) lgkmcnt(0)
	v_mul_f32_e32 v28, v20, v25
	v_fmac_f32_e32 v28, v21, v24
	v_add_f32_e32 v3, v3, v28
	v_mul_f32_e32 v28, v22, v27
	v_fmac_f32_e32 v28, v23, v26
	v_add_f32_e32 v3, v3, v28
	ds_read2_b64 v[28:31], v2 offset0:89 offset1:90
	s_waitcnt vmcnt(1) lgkmcnt(0)
	v_mul_f32_e32 v36, v28, v33
	v_fmac_f32_e32 v36, v29, v32
	v_add_f32_e32 v57, v3, v36
	ds_read2_b64 v[36:39], v2 offset0:91 offset1:92
	scratch_load_dwordx4 v[44:47], off, off offset:344
	scratch_load_dwordx4 v[48:51], off, off offset:360
	scratch_load_dwordx4 v[52:55], off, off offset:376
	scratch_load_dwordx2 v[62:63], off, off offset:392
	v_mul_f32_e32 v3, v5, v9
	v_fma_f32 v3, v4, v8, -v3
	v_mul_f32_e32 v4, v7, v11
	v_add_f32_e32 v3, 0, v3
	v_fma_f32 v4, v6, v10, -v4
	v_add_f32_e32 v3, v3, v4
	v_mul_f32_e32 v4, v13, v17
	v_fma_f32 v4, v12, v16, -v4
	v_add_f32_e32 v3, v3, v4
	v_mul_f32_e32 v4, v15, v19
	v_fma_f32 v4, v14, v18, -v4
	v_add_f32_e32 v3, v3, v4
	v_mul_f32_e32 v4, v21, v25
	v_fma_f32 v4, v20, v24, -v4
	v_add_f32_e32 v3, v3, v4
	v_mul_f32_e32 v4, v23, v27
	v_fma_f32 v4, v22, v26, -v4
	v_add_f32_e32 v3, v3, v4
	v_mul_f32_e32 v4, v29, v33
	v_fma_f32 v4, v28, v32, -v4
	v_mul_f32_e32 v59, v30, v35
	v_add_f32_e32 v56, v3, v4
	v_mul_f32_e32 v3, v31, v35
	s_waitcnt vmcnt(4)
	v_mov_b32_e32 v20, v43
	v_fmac_f32_e32 v59, v31, v34
	s_waitcnt lgkmcnt(0)
	v_mul_f32_e32 v61, v36, v41
	v_fma_f32 v58, v30, v34, -v3
	v_mul_f32_e32 v3, v37, v41
	ds_read2_b64 v[4:7], v2 offset0:93 offset1:94
	ds_read2_b64 v[8:11], v2 offset0:95 offset1:96
	;; [unrolled: 1-line block ×3, first 2 shown]
	ds_read_b64 v[16:17], v2 offset:792
	v_pk_mul_f32 v[20:21], v[38:39], v[20:21] op_sel:[1,0] op_sel_hi:[0,0]
	v_fmac_f32_e32 v61, v37, v40
	v_fma_f32 v60, v36, v40, -v3
	v_pk_add_f32 v[18:19], v[56:57], v[58:59]
	v_pk_fma_f32 v[22:23], v[38:39], v[42:43], v[20:21] neg_lo:[0,0,1] neg_hi:[0,0,1]
	v_pk_fma_f32 v[20:21], v[38:39], v[42:43], v[20:21] op_sel_hi:[1,0,1]
	v_pk_add_f32 v[18:19], v[18:19], v[60:61]
	v_mov_b32_e32 v23, v21
	v_pk_add_f32 v[18:19], v[18:19], v[22:23]
	s_waitcnt vmcnt(3) lgkmcnt(3)
	v_pk_mul_f32 v[20:21], v[4:5], v[44:45] op_sel:[1,1] op_sel_hi:[0,1]
	v_pk_fma_f32 v[22:23], v[4:5], v[44:45], v[20:21] neg_lo:[0,0,1] neg_hi:[0,0,1]
	v_pk_fma_f32 v[4:5], v[4:5], v[44:45], v[20:21] op_sel_hi:[1,0,1]
	s_nop 0
	v_mov_b32_e32 v23, v5
	v_pk_add_f32 v[4:5], v[18:19], v[22:23]
	v_mov_b32_e32 v18, v47
	v_pk_mul_f32 v[18:19], v[6:7], v[18:19] op_sel:[1,0] op_sel_hi:[0,0]
	v_pk_fma_f32 v[20:21], v[6:7], v[46:47], v[18:19] neg_lo:[0,0,1] neg_hi:[0,0,1]
	v_pk_fma_f32 v[6:7], v[6:7], v[46:47], v[18:19] op_sel_hi:[1,0,1]
	s_nop 0
	v_mov_b32_e32 v21, v7
	s_waitcnt vmcnt(2) lgkmcnt(2)
	v_pk_mul_f32 v[6:7], v[8:9], v[48:49] op_sel:[1,1] op_sel_hi:[0,1]
	v_pk_fma_f32 v[18:19], v[8:9], v[48:49], v[6:7] neg_lo:[0,0,1] neg_hi:[0,0,1]
	v_pk_fma_f32 v[6:7], v[8:9], v[48:49], v[6:7] op_sel_hi:[1,0,1]
	v_pk_add_f32 v[4:5], v[4:5], v[20:21]
	v_mov_b32_e32 v6, v51
	v_mov_b32_e32 v19, v7
	v_pk_mul_f32 v[6:7], v[10:11], v[6:7] op_sel:[1,0] op_sel_hi:[0,0]
	v_pk_fma_f32 v[8:9], v[10:11], v[50:51], v[6:7] neg_lo:[0,0,1] neg_hi:[0,0,1]
	v_pk_fma_f32 v[6:7], v[10:11], v[50:51], v[6:7] op_sel_hi:[1,0,1]
	v_pk_add_f32 v[4:5], v[4:5], v[18:19]
	v_mov_b32_e32 v9, v7
	s_waitcnt vmcnt(1) lgkmcnt(1)
	v_pk_mul_f32 v[6:7], v[12:13], v[52:53] op_sel:[1,1] op_sel_hi:[0,1]
	v_pk_add_f32 v[4:5], v[4:5], v[8:9]
	v_pk_fma_f32 v[8:9], v[12:13], v[52:53], v[6:7] neg_lo:[0,0,1] neg_hi:[0,0,1]
	v_pk_fma_f32 v[6:7], v[12:13], v[52:53], v[6:7] op_sel_hi:[1,0,1]
	s_nop 0
	v_mov_b32_e32 v6, v55
	v_mov_b32_e32 v9, v7
	v_pk_mul_f32 v[6:7], v[14:15], v[6:7] op_sel:[1,0] op_sel_hi:[0,0]
	v_pk_add_f32 v[4:5], v[4:5], v[8:9]
	v_pk_fma_f32 v[8:9], v[14:15], v[54:55], v[6:7] neg_lo:[0,0,1] neg_hi:[0,0,1]
	v_pk_fma_f32 v[6:7], v[14:15], v[54:55], v[6:7] op_sel_hi:[1,0,1]
	s_nop 0
	v_mov_b32_e32 v9, v7
	s_waitcnt vmcnt(0) lgkmcnt(0)
	v_pk_mul_f32 v[6:7], v[16:17], v[62:63] op_sel:[1,1] op_sel_hi:[0,1]
	v_pk_add_f32 v[4:5], v[4:5], v[8:9]
	v_pk_fma_f32 v[8:9], v[16:17], v[62:63], v[6:7] neg_lo:[0,0,1] neg_hi:[0,0,1]
	v_pk_fma_f32 v[6:7], v[16:17], v[62:63], v[6:7] op_sel_hi:[1,0,1]
	s_nop 0
	v_mov_b32_e32 v9, v7
	scratch_load_dwordx2 v[6:7], off, off offset:256
	v_pk_add_f32 v[4:5], v[4:5], v[8:9]
	s_waitcnt vmcnt(0)
	v_pk_add_f32 v[4:5], v[6:7], v[4:5] neg_lo:[0,1] neg_hi:[0,1]
	scratch_store_dwordx2 off, v[4:5], off offset:256
	s_and_saveexec_b64 s[0:1], vcc
	s_cbranch_execz .LBB113_251
; %bb.250:
	scratch_load_dwordx2 v[4:5], off, off offset:248
	v_mov_b32_e32 v3, v2
	scratch_store_dwordx2 off, v[2:3], off offset:248
	s_waitcnt vmcnt(1)
	ds_write_b64 v1, v[4:5]
.LBB113_251:
	s_or_b64 exec, exec, s[0:1]
	s_waitcnt lgkmcnt(0)
	; wave barrier
	ds_read_b128 v[4:7], v2 offset:656
	ds_read_b128 v[8:11], v2 offset:672
	;; [unrolled: 1-line block ×4, first 2 shown]
	scratch_load_dwordx4 v[20:23], off, off offset:256
	scratch_load_dwordx4 v[40:43], off, off offset:320
	v_cmp_lt_u32_e32 vcc, 30, v0
	s_waitcnt vmcnt(1) lgkmcnt(3)
	v_mul_f32_e32 v3, v4, v21
	v_fmac_f32_e32 v3, v5, v20
	v_mul_f32_e32 v24, v6, v23
	v_add_f32_e32 v3, 0, v3
	v_fmac_f32_e32 v24, v7, v22
	v_add_f32_e32 v3, v3, v24
	scratch_load_dwordx4 v[24:27], off, off offset:272
	s_waitcnt vmcnt(0) lgkmcnt(2)
	v_mul_f32_e32 v28, v8, v25
	v_fmac_f32_e32 v28, v9, v24
	v_add_f32_e32 v3, v3, v28
	v_mul_f32_e32 v28, v10, v27
	v_fmac_f32_e32 v28, v11, v26
	v_add_f32_e32 v3, v3, v28
	scratch_load_dwordx4 v[28:31], off, off offset:288
	s_waitcnt vmcnt(0) lgkmcnt(1)
	v_mul_f32_e32 v32, v12, v29
	v_fmac_f32_e32 v32, v13, v28
	v_add_f32_e32 v3, v3, v32
	v_mul_f32_e32 v32, v14, v31
	;; [unrolled: 8-line block ×3, first 2 shown]
	v_fmac_f32_e32 v36, v19, v34
	v_add_f32_e32 v61, v3, v36
	ds_read_b128 v[36:39], v2 offset:720
	scratch_load_dwordx4 v[44:47], off, off offset:336
	scratch_load_dwordx4 v[48:51], off, off offset:352
	;; [unrolled: 1-line block ×4, first 2 shown]
	v_mul_f32_e32 v3, v5, v21
	v_fma_f32 v3, v4, v20, -v3
	v_mul_f32_e32 v4, v7, v23
	v_add_f32_e32 v3, 0, v3
	v_fma_f32 v4, v6, v22, -v4
	v_add_f32_e32 v3, v3, v4
	v_mul_f32_e32 v4, v9, v25
	v_fma_f32 v4, v8, v24, -v4
	v_add_f32_e32 v3, v3, v4
	v_mul_f32_e32 v4, v11, v27
	;; [unrolled: 3-line block ×6, first 2 shown]
	v_fma_f32 v4, v18, v34, -v4
	v_add_f32_e32 v60, v3, v4
	ds_read_b128 v[4:7], v2 offset:736
	ds_read_b128 v[8:11], v2 offset:752
	;; [unrolled: 1-line block ×4, first 2 shown]
	s_waitcnt lgkmcnt(4)
	v_mul_f32_e32 v63, v36, v41
	v_mul_f32_e32 v3, v37, v41
	v_fmac_f32_e32 v63, v37, v40
	v_mul_f32_e32 v65, v38, v43
	v_fma_f32 v62, v36, v40, -v3
	v_mul_f32_e32 v3, v39, v43
	v_fmac_f32_e32 v65, v39, v42
	v_fma_f32 v64, v38, v42, -v3
	v_pk_add_f32 v[2:3], v[60:61], v[62:63]
	s_waitcnt vmcnt(3) lgkmcnt(3)
	v_pk_mul_f32 v[20:21], v[4:5], v[44:45] op_sel:[1,1] op_sel_hi:[0,1]
	v_pk_fma_f32 v[22:23], v[4:5], v[44:45], v[20:21] neg_lo:[0,0,1] neg_hi:[0,0,1]
	v_pk_fma_f32 v[4:5], v[4:5], v[44:45], v[20:21] op_sel_hi:[1,0,1]
	v_pk_add_f32 v[2:3], v[2:3], v[64:65]
	v_mov_b32_e32 v4, v47
	v_mov_b32_e32 v23, v5
	v_pk_mul_f32 v[4:5], v[6:7], v[4:5] op_sel:[1,0] op_sel_hi:[0,0]
	v_pk_fma_f32 v[20:21], v[6:7], v[46:47], v[4:5] neg_lo:[0,0,1] neg_hi:[0,0,1]
	v_pk_fma_f32 v[4:5], v[6:7], v[46:47], v[4:5] op_sel_hi:[1,0,1]
	v_pk_add_f32 v[2:3], v[2:3], v[22:23]
	v_mov_b32_e32 v21, v5
	s_waitcnt vmcnt(2) lgkmcnt(2)
	v_pk_mul_f32 v[4:5], v[8:9], v[48:49] op_sel:[1,1] op_sel_hi:[0,1]
	v_pk_fma_f32 v[6:7], v[8:9], v[48:49], v[4:5] neg_lo:[0,0,1] neg_hi:[0,0,1]
	v_pk_fma_f32 v[4:5], v[8:9], v[48:49], v[4:5] op_sel_hi:[1,0,1]
	v_pk_add_f32 v[2:3], v[2:3], v[20:21]
	v_mov_b32_e32 v4, v51
	v_mov_b32_e32 v7, v5
	v_pk_mul_f32 v[4:5], v[10:11], v[4:5] op_sel:[1,0] op_sel_hi:[0,0]
	v_pk_add_f32 v[2:3], v[2:3], v[6:7]
	v_pk_fma_f32 v[6:7], v[10:11], v[50:51], v[4:5] neg_lo:[0,0,1] neg_hi:[0,0,1]
	v_pk_fma_f32 v[4:5], v[10:11], v[50:51], v[4:5] op_sel_hi:[1,0,1]
	s_nop 0
	v_mov_b32_e32 v7, v5
	s_waitcnt vmcnt(1) lgkmcnt(1)
	v_pk_mul_f32 v[4:5], v[12:13], v[52:53] op_sel:[1,1] op_sel_hi:[0,1]
	v_pk_add_f32 v[2:3], v[2:3], v[6:7]
	v_pk_fma_f32 v[6:7], v[12:13], v[52:53], v[4:5] neg_lo:[0,0,1] neg_hi:[0,0,1]
	v_pk_fma_f32 v[4:5], v[12:13], v[52:53], v[4:5] op_sel_hi:[1,0,1]
	s_nop 0
	v_mov_b32_e32 v4, v55
	v_mov_b32_e32 v7, v5
	v_pk_mul_f32 v[4:5], v[14:15], v[4:5] op_sel:[1,0] op_sel_hi:[0,0]
	v_pk_add_f32 v[2:3], v[2:3], v[6:7]
	v_pk_fma_f32 v[6:7], v[14:15], v[54:55], v[4:5] neg_lo:[0,0,1] neg_hi:[0,0,1]
	v_pk_fma_f32 v[4:5], v[14:15], v[54:55], v[4:5] op_sel_hi:[1,0,1]
	s_nop 0
	v_mov_b32_e32 v7, v5
	s_waitcnt vmcnt(0) lgkmcnt(0)
	v_pk_mul_f32 v[4:5], v[16:17], v[56:57] op_sel:[1,1] op_sel_hi:[0,1]
	v_pk_add_f32 v[2:3], v[2:3], v[6:7]
	v_pk_fma_f32 v[6:7], v[16:17], v[56:57], v[4:5] neg_lo:[0,0,1] neg_hi:[0,0,1]
	v_pk_fma_f32 v[4:5], v[16:17], v[56:57], v[4:5] op_sel_hi:[1,0,1]
	s_nop 0
	v_mov_b32_e32 v4, v59
	v_mov_b32_e32 v7, v5
	v_pk_mul_f32 v[4:5], v[18:19], v[4:5] op_sel:[1,0] op_sel_hi:[0,0]
	v_pk_add_f32 v[2:3], v[2:3], v[6:7]
	v_pk_fma_f32 v[6:7], v[18:19], v[58:59], v[4:5] neg_lo:[0,0,1] neg_hi:[0,0,1]
	v_pk_fma_f32 v[4:5], v[18:19], v[58:59], v[4:5] op_sel_hi:[1,0,1]
	s_nop 0
	v_mov_b32_e32 v7, v5
	scratch_load_dwordx2 v[4:5], off, off offset:248
	v_pk_add_f32 v[2:3], v[2:3], v[6:7]
	s_waitcnt vmcnt(0)
	v_pk_add_f32 v[2:3], v[4:5], v[2:3] neg_lo:[0,1] neg_hi:[0,1]
	scratch_store_dwordx2 off, v[2:3], off offset:248
	s_and_saveexec_b64 s[0:1], vcc
	s_cbranch_execz .LBB113_253
; %bb.252:
	scratch_load_dwordx2 v[2:3], off, off offset:240
	v_mov_b32_e32 v4, 0
	v_mov_b32_e32 v5, v4
	scratch_store_dwordx2 off, v[4:5], off offset:240
	s_waitcnt vmcnt(1)
	ds_write_b64 v1, v[2:3]
.LBB113_253:
	s_or_b64 exec, exec, s[0:1]
	s_waitcnt lgkmcnt(0)
	; wave barrier
	scratch_load_dwordx4 v[4:7], off, off offset:248
	scratch_load_dwordx4 v[8:11], off, off offset:264
	;; [unrolled: 1-line block ×9, first 2 shown]
	scratch_load_dwordx2 v[76:77], off, off offset:392
	scratch_load_dwordx2 v[78:79], off, off offset:240
	v_mov_b32_e32 v2, 0
	ds_read2_b64 v[40:43], v2 offset0:81 offset1:82
	ds_read2_b64 v[44:47], v2 offset0:83 offset1:84
	;; [unrolled: 1-line block ×9, first 2 shown]
	ds_read_b64 v[80:81], v2 offset:792
	v_cmp_lt_u32_e32 vcc, 29, v0
	s_waitcnt vmcnt(10) lgkmcnt(9)
	v_mul_f32_e32 v87, v42, v7
	v_mul_f32_e32 v3, v40, v5
	;; [unrolled: 1-line block ×3, first 2 shown]
	v_fmac_f32_e32 v87, v43, v6
	s_waitcnt vmcnt(9) lgkmcnt(8)
	v_mul_f32_e32 v88, v44, v9
	s_waitcnt vmcnt(5)
	v_mov_b32_e32 v86, v27
	v_mul_f32_e32 v89, v46, v11
	s_waitcnt lgkmcnt(7)
	v_mul_f32_e32 v91, v50, v15
	v_mul_f32_e32 v7, v43, v7
	;; [unrolled: 1-line block ×5, first 2 shown]
	v_fmac_f32_e32 v3, v41, v4
	v_fma_f32 v40, v40, v4, -v5
	s_waitcnt lgkmcnt(4)
	v_pk_mul_f32 v[4:5], v[62:63], v[86:87] op_sel:[1,0] op_sel_hi:[0,0]
	v_fmac_f32_e32 v88, v45, v8
	v_fma_f32 v41, v42, v6, -v7
	v_fma_f32 v8, v44, v8, -v9
	v_fma_f32 v9, v46, v10, -v11
	v_fma_f32 v11, v50, v14, -v15
	v_add_f32_e32 v3, 0, v3
	v_add_f32_e32 v15, 0, v40
	v_pk_fma_f32 v[6:7], v[62:63], v[26:27], v[4:5] neg_lo:[0,0,1] neg_hi:[0,0,1]
	v_pk_fma_f32 v[4:5], v[62:63], v[26:27], v[4:5] op_sel_hi:[1,0,1]
	v_add_f32_e32 v3, v3, v87
	v_add_f32_e32 v4, v15, v41
	v_mul_f32_e32 v90, v48, v13
	v_mul_f32_e32 v13, v49, v13
	v_fmac_f32_e32 v89, v47, v10
	v_add_f32_e32 v3, v3, v88
	v_add_f32_e32 v4, v4, v8
	v_fmac_f32_e32 v90, v49, v12
	v_fma_f32 v10, v48, v12, -v13
	v_add_f32_e32 v3, v3, v89
	v_add_f32_e32 v4, v4, v9
	v_mul_f32_e32 v92, v52, v17
	v_mul_f32_e32 v17, v53, v17
	v_fmac_f32_e32 v91, v51, v14
	v_add_f32_e32 v3, v3, v90
	v_add_f32_e32 v4, v4, v10
	v_mul_f32_e32 v93, v54, v19
	v_mul_f32_e32 v19, v55, v19
	v_fmac_f32_e32 v92, v53, v16
	v_fma_f32 v12, v52, v16, -v17
	v_add_f32_e32 v3, v3, v91
	v_add_f32_e32 v4, v4, v11
	v_mul_f32_e32 v94, v56, v21
	v_mul_f32_e32 v21, v57, v21
	v_fmac_f32_e32 v93, v55, v18
	v_fma_f32 v13, v54, v18, -v19
	v_add_f32_e32 v3, v3, v92
	v_add_f32_e32 v4, v4, v12
	v_mul_f32_e32 v83, v58, v23
	v_mul_f32_e32 v23, v59, v23
	v_fmac_f32_e32 v94, v57, v20
	v_fma_f32 v14, v56, v20, -v21
	v_add_f32_e32 v3, v3, v93
	v_add_f32_e32 v4, v4, v13
	v_mul_f32_e32 v85, v60, v25
	v_mul_f32_e32 v25, v61, v25
	v_fmac_f32_e32 v83, v59, v22
	v_fma_f32 v82, v58, v22, -v23
	v_mov_b32_e32 v7, v5
	v_add_f32_e32 v5, v3, v94
	v_add_f32_e32 v4, v4, v14
	v_fmac_f32_e32 v85, v61, v24
	v_fma_f32 v84, v60, v24, -v25
	v_pk_add_f32 v[4:5], v[4:5], v[82:83]
	s_nop 0
	v_pk_add_f32 v[4:5], v[4:5], v[84:85]
	s_nop 0
	v_pk_add_f32 v[4:5], v[4:5], v[6:7]
	s_waitcnt vmcnt(4) lgkmcnt(3)
	v_pk_mul_f32 v[6:7], v[64:65], v[28:29] op_sel:[1,1] op_sel_hi:[0,1]
	v_pk_fma_f32 v[8:9], v[64:65], v[28:29], v[6:7] neg_lo:[0,0,1] neg_hi:[0,0,1]
	v_pk_fma_f32 v[6:7], v[64:65], v[28:29], v[6:7] op_sel_hi:[1,0,1]
	s_nop 0
	v_mov_b32_e32 v6, v31
	v_mov_b32_e32 v9, v7
	v_pk_mul_f32 v[6:7], v[66:67], v[6:7] op_sel:[1,0] op_sel_hi:[0,0]
	v_pk_add_f32 v[4:5], v[4:5], v[8:9]
	v_pk_fma_f32 v[8:9], v[66:67], v[30:31], v[6:7] neg_lo:[0,0,1] neg_hi:[0,0,1]
	v_pk_fma_f32 v[6:7], v[66:67], v[30:31], v[6:7] op_sel_hi:[1,0,1]
	s_nop 0
	v_mov_b32_e32 v9, v7
	s_waitcnt vmcnt(3) lgkmcnt(2)
	v_pk_mul_f32 v[6:7], v[68:69], v[32:33] op_sel:[1,1] op_sel_hi:[0,1]
	v_pk_add_f32 v[4:5], v[4:5], v[8:9]
	v_pk_fma_f32 v[8:9], v[68:69], v[32:33], v[6:7] neg_lo:[0,0,1] neg_hi:[0,0,1]
	v_pk_fma_f32 v[6:7], v[68:69], v[32:33], v[6:7] op_sel_hi:[1,0,1]
	s_nop 0
	v_mov_b32_e32 v6, v35
	v_mov_b32_e32 v9, v7
	v_pk_mul_f32 v[6:7], v[70:71], v[6:7] op_sel:[1,0] op_sel_hi:[0,0]
	v_pk_add_f32 v[4:5], v[4:5], v[8:9]
	v_pk_fma_f32 v[8:9], v[70:71], v[34:35], v[6:7] neg_lo:[0,0,1] neg_hi:[0,0,1]
	v_pk_fma_f32 v[6:7], v[70:71], v[34:35], v[6:7] op_sel_hi:[1,0,1]
	s_nop 0
	v_mov_b32_e32 v9, v7
	s_waitcnt vmcnt(2) lgkmcnt(1)
	v_pk_mul_f32 v[6:7], v[72:73], v[36:37] op_sel:[1,1] op_sel_hi:[0,1]
	v_pk_add_f32 v[4:5], v[4:5], v[8:9]
	;; [unrolled: 14-line block ×3, first 2 shown]
	v_pk_fma_f32 v[8:9], v[80:81], v[76:77], v[6:7] neg_lo:[0,0,1] neg_hi:[0,0,1]
	v_pk_fma_f32 v[6:7], v[80:81], v[76:77], v[6:7] op_sel_hi:[1,0,1]
	s_nop 0
	v_mov_b32_e32 v9, v7
	v_pk_add_f32 v[4:5], v[4:5], v[8:9]
	s_waitcnt vmcnt(0)
	v_pk_add_f32 v[4:5], v[78:79], v[4:5] neg_lo:[0,1] neg_hi:[0,1]
	scratch_store_dwordx2 off, v[4:5], off offset:240
	s_and_saveexec_b64 s[0:1], vcc
	s_cbranch_execz .LBB113_255
; %bb.254:
	scratch_load_dwordx2 v[4:5], off, off offset:232
	v_mov_b32_e32 v3, v2
	scratch_store_dwordx2 off, v[2:3], off offset:232
	s_waitcnt vmcnt(1)
	ds_write_b64 v1, v[4:5]
.LBB113_255:
	s_or_b64 exec, exec, s[0:1]
	s_waitcnt lgkmcnt(0)
	; wave barrier
	scratch_load_dwordx4 v[4:7], off, off offset:240
	scratch_load_dwordx4 v[8:11], off, off offset:256
	;; [unrolled: 1-line block ×7, first 2 shown]
	ds_read_b128 v[32:35], v2 offset:640
	ds_read_b128 v[36:39], v2 offset:656
	;; [unrolled: 1-line block ×6, first 2 shown]
	scratch_load_dwordx4 v[56:59], off, off offset:352
	scratch_load_dwordx4 v[60:63], off, off offset:368
	;; [unrolled: 1-line block ×3, first 2 shown]
	ds_read_b128 v[68:71], v2 offset:736
	ds_read_b128 v[72:75], v2 offset:752
	;; [unrolled: 1-line block ×4, first 2 shown]
	scratch_load_dwordx2 v[2:3], off, off offset:232
	v_cmp_lt_u32_e32 vcc, 28, v0
	s_waitcnt vmcnt(10) lgkmcnt(9)
	v_mul_f32_e32 v90, v32, v5
	v_mul_f32_e32 v5, v33, v5
	;; [unrolled: 1-line block ×3, first 2 shown]
	s_waitcnt vmcnt(9) lgkmcnt(8)
	v_mul_f32_e32 v92, v36, v9
	s_waitcnt vmcnt(8) lgkmcnt(7)
	v_mul_f32_e32 v95, v42, v15
	v_mul_f32_e32 v7, v35, v7
	;; [unrolled: 1-line block ×4, first 2 shown]
	v_fmac_f32_e32 v90, v33, v4
	v_fma_f32 v4, v32, v4, -v5
	v_fmac_f32_e32 v91, v35, v6
	v_fmac_f32_e32 v95, v43, v14
	v_fma_f32 v5, v34, v6, -v7
	v_fma_f32 v6, v36, v8, -v9
	;; [unrolled: 1-line block ×3, first 2 shown]
	v_add_f32_e32 v14, 0, v90
	v_add_f32_e32 v4, 0, v4
	v_mul_f32_e32 v93, v38, v11
	v_mul_f32_e32 v11, v39, v11
	v_fmac_f32_e32 v92, v37, v8
	v_add_f32_e32 v14, v14, v91
	v_add_f32_e32 v4, v4, v5
	v_mul_f32_e32 v94, v40, v13
	v_mul_f32_e32 v13, v41, v13
	v_fmac_f32_e32 v93, v39, v10
	v_fma_f32 v7, v38, v10, -v11
	v_add_f32_e32 v5, v14, v92
	v_add_f32_e32 v4, v4, v6
	v_fmac_f32_e32 v94, v41, v12
	v_fma_f32 v8, v40, v12, -v13
	v_add_f32_e32 v5, v5, v93
	v_add_f32_e32 v4, v4, v7
	s_waitcnt vmcnt(7) lgkmcnt(6)
	v_mul_f32_e32 v96, v44, v17
	v_mul_f32_e32 v17, v45, v17
	v_add_f32_e32 v5, v5, v94
	v_add_f32_e32 v4, v4, v8
	v_mul_f32_e32 v97, v46, v19
	v_mul_f32_e32 v19, v47, v19
	v_fmac_f32_e32 v96, v45, v16
	v_fma_f32 v10, v44, v16, -v17
	v_add_f32_e32 v5, v5, v95
	v_add_f32_e32 v4, v4, v9
	s_waitcnt vmcnt(6) lgkmcnt(5)
	v_mul_f32_e32 v98, v48, v21
	v_mul_f32_e32 v21, v49, v21
	v_fmac_f32_e32 v97, v47, v18
	v_fma_f32 v11, v46, v18, -v19
	v_add_f32_e32 v5, v5, v96
	v_add_f32_e32 v4, v4, v10
	v_mul_f32_e32 v99, v50, v23
	v_mul_f32_e32 v23, v51, v23
	v_fmac_f32_e32 v98, v49, v20
	v_fma_f32 v12, v48, v20, -v21
	v_add_f32_e32 v5, v5, v97
	v_add_f32_e32 v4, v4, v11
	s_waitcnt vmcnt(5) lgkmcnt(4)
	v_mul_f32_e32 v85, v52, v25
	v_mul_f32_e32 v25, v53, v25
	v_fmac_f32_e32 v99, v51, v22
	v_fma_f32 v13, v50, v22, -v23
	v_add_f32_e32 v5, v5, v98
	v_add_f32_e32 v4, v4, v12
	v_mul_f32_e32 v87, v54, v27
	v_mul_f32_e32 v27, v55, v27
	s_waitcnt vmcnt(4) lgkmcnt(3)
	v_pk_mul_f32 v[88:89], v[68:69], v[28:29] op_sel:[1,1] op_sel_hi:[0,1]
	v_fmac_f32_e32 v85, v53, v24
	v_fma_f32 v84, v52, v24, -v25
	v_add_f32_e32 v5, v5, v99
	v_add_f32_e32 v4, v4, v13
	v_fmac_f32_e32 v87, v55, v26
	v_fma_f32 v86, v54, v26, -v27
	v_pk_add_f32 v[4:5], v[4:5], v[84:85]
	v_pk_fma_f32 v[6:7], v[68:69], v[28:29], v[88:89] neg_lo:[0,0,1] neg_hi:[0,0,1]
	v_pk_fma_f32 v[8:9], v[68:69], v[28:29], v[88:89] op_sel_hi:[1,0,1]
	v_pk_add_f32 v[4:5], v[4:5], v[86:87]
	v_mov_b32_e32 v7, v9
	v_pk_add_f32 v[4:5], v[4:5], v[6:7]
	v_mov_b32_e32 v6, v31
	v_pk_mul_f32 v[6:7], v[70:71], v[6:7] op_sel:[1,0] op_sel_hi:[0,0]
	v_pk_fma_f32 v[8:9], v[70:71], v[30:31], v[6:7] neg_lo:[0,0,1] neg_hi:[0,0,1]
	v_pk_fma_f32 v[6:7], v[70:71], v[30:31], v[6:7] op_sel_hi:[1,0,1]
	s_nop 0
	v_mov_b32_e32 v9, v7
	s_waitcnt vmcnt(3) lgkmcnt(2)
	v_pk_mul_f32 v[6:7], v[72:73], v[56:57] op_sel:[1,1] op_sel_hi:[0,1]
	v_pk_add_f32 v[4:5], v[4:5], v[8:9]
	v_pk_fma_f32 v[8:9], v[72:73], v[56:57], v[6:7] neg_lo:[0,0,1] neg_hi:[0,0,1]
	v_pk_fma_f32 v[6:7], v[72:73], v[56:57], v[6:7] op_sel_hi:[1,0,1]
	s_nop 0
	v_mov_b32_e32 v6, v59
	v_mov_b32_e32 v9, v7
	v_pk_mul_f32 v[6:7], v[74:75], v[6:7] op_sel:[1,0] op_sel_hi:[0,0]
	v_pk_add_f32 v[4:5], v[4:5], v[8:9]
	v_pk_fma_f32 v[8:9], v[74:75], v[58:59], v[6:7] neg_lo:[0,0,1] neg_hi:[0,0,1]
	v_pk_fma_f32 v[6:7], v[74:75], v[58:59], v[6:7] op_sel_hi:[1,0,1]
	s_nop 0
	v_mov_b32_e32 v9, v7
	s_waitcnt vmcnt(2) lgkmcnt(1)
	v_pk_mul_f32 v[6:7], v[76:77], v[60:61] op_sel:[1,1] op_sel_hi:[0,1]
	v_pk_add_f32 v[4:5], v[4:5], v[8:9]
	v_pk_fma_f32 v[8:9], v[76:77], v[60:61], v[6:7] neg_lo:[0,0,1] neg_hi:[0,0,1]
	v_pk_fma_f32 v[6:7], v[76:77], v[60:61], v[6:7] op_sel_hi:[1,0,1]
	s_nop 0
	v_mov_b32_e32 v6, v63
	v_mov_b32_e32 v9, v7
	v_pk_mul_f32 v[6:7], v[78:79], v[6:7] op_sel:[1,0] op_sel_hi:[0,0]
	v_pk_add_f32 v[4:5], v[4:5], v[8:9]
	;; [unrolled: 14-line block ×3, first 2 shown]
	v_pk_fma_f32 v[8:9], v[82:83], v[66:67], v[6:7] neg_lo:[0,0,1] neg_hi:[0,0,1]
	v_pk_fma_f32 v[6:7], v[82:83], v[66:67], v[6:7] op_sel_hi:[1,0,1]
	s_nop 0
	v_mov_b32_e32 v9, v7
	v_pk_add_f32 v[4:5], v[4:5], v[8:9]
	s_waitcnt vmcnt(0)
	v_pk_add_f32 v[2:3], v[2:3], v[4:5] neg_lo:[0,1] neg_hi:[0,1]
	scratch_store_dwordx2 off, v[2:3], off offset:232
	s_and_saveexec_b64 s[0:1], vcc
	s_cbranch_execz .LBB113_257
; %bb.256:
	scratch_load_dwordx2 v[2:3], off, off offset:224
	v_mov_b32_e32 v4, 0
	v_mov_b32_e32 v5, v4
	scratch_store_dwordx2 off, v[4:5], off offset:224
	s_waitcnt vmcnt(1)
	ds_write_b64 v1, v[2:3]
.LBB113_257:
	s_or_b64 exec, exec, s[0:1]
	s_waitcnt lgkmcnt(0)
	; wave barrier
	scratch_load_dwordx4 v[2:5], off, off offset:232
	scratch_load_dwordx4 v[8:11], off, off offset:248
	;; [unrolled: 1-line block ×10, first 2 shown]
	scratch_load_dwordx2 v[76:77], off, off offset:392
	scratch_load_dwordx2 v[78:79], off, off offset:224
	v_mov_b32_e32 v6, 0
	ds_read2_b64 v[44:47], v6 offset0:79 offset1:80
	ds_read2_b64 v[48:51], v6 offset0:81 offset1:82
	ds_read2_b64 v[52:55], v6 offset0:83 offset1:84
	ds_read2_b64 v[56:59], v6 offset0:85 offset1:86
	ds_read2_b64 v[60:63], v6 offset0:87 offset1:88
	ds_read2_b64 v[64:67], v6 offset0:89 offset1:90
	ds_read2_b64 v[68:71], v6 offset0:91 offset1:92
	ds_read2_b64 v[72:75], v6 offset0:93 offset1:94
	v_cmp_lt_u32_e32 vcc, 27, v0
	s_waitcnt vmcnt(11) lgkmcnt(7)
	v_mul_f32_e32 v7, v44, v3
	v_mul_f32_e32 v3, v45, v3
	;; [unrolled: 1-line block ×4, first 2 shown]
	v_fmac_f32_e32 v7, v45, v2
	v_fma_f32 v2, v44, v2, -v3
	s_waitcnt vmcnt(10) lgkmcnt(6)
	v_mul_f32_e32 v82, v48, v9
	v_mul_f32_e32 v9, v49, v9
	v_fma_f32 v3, v46, v4, -v5
	v_add_f32_e32 v2, 0, v2
	v_mul_f32_e32 v84, v50, v11
	v_mul_f32_e32 v11, v51, v11
	v_fmac_f32_e32 v80, v47, v4
	v_fma_f32 v4, v48, v8, -v9
	v_add_f32_e32 v7, 0, v7
	v_add_f32_e32 v2, v2, v3
	s_waitcnt vmcnt(9) lgkmcnt(5)
	v_mul_f32_e32 v85, v52, v13
	v_mul_f32_e32 v13, v53, v13
	v_fmac_f32_e32 v82, v49, v8
	v_fma_f32 v5, v50, v10, -v11
	v_add_f32_e32 v7, v7, v80
	v_add_f32_e32 v2, v2, v4
	v_mul_f32_e32 v86, v54, v15
	v_mul_f32_e32 v15, v55, v15
	v_fmac_f32_e32 v84, v51, v10
	v_fma_f32 v8, v52, v12, -v13
	v_add_f32_e32 v3, v7, v82
	v_add_f32_e32 v2, v2, v5
	s_waitcnt vmcnt(8) lgkmcnt(4)
	v_mul_f32_e32 v87, v56, v17
	v_mul_f32_e32 v17, v57, v17
	v_fmac_f32_e32 v85, v53, v12
	v_fma_f32 v9, v54, v14, -v15
	v_add_f32_e32 v3, v3, v84
	;; [unrolled: 13-line block ×4, first 2 shown]
	v_add_f32_e32 v2, v2, v12
	v_fmac_f32_e32 v90, v63, v22
	v_fma_f32 v14, v64, v24, -v25
	v_add_f32_e32 v3, v3, v89
	v_add_f32_e32 v2, v2, v13
	v_mul_f32_e32 v81, v66, v27
	v_fmac_f32_e32 v91, v65, v24
	v_add_f32_e32 v3, v3, v90
	v_add_f32_e32 v12, v2, v14
	v_mul_f32_e32 v2, v67, v27
	s_waitcnt vmcnt(5)
	v_mov_b32_e32 v16, v31
	s_waitcnt lgkmcnt(1)
	v_mul_f32_e32 v83, v68, v29
	v_fmac_f32_e32 v81, v67, v26
	v_add_f32_e32 v13, v3, v91
	v_fma_f32 v80, v66, v26, -v2
	v_mul_f32_e32 v2, v69, v29
	v_pk_mul_f32 v[16:17], v[70:71], v[16:17] op_sel:[1,0] op_sel_hi:[0,0]
	v_fmac_f32_e32 v83, v69, v28
	v_fma_f32 v82, v68, v28, -v2
	v_pk_add_f32 v[12:13], v[12:13], v[80:81]
	v_pk_fma_f32 v[18:19], v[70:71], v[30:31], v[16:17] neg_lo:[0,0,1] neg_hi:[0,0,1]
	v_pk_fma_f32 v[16:17], v[70:71], v[30:31], v[16:17] op_sel_hi:[1,0,1]
	v_pk_add_f32 v[12:13], v[12:13], v[82:83]
	v_mov_b32_e32 v19, v17
	s_waitcnt vmcnt(4) lgkmcnt(0)
	v_pk_mul_f32 v[16:17], v[72:73], v[32:33] op_sel:[1,1] op_sel_hi:[0,1]
	v_pk_add_f32 v[12:13], v[12:13], v[18:19]
	v_pk_fma_f32 v[18:19], v[72:73], v[32:33], v[16:17] neg_lo:[0,0,1] neg_hi:[0,0,1]
	v_pk_fma_f32 v[16:17], v[72:73], v[32:33], v[16:17] op_sel_hi:[1,0,1]
	ds_read2_b64 v[2:5], v6 offset0:95 offset1:96
	ds_read2_b64 v[8:11], v6 offset0:97 offset1:98
	ds_read_b64 v[14:15], v6 offset:792
	v_mov_b32_e32 v16, v35
	v_mov_b32_e32 v19, v17
	v_pk_mul_f32 v[16:17], v[74:75], v[16:17] op_sel:[1,0] op_sel_hi:[0,0]
	v_pk_add_f32 v[12:13], v[12:13], v[18:19]
	v_pk_fma_f32 v[18:19], v[74:75], v[34:35], v[16:17] neg_lo:[0,0,1] neg_hi:[0,0,1]
	v_pk_fma_f32 v[16:17], v[74:75], v[34:35], v[16:17] op_sel_hi:[1,0,1]
	s_nop 0
	v_mov_b32_e32 v19, v17
	s_waitcnt vmcnt(3) lgkmcnt(2)
	v_pk_mul_f32 v[16:17], v[2:3], v[36:37] op_sel:[1,1] op_sel_hi:[0,1]
	v_pk_add_f32 v[12:13], v[12:13], v[18:19]
	v_pk_fma_f32 v[18:19], v[2:3], v[36:37], v[16:17] neg_lo:[0,0,1] neg_hi:[0,0,1]
	v_pk_fma_f32 v[2:3], v[2:3], v[36:37], v[16:17] op_sel_hi:[1,0,1]
	s_nop 0
	v_mov_b32_e32 v19, v3
	v_pk_add_f32 v[2:3], v[12:13], v[18:19]
	v_mov_b32_e32 v12, v39
	v_pk_mul_f32 v[12:13], v[4:5], v[12:13] op_sel:[1,0] op_sel_hi:[0,0]
	v_pk_fma_f32 v[16:17], v[4:5], v[38:39], v[12:13] neg_lo:[0,0,1] neg_hi:[0,0,1]
	v_pk_fma_f32 v[4:5], v[4:5], v[38:39], v[12:13] op_sel_hi:[1,0,1]
	s_nop 0
	v_mov_b32_e32 v17, v5
	s_waitcnt vmcnt(2) lgkmcnt(1)
	v_pk_mul_f32 v[4:5], v[8:9], v[40:41] op_sel:[1,1] op_sel_hi:[0,1]
	v_pk_fma_f32 v[12:13], v[8:9], v[40:41], v[4:5] neg_lo:[0,0,1] neg_hi:[0,0,1]
	v_pk_fma_f32 v[4:5], v[8:9], v[40:41], v[4:5] op_sel_hi:[1,0,1]
	v_pk_add_f32 v[2:3], v[2:3], v[16:17]
	v_mov_b32_e32 v4, v43
	v_mov_b32_e32 v13, v5
	v_pk_mul_f32 v[4:5], v[10:11], v[4:5] op_sel:[1,0] op_sel_hi:[0,0]
	v_pk_fma_f32 v[8:9], v[10:11], v[42:43], v[4:5] neg_lo:[0,0,1] neg_hi:[0,0,1]
	v_pk_fma_f32 v[4:5], v[10:11], v[42:43], v[4:5] op_sel_hi:[1,0,1]
	v_pk_add_f32 v[2:3], v[2:3], v[12:13]
	v_mov_b32_e32 v9, v5
	s_waitcnt vmcnt(1) lgkmcnt(0)
	v_pk_mul_f32 v[4:5], v[14:15], v[76:77] op_sel:[1,1] op_sel_hi:[0,1]
	v_pk_add_f32 v[2:3], v[2:3], v[8:9]
	v_pk_fma_f32 v[8:9], v[14:15], v[76:77], v[4:5] neg_lo:[0,0,1] neg_hi:[0,0,1]
	v_pk_fma_f32 v[4:5], v[14:15], v[76:77], v[4:5] op_sel_hi:[1,0,1]
	s_nop 0
	v_mov_b32_e32 v9, v5
	v_pk_add_f32 v[2:3], v[2:3], v[8:9]
	s_waitcnt vmcnt(0)
	v_pk_add_f32 v[2:3], v[78:79], v[2:3] neg_lo:[0,1] neg_hi:[0,1]
	scratch_store_dwordx2 off, v[2:3], off offset:224
	s_and_saveexec_b64 s[0:1], vcc
	s_cbranch_execz .LBB113_259
; %bb.258:
	scratch_load_dwordx2 v[2:3], off, off offset:216
	v_mov_b32_e32 v7, v6
	scratch_store_dwordx2 off, v[6:7], off offset:216
	s_waitcnt vmcnt(1)
	ds_write_b64 v1, v[2:3]
.LBB113_259:
	s_or_b64 exec, exec, s[0:1]
	s_waitcnt lgkmcnt(0)
	; wave barrier
	scratch_load_dwordx4 v[8:11], off, off offset:224
	scratch_load_dwordx4 v[12:15], off, off offset:240
	;; [unrolled: 1-line block ×7, first 2 shown]
	ds_read_b128 v[36:39], v6 offset:624
	ds_read_b128 v[40:43], v6 offset:640
	;; [unrolled: 1-line block ×6, first 2 shown]
	scratch_load_dwordx4 v[60:63], off, off offset:336
	scratch_load_dwordx4 v[64:67], off, off offset:352
	;; [unrolled: 1-line block ×4, first 2 shown]
	ds_read_b128 v[72:75], v6 offset:720
	ds_read_b128 v[76:79], v6 offset:736
	scratch_load_dwordx2 v[80:81], off, off offset:216
	v_cmp_lt_u32_e32 vcc, 26, v0
	s_waitcnt vmcnt(11) lgkmcnt(7)
	v_mul_f32_e32 v7, v36, v9
	v_mul_f32_e32 v82, v38, v11
	;; [unrolled: 1-line block ×3, first 2 shown]
	v_fmac_f32_e32 v7, v37, v8
	s_waitcnt vmcnt(10) lgkmcnt(6)
	v_mul_f32_e32 v84, v40, v13
	v_mul_f32_e32 v11, v39, v11
	v_fmac_f32_e32 v82, v39, v10
	v_fma_f32 v8, v36, v8, -v9
	v_add_f32_e32 v7, 0, v7
	v_mul_f32_e32 v86, v42, v15
	v_mul_f32_e32 v13, v41, v13
	v_fmac_f32_e32 v84, v41, v12
	v_fma_f32 v9, v38, v10, -v11
	v_add_f32_e32 v8, 0, v8
	v_add_f32_e32 v7, v7, v82
	s_waitcnt vmcnt(9) lgkmcnt(5)
	v_mul_f32_e32 v87, v44, v17
	v_mul_f32_e32 v15, v43, v15
	v_fmac_f32_e32 v86, v43, v14
	v_fma_f32 v10, v40, v12, -v13
	v_add_f32_e32 v8, v8, v9
	v_add_f32_e32 v7, v7, v84
	v_mul_f32_e32 v88, v46, v19
	v_mul_f32_e32 v17, v45, v17
	v_fmac_f32_e32 v87, v45, v16
	v_fma_f32 v11, v42, v14, -v15
	v_add_f32_e32 v8, v8, v10
	v_add_f32_e32 v7, v7, v86
	s_waitcnt vmcnt(8) lgkmcnt(4)
	v_mul_f32_e32 v89, v48, v21
	v_mul_f32_e32 v19, v47, v19
	v_fmac_f32_e32 v88, v47, v18
	v_fma_f32 v12, v44, v16, -v17
	v_add_f32_e32 v8, v8, v11
	v_add_f32_e32 v7, v7, v87
	v_mul_f32_e32 v90, v50, v23
	v_mul_f32_e32 v21, v49, v21
	v_fmac_f32_e32 v89, v49, v20
	v_fma_f32 v13, v46, v18, -v19
	v_add_f32_e32 v8, v8, v12
	v_add_f32_e32 v7, v7, v88
	s_waitcnt vmcnt(7) lgkmcnt(3)
	v_mul_f32_e32 v91, v52, v25
	v_mul_f32_e32 v23, v51, v23
	v_fmac_f32_e32 v90, v51, v22
	v_fma_f32 v14, v48, v20, -v21
	v_add_f32_e32 v8, v8, v13
	v_add_f32_e32 v7, v7, v89
	v_mul_f32_e32 v92, v54, v27
	v_mul_f32_e32 v25, v53, v25
	v_fmac_f32_e32 v91, v53, v24
	v_fma_f32 v15, v50, v22, -v23
	v_add_f32_e32 v8, v8, v14
	v_add_f32_e32 v7, v7, v90
	s_waitcnt vmcnt(6) lgkmcnt(2)
	v_mul_f32_e32 v93, v56, v29
	v_mul_f32_e32 v27, v55, v27
	v_fmac_f32_e32 v92, v55, v26
	v_fma_f32 v16, v52, v24, -v25
	v_add_f32_e32 v8, v8, v15
	v_add_f32_e32 v7, v7, v91
	v_mul_f32_e32 v94, v58, v31
	v_mul_f32_e32 v29, v57, v29
	v_fmac_f32_e32 v93, v57, v28
	v_fma_f32 v17, v54, v26, -v27
	v_add_f32_e32 v8, v8, v16
	v_add_f32_e32 v7, v7, v92
	v_fmac_f32_e32 v94, v59, v30
	v_fma_f32 v18, v56, v28, -v29
	v_add_f32_e32 v8, v8, v17
	v_add_f32_e32 v7, v7, v93
	;; [unrolled: 1-line block ×4, first 2 shown]
	v_mul_f32_e32 v8, v59, v31
	v_fma_f32 v8, v58, v30, -v8
	s_waitcnt vmcnt(5) lgkmcnt(1)
	v_mul_f32_e32 v83, v72, v33
	v_add_f32_e32 v20, v7, v8
	v_mul_f32_e32 v7, v73, v33
	v_fmac_f32_e32 v83, v73, v32
	v_fma_f32 v82, v72, v32, -v7
	v_mul_f32_e32 v7, v75, v35
	v_fma_f32 v84, v74, v34, -v7
	ds_read_b128 v[8:11], v6 offset:752
	ds_read_b128 v[12:15], v6 offset:768
	;; [unrolled: 1-line block ×3, first 2 shown]
	v_pk_add_f32 v[6:7], v[20:21], v[82:83]
	s_waitcnt vmcnt(4) lgkmcnt(3)
	v_pk_mul_f32 v[20:21], v[76:77], v[60:61] op_sel:[1,1] op_sel_hi:[0,1]
	v_mul_f32_e32 v85, v74, v35
	v_pk_fma_f32 v[22:23], v[76:77], v[60:61], v[20:21] neg_lo:[0,0,1] neg_hi:[0,0,1]
	v_pk_fma_f32 v[20:21], v[76:77], v[60:61], v[20:21] op_sel_hi:[1,0,1]
	v_fmac_f32_e32 v85, v75, v34
	v_mov_b32_e32 v20, v63
	v_pk_add_f32 v[6:7], v[6:7], v[84:85]
	v_mov_b32_e32 v23, v21
	v_pk_mul_f32 v[20:21], v[78:79], v[20:21] op_sel:[1,0] op_sel_hi:[0,0]
	v_pk_add_f32 v[6:7], v[6:7], v[22:23]
	v_pk_fma_f32 v[22:23], v[78:79], v[62:63], v[20:21] neg_lo:[0,0,1] neg_hi:[0,0,1]
	v_pk_fma_f32 v[20:21], v[78:79], v[62:63], v[20:21] op_sel_hi:[1,0,1]
	s_nop 0
	v_mov_b32_e32 v23, v21
	s_waitcnt vmcnt(3) lgkmcnt(2)
	v_pk_mul_f32 v[20:21], v[8:9], v[64:65] op_sel:[1,1] op_sel_hi:[0,1]
	v_pk_add_f32 v[6:7], v[6:7], v[22:23]
	v_pk_fma_f32 v[22:23], v[8:9], v[64:65], v[20:21] neg_lo:[0,0,1] neg_hi:[0,0,1]
	v_pk_fma_f32 v[8:9], v[8:9], v[64:65], v[20:21] op_sel_hi:[1,0,1]
	s_nop 0
	v_mov_b32_e32 v8, v67
	v_mov_b32_e32 v23, v9
	v_pk_mul_f32 v[8:9], v[10:11], v[8:9] op_sel:[1,0] op_sel_hi:[0,0]
	v_pk_fma_f32 v[20:21], v[10:11], v[66:67], v[8:9] neg_lo:[0,0,1] neg_hi:[0,0,1]
	v_pk_fma_f32 v[8:9], v[10:11], v[66:67], v[8:9] op_sel_hi:[1,0,1]
	v_pk_add_f32 v[6:7], v[6:7], v[22:23]
	v_mov_b32_e32 v21, v9
	s_waitcnt vmcnt(2) lgkmcnt(1)
	v_pk_mul_f32 v[8:9], v[12:13], v[68:69] op_sel:[1,1] op_sel_hi:[0,1]
	v_pk_fma_f32 v[10:11], v[12:13], v[68:69], v[8:9] neg_lo:[0,0,1] neg_hi:[0,0,1]
	v_pk_fma_f32 v[8:9], v[12:13], v[68:69], v[8:9] op_sel_hi:[1,0,1]
	v_pk_add_f32 v[6:7], v[6:7], v[20:21]
	v_mov_b32_e32 v8, v71
	v_mov_b32_e32 v11, v9
	v_pk_mul_f32 v[8:9], v[14:15], v[8:9] op_sel:[1,0] op_sel_hi:[0,0]
	v_pk_add_f32 v[6:7], v[6:7], v[10:11]
	v_pk_fma_f32 v[10:11], v[14:15], v[70:71], v[8:9] neg_lo:[0,0,1] neg_hi:[0,0,1]
	v_pk_fma_f32 v[8:9], v[14:15], v[70:71], v[8:9] op_sel_hi:[1,0,1]
	s_nop 0
	v_mov_b32_e32 v11, v9
	s_waitcnt vmcnt(1) lgkmcnt(0)
	v_pk_mul_f32 v[8:9], v[16:17], v[2:3] op_sel:[1,1] op_sel_hi:[0,1]
	v_pk_add_f32 v[6:7], v[6:7], v[10:11]
	v_pk_fma_f32 v[10:11], v[16:17], v[2:3], v[8:9] neg_lo:[0,0,1] neg_hi:[0,0,1]
	v_pk_fma_f32 v[2:3], v[16:17], v[2:3], v[8:9] op_sel_hi:[1,0,1]
	s_nop 0
	v_mov_b32_e32 v11, v3
	v_pk_add_f32 v[2:3], v[6:7], v[10:11]
	v_mov_b32_e32 v6, v5
	v_pk_mul_f32 v[6:7], v[18:19], v[6:7] op_sel:[1,0] op_sel_hi:[0,0]
	v_pk_fma_f32 v[8:9], v[18:19], v[4:5], v[6:7] neg_lo:[0,0,1] neg_hi:[0,0,1]
	v_pk_fma_f32 v[4:5], v[18:19], v[4:5], v[6:7] op_sel_hi:[1,0,1]
	s_nop 0
	v_mov_b32_e32 v9, v5
	v_pk_add_f32 v[2:3], v[2:3], v[8:9]
	s_waitcnt vmcnt(0)
	v_pk_add_f32 v[2:3], v[80:81], v[2:3] neg_lo:[0,1] neg_hi:[0,1]
	scratch_store_dwordx2 off, v[2:3], off offset:216
	s_and_saveexec_b64 s[0:1], vcc
	s_cbranch_execz .LBB113_261
; %bb.260:
	scratch_load_dwordx2 v[2:3], off, off offset:208
	v_mov_b32_e32 v4, 0
	v_mov_b32_e32 v5, v4
	scratch_store_dwordx2 off, v[4:5], off offset:208
	s_waitcnt vmcnt(1)
	ds_write_b64 v1, v[2:3]
.LBB113_261:
	s_or_b64 exec, exec, s[0:1]
	s_waitcnt lgkmcnt(0)
	; wave barrier
	scratch_load_dwordx4 v[2:5], off, off offset:216
	scratch_load_dwordx4 v[14:17], off, off offset:232
	;; [unrolled: 1-line block ×11, first 2 shown]
	scratch_load_dwordx2 v[22:23], off, off offset:392
	scratch_load_dwordx2 v[36:37], off, off offset:208
	v_mov_b32_e32 v38, 0
	ds_read2_b64 v[52:55], v38 offset0:77 offset1:78
	ds_read2_b64 v[56:59], v38 offset0:79 offset1:80
	;; [unrolled: 1-line block ×8, first 2 shown]
	v_cmp_lt_u32_e32 vcc, 25, v0
	s_waitcnt vmcnt(12) lgkmcnt(7)
	v_mul_f32_e32 v39, v52, v3
	v_mul_f32_e32 v84, v54, v5
	;; [unrolled: 1-line block ×3, first 2 shown]
	v_fmac_f32_e32 v39, v53, v2
	s_waitcnt vmcnt(8) lgkmcnt(3)
	v_mul_f32_e32 v93, v68, v19
	v_mul_f32_e32 v19, v69, v19
	;; [unrolled: 1-line block ×4, first 2 shown]
	v_fmac_f32_e32 v84, v55, v4
	v_fmac_f32_e32 v93, v69, v18
	v_fma_f32 v2, v52, v2, -v3
	v_fma_f32 v18, v68, v18, -v19
	v_add_f32_e32 v19, 0, v39
	v_mul_f32_e32 v88, v58, v17
	v_fmac_f32_e32 v86, v57, v14
	v_fma_f32 v3, v54, v4, -v5
	v_add_f32_e32 v2, 0, v2
	v_add_f32_e32 v19, v19, v84
	v_mul_f32_e32 v89, v60, v25
	v_fmac_f32_e32 v88, v59, v16
	v_add_f32_e32 v2, v2, v3
	v_add_f32_e32 v3, v19, v86
	v_mul_f32_e32 v90, v62, v27
	v_fmac_f32_e32 v89, v61, v24
	v_add_f32_e32 v3, v3, v88
	v_mul_f32_e32 v91, v64, v29
	v_mul_f32_e32 v15, v57, v15
	v_fmac_f32_e32 v90, v63, v26
	v_add_f32_e32 v3, v3, v89
	v_mul_f32_e32 v92, v66, v31
	v_mul_f32_e32 v17, v59, v17
	v_fmac_f32_e32 v91, v65, v28
	v_fma_f32 v4, v56, v14, -v15
	v_add_f32_e32 v3, v3, v90
	v_mul_f32_e32 v25, v61, v25
	v_fmac_f32_e32 v92, v67, v30
	v_fma_f32 v5, v58, v16, -v17
	v_add_f32_e32 v2, v2, v4
	v_add_f32_e32 v3, v3, v91
	v_mul_f32_e32 v94, v70, v21
	v_mul_f32_e32 v27, v63, v27
	v_fma_f32 v14, v60, v24, -v25
	v_add_f32_e32 v2, v2, v5
	v_add_f32_e32 v3, v3, v92
	s_waitcnt vmcnt(7) lgkmcnt(2)
	v_mul_f32_e32 v95, v72, v33
	v_mul_f32_e32 v29, v65, v29
	v_fmac_f32_e32 v94, v71, v20
	v_fma_f32 v15, v62, v26, -v27
	v_add_f32_e32 v2, v2, v14
	v_add_f32_e32 v3, v3, v93
	v_mul_f32_e32 v96, v74, v35
	v_mul_f32_e32 v31, v67, v31
	v_fmac_f32_e32 v95, v73, v32
	v_fma_f32 v16, v64, v28, -v29
	v_add_f32_e32 v2, v2, v15
	v_add_f32_e32 v3, v3, v94
	s_waitcnt vmcnt(6) lgkmcnt(1)
	v_mul_f32_e32 v97, v76, v41
	v_fmac_f32_e32 v96, v75, v34
	v_fma_f32 v17, v66, v30, -v31
	v_add_f32_e32 v2, v2, v16
	v_add_f32_e32 v3, v3, v95
	v_mul_f32_e32 v21, v71, v21
	v_fmac_f32_e32 v97, v77, v40
	v_add_f32_e32 v2, v2, v17
	v_add_f32_e32 v3, v3, v96
	;; [unrolled: 1-line block ×4, first 2 shown]
	v_fma_f32 v3, v70, v20, -v21
	v_add_f32_e32 v2, v2, v3
	v_mul_f32_e32 v3, v73, v33
	v_fma_f32 v3, v72, v32, -v3
	v_add_f32_e32 v2, v2, v3
	v_mul_f32_e32 v3, v75, v35
	;; [unrolled: 3-line block ×4, first 2 shown]
	v_mul_f32_e32 v85, v78, v43
	v_fma_f32 v84, v78, v42, -v2
	s_waitcnt vmcnt(5) lgkmcnt(0)
	v_mul_f32_e32 v2, v81, v45
	v_mov_b32_e32 v28, v47
	v_mul_f32_e32 v87, v80, v45
	v_fmac_f32_e32 v85, v79, v42
	v_fma_f32 v86, v80, v44, -v2
	ds_read2_b64 v[2:5], v38 offset0:93 offset1:94
	ds_read2_b64 v[14:17], v38 offset0:95 offset1:96
	ds_read2_b64 v[18:21], v38 offset0:97 offset1:98
	ds_read_b64 v[26:27], v38 offset:792
	v_pk_mul_f32 v[28:29], v[82:83], v[28:29] op_sel:[1,0] op_sel_hi:[0,0]
	v_fmac_f32_e32 v87, v81, v44
	v_pk_add_f32 v[24:25], v[24:25], v[84:85]
	v_pk_fma_f32 v[30:31], v[82:83], v[46:47], v[28:29] neg_lo:[0,0,1] neg_hi:[0,0,1]
	v_pk_fma_f32 v[28:29], v[82:83], v[46:47], v[28:29] op_sel_hi:[1,0,1]
	v_pk_add_f32 v[24:25], v[24:25], v[86:87]
	v_mov_b32_e32 v31, v29
	s_waitcnt vmcnt(4) lgkmcnt(3)
	v_pk_mul_f32 v[28:29], v[2:3], v[48:49] op_sel:[1,1] op_sel_hi:[0,1]
	v_pk_add_f32 v[24:25], v[24:25], v[30:31]
	v_pk_fma_f32 v[30:31], v[2:3], v[48:49], v[28:29] neg_lo:[0,0,1] neg_hi:[0,0,1]
	v_pk_fma_f32 v[2:3], v[2:3], v[48:49], v[28:29] op_sel_hi:[1,0,1]
	s_nop 0
	v_mov_b32_e32 v31, v3
	v_pk_add_f32 v[2:3], v[24:25], v[30:31]
	v_mov_b32_e32 v24, v51
	v_pk_mul_f32 v[24:25], v[4:5], v[24:25] op_sel:[1,0] op_sel_hi:[0,0]
	v_pk_fma_f32 v[28:29], v[4:5], v[50:51], v[24:25] neg_lo:[0,0,1] neg_hi:[0,0,1]
	v_pk_fma_f32 v[4:5], v[4:5], v[50:51], v[24:25] op_sel_hi:[1,0,1]
	s_nop 0
	v_mov_b32_e32 v29, v5
	s_waitcnt vmcnt(3) lgkmcnt(2)
	v_pk_mul_f32 v[4:5], v[14:15], v[10:11] op_sel:[1,1] op_sel_hi:[0,1]
	v_pk_fma_f32 v[24:25], v[14:15], v[10:11], v[4:5] neg_lo:[0,0,1] neg_hi:[0,0,1]
	v_pk_fma_f32 v[4:5], v[14:15], v[10:11], v[4:5] op_sel_hi:[1,0,1]
	v_pk_add_f32 v[2:3], v[2:3], v[28:29]
	v_mov_b32_e32 v4, v13
	v_mov_b32_e32 v25, v5
	v_pk_mul_f32 v[4:5], v[16:17], v[4:5] op_sel:[1,0] op_sel_hi:[0,0]
	v_pk_fma_f32 v[10:11], v[16:17], v[12:13], v[4:5] neg_lo:[0,0,1] neg_hi:[0,0,1]
	v_pk_fma_f32 v[4:5], v[16:17], v[12:13], v[4:5] op_sel_hi:[1,0,1]
	v_pk_add_f32 v[2:3], v[2:3], v[24:25]
	v_mov_b32_e32 v11, v5
	s_waitcnt vmcnt(2) lgkmcnt(1)
	v_pk_mul_f32 v[4:5], v[18:19], v[6:7] op_sel:[1,1] op_sel_hi:[0,1]
	v_pk_add_f32 v[2:3], v[2:3], v[10:11]
	v_pk_fma_f32 v[10:11], v[18:19], v[6:7], v[4:5] neg_lo:[0,0,1] neg_hi:[0,0,1]
	v_pk_fma_f32 v[4:5], v[18:19], v[6:7], v[4:5] op_sel_hi:[1,0,1]
	s_nop 0
	v_mov_b32_e32 v4, v9
	v_mov_b32_e32 v11, v5
	v_pk_mul_f32 v[4:5], v[20:21], v[4:5] op_sel:[1,0] op_sel_hi:[0,0]
	v_pk_fma_f32 v[6:7], v[20:21], v[8:9], v[4:5] neg_lo:[0,0,1] neg_hi:[0,0,1]
	v_pk_fma_f32 v[4:5], v[20:21], v[8:9], v[4:5] op_sel_hi:[1,0,1]
	v_pk_add_f32 v[2:3], v[2:3], v[10:11]
	v_mov_b32_e32 v7, v5
	s_waitcnt vmcnt(1) lgkmcnt(0)
	v_pk_mul_f32 v[4:5], v[26:27], v[22:23] op_sel:[1,1] op_sel_hi:[0,1]
	v_pk_add_f32 v[2:3], v[2:3], v[6:7]
	v_pk_fma_f32 v[6:7], v[26:27], v[22:23], v[4:5] neg_lo:[0,0,1] neg_hi:[0,0,1]
	v_pk_fma_f32 v[4:5], v[26:27], v[22:23], v[4:5] op_sel_hi:[1,0,1]
	s_nop 0
	v_mov_b32_e32 v7, v5
	v_pk_add_f32 v[2:3], v[2:3], v[6:7]
	s_waitcnt vmcnt(0)
	v_pk_add_f32 v[2:3], v[36:37], v[2:3] neg_lo:[0,1] neg_hi:[0,1]
	scratch_store_dwordx2 off, v[2:3], off offset:208
	s_and_saveexec_b64 s[0:1], vcc
	s_cbranch_execz .LBB113_263
; %bb.262:
	scratch_load_dwordx2 v[2:3], off, off offset:200
	v_mov_b32_e32 v39, v38
	scratch_store_dwordx2 off, v[38:39], off offset:200
	s_waitcnt vmcnt(1)
	ds_write_b64 v1, v[2:3]
.LBB113_263:
	s_or_b64 exec, exec, s[0:1]
	s_waitcnt lgkmcnt(0)
	; wave barrier
	scratch_load_dwordx4 v[6:9], off, off offset:208
	scratch_load_dwordx4 v[18:21], off, off offset:224
	;; [unrolled: 1-line block ×8, first 2 shown]
	ds_read_b128 v[48:51], v38 offset:608
	ds_read_b128 v[52:55], v38 offset:624
	;; [unrolled: 1-line block ×8, first 2 shown]
	scratch_load_dwordx4 v[80:83], off, off offset:336
	scratch_load_dwordx4 v[26:29], off, off offset:352
	;; [unrolled: 1-line block ×4, first 2 shown]
	scratch_load_dwordx2 v[84:85], off, off offset:200
	v_cmp_lt_u32_e32 vcc, 24, v0
	s_waitcnt vmcnt(12) lgkmcnt(7)
	v_mul_f32_e32 v39, v48, v7
	v_mul_f32_e32 v86, v50, v9
	;; [unrolled: 1-line block ×3, first 2 shown]
	v_fmac_f32_e32 v39, v49, v6
	s_waitcnt vmcnt(8) lgkmcnt(3)
	v_mul_f32_e32 v95, v64, v15
	v_mul_f32_e32 v15, v65, v15
	;; [unrolled: 1-line block ×4, first 2 shown]
	v_fmac_f32_e32 v86, v51, v8
	v_fmac_f32_e32 v95, v65, v14
	v_fma_f32 v6, v48, v6, -v7
	v_fma_f32 v14, v64, v14, -v15
	v_add_f32_e32 v15, 0, v39
	v_mul_f32_e32 v90, v54, v21
	v_fmac_f32_e32 v88, v53, v18
	v_fma_f32 v7, v50, v8, -v9
	v_add_f32_e32 v6, 0, v6
	v_add_f32_e32 v15, v15, v86
	v_mul_f32_e32 v91, v56, v35
	v_fmac_f32_e32 v90, v55, v20
	v_add_f32_e32 v6, v6, v7
	v_add_f32_e32 v7, v15, v88
	v_mul_f32_e32 v92, v58, v37
	v_fmac_f32_e32 v91, v57, v34
	v_add_f32_e32 v7, v7, v90
	v_mul_f32_e32 v93, v60, v41
	v_fmac_f32_e32 v92, v59, v36
	;; [unrolled: 3-line block ×4, first 2 shown]
	v_add_f32_e32 v7, v7, v93
	v_mul_f32_e32 v96, v66, v17
	v_mul_f32_e32 v21, v55, v21
	v_fma_f32 v8, v52, v18, -v19
	v_add_f32_e32 v7, v7, v94
	s_waitcnt vmcnt(7) lgkmcnt(2)
	v_mul_f32_e32 v97, v68, v23
	v_mul_f32_e32 v35, v57, v35
	v_fmac_f32_e32 v96, v67, v16
	v_fma_f32 v9, v54, v20, -v21
	v_add_f32_e32 v6, v6, v8
	v_add_f32_e32 v7, v7, v95
	v_mul_f32_e32 v98, v70, v25
	v_mul_f32_e32 v37, v59, v37
	v_fmac_f32_e32 v97, v69, v22
	v_fma_f32 v18, v56, v34, -v35
	v_add_f32_e32 v6, v6, v9
	v_add_f32_e32 v7, v7, v96
	s_waitcnt vmcnt(6) lgkmcnt(1)
	v_mul_f32_e32 v99, v72, v31
	v_mul_f32_e32 v41, v61, v41
	v_fmac_f32_e32 v98, v71, v24
	v_fma_f32 v19, v58, v36, -v37
	v_add_f32_e32 v6, v6, v18
	v_add_f32_e32 v7, v7, v97
	v_mul_f32_e32 v100, v74, v33
	v_mul_f32_e32 v43, v63, v43
	v_fmac_f32_e32 v99, v73, v30
	v_fma_f32 v20, v60, v40, -v41
	v_add_f32_e32 v6, v6, v19
	v_add_f32_e32 v7, v7, v98
	v_fmac_f32_e32 v100, v75, v32
	v_fma_f32 v21, v62, v42, -v43
	v_add_f32_e32 v6, v6, v20
	v_add_f32_e32 v7, v7, v99
	v_add_f32_e32 v6, v6, v21
	v_add_f32_e32 v35, v7, v100
	v_mul_f32_e32 v7, v67, v17
	v_add_f32_e32 v6, v6, v14
	v_fma_f32 v7, v66, v16, -v7
	v_add_f32_e32 v6, v6, v7
	v_mul_f32_e32 v7, v69, v23
	v_fma_f32 v7, v68, v22, -v7
	v_add_f32_e32 v6, v6, v7
	v_mul_f32_e32 v7, v71, v25
	;; [unrolled: 3-line block ×4, first 2 shown]
	v_fma_f32 v7, v74, v32, -v7
	v_add_f32_e32 v34, v6, v7
	s_waitcnt vmcnt(5) lgkmcnt(0)
	v_mul_f32_e32 v6, v77, v45
	v_fma_f32 v86, v76, v44, -v6
	v_mul_f32_e32 v6, v79, v47
	v_fma_f32 v88, v78, v46, -v6
	ds_read_b128 v[6:9], v38 offset:736
	ds_read_b128 v[14:17], v38 offset:752
	;; [unrolled: 1-line block ×4, first 2 shown]
	v_mul_f32_e32 v87, v76, v45
	v_mul_f32_e32 v89, v78, v47
	v_fmac_f32_e32 v87, v77, v44
	s_waitcnt vmcnt(4) lgkmcnt(3)
	v_pk_mul_f32 v[32:33], v[6:7], v[80:81] op_sel:[1,1] op_sel_hi:[0,1]
	v_fmac_f32_e32 v89, v79, v46
	v_pk_add_f32 v[30:31], v[34:35], v[86:87]
	v_pk_fma_f32 v[34:35], v[6:7], v[80:81], v[32:33] neg_lo:[0,0,1] neg_hi:[0,0,1]
	v_pk_fma_f32 v[6:7], v[6:7], v[80:81], v[32:33] op_sel_hi:[1,0,1]
	v_pk_add_f32 v[30:31], v[30:31], v[88:89]
	v_mov_b32_e32 v35, v7
	v_pk_add_f32 v[6:7], v[30:31], v[34:35]
	v_mov_b32_e32 v30, v83
	v_pk_mul_f32 v[30:31], v[8:9], v[30:31] op_sel:[1,0] op_sel_hi:[0,0]
	v_pk_fma_f32 v[32:33], v[8:9], v[82:83], v[30:31] neg_lo:[0,0,1] neg_hi:[0,0,1]
	v_pk_fma_f32 v[8:9], v[8:9], v[82:83], v[30:31] op_sel_hi:[1,0,1]
	s_nop 0
	v_mov_b32_e32 v33, v9
	s_waitcnt vmcnt(3) lgkmcnt(2)
	v_pk_mul_f32 v[8:9], v[14:15], v[26:27] op_sel:[1,1] op_sel_hi:[0,1]
	v_pk_fma_f32 v[30:31], v[14:15], v[26:27], v[8:9] neg_lo:[0,0,1] neg_hi:[0,0,1]
	v_pk_fma_f32 v[8:9], v[14:15], v[26:27], v[8:9] op_sel_hi:[1,0,1]
	v_pk_add_f32 v[6:7], v[6:7], v[32:33]
	v_mov_b32_e32 v8, v29
	v_mov_b32_e32 v31, v9
	v_pk_mul_f32 v[8:9], v[16:17], v[8:9] op_sel:[1,0] op_sel_hi:[0,0]
	v_pk_fma_f32 v[14:15], v[16:17], v[28:29], v[8:9] neg_lo:[0,0,1] neg_hi:[0,0,1]
	v_pk_fma_f32 v[8:9], v[16:17], v[28:29], v[8:9] op_sel_hi:[1,0,1]
	v_pk_add_f32 v[6:7], v[6:7], v[30:31]
	v_mov_b32_e32 v15, v9
	s_waitcnt vmcnt(2) lgkmcnt(1)
	v_pk_mul_f32 v[8:9], v[18:19], v[10:11] op_sel:[1,1] op_sel_hi:[0,1]
	v_pk_add_f32 v[6:7], v[6:7], v[14:15]
	v_pk_fma_f32 v[14:15], v[18:19], v[10:11], v[8:9] neg_lo:[0,0,1] neg_hi:[0,0,1]
	v_pk_fma_f32 v[8:9], v[18:19], v[10:11], v[8:9] op_sel_hi:[1,0,1]
	s_nop 0
	v_mov_b32_e32 v8, v13
	v_mov_b32_e32 v15, v9
	v_pk_mul_f32 v[8:9], v[20:21], v[8:9] op_sel:[1,0] op_sel_hi:[0,0]
	v_pk_fma_f32 v[10:11], v[20:21], v[12:13], v[8:9] neg_lo:[0,0,1] neg_hi:[0,0,1]
	v_pk_fma_f32 v[8:9], v[20:21], v[12:13], v[8:9] op_sel_hi:[1,0,1]
	v_pk_add_f32 v[6:7], v[6:7], v[14:15]
	v_mov_b32_e32 v11, v9
	s_waitcnt vmcnt(1) lgkmcnt(0)
	v_pk_mul_f32 v[8:9], v[22:23], v[2:3] op_sel:[1,1] op_sel_hi:[0,1]
	v_pk_add_f32 v[6:7], v[6:7], v[10:11]
	v_pk_fma_f32 v[10:11], v[22:23], v[2:3], v[8:9] neg_lo:[0,0,1] neg_hi:[0,0,1]
	v_pk_fma_f32 v[2:3], v[22:23], v[2:3], v[8:9] op_sel_hi:[1,0,1]
	s_nop 0
	v_mov_b32_e32 v11, v3
	v_pk_add_f32 v[2:3], v[6:7], v[10:11]
	v_mov_b32_e32 v6, v5
	v_pk_mul_f32 v[6:7], v[24:25], v[6:7] op_sel:[1,0] op_sel_hi:[0,0]
	v_pk_fma_f32 v[8:9], v[24:25], v[4:5], v[6:7] neg_lo:[0,0,1] neg_hi:[0,0,1]
	v_pk_fma_f32 v[4:5], v[24:25], v[4:5], v[6:7] op_sel_hi:[1,0,1]
	s_nop 0
	v_mov_b32_e32 v9, v5
	v_pk_add_f32 v[2:3], v[2:3], v[8:9]
	s_waitcnt vmcnt(0)
	v_pk_add_f32 v[2:3], v[84:85], v[2:3] neg_lo:[0,1] neg_hi:[0,1]
	scratch_store_dwordx2 off, v[2:3], off offset:200
	s_and_saveexec_b64 s[0:1], vcc
	s_cbranch_execz .LBB113_265
; %bb.264:
	scratch_load_dwordx2 v[2:3], off, off offset:192
	v_mov_b32_e32 v4, 0
	v_mov_b32_e32 v5, v4
	scratch_store_dwordx2 off, v[4:5], off offset:192
	s_waitcnt vmcnt(1)
	ds_write_b64 v1, v[2:3]
.LBB113_265:
	s_or_b64 exec, exec, s[0:1]
	s_waitcnt lgkmcnt(0)
	; wave barrier
	scratch_load_dwordx4 v[2:5], off, off offset:200
	scratch_load_dwordx4 v[22:25], off, off offset:216
	;; [unrolled: 1-line block ×12, first 2 shown]
	scratch_load_dwordx2 v[50:51], off, off offset:392
	scratch_load_dwordx2 v[56:57], off, off offset:192
	v_mov_b32_e32 v58, 0
	ds_read2_b64 v[52:55], v58 offset0:75 offset1:76
	ds_read2_b64 v[60:63], v58 offset0:77 offset1:78
	;; [unrolled: 1-line block ×10, first 2 shown]
	v_cmp_lt_u32_e32 vcc, 23, v0
	s_waitcnt vmcnt(13) lgkmcnt(9)
	v_mul_f32_e32 v59, v52, v3
	v_mul_f32_e32 v96, v54, v5
	;; [unrolled: 1-line block ×3, first 2 shown]
	s_waitcnt vmcnt(10) lgkmcnt(6)
	v_mul_f32_e32 v103, v68, v11
	v_mul_f32_e32 v11, v69, v11
	v_fmac_f32_e32 v59, v53, v2
	v_mul_f32_e32 v98, v60, v23
	v_mul_f32_e32 v5, v55, v5
	v_fmac_f32_e32 v96, v55, v4
	v_fmac_f32_e32 v103, v69, v10
	v_fma_f32 v2, v52, v2, -v3
	v_fma_f32 v10, v68, v10, -v11
	v_add_f32_e32 v11, 0, v59
	v_mul_f32_e32 v100, v62, v25
	v_fmac_f32_e32 v98, v61, v22
	v_fma_f32 v3, v54, v4, -v5
	v_add_f32_e32 v2, 0, v2
	v_add_f32_e32 v11, v11, v96
	v_mul_f32_e32 v101, v64, v39
	v_fmac_f32_e32 v100, v63, v24
	v_add_f32_e32 v2, v2, v3
	v_add_f32_e32 v3, v11, v98
	v_mul_f32_e32 v102, v66, v41
	v_fmac_f32_e32 v101, v65, v38
	v_add_f32_e32 v3, v3, v100
	v_fmac_f32_e32 v102, v67, v40
	v_add_f32_e32 v3, v3, v101
	v_mul_f32_e32 v104, v70, v13
	v_add_f32_e32 v3, v3, v102
	s_waitcnt vmcnt(9) lgkmcnt(5)
	v_mul_f32_e32 v105, v72, v15
	v_fmac_f32_e32 v104, v71, v12
	v_add_f32_e32 v3, v3, v103
	v_mul_f32_e32 v106, v74, v17
	v_fmac_f32_e32 v105, v73, v14
	v_add_f32_e32 v3, v3, v104
	s_waitcnt vmcnt(8) lgkmcnt(4)
	v_mul_f32_e32 v107, v76, v27
	v_fmac_f32_e32 v106, v75, v16
	v_add_f32_e32 v3, v3, v105
	v_mul_f32_e32 v108, v78, v29
	v_mul_f32_e32 v23, v61, v23
	v_fmac_f32_e32 v107, v77, v26
	v_add_f32_e32 v3, v3, v106
	s_waitcnt vmcnt(7) lgkmcnt(3)
	v_mul_f32_e32 v109, v80, v31
	v_mul_f32_e32 v25, v63, v25
	v_fmac_f32_e32 v108, v79, v28
	v_fma_f32 v4, v60, v22, -v23
	v_add_f32_e32 v3, v3, v107
	v_mul_f32_e32 v110, v82, v33
	v_mul_f32_e32 v39, v65, v39
	v_fmac_f32_e32 v109, v81, v30
	v_fma_f32 v5, v62, v24, -v25
	v_add_f32_e32 v2, v2, v4
	v_add_f32_e32 v3, v3, v108
	s_waitcnt vmcnt(6) lgkmcnt(2)
	v_mul_f32_e32 v111, v84, v43
	v_mul_f32_e32 v41, v67, v41
	v_fmac_f32_e32 v110, v83, v32
	v_fma_f32 v22, v64, v38, -v39
	v_add_f32_e32 v2, v2, v5
	v_add_f32_e32 v3, v3, v109
	v_fmac_f32_e32 v111, v85, v42
	v_fma_f32 v23, v66, v40, -v41
	v_add_f32_e32 v2, v2, v22
	v_add_f32_e32 v3, v3, v110
	v_add_f32_e32 v2, v2, v23
	v_add_f32_e32 v23, v3, v111
	v_mul_f32_e32 v3, v71, v13
	v_add_f32_e32 v2, v2, v10
	v_fma_f32 v3, v70, v12, -v3
	v_add_f32_e32 v2, v2, v3
	v_mul_f32_e32 v3, v73, v15
	v_fma_f32 v3, v72, v14, -v3
	v_add_f32_e32 v2, v2, v3
	v_mul_f32_e32 v3, v75, v17
	;; [unrolled: 3-line block ×7, first 2 shown]
	v_fma_f32 v3, v84, v42, -v3
	v_mul_f32_e32 v97, v86, v45
	v_add_f32_e32 v22, v2, v3
	v_mul_f32_e32 v2, v87, v45
	v_fmac_f32_e32 v97, v87, v44
	v_fma_f32 v96, v86, v44, -v2
	v_pk_add_f32 v[16:17], v[22:23], v[96:97]
	s_waitcnt vmcnt(5)
	v_mov_b32_e32 v22, v49
	s_waitcnt lgkmcnt(1)
	v_mul_f32_e32 v99, v88, v47
	v_mul_f32_e32 v2, v89, v47
	v_pk_mul_f32 v[22:23], v[90:91], v[22:23] op_sel:[1,0] op_sel_hi:[0,0]
	v_fmac_f32_e32 v99, v89, v46
	v_fma_f32 v98, v88, v46, -v2
	v_pk_fma_f32 v[24:25], v[90:91], v[48:49], v[22:23] neg_lo:[0,0,1] neg_hi:[0,0,1]
	v_pk_fma_f32 v[22:23], v[90:91], v[48:49], v[22:23] op_sel_hi:[1,0,1]
	v_pk_add_f32 v[16:17], v[16:17], v[98:99]
	v_mov_b32_e32 v25, v23
	s_waitcnt vmcnt(4) lgkmcnt(0)
	v_pk_mul_f32 v[22:23], v[92:93], v[34:35] op_sel:[1,1] op_sel_hi:[0,1]
	v_pk_add_f32 v[16:17], v[16:17], v[24:25]
	v_pk_fma_f32 v[24:25], v[92:93], v[34:35], v[22:23] neg_lo:[0,0,1] neg_hi:[0,0,1]
	v_pk_fma_f32 v[22:23], v[92:93], v[34:35], v[22:23] op_sel_hi:[1,0,1]
	ds_read2_b64 v[2:5], v58 offset0:95 offset1:96
	ds_read2_b64 v[10:13], v58 offset0:97 offset1:98
	ds_read_b64 v[14:15], v58 offset:792
	v_mov_b32_e32 v22, v37
	v_mov_b32_e32 v25, v23
	v_pk_mul_f32 v[22:23], v[94:95], v[22:23] op_sel:[1,0] op_sel_hi:[0,0]
	v_pk_add_f32 v[16:17], v[16:17], v[24:25]
	v_pk_fma_f32 v[24:25], v[94:95], v[36:37], v[22:23] neg_lo:[0,0,1] neg_hi:[0,0,1]
	v_pk_fma_f32 v[22:23], v[94:95], v[36:37], v[22:23] op_sel_hi:[1,0,1]
	s_nop 0
	v_mov_b32_e32 v25, v23
	s_waitcnt vmcnt(3) lgkmcnt(2)
	v_pk_mul_f32 v[22:23], v[2:3], v[18:19] op_sel:[1,1] op_sel_hi:[0,1]
	v_pk_add_f32 v[16:17], v[16:17], v[24:25]
	v_pk_fma_f32 v[24:25], v[2:3], v[18:19], v[22:23] neg_lo:[0,0,1] neg_hi:[0,0,1]
	v_pk_fma_f32 v[2:3], v[2:3], v[18:19], v[22:23] op_sel_hi:[1,0,1]
	s_nop 0
	v_mov_b32_e32 v25, v3
	v_pk_add_f32 v[2:3], v[16:17], v[24:25]
	v_mov_b32_e32 v16, v21
	v_pk_mul_f32 v[16:17], v[4:5], v[16:17] op_sel:[1,0] op_sel_hi:[0,0]
	v_pk_fma_f32 v[18:19], v[4:5], v[20:21], v[16:17] neg_lo:[0,0,1] neg_hi:[0,0,1]
	v_pk_fma_f32 v[4:5], v[4:5], v[20:21], v[16:17] op_sel_hi:[1,0,1]
	s_nop 0
	v_mov_b32_e32 v19, v5
	s_waitcnt vmcnt(2) lgkmcnt(1)
	v_pk_mul_f32 v[4:5], v[10:11], v[6:7] op_sel:[1,1] op_sel_hi:[0,1]
	v_pk_fma_f32 v[16:17], v[10:11], v[6:7], v[4:5] neg_lo:[0,0,1] neg_hi:[0,0,1]
	v_pk_fma_f32 v[4:5], v[10:11], v[6:7], v[4:5] op_sel_hi:[1,0,1]
	v_pk_add_f32 v[2:3], v[2:3], v[18:19]
	v_mov_b32_e32 v4, v9
	v_mov_b32_e32 v17, v5
	v_pk_mul_f32 v[4:5], v[12:13], v[4:5] op_sel:[1,0] op_sel_hi:[0,0]
	v_pk_fma_f32 v[6:7], v[12:13], v[8:9], v[4:5] neg_lo:[0,0,1] neg_hi:[0,0,1]
	v_pk_fma_f32 v[4:5], v[12:13], v[8:9], v[4:5] op_sel_hi:[1,0,1]
	v_pk_add_f32 v[2:3], v[2:3], v[16:17]
	v_mov_b32_e32 v7, v5
	s_waitcnt vmcnt(1) lgkmcnt(0)
	v_pk_mul_f32 v[4:5], v[14:15], v[50:51] op_sel:[1,1] op_sel_hi:[0,1]
	v_pk_add_f32 v[2:3], v[2:3], v[6:7]
	v_pk_fma_f32 v[6:7], v[14:15], v[50:51], v[4:5] neg_lo:[0,0,1] neg_hi:[0,0,1]
	v_pk_fma_f32 v[4:5], v[14:15], v[50:51], v[4:5] op_sel_hi:[1,0,1]
	s_nop 0
	v_mov_b32_e32 v7, v5
	v_pk_add_f32 v[2:3], v[2:3], v[6:7]
	s_waitcnt vmcnt(0)
	v_pk_add_f32 v[2:3], v[56:57], v[2:3] neg_lo:[0,1] neg_hi:[0,1]
	scratch_store_dwordx2 off, v[2:3], off offset:192
	s_and_saveexec_b64 s[0:1], vcc
	s_cbranch_execz .LBB113_267
; %bb.266:
	scratch_load_dwordx2 v[2:3], off, off offset:184
	v_mov_b32_e32 v59, v58
	scratch_store_dwordx2 off, v[58:59], off offset:184
	s_waitcnt vmcnt(1)
	ds_write_b64 v1, v[2:3]
.LBB113_267:
	s_or_b64 exec, exec, s[0:1]
	s_waitcnt lgkmcnt(0)
	; wave barrier
	scratch_load_dwordx4 v[10:13], off, off offset:192
	scratch_load_dwordx4 v[26:29], off, off offset:208
	;; [unrolled: 1-line block ×9, first 2 shown]
	ds_read_b128 v[60:63], v58 offset:592
	ds_read_b128 v[64:67], v58 offset:608
	;; [unrolled: 1-line block ×8, first 2 shown]
	scratch_load_dwordx4 v[50:53], off, off offset:336
	scratch_load_dwordx4 v[34:37], off, off offset:352
	scratch_load_dwordx4 v[22:25], off, off offset:368
	scratch_load_dwordx4 v[6:9], off, off offset:384
	ds_read_b128 v[88:91], v58 offset:720
	ds_read_b128 v[92:95], v58 offset:736
	scratch_load_dwordx2 v[96:97], off, off offset:184
	v_cmp_lt_u32_e32 vcc, 22, v0
	s_waitcnt vmcnt(13) lgkmcnt(9)
	v_mul_f32_e32 v59, v60, v11
	v_mul_f32_e32 v98, v62, v13
	v_fmac_f32_e32 v59, v61, v10
	s_waitcnt vmcnt(10) lgkmcnt(6)
	v_mul_f32_e32 v105, v72, v3
	v_mul_f32_e32 v3, v73, v3
	;; [unrolled: 1-line block ×3, first 2 shown]
	v_fmac_f32_e32 v98, v63, v12
	v_fmac_f32_e32 v105, v73, v2
	v_fma_f32 v2, v72, v2, -v3
	v_add_f32_e32 v3, 0, v59
	v_mul_f32_e32 v102, v66, v29
	v_fmac_f32_e32 v100, v65, v26
	v_add_f32_e32 v3, v3, v98
	v_mul_f32_e32 v103, v68, v43
	v_fmac_f32_e32 v102, v67, v28
	;; [unrolled: 3-line block ×3, first 2 shown]
	v_add_f32_e32 v3, v3, v102
	v_fmac_f32_e32 v104, v71, v44
	v_add_f32_e32 v3, v3, v103
	v_mul_f32_e32 v106, v74, v5
	v_add_f32_e32 v3, v3, v104
	s_waitcnt vmcnt(9) lgkmcnt(5)
	v_mul_f32_e32 v107, v76, v15
	v_fmac_f32_e32 v106, v75, v4
	v_add_f32_e32 v3, v3, v105
	v_mul_f32_e32 v108, v78, v17
	v_fmac_f32_e32 v107, v77, v14
	v_add_f32_e32 v3, v3, v106
	s_waitcnt vmcnt(8) lgkmcnt(4)
	v_mul_f32_e32 v109, v80, v19
	v_mul_f32_e32 v11, v61, v11
	v_fmac_f32_e32 v108, v79, v16
	v_add_f32_e32 v3, v3, v107
	v_mul_f32_e32 v110, v82, v21
	v_mul_f32_e32 v13, v63, v13
	v_fmac_f32_e32 v109, v81, v18
	v_fma_f32 v10, v60, v10, -v11
	v_add_f32_e32 v3, v3, v108
	s_waitcnt vmcnt(7) lgkmcnt(3)
	v_mul_f32_e32 v111, v84, v31
	v_mul_f32_e32 v27, v65, v27
	v_fmac_f32_e32 v110, v83, v20
	v_fma_f32 v11, v62, v12, -v13
	v_add_f32_e32 v10, 0, v10
	v_add_f32_e32 v3, v3, v109
	v_mul_f32_e32 v112, v86, v33
	v_mul_f32_e32 v29, v67, v29
	v_fmac_f32_e32 v111, v85, v30
	v_fma_f32 v12, v64, v26, -v27
	v_add_f32_e32 v10, v10, v11
	v_add_f32_e32 v3, v3, v110
	s_waitcnt vmcnt(6) lgkmcnt(2)
	v_mul_f32_e32 v113, v54, v39
	v_mul_f32_e32 v43, v69, v43
	v_fmac_f32_e32 v112, v87, v32
	v_fma_f32 v13, v66, v28, -v29
	v_add_f32_e32 v10, v10, v12
	v_add_f32_e32 v3, v3, v111
	v_mul_f32_e32 v114, v56, v41
	v_mul_f32_e32 v45, v71, v45
	v_fmac_f32_e32 v113, v55, v38
	v_fma_f32 v26, v68, v42, -v43
	v_add_f32_e32 v10, v10, v13
	v_add_f32_e32 v3, v3, v112
	v_fmac_f32_e32 v114, v57, v40
	v_fma_f32 v27, v70, v44, -v45
	v_add_f32_e32 v10, v10, v26
	v_add_f32_e32 v3, v3, v113
	;; [unrolled: 1-line block ×4, first 2 shown]
	v_mul_f32_e32 v3, v75, v5
	v_add_f32_e32 v2, v10, v2
	v_fma_f32 v3, v74, v4, -v3
	v_add_f32_e32 v2, v2, v3
	v_mul_f32_e32 v3, v77, v15
	v_fma_f32 v3, v76, v14, -v3
	v_add_f32_e32 v2, v2, v3
	v_mul_f32_e32 v3, v79, v17
	;; [unrolled: 3-line block ×8, first 2 shown]
	v_fma_f32 v3, v56, v40, -v3
	s_waitcnt vmcnt(5) lgkmcnt(1)
	v_mul_f32_e32 v99, v88, v47
	v_add_f32_e32 v26, v2, v3
	v_mul_f32_e32 v2, v89, v47
	v_fmac_f32_e32 v99, v89, v46
	v_fma_f32 v98, v88, v46, -v2
	s_waitcnt vmcnt(4) lgkmcnt(0)
	v_pk_mul_f32 v[20:21], v[92:93], v[50:51] op_sel:[1,1] op_sel_hi:[0,1]
	v_mul_f32_e32 v101, v90, v49
	v_mul_f32_e32 v2, v91, v49
	v_pk_add_f32 v[18:19], v[26:27], v[98:99]
	v_pk_fma_f32 v[26:27], v[92:93], v[50:51], v[20:21] neg_lo:[0,0,1] neg_hi:[0,0,1]
	v_pk_fma_f32 v[20:21], v[92:93], v[50:51], v[20:21] op_sel_hi:[1,0,1]
	v_fmac_f32_e32 v101, v91, v48
	v_fma_f32 v100, v90, v48, -v2
	ds_read_b128 v[2:5], v58 offset:752
	ds_read_b128 v[10:13], v58 offset:768
	;; [unrolled: 1-line block ×3, first 2 shown]
	v_mov_b32_e32 v20, v53
	v_pk_add_f32 v[18:19], v[18:19], v[100:101]
	v_mov_b32_e32 v27, v21
	v_pk_mul_f32 v[20:21], v[94:95], v[20:21] op_sel:[1,0] op_sel_hi:[0,0]
	v_pk_add_f32 v[18:19], v[18:19], v[26:27]
	v_pk_fma_f32 v[26:27], v[94:95], v[52:53], v[20:21] neg_lo:[0,0,1] neg_hi:[0,0,1]
	v_pk_fma_f32 v[20:21], v[94:95], v[52:53], v[20:21] op_sel_hi:[1,0,1]
	s_nop 0
	v_mov_b32_e32 v27, v21
	s_waitcnt vmcnt(3) lgkmcnt(2)
	v_pk_mul_f32 v[20:21], v[2:3], v[34:35] op_sel:[1,1] op_sel_hi:[0,1]
	v_pk_add_f32 v[18:19], v[18:19], v[26:27]
	v_pk_fma_f32 v[26:27], v[2:3], v[34:35], v[20:21] neg_lo:[0,0,1] neg_hi:[0,0,1]
	v_pk_fma_f32 v[2:3], v[2:3], v[34:35], v[20:21] op_sel_hi:[1,0,1]
	s_nop 0
	v_mov_b32_e32 v27, v3
	v_pk_add_f32 v[2:3], v[18:19], v[26:27]
	v_mov_b32_e32 v18, v37
	v_pk_mul_f32 v[18:19], v[4:5], v[18:19] op_sel:[1,0] op_sel_hi:[0,0]
	v_pk_fma_f32 v[20:21], v[4:5], v[36:37], v[18:19] neg_lo:[0,0,1] neg_hi:[0,0,1]
	v_pk_fma_f32 v[4:5], v[4:5], v[36:37], v[18:19] op_sel_hi:[1,0,1]
	s_nop 0
	v_mov_b32_e32 v21, v5
	s_waitcnt vmcnt(2) lgkmcnt(1)
	v_pk_mul_f32 v[4:5], v[10:11], v[22:23] op_sel:[1,1] op_sel_hi:[0,1]
	v_pk_fma_f32 v[18:19], v[10:11], v[22:23], v[4:5] neg_lo:[0,0,1] neg_hi:[0,0,1]
	v_pk_fma_f32 v[4:5], v[10:11], v[22:23], v[4:5] op_sel_hi:[1,0,1]
	v_pk_add_f32 v[2:3], v[2:3], v[20:21]
	v_mov_b32_e32 v4, v25
	v_mov_b32_e32 v19, v5
	v_pk_mul_f32 v[4:5], v[12:13], v[4:5] op_sel:[1,0] op_sel_hi:[0,0]
	v_pk_fma_f32 v[10:11], v[12:13], v[24:25], v[4:5] neg_lo:[0,0,1] neg_hi:[0,0,1]
	v_pk_fma_f32 v[4:5], v[12:13], v[24:25], v[4:5] op_sel_hi:[1,0,1]
	v_pk_add_f32 v[2:3], v[2:3], v[18:19]
	v_mov_b32_e32 v11, v5
	s_waitcnt vmcnt(1) lgkmcnt(0)
	v_pk_mul_f32 v[4:5], v[14:15], v[6:7] op_sel:[1,1] op_sel_hi:[0,1]
	v_pk_add_f32 v[2:3], v[2:3], v[10:11]
	v_pk_fma_f32 v[10:11], v[14:15], v[6:7], v[4:5] neg_lo:[0,0,1] neg_hi:[0,0,1]
	v_pk_fma_f32 v[4:5], v[14:15], v[6:7], v[4:5] op_sel_hi:[1,0,1]
	s_nop 0
	v_mov_b32_e32 v4, v9
	v_mov_b32_e32 v11, v5
	v_pk_mul_f32 v[4:5], v[16:17], v[4:5] op_sel:[1,0] op_sel_hi:[0,0]
	v_pk_fma_f32 v[6:7], v[16:17], v[8:9], v[4:5] neg_lo:[0,0,1] neg_hi:[0,0,1]
	v_pk_fma_f32 v[4:5], v[16:17], v[8:9], v[4:5] op_sel_hi:[1,0,1]
	v_pk_add_f32 v[2:3], v[2:3], v[10:11]
	v_mov_b32_e32 v7, v5
	v_pk_add_f32 v[2:3], v[2:3], v[6:7]
	s_waitcnt vmcnt(0)
	v_pk_add_f32 v[2:3], v[96:97], v[2:3] neg_lo:[0,1] neg_hi:[0,1]
	scratch_store_dwordx2 off, v[2:3], off offset:184
	s_and_saveexec_b64 s[0:1], vcc
	s_cbranch_execz .LBB113_269
; %bb.268:
	scratch_load_dwordx2 v[2:3], off, off offset:176
	v_mov_b32_e32 v4, 0
	v_mov_b32_e32 v5, v4
	scratch_store_dwordx2 off, v[4:5], off offset:176
	s_waitcnt vmcnt(1)
	ds_write_b64 v1, v[2:3]
.LBB113_269:
	s_or_b64 exec, exec, s[0:1]
	s_waitcnt lgkmcnt(0)
	; wave barrier
	scratch_load_dwordx4 v[10:13], off, off offset:184
	scratch_load_dwordx4 v[30:33], off, off offset:200
	;; [unrolled: 1-line block ×13, first 2 shown]
	scratch_load_dwordx2 v[54:55], off, off offset:392
	scratch_load_dwordx2 v[80:81], off, off offset:176
	v_mov_b32_e32 v82, 0
	ds_read2_b64 v[56:59], v82 offset0:73 offset1:74
	ds_read2_b64 v[60:63], v82 offset0:75 offset1:76
	;; [unrolled: 1-line block ×10, first 2 shown]
	v_cmp_lt_u32_e32 vcc, 21, v0
	s_waitcnt vmcnt(14) lgkmcnt(9)
	v_mul_f32_e32 v83, v56, v11
	v_mul_f32_e32 v100, v58, v13
	s_waitcnt vmcnt(12) lgkmcnt(7)
	v_mul_f32_e32 v105, v64, v3
	v_mul_f32_e32 v3, v65, v3
	v_fmac_f32_e32 v83, v57, v10
	v_mul_f32_e32 v102, v60, v31
	v_fmac_f32_e32 v100, v59, v12
	v_fmac_f32_e32 v105, v65, v2
	v_fma_f32 v2, v64, v2, -v3
	v_add_f32_e32 v3, 0, v83
	v_mul_f32_e32 v104, v62, v33
	v_fmac_f32_e32 v102, v61, v30
	v_add_f32_e32 v3, v3, v100
	v_fmac_f32_e32 v104, v63, v32
	v_add_f32_e32 v3, v3, v102
	v_mul_f32_e32 v106, v66, v5
	v_add_f32_e32 v3, v3, v104
	s_waitcnt vmcnt(11) lgkmcnt(6)
	v_mul_f32_e32 v107, v68, v7
	v_fmac_f32_e32 v106, v67, v4
	v_add_f32_e32 v3, v3, v105
	v_mul_f32_e32 v108, v70, v9
	v_fmac_f32_e32 v107, v69, v6
	v_add_f32_e32 v3, v3, v106
	s_waitcnt vmcnt(10) lgkmcnt(5)
	v_mul_f32_e32 v109, v72, v19
	v_fmac_f32_e32 v108, v71, v8
	v_add_f32_e32 v3, v3, v107
	v_mul_f32_e32 v110, v74, v21
	v_fmac_f32_e32 v109, v73, v18
	;; [unrolled: 7-line block ×3, first 2 shown]
	v_add_f32_e32 v3, v3, v110
	s_waitcnt vmcnt(8) lgkmcnt(3)
	v_mul_f32_e32 v113, v84, v35
	v_mul_f32_e32 v11, v57, v11
	v_fmac_f32_e32 v112, v79, v24
	v_add_f32_e32 v3, v3, v111
	v_mul_f32_e32 v114, v86, v37
	v_mul_f32_e32 v13, v59, v13
	v_fmac_f32_e32 v113, v85, v34
	v_fma_f32 v10, v56, v10, -v11
	v_add_f32_e32 v3, v3, v112
	s_waitcnt vmcnt(7) lgkmcnt(2)
	v_mul_f32_e32 v115, v88, v39
	v_mul_f32_e32 v31, v61, v31
	v_fmac_f32_e32 v114, v87, v36
	v_fma_f32 v11, v58, v12, -v13
	v_add_f32_e32 v10, 0, v10
	v_add_f32_e32 v3, v3, v113
	v_mul_f32_e32 v116, v90, v41
	v_mul_f32_e32 v33, v63, v33
	v_fmac_f32_e32 v115, v89, v38
	v_fma_f32 v12, v60, v30, -v31
	v_add_f32_e32 v10, v10, v11
	v_add_f32_e32 v3, v3, v114
	s_waitcnt vmcnt(6) lgkmcnt(1)
	v_mul_f32_e32 v117, v92, v51
	v_fmac_f32_e32 v116, v91, v40
	v_fma_f32 v13, v62, v32, -v33
	v_add_f32_e32 v10, v10, v12
	v_add_f32_e32 v3, v3, v115
	v_mul_f32_e32 v5, v67, v5
	v_fmac_f32_e32 v117, v93, v50
	v_add_f32_e32 v10, v10, v13
	v_add_f32_e32 v3, v3, v116
	;; [unrolled: 1-line block ×4, first 2 shown]
	v_fma_f32 v3, v66, v4, -v5
	v_add_f32_e32 v2, v2, v3
	v_mul_f32_e32 v3, v69, v7
	v_fma_f32 v3, v68, v6, -v3
	v_add_f32_e32 v2, v2, v3
	v_mul_f32_e32 v3, v71, v9
	;; [unrolled: 3-line block ×12, first 2 shown]
	v_mul_f32_e32 v101, v94, v53
	v_fma_f32 v100, v94, v52, -v2
	s_waitcnt vmcnt(5) lgkmcnt(0)
	v_mul_f32_e32 v2, v97, v47
	v_mov_b32_e32 v22, v49
	v_mul_f32_e32 v103, v96, v47
	v_fmac_f32_e32 v101, v95, v52
	v_fma_f32 v102, v96, v46, -v2
	ds_read2_b64 v[2:5], v82 offset0:93 offset1:94
	ds_read2_b64 v[6:9], v82 offset0:95 offset1:96
	;; [unrolled: 1-line block ×3, first 2 shown]
	ds_read_b64 v[18:19], v82 offset:792
	v_pk_mul_f32 v[22:23], v[98:99], v[22:23] op_sel:[1,0] op_sel_hi:[0,0]
	v_fmac_f32_e32 v103, v97, v46
	v_pk_add_f32 v[20:21], v[30:31], v[100:101]
	v_pk_fma_f32 v[24:25], v[98:99], v[48:49], v[22:23] neg_lo:[0,0,1] neg_hi:[0,0,1]
	v_pk_fma_f32 v[22:23], v[98:99], v[48:49], v[22:23] op_sel_hi:[1,0,1]
	v_pk_add_f32 v[20:21], v[20:21], v[102:103]
	v_mov_b32_e32 v25, v23
	s_waitcnt vmcnt(4) lgkmcnt(3)
	v_pk_mul_f32 v[22:23], v[2:3], v[42:43] op_sel:[1,1] op_sel_hi:[0,1]
	v_pk_add_f32 v[20:21], v[20:21], v[24:25]
	v_pk_fma_f32 v[24:25], v[2:3], v[42:43], v[22:23] neg_lo:[0,0,1] neg_hi:[0,0,1]
	v_pk_fma_f32 v[2:3], v[2:3], v[42:43], v[22:23] op_sel_hi:[1,0,1]
	s_nop 0
	v_mov_b32_e32 v25, v3
	v_pk_add_f32 v[2:3], v[20:21], v[24:25]
	v_mov_b32_e32 v20, v45
	v_pk_mul_f32 v[20:21], v[4:5], v[20:21] op_sel:[1,0] op_sel_hi:[0,0]
	v_pk_fma_f32 v[22:23], v[4:5], v[44:45], v[20:21] neg_lo:[0,0,1] neg_hi:[0,0,1]
	v_pk_fma_f32 v[4:5], v[4:5], v[44:45], v[20:21] op_sel_hi:[1,0,1]
	s_nop 0
	v_mov_b32_e32 v23, v5
	s_waitcnt vmcnt(3) lgkmcnt(2)
	v_pk_mul_f32 v[4:5], v[6:7], v[26:27] op_sel:[1,1] op_sel_hi:[0,1]
	v_pk_fma_f32 v[20:21], v[6:7], v[26:27], v[4:5] neg_lo:[0,0,1] neg_hi:[0,0,1]
	v_pk_fma_f32 v[4:5], v[6:7], v[26:27], v[4:5] op_sel_hi:[1,0,1]
	v_pk_add_f32 v[2:3], v[2:3], v[22:23]
	v_mov_b32_e32 v4, v29
	v_mov_b32_e32 v21, v5
	v_pk_mul_f32 v[4:5], v[8:9], v[4:5] op_sel:[1,0] op_sel_hi:[0,0]
	v_pk_fma_f32 v[6:7], v[8:9], v[28:29], v[4:5] neg_lo:[0,0,1] neg_hi:[0,0,1]
	v_pk_fma_f32 v[4:5], v[8:9], v[28:29], v[4:5] op_sel_hi:[1,0,1]
	v_pk_add_f32 v[2:3], v[2:3], v[20:21]
	v_mov_b32_e32 v7, v5
	s_waitcnt vmcnt(2) lgkmcnt(1)
	v_pk_mul_f32 v[4:5], v[10:11], v[14:15] op_sel:[1,1] op_sel_hi:[0,1]
	v_pk_add_f32 v[2:3], v[2:3], v[6:7]
	v_pk_fma_f32 v[6:7], v[10:11], v[14:15], v[4:5] neg_lo:[0,0,1] neg_hi:[0,0,1]
	v_pk_fma_f32 v[4:5], v[10:11], v[14:15], v[4:5] op_sel_hi:[1,0,1]
	s_nop 0
	v_mov_b32_e32 v4, v17
	v_mov_b32_e32 v7, v5
	v_pk_mul_f32 v[4:5], v[12:13], v[4:5] op_sel:[1,0] op_sel_hi:[0,0]
	v_pk_add_f32 v[2:3], v[2:3], v[6:7]
	v_pk_fma_f32 v[6:7], v[12:13], v[16:17], v[4:5] neg_lo:[0,0,1] neg_hi:[0,0,1]
	v_pk_fma_f32 v[4:5], v[12:13], v[16:17], v[4:5] op_sel_hi:[1,0,1]
	s_nop 0
	v_mov_b32_e32 v7, v5
	s_waitcnt vmcnt(1) lgkmcnt(0)
	v_pk_mul_f32 v[4:5], v[18:19], v[54:55] op_sel:[1,1] op_sel_hi:[0,1]
	v_pk_add_f32 v[2:3], v[2:3], v[6:7]
	v_pk_fma_f32 v[6:7], v[18:19], v[54:55], v[4:5] neg_lo:[0,0,1] neg_hi:[0,0,1]
	v_pk_fma_f32 v[4:5], v[18:19], v[54:55], v[4:5] op_sel_hi:[1,0,1]
	s_nop 0
	v_mov_b32_e32 v7, v5
	v_pk_add_f32 v[2:3], v[2:3], v[6:7]
	s_waitcnt vmcnt(0)
	v_pk_add_f32 v[2:3], v[80:81], v[2:3] neg_lo:[0,1] neg_hi:[0,1]
	scratch_store_dwordx2 off, v[2:3], off offset:176
	s_and_saveexec_b64 s[0:1], vcc
	s_cbranch_execz .LBB113_271
; %bb.270:
	scratch_load_dwordx2 v[2:3], off, off offset:168
	v_mov_b32_e32 v83, v82
	scratch_store_dwordx2 off, v[82:83], off offset:168
	s_waitcnt vmcnt(1)
	ds_write_b64 v1, v[2:3]
.LBB113_271:
	s_or_b64 exec, exec, s[0:1]
	s_waitcnt lgkmcnt(0)
	; wave barrier
	scratch_load_dwordx4 v[18:21], off, off offset:176
	scratch_load_dwordx4 v[34:37], off, off offset:192
	;; [unrolled: 1-line block ×10, first 2 shown]
	ds_read_b128 v[84:87], v82 offset:576
	ds_read_b128 v[88:91], v82 offset:592
	ds_read_b128 v[92:95], v82 offset:608
	ds_read_b128 v[96:99], v82 offset:624
	ds_read_b128 v[78:81], v82 offset:640
	ds_read_b128 v[74:77], v82 offset:656
	ds_read_b128 v[70:73], v82 offset:672
	ds_read_b128 v[66:69], v82 offset:688
	ds_read_b128 v[62:65], v82 offset:704
	ds_read_b128 v[58:61], v82 offset:720
	scratch_load_dwordx4 v[54:57], off, off offset:336
	scratch_load_dwordx4 v[46:49], off, off offset:352
	;; [unrolled: 1-line block ×4, first 2 shown]
	scratch_load_dwordx2 v[100:101], off, off offset:168
	v_cmp_lt_u32_e32 vcc, 20, v0
	s_waitcnt vmcnt(14) lgkmcnt(9)
	v_mul_f32_e32 v83, v84, v19
	v_mul_f32_e32 v102, v86, v21
	s_waitcnt vmcnt(12) lgkmcnt(7)
	v_mul_f32_e32 v107, v92, v3
	v_mul_f32_e32 v3, v93, v3
	v_fmac_f32_e32 v83, v85, v18
	v_mul_f32_e32 v104, v88, v35
	v_fmac_f32_e32 v102, v87, v20
	v_fmac_f32_e32 v107, v93, v2
	v_fma_f32 v2, v92, v2, -v3
	v_add_f32_e32 v3, 0, v83
	v_mul_f32_e32 v106, v90, v37
	v_fmac_f32_e32 v104, v89, v34
	v_add_f32_e32 v3, v3, v102
	v_fmac_f32_e32 v106, v91, v36
	v_add_f32_e32 v3, v3, v104
	v_mul_f32_e32 v108, v94, v5
	v_add_f32_e32 v3, v3, v106
	s_waitcnt vmcnt(11) lgkmcnt(6)
	v_mul_f32_e32 v109, v96, v7
	v_fmac_f32_e32 v108, v95, v4
	v_add_f32_e32 v3, v3, v107
	v_mul_f32_e32 v110, v98, v9
	v_fmac_f32_e32 v109, v97, v6
	v_add_f32_e32 v3, v3, v108
	s_waitcnt vmcnt(10) lgkmcnt(5)
	v_mul_f32_e32 v111, v78, v11
	v_fmac_f32_e32 v110, v99, v8
	v_add_f32_e32 v3, v3, v109
	v_mul_f32_e32 v112, v80, v13
	v_fmac_f32_e32 v111, v79, v10
	;; [unrolled: 7-line block ×4, first 2 shown]
	v_add_f32_e32 v3, v3, v114
	s_waitcnt vmcnt(7) lgkmcnt(2)
	v_mul_f32_e32 v117, v66, v39
	v_mul_f32_e32 v19, v85, v19
	v_fmac_f32_e32 v116, v73, v28
	v_add_f32_e32 v3, v3, v115
	v_mul_f32_e32 v118, v68, v41
	v_mul_f32_e32 v21, v87, v21
	v_fmac_f32_e32 v117, v67, v38
	v_fma_f32 v18, v84, v18, -v19
	v_add_f32_e32 v3, v3, v116
	s_waitcnt vmcnt(6) lgkmcnt(1)
	v_mul_f32_e32 v119, v62, v43
	v_mul_f32_e32 v35, v89, v35
	v_fmac_f32_e32 v118, v69, v40
	v_fma_f32 v19, v86, v20, -v21
	v_add_f32_e32 v18, 0, v18
	v_add_f32_e32 v3, v3, v117
	v_mul_f32_e32 v120, v64, v45
	v_mul_f32_e32 v37, v91, v37
	v_fmac_f32_e32 v119, v63, v42
	v_fma_f32 v20, v88, v34, -v35
	v_add_f32_e32 v18, v18, v19
	v_add_f32_e32 v3, v3, v118
	v_fmac_f32_e32 v120, v65, v44
	v_fma_f32 v21, v90, v36, -v37
	v_add_f32_e32 v18, v18, v20
	v_add_f32_e32 v3, v3, v119
	;; [unrolled: 1-line block ×4, first 2 shown]
	v_mul_f32_e32 v3, v95, v5
	v_add_f32_e32 v2, v18, v2
	v_fma_f32 v3, v94, v4, -v3
	v_add_f32_e32 v2, v2, v3
	v_mul_f32_e32 v3, v97, v7
	v_fma_f32 v3, v96, v6, -v3
	v_add_f32_e32 v2, v2, v3
	v_mul_f32_e32 v3, v99, v9
	;; [unrolled: 3-line block ×12, first 2 shown]
	v_fma_f32 v3, v64, v44, -v3
	v_add_f32_e32 v34, v2, v3
	s_waitcnt vmcnt(5) lgkmcnt(0)
	v_mul_f32_e32 v2, v59, v51
	v_fma_f32 v102, v58, v50, -v2
	v_mul_f32_e32 v2, v61, v53
	v_fma_f32 v104, v60, v52, -v2
	ds_read_b128 v[2:5], v82 offset:736
	ds_read_b128 v[6:9], v82 offset:752
	;; [unrolled: 1-line block ×4, first 2 shown]
	v_mul_f32_e32 v103, v58, v51
	v_mul_f32_e32 v105, v60, v53
	v_fmac_f32_e32 v103, v59, v50
	s_waitcnt vmcnt(4) lgkmcnt(3)
	v_pk_mul_f32 v[24:25], v[2:3], v[54:55] op_sel:[1,1] op_sel_hi:[0,1]
	v_fmac_f32_e32 v105, v61, v52
	v_pk_add_f32 v[22:23], v[34:35], v[102:103]
	v_pk_fma_f32 v[26:27], v[2:3], v[54:55], v[24:25] neg_lo:[0,0,1] neg_hi:[0,0,1]
	v_pk_fma_f32 v[2:3], v[2:3], v[54:55], v[24:25] op_sel_hi:[1,0,1]
	v_pk_add_f32 v[22:23], v[22:23], v[104:105]
	v_mov_b32_e32 v27, v3
	v_pk_add_f32 v[2:3], v[22:23], v[26:27]
	v_mov_b32_e32 v22, v57
	v_pk_mul_f32 v[22:23], v[4:5], v[22:23] op_sel:[1,0] op_sel_hi:[0,0]
	v_pk_fma_f32 v[24:25], v[4:5], v[56:57], v[22:23] neg_lo:[0,0,1] neg_hi:[0,0,1]
	v_pk_fma_f32 v[4:5], v[4:5], v[56:57], v[22:23] op_sel_hi:[1,0,1]
	s_nop 0
	v_mov_b32_e32 v25, v5
	s_waitcnt vmcnt(3) lgkmcnt(2)
	v_pk_mul_f32 v[4:5], v[6:7], v[46:47] op_sel:[1,1] op_sel_hi:[0,1]
	v_pk_fma_f32 v[22:23], v[6:7], v[46:47], v[4:5] neg_lo:[0,0,1] neg_hi:[0,0,1]
	v_pk_fma_f32 v[4:5], v[6:7], v[46:47], v[4:5] op_sel_hi:[1,0,1]
	v_pk_add_f32 v[2:3], v[2:3], v[24:25]
	v_mov_b32_e32 v4, v49
	v_mov_b32_e32 v23, v5
	v_pk_mul_f32 v[4:5], v[8:9], v[4:5] op_sel:[1,0] op_sel_hi:[0,0]
	v_pk_fma_f32 v[6:7], v[8:9], v[48:49], v[4:5] neg_lo:[0,0,1] neg_hi:[0,0,1]
	v_pk_fma_f32 v[4:5], v[8:9], v[48:49], v[4:5] op_sel_hi:[1,0,1]
	v_pk_add_f32 v[2:3], v[2:3], v[22:23]
	v_mov_b32_e32 v7, v5
	s_waitcnt vmcnt(2) lgkmcnt(1)
	v_pk_mul_f32 v[4:5], v[10:11], v[30:31] op_sel:[1,1] op_sel_hi:[0,1]
	v_pk_add_f32 v[2:3], v[2:3], v[6:7]
	v_pk_fma_f32 v[6:7], v[10:11], v[30:31], v[4:5] neg_lo:[0,0,1] neg_hi:[0,0,1]
	v_pk_fma_f32 v[4:5], v[10:11], v[30:31], v[4:5] op_sel_hi:[1,0,1]
	s_nop 0
	v_mov_b32_e32 v4, v33
	v_mov_b32_e32 v7, v5
	v_pk_mul_f32 v[4:5], v[12:13], v[4:5] op_sel:[1,0] op_sel_hi:[0,0]
	v_pk_add_f32 v[2:3], v[2:3], v[6:7]
	v_pk_fma_f32 v[6:7], v[12:13], v[32:33], v[4:5] neg_lo:[0,0,1] neg_hi:[0,0,1]
	v_pk_fma_f32 v[4:5], v[12:13], v[32:33], v[4:5] op_sel_hi:[1,0,1]
	s_nop 0
	v_mov_b32_e32 v7, v5
	s_waitcnt vmcnt(1) lgkmcnt(0)
	v_pk_mul_f32 v[4:5], v[18:19], v[14:15] op_sel:[1,1] op_sel_hi:[0,1]
	v_pk_add_f32 v[2:3], v[2:3], v[6:7]
	v_pk_fma_f32 v[6:7], v[18:19], v[14:15], v[4:5] neg_lo:[0,0,1] neg_hi:[0,0,1]
	v_pk_fma_f32 v[4:5], v[18:19], v[14:15], v[4:5] op_sel_hi:[1,0,1]
	s_nop 0
	v_mov_b32_e32 v4, v17
	v_mov_b32_e32 v7, v5
	v_pk_mul_f32 v[4:5], v[20:21], v[4:5] op_sel:[1,0] op_sel_hi:[0,0]
	v_pk_add_f32 v[2:3], v[2:3], v[6:7]
	v_pk_fma_f32 v[6:7], v[20:21], v[16:17], v[4:5] neg_lo:[0,0,1] neg_hi:[0,0,1]
	v_pk_fma_f32 v[4:5], v[20:21], v[16:17], v[4:5] op_sel_hi:[1,0,1]
	s_nop 0
	v_mov_b32_e32 v7, v5
	v_pk_add_f32 v[2:3], v[2:3], v[6:7]
	s_waitcnt vmcnt(0)
	v_pk_add_f32 v[2:3], v[100:101], v[2:3] neg_lo:[0,1] neg_hi:[0,1]
	scratch_store_dwordx2 off, v[2:3], off offset:168
	s_and_saveexec_b64 s[0:1], vcc
	s_cbranch_execz .LBB113_273
; %bb.272:
	scratch_load_dwordx2 v[2:3], off, off offset:160
	v_mov_b32_e32 v4, 0
	v_mov_b32_e32 v5, v4
	scratch_store_dwordx2 off, v[4:5], off offset:160
	s_waitcnt vmcnt(1)
	ds_write_b64 v1, v[2:3]
.LBB113_273:
	s_or_b64 exec, exec, s[0:1]
	s_waitcnt lgkmcnt(0)
	; wave barrier
	scratch_load_dwordx4 v[18:21], off, off offset:168
	scratch_load_dwordx4 v[2:5], off, off offset:184
	;; [unrolled: 1-line block ×14, first 2 shown]
	scratch_load_dwordx2 v[58:59], off, off offset:392
	scratch_load_dwordx2 v[100:101], off, off offset:160
	v_mov_b32_e32 v102, 0
	ds_read2_b64 v[60:63], v102 offset0:71 offset1:72
	ds_read2_b64 v[64:67], v102 offset0:73 offset1:74
	;; [unrolled: 1-line block ×12, first 2 shown]
	v_cmp_lt_u32_e32 vcc, 19, v0
	s_waitcnt vmcnt(15) lgkmcnt(11)
	v_mul_f32_e32 v103, v60, v19
	v_mul_f32_e32 v112, v62, v21
	s_waitcnt vmcnt(14) lgkmcnt(10)
	v_mul_f32_e32 v114, v64, v3
	v_mul_f32_e32 v3, v65, v3
	v_fmac_f32_e32 v103, v61, v18
	v_fmac_f32_e32 v112, v63, v20
	;; [unrolled: 1-line block ×3, first 2 shown]
	v_fma_f32 v2, v64, v2, -v3
	v_add_f32_e32 v3, 0, v103
	v_mul_f32_e32 v116, v66, v5
	v_add_f32_e32 v3, v3, v112
	s_waitcnt vmcnt(13) lgkmcnt(9)
	v_mul_f32_e32 v117, v68, v7
	v_fmac_f32_e32 v116, v67, v4
	v_add_f32_e32 v3, v3, v114
	v_mul_f32_e32 v118, v70, v9
	v_fmac_f32_e32 v117, v69, v6
	v_add_f32_e32 v3, v3, v116
	s_waitcnt vmcnt(12) lgkmcnt(8)
	v_mul_f32_e32 v119, v72, v11
	v_fmac_f32_e32 v118, v71, v8
	v_add_f32_e32 v3, v3, v117
	v_mul_f32_e32 v120, v74, v13
	v_fmac_f32_e32 v119, v73, v10
	v_add_f32_e32 v3, v3, v118
	s_waitcnt vmcnt(11) lgkmcnt(7)
	v_mul_f32_e32 v121, v76, v15
	v_fmac_f32_e32 v120, v75, v12
	v_add_f32_e32 v3, v3, v119
	v_mul_f32_e32 v122, v78, v17
	v_fmac_f32_e32 v121, v77, v14
	v_add_f32_e32 v3, v3, v120
	s_waitcnt vmcnt(10) lgkmcnt(6)
	v_mul_f32_e32 v123, v80, v27
	v_fmac_f32_e32 v122, v79, v16
	v_add_f32_e32 v3, v3, v121
	v_mul_f32_e32 v126, v82, v29
	v_fmac_f32_e32 v123, v81, v26
	v_add_f32_e32 v3, v3, v122
	s_waitcnt vmcnt(9) lgkmcnt(5)
	v_mul_f32_e32 v127, v84, v31
	v_fmac_f32_e32 v126, v83, v28
	v_add_f32_e32 v3, v3, v123
	v_mul_f32_e32 v128, v86, v33
	v_fmac_f32_e32 v127, v85, v30
	v_add_f32_e32 v3, v3, v126
	s_waitcnt vmcnt(8) lgkmcnt(4)
	v_mul_f32_e32 v129, v88, v39
	v_fmac_f32_e32 v128, v87, v32
	v_add_f32_e32 v3, v3, v127
	v_mul_f32_e32 v130, v90, v41
	v_fmac_f32_e32 v129, v89, v38
	v_add_f32_e32 v3, v3, v128
	s_waitcnt vmcnt(7) lgkmcnt(3)
	v_mul_f32_e32 v131, v92, v43
	v_fmac_f32_e32 v130, v91, v40
	v_add_f32_e32 v3, v3, v129
	v_mul_f32_e32 v132, v94, v45
	v_mul_f32_e32 v19, v61, v19
	v_fmac_f32_e32 v131, v93, v42
	v_add_f32_e32 v3, v3, v130
	s_waitcnt vmcnt(6) lgkmcnt(2)
	v_mul_f32_e32 v133, v96, v51
	v_mul_f32_e32 v21, v63, v21
	v_fmac_f32_e32 v132, v95, v44
	v_fma_f32 v18, v60, v18, -v19
	v_add_f32_e32 v3, v3, v131
	v_fmac_f32_e32 v133, v97, v50
	v_fma_f32 v19, v62, v20, -v21
	v_add_f32_e32 v18, 0, v18
	v_add_f32_e32 v3, v3, v132
	;; [unrolled: 1-line block ×4, first 2 shown]
	v_mul_f32_e32 v3, v67, v5
	v_add_f32_e32 v2, v18, v2
	v_fma_f32 v3, v66, v4, -v3
	v_add_f32_e32 v2, v2, v3
	v_mul_f32_e32 v3, v69, v7
	v_fma_f32 v3, v68, v6, -v3
	v_add_f32_e32 v2, v2, v3
	v_mul_f32_e32 v3, v71, v9
	;; [unrolled: 3-line block ×15, first 2 shown]
	v_fma_f32 v3, v96, v50, -v3
	v_mul_f32_e32 v113, v98, v53
	v_add_f32_e32 v18, v2, v3
	v_mul_f32_e32 v2, v99, v53
	s_waitcnt vmcnt(5)
	v_mov_b32_e32 v14, v57
	s_waitcnt lgkmcnt(1)
	v_mul_f32_e32 v115, v104, v55
	v_fmac_f32_e32 v113, v99, v52
	v_fma_f32 v112, v98, v52, -v2
	v_mul_f32_e32 v2, v105, v55
	v_pk_mul_f32 v[14:15], v[106:107], v[14:15] op_sel:[1,0] op_sel_hi:[0,0]
	v_fmac_f32_e32 v115, v105, v54
	v_fma_f32 v114, v104, v54, -v2
	v_pk_add_f32 v[12:13], v[18:19], v[112:113]
	v_pk_fma_f32 v[16:17], v[106:107], v[56:57], v[14:15] neg_lo:[0,0,1] neg_hi:[0,0,1]
	v_pk_fma_f32 v[14:15], v[106:107], v[56:57], v[14:15] op_sel_hi:[1,0,1]
	v_pk_add_f32 v[12:13], v[12:13], v[114:115]
	v_mov_b32_e32 v17, v15
	s_waitcnt vmcnt(4) lgkmcnt(0)
	v_pk_mul_f32 v[14:15], v[108:109], v[46:47] op_sel:[1,1] op_sel_hi:[0,1]
	v_pk_add_f32 v[12:13], v[12:13], v[16:17]
	v_pk_fma_f32 v[16:17], v[108:109], v[46:47], v[14:15] neg_lo:[0,0,1] neg_hi:[0,0,1]
	v_pk_fma_f32 v[14:15], v[108:109], v[46:47], v[14:15] op_sel_hi:[1,0,1]
	ds_read2_b64 v[2:5], v102 offset0:95 offset1:96
	ds_read2_b64 v[6:9], v102 offset0:97 offset1:98
	ds_read_b64 v[10:11], v102 offset:792
	v_mov_b32_e32 v14, v49
	v_mov_b32_e32 v17, v15
	v_pk_mul_f32 v[14:15], v[110:111], v[14:15] op_sel:[1,0] op_sel_hi:[0,0]
	v_pk_add_f32 v[12:13], v[12:13], v[16:17]
	v_pk_fma_f32 v[16:17], v[110:111], v[48:49], v[14:15] neg_lo:[0,0,1] neg_hi:[0,0,1]
	v_pk_fma_f32 v[14:15], v[110:111], v[48:49], v[14:15] op_sel_hi:[1,0,1]
	s_nop 0
	v_mov_b32_e32 v17, v15
	s_waitcnt vmcnt(3) lgkmcnt(2)
	v_pk_mul_f32 v[14:15], v[2:3], v[34:35] op_sel:[1,1] op_sel_hi:[0,1]
	v_pk_add_f32 v[12:13], v[12:13], v[16:17]
	v_pk_fma_f32 v[16:17], v[2:3], v[34:35], v[14:15] neg_lo:[0,0,1] neg_hi:[0,0,1]
	v_pk_fma_f32 v[2:3], v[2:3], v[34:35], v[14:15] op_sel_hi:[1,0,1]
	s_nop 0
	v_mov_b32_e32 v17, v3
	v_pk_add_f32 v[2:3], v[12:13], v[16:17]
	v_mov_b32_e32 v12, v37
	v_pk_mul_f32 v[12:13], v[4:5], v[12:13] op_sel:[1,0] op_sel_hi:[0,0]
	v_pk_fma_f32 v[14:15], v[4:5], v[36:37], v[12:13] neg_lo:[0,0,1] neg_hi:[0,0,1]
	v_pk_fma_f32 v[4:5], v[4:5], v[36:37], v[12:13] op_sel_hi:[1,0,1]
	s_nop 0
	v_mov_b32_e32 v15, v5
	s_waitcnt vmcnt(2) lgkmcnt(1)
	v_pk_mul_f32 v[4:5], v[6:7], v[22:23] op_sel:[1,1] op_sel_hi:[0,1]
	v_pk_fma_f32 v[12:13], v[6:7], v[22:23], v[4:5] neg_lo:[0,0,1] neg_hi:[0,0,1]
	v_pk_fma_f32 v[4:5], v[6:7], v[22:23], v[4:5] op_sel_hi:[1,0,1]
	v_pk_add_f32 v[2:3], v[2:3], v[14:15]
	v_mov_b32_e32 v4, v25
	v_mov_b32_e32 v13, v5
	v_pk_mul_f32 v[4:5], v[8:9], v[4:5] op_sel:[1,0] op_sel_hi:[0,0]
	v_pk_fma_f32 v[6:7], v[8:9], v[24:25], v[4:5] neg_lo:[0,0,1] neg_hi:[0,0,1]
	v_pk_fma_f32 v[4:5], v[8:9], v[24:25], v[4:5] op_sel_hi:[1,0,1]
	v_pk_add_f32 v[2:3], v[2:3], v[12:13]
	v_mov_b32_e32 v7, v5
	s_waitcnt vmcnt(1) lgkmcnt(0)
	v_pk_mul_f32 v[4:5], v[10:11], v[58:59] op_sel:[1,1] op_sel_hi:[0,1]
	v_pk_add_f32 v[2:3], v[2:3], v[6:7]
	v_pk_fma_f32 v[6:7], v[10:11], v[58:59], v[4:5] neg_lo:[0,0,1] neg_hi:[0,0,1]
	v_pk_fma_f32 v[4:5], v[10:11], v[58:59], v[4:5] op_sel_hi:[1,0,1]
	s_nop 0
	v_mov_b32_e32 v7, v5
	v_pk_add_f32 v[2:3], v[2:3], v[6:7]
	s_waitcnt vmcnt(0)
	v_pk_add_f32 v[2:3], v[100:101], v[2:3] neg_lo:[0,1] neg_hi:[0,1]
	scratch_store_dwordx2 off, v[2:3], off offset:160
	s_and_saveexec_b64 s[0:1], vcc
	s_cbranch_execz .LBB113_275
; %bb.274:
	scratch_load_dwordx2 v[2:3], off, off offset:152
	v_mov_b32_e32 v103, v102
	scratch_store_dwordx2 off, v[102:103], off offset:152
	s_waitcnt vmcnt(1)
	ds_write_b64 v1, v[2:3]
.LBB113_275:
	s_or_b64 exec, exec, s[0:1]
	s_waitcnt lgkmcnt(0)
	; wave barrier
	scratch_load_dwordx4 v[22:25], off, off offset:160
	scratch_load_dwordx4 v[2:5], off, off offset:176
	scratch_load_dwordx4 v[6:9], off, off offset:192
	scratch_load_dwordx4 v[10:13], off, off offset:208
	scratch_load_dwordx4 v[14:17], off, off offset:224
	scratch_load_dwordx4 v[18:21], off, off offset:240
	scratch_load_dwordx4 v[30:33], off, off offset:256
	scratch_load_dwordx4 v[34:37], off, off offset:272
	scratch_load_dwordx4 v[42:45], off, off offset:288
	scratch_load_dwordx4 v[46:49], off, off offset:304
	scratch_load_dwordx4 v[54:57], off, off offset:320
	ds_read_b128 v[104:107], v102 offset:560
	ds_read_b128 v[98:101], v102 offset:576
	;; [unrolled: 1-line block ×10, first 2 shown]
	scratch_load_dwordx4 v[58:61], off, off offset:336
	scratch_load_dwordx4 v[50:53], off, off offset:352
	;; [unrolled: 1-line block ×4, first 2 shown]
	ds_read_b128 v[78:81], v102 offset:720
	ds_read_b128 v[108:111], v102 offset:736
	scratch_load_dwordx2 v[112:113], off, off offset:152
	v_cmp_lt_u32_e32 vcc, 18, v0
	s_waitcnt vmcnt(15) lgkmcnt(11)
	v_mul_f32_e32 v103, v104, v23
	v_mul_f32_e32 v114, v106, v25
	s_waitcnt vmcnt(14) lgkmcnt(10)
	v_mul_f32_e32 v116, v98, v3
	v_mul_f32_e32 v3, v99, v3
	v_fmac_f32_e32 v103, v105, v22
	v_fmac_f32_e32 v114, v107, v24
	;; [unrolled: 1-line block ×3, first 2 shown]
	v_fma_f32 v2, v98, v2, -v3
	v_add_f32_e32 v3, 0, v103
	v_mul_f32_e32 v118, v100, v5
	v_add_f32_e32 v3, v3, v114
	s_waitcnt vmcnt(13) lgkmcnt(9)
	v_mul_f32_e32 v119, v94, v7
	v_fmac_f32_e32 v118, v101, v4
	v_add_f32_e32 v3, v3, v116
	v_mul_f32_e32 v120, v96, v9
	v_fmac_f32_e32 v119, v95, v6
	v_add_f32_e32 v3, v3, v118
	s_waitcnt vmcnt(12) lgkmcnt(8)
	v_mul_f32_e32 v121, v90, v11
	v_fmac_f32_e32 v120, v97, v8
	v_add_f32_e32 v3, v3, v119
	v_mul_f32_e32 v122, v92, v13
	v_fmac_f32_e32 v121, v91, v10
	;; [unrolled: 7-line block ×7, first 2 shown]
	v_add_f32_e32 v3, v3, v132
	s_waitcnt vmcnt(6) lgkmcnt(2)
	v_mul_f32_e32 v135, v62, v47
	v_mul_f32_e32 v23, v105, v23
	v_fmac_f32_e32 v134, v69, v44
	v_add_f32_e32 v3, v3, v133
	v_mul_f32_e32 v136, v64, v49
	v_mul_f32_e32 v25, v107, v25
	v_fmac_f32_e32 v135, v63, v46
	v_fma_f32 v22, v104, v22, -v23
	v_add_f32_e32 v3, v3, v134
	v_fmac_f32_e32 v136, v65, v48
	v_fma_f32 v23, v106, v24, -v25
	v_add_f32_e32 v22, 0, v22
	v_add_f32_e32 v3, v3, v135
	;; [unrolled: 1-line block ×4, first 2 shown]
	v_mul_f32_e32 v3, v101, v5
	v_add_f32_e32 v2, v22, v2
	v_fma_f32 v3, v100, v4, -v3
	v_add_f32_e32 v2, v2, v3
	v_mul_f32_e32 v3, v95, v7
	v_fma_f32 v3, v94, v6, -v3
	v_add_f32_e32 v2, v2, v3
	v_mul_f32_e32 v3, v97, v9
	;; [unrolled: 3-line block ×16, first 2 shown]
	v_fma_f32 v3, v64, v48, -v3
	s_waitcnt vmcnt(5) lgkmcnt(1)
	v_mul_f32_e32 v115, v78, v55
	v_add_f32_e32 v22, v2, v3
	v_mul_f32_e32 v2, v79, v55
	s_waitcnt vmcnt(4) lgkmcnt(0)
	v_pk_mul_f32 v[16:17], v[108:109], v[58:59] op_sel:[1,1] op_sel_hi:[0,1]
	v_mul_f32_e32 v117, v80, v57
	v_fmac_f32_e32 v115, v79, v54
	v_fma_f32 v114, v78, v54, -v2
	v_mul_f32_e32 v2, v81, v57
	v_pk_fma_f32 v[18:19], v[108:109], v[58:59], v[16:17] neg_lo:[0,0,1] neg_hi:[0,0,1]
	v_pk_fma_f32 v[16:17], v[108:109], v[58:59], v[16:17] op_sel_hi:[1,0,1]
	v_fmac_f32_e32 v117, v81, v56
	v_fma_f32 v116, v80, v56, -v2
	ds_read_b128 v[2:5], v102 offset:752
	ds_read_b128 v[6:9], v102 offset:768
	ds_read_b128 v[10:13], v102 offset:784
	v_pk_add_f32 v[14:15], v[22:23], v[114:115]
	v_mov_b32_e32 v16, v61
	v_pk_add_f32 v[14:15], v[14:15], v[116:117]
	v_mov_b32_e32 v19, v17
	v_pk_mul_f32 v[16:17], v[110:111], v[16:17] op_sel:[1,0] op_sel_hi:[0,0]
	v_pk_add_f32 v[14:15], v[14:15], v[18:19]
	v_pk_fma_f32 v[18:19], v[110:111], v[60:61], v[16:17] neg_lo:[0,0,1] neg_hi:[0,0,1]
	v_pk_fma_f32 v[16:17], v[110:111], v[60:61], v[16:17] op_sel_hi:[1,0,1]
	s_nop 0
	v_mov_b32_e32 v19, v17
	s_waitcnt vmcnt(3) lgkmcnt(2)
	v_pk_mul_f32 v[16:17], v[2:3], v[50:51] op_sel:[1,1] op_sel_hi:[0,1]
	v_pk_add_f32 v[14:15], v[14:15], v[18:19]
	v_pk_fma_f32 v[18:19], v[2:3], v[50:51], v[16:17] neg_lo:[0,0,1] neg_hi:[0,0,1]
	v_pk_fma_f32 v[2:3], v[2:3], v[50:51], v[16:17] op_sel_hi:[1,0,1]
	s_nop 0
	v_mov_b32_e32 v19, v3
	v_pk_add_f32 v[2:3], v[14:15], v[18:19]
	v_mov_b32_e32 v14, v53
	v_pk_mul_f32 v[14:15], v[4:5], v[14:15] op_sel:[1,0] op_sel_hi:[0,0]
	v_pk_fma_f32 v[16:17], v[4:5], v[52:53], v[14:15] neg_lo:[0,0,1] neg_hi:[0,0,1]
	v_pk_fma_f32 v[4:5], v[4:5], v[52:53], v[14:15] op_sel_hi:[1,0,1]
	s_nop 0
	v_mov_b32_e32 v17, v5
	s_waitcnt vmcnt(2) lgkmcnt(1)
	v_pk_mul_f32 v[4:5], v[6:7], v[38:39] op_sel:[1,1] op_sel_hi:[0,1]
	v_pk_fma_f32 v[14:15], v[6:7], v[38:39], v[4:5] neg_lo:[0,0,1] neg_hi:[0,0,1]
	v_pk_fma_f32 v[4:5], v[6:7], v[38:39], v[4:5] op_sel_hi:[1,0,1]
	v_pk_add_f32 v[2:3], v[2:3], v[16:17]
	v_mov_b32_e32 v4, v41
	v_mov_b32_e32 v15, v5
	v_pk_mul_f32 v[4:5], v[8:9], v[4:5] op_sel:[1,0] op_sel_hi:[0,0]
	v_pk_fma_f32 v[6:7], v[8:9], v[40:41], v[4:5] neg_lo:[0,0,1] neg_hi:[0,0,1]
	v_pk_fma_f32 v[4:5], v[8:9], v[40:41], v[4:5] op_sel_hi:[1,0,1]
	v_pk_add_f32 v[2:3], v[2:3], v[14:15]
	v_mov_b32_e32 v7, v5
	s_waitcnt vmcnt(1) lgkmcnt(0)
	v_pk_mul_f32 v[4:5], v[10:11], v[26:27] op_sel:[1,1] op_sel_hi:[0,1]
	v_pk_add_f32 v[2:3], v[2:3], v[6:7]
	v_pk_fma_f32 v[6:7], v[10:11], v[26:27], v[4:5] neg_lo:[0,0,1] neg_hi:[0,0,1]
	v_pk_fma_f32 v[4:5], v[10:11], v[26:27], v[4:5] op_sel_hi:[1,0,1]
	s_nop 0
	v_mov_b32_e32 v4, v29
	v_mov_b32_e32 v7, v5
	v_pk_mul_f32 v[4:5], v[12:13], v[4:5] op_sel:[1,0] op_sel_hi:[0,0]
	v_pk_add_f32 v[2:3], v[2:3], v[6:7]
	v_pk_fma_f32 v[6:7], v[12:13], v[28:29], v[4:5] neg_lo:[0,0,1] neg_hi:[0,0,1]
	v_pk_fma_f32 v[4:5], v[12:13], v[28:29], v[4:5] op_sel_hi:[1,0,1]
	s_nop 0
	v_mov_b32_e32 v7, v5
	v_pk_add_f32 v[2:3], v[2:3], v[6:7]
	s_waitcnt vmcnt(0)
	v_pk_add_f32 v[2:3], v[112:113], v[2:3] neg_lo:[0,1] neg_hi:[0,1]
	scratch_store_dwordx2 off, v[2:3], off offset:152
	s_and_saveexec_b64 s[0:1], vcc
	s_cbranch_execz .LBB113_277
; %bb.276:
	scratch_load_dwordx2 v[2:3], off, off offset:144
	v_mov_b32_e32 v4, 0
	v_mov_b32_e32 v5, v4
	scratch_store_dwordx2 off, v[4:5], off offset:144
	s_waitcnt vmcnt(1)
	ds_write_b64 v1, v[2:3]
.LBB113_277:
	s_or_b64 exec, exec, s[0:1]
	s_waitcnt lgkmcnt(0)
	; wave barrier
	scratch_load_dwordx4 v[2:5], off, off offset:152
	scratch_load_dwordx4 v[6:9], off, off offset:168
	;; [unrolled: 1-line block ×15, first 2 shown]
	scratch_load_dwordx2 v[62:63], off, off offset:392
	scratch_load_dwordx2 v[112:113], off, off offset:144
	v_mov_b32_e32 v114, 0
	ds_read2_b64 v[64:67], v114 offset0:69 offset1:70
	ds_read2_b64 v[68:71], v114 offset0:71 offset1:72
	;; [unrolled: 1-line block ×12, first 2 shown]
	v_cmp_lt_u32_e32 vcc, 17, v0
	s_waitcnt vmcnt(16) lgkmcnt(11)
	v_mul_f32_e32 v115, v64, v3
	v_mul_f32_e32 v116, v66, v5
	;; [unrolled: 1-line block ×3, first 2 shown]
	v_fmac_f32_e32 v115, v65, v2
	s_waitcnt vmcnt(15) lgkmcnt(10)
	v_mul_f32_e32 v118, v68, v7
	v_fmac_f32_e32 v116, v67, v4
	v_fma_f32 v2, v64, v2, -v3
	v_add_f32_e32 v3, 0, v115
	v_mul_f32_e32 v120, v70, v9
	v_fmac_f32_e32 v118, v69, v6
	v_add_f32_e32 v3, v3, v116
	s_waitcnt vmcnt(14) lgkmcnt(9)
	v_mul_f32_e32 v121, v72, v11
	v_fmac_f32_e32 v120, v71, v8
	v_add_f32_e32 v3, v3, v118
	v_mul_f32_e32 v122, v74, v13
	v_fmac_f32_e32 v121, v73, v10
	v_add_f32_e32 v3, v3, v120
	s_waitcnt vmcnt(13) lgkmcnt(8)
	v_mul_f32_e32 v123, v76, v15
	v_fmac_f32_e32 v122, v75, v12
	;; [unrolled: 7-line block ×9, first 2 shown]
	v_add_f32_e32 v3, v3, v137
	v_mul_f32_e32 v5, v67, v5
	v_fmac_f32_e32 v139, v105, v58
	v_add_f32_e32 v3, v3, v138
	v_add_f32_e32 v2, 0, v2
	;; [unrolled: 1-line block ×3, first 2 shown]
	v_fma_f32 v3, v66, v4, -v5
	v_add_f32_e32 v2, v2, v3
	v_mul_f32_e32 v3, v69, v7
	v_fma_f32 v3, v68, v6, -v3
	v_add_f32_e32 v2, v2, v3
	v_mul_f32_e32 v3, v71, v9
	;; [unrolled: 3-line block ×20, first 2 shown]
	v_mul_f32_e32 v117, v106, v61
	v_fma_f32 v116, v106, v60, -v2
	s_waitcnt vmcnt(5) lgkmcnt(0)
	v_mul_f32_e32 v2, v109, v55
	v_mov_b32_e32 v18, v57
	v_mul_f32_e32 v119, v108, v55
	v_fmac_f32_e32 v117, v107, v60
	v_fma_f32 v118, v108, v54, -v2
	ds_read2_b64 v[2:5], v114 offset0:93 offset1:94
	ds_read2_b64 v[6:9], v114 offset0:95 offset1:96
	;; [unrolled: 1-line block ×3, first 2 shown]
	ds_read_b64 v[14:15], v114 offset:792
	v_pk_mul_f32 v[18:19], v[110:111], v[18:19] op_sel:[1,0] op_sel_hi:[0,0]
	v_fmac_f32_e32 v119, v109, v54
	v_pk_add_f32 v[16:17], v[64:65], v[116:117]
	v_pk_fma_f32 v[20:21], v[110:111], v[56:57], v[18:19] neg_lo:[0,0,1] neg_hi:[0,0,1]
	v_pk_fma_f32 v[18:19], v[110:111], v[56:57], v[18:19] op_sel_hi:[1,0,1]
	v_pk_add_f32 v[16:17], v[16:17], v[118:119]
	v_mov_b32_e32 v21, v19
	s_waitcnt vmcnt(4) lgkmcnt(3)
	v_pk_mul_f32 v[18:19], v[2:3], v[50:51] op_sel:[1,1] op_sel_hi:[0,1]
	v_pk_add_f32 v[16:17], v[16:17], v[20:21]
	v_pk_fma_f32 v[20:21], v[2:3], v[50:51], v[18:19] neg_lo:[0,0,1] neg_hi:[0,0,1]
	v_pk_fma_f32 v[2:3], v[2:3], v[50:51], v[18:19] op_sel_hi:[1,0,1]
	s_nop 0
	v_mov_b32_e32 v21, v3
	v_pk_add_f32 v[2:3], v[16:17], v[20:21]
	v_mov_b32_e32 v16, v53
	v_pk_mul_f32 v[16:17], v[4:5], v[16:17] op_sel:[1,0] op_sel_hi:[0,0]
	v_pk_fma_f32 v[18:19], v[4:5], v[52:53], v[16:17] neg_lo:[0,0,1] neg_hi:[0,0,1]
	v_pk_fma_f32 v[4:5], v[4:5], v[52:53], v[16:17] op_sel_hi:[1,0,1]
	s_nop 0
	v_mov_b32_e32 v19, v5
	s_waitcnt vmcnt(3) lgkmcnt(2)
	v_pk_mul_f32 v[4:5], v[6:7], v[38:39] op_sel:[1,1] op_sel_hi:[0,1]
	v_pk_fma_f32 v[16:17], v[6:7], v[38:39], v[4:5] neg_lo:[0,0,1] neg_hi:[0,0,1]
	v_pk_fma_f32 v[4:5], v[6:7], v[38:39], v[4:5] op_sel_hi:[1,0,1]
	v_pk_add_f32 v[2:3], v[2:3], v[18:19]
	v_mov_b32_e32 v4, v41
	v_mov_b32_e32 v17, v5
	v_pk_mul_f32 v[4:5], v[8:9], v[4:5] op_sel:[1,0] op_sel_hi:[0,0]
	v_pk_fma_f32 v[6:7], v[8:9], v[40:41], v[4:5] neg_lo:[0,0,1] neg_hi:[0,0,1]
	v_pk_fma_f32 v[4:5], v[8:9], v[40:41], v[4:5] op_sel_hi:[1,0,1]
	v_pk_add_f32 v[2:3], v[2:3], v[16:17]
	v_mov_b32_e32 v7, v5
	s_waitcnt vmcnt(2) lgkmcnt(1)
	v_pk_mul_f32 v[4:5], v[10:11], v[26:27] op_sel:[1,1] op_sel_hi:[0,1]
	v_pk_add_f32 v[2:3], v[2:3], v[6:7]
	v_pk_fma_f32 v[6:7], v[10:11], v[26:27], v[4:5] neg_lo:[0,0,1] neg_hi:[0,0,1]
	v_pk_fma_f32 v[4:5], v[10:11], v[26:27], v[4:5] op_sel_hi:[1,0,1]
	s_nop 0
	v_mov_b32_e32 v4, v29
	v_mov_b32_e32 v7, v5
	v_pk_mul_f32 v[4:5], v[12:13], v[4:5] op_sel:[1,0] op_sel_hi:[0,0]
	v_pk_add_f32 v[2:3], v[2:3], v[6:7]
	v_pk_fma_f32 v[6:7], v[12:13], v[28:29], v[4:5] neg_lo:[0,0,1] neg_hi:[0,0,1]
	v_pk_fma_f32 v[4:5], v[12:13], v[28:29], v[4:5] op_sel_hi:[1,0,1]
	s_nop 0
	v_mov_b32_e32 v7, v5
	s_waitcnt vmcnt(1) lgkmcnt(0)
	v_pk_mul_f32 v[4:5], v[14:15], v[62:63] op_sel:[1,1] op_sel_hi:[0,1]
	v_pk_add_f32 v[2:3], v[2:3], v[6:7]
	v_pk_fma_f32 v[6:7], v[14:15], v[62:63], v[4:5] neg_lo:[0,0,1] neg_hi:[0,0,1]
	v_pk_fma_f32 v[4:5], v[14:15], v[62:63], v[4:5] op_sel_hi:[1,0,1]
	s_nop 0
	v_mov_b32_e32 v7, v5
	v_pk_add_f32 v[2:3], v[2:3], v[6:7]
	s_waitcnt vmcnt(0)
	v_pk_add_f32 v[2:3], v[112:113], v[2:3] neg_lo:[0,1] neg_hi:[0,1]
	scratch_store_dwordx2 off, v[2:3], off offset:144
	s_and_saveexec_b64 s[0:1], vcc
	s_cbranch_execz .LBB113_279
; %bb.278:
	scratch_load_dwordx2 v[2:3], off, off offset:136
	v_mov_b32_e32 v115, v114
	scratch_store_dwordx2 off, v[114:115], off offset:136
	s_waitcnt vmcnt(1)
	ds_write_b64 v1, v[2:3]
.LBB113_279:
	s_or_b64 exec, exec, s[0:1]
	s_waitcnt lgkmcnt(0)
	; wave barrier
	scratch_load_dwordx4 v[2:5], off, off offset:144
	scratch_load_dwordx4 v[6:9], off, off offset:160
	;; [unrolled: 1-line block ×12, first 2 shown]
	ds_read_b128 v[110:113], v114 offset:544
	ds_read_b128 v[106:109], v114 offset:560
	;; [unrolled: 1-line block ×12, first 2 shown]
	scratch_load_dwordx4 v[62:65], off, off offset:336
	scratch_load_dwordx4 v[54:57], off, off offset:352
	;; [unrolled: 1-line block ×4, first 2 shown]
	scratch_load_dwordx2 v[116:117], off, off offset:136
	v_cmp_lt_u32_e32 vcc, 16, v0
	s_waitcnt vmcnt(16) lgkmcnt(11)
	v_mul_f32_e32 v115, v110, v3
	v_mul_f32_e32 v118, v112, v5
	;; [unrolled: 1-line block ×3, first 2 shown]
	v_fmac_f32_e32 v115, v111, v2
	s_waitcnt vmcnt(15) lgkmcnt(10)
	v_mul_f32_e32 v120, v106, v7
	v_fmac_f32_e32 v118, v113, v4
	v_fma_f32 v2, v110, v2, -v3
	v_add_f32_e32 v3, 0, v115
	v_mul_f32_e32 v122, v108, v9
	v_fmac_f32_e32 v120, v107, v6
	v_add_f32_e32 v3, v3, v118
	s_waitcnt vmcnt(14) lgkmcnt(9)
	v_mul_f32_e32 v123, v102, v11
	v_fmac_f32_e32 v122, v109, v8
	v_add_f32_e32 v3, v3, v120
	v_mul_f32_e32 v126, v104, v13
	v_fmac_f32_e32 v123, v103, v10
	v_add_f32_e32 v3, v3, v122
	s_waitcnt vmcnt(13) lgkmcnt(8)
	v_mul_f32_e32 v127, v98, v15
	v_fmac_f32_e32 v126, v105, v12
	;; [unrolled: 7-line block ×9, first 2 shown]
	v_add_f32_e32 v3, v3, v139
	v_mul_f32_e32 v142, v72, v53
	v_fmac_f32_e32 v141, v71, v50
	v_add_f32_e32 v3, v3, v140
	v_fmac_f32_e32 v142, v73, v52
	v_add_f32_e32 v3, v3, v141
	v_add_f32_e32 v111, v3, v142
	v_mul_f32_e32 v3, v113, v5
	v_add_f32_e32 v2, 0, v2
	v_fma_f32 v3, v112, v4, -v3
	v_add_f32_e32 v2, v2, v3
	v_mul_f32_e32 v3, v107, v7
	v_fma_f32 v3, v106, v6, -v3
	v_add_f32_e32 v2, v2, v3
	v_mul_f32_e32 v3, v109, v9
	v_fma_f32 v3, v108, v8, -v3
	v_add_f32_e32 v2, v2, v3
	v_mul_f32_e32 v3, v103, v11
	v_fma_f32 v3, v102, v10, -v3
	v_add_f32_e32 v2, v2, v3
	v_mul_f32_e32 v3, v105, v13
	v_fma_f32 v3, v104, v12, -v3
	v_add_f32_e32 v2, v2, v3
	v_mul_f32_e32 v3, v99, v15
	v_fma_f32 v3, v98, v14, -v3
	v_add_f32_e32 v2, v2, v3
	v_mul_f32_e32 v3, v101, v17
	v_fma_f32 v3, v100, v16, -v3
	v_add_f32_e32 v2, v2, v3
	v_mul_f32_e32 v3, v95, v19
	v_fma_f32 v3, v94, v18, -v3
	v_add_f32_e32 v2, v2, v3
	v_mul_f32_e32 v3, v97, v21
	v_fma_f32 v3, v96, v20, -v3
	v_add_f32_e32 v2, v2, v3
	v_mul_f32_e32 v3, v91, v23
	v_fma_f32 v3, v90, v22, -v3
	v_add_f32_e32 v2, v2, v3
	v_mul_f32_e32 v3, v93, v25
	v_fma_f32 v3, v92, v24, -v3
	v_add_f32_e32 v2, v2, v3
	v_mul_f32_e32 v3, v87, v27
	v_fma_f32 v3, v86, v26, -v3
	v_add_f32_e32 v2, v2, v3
	v_mul_f32_e32 v3, v89, v29
	v_fma_f32 v3, v88, v28, -v3
	v_add_f32_e32 v2, v2, v3
	v_mul_f32_e32 v3, v83, v31
	v_fma_f32 v3, v82, v30, -v3
	v_add_f32_e32 v2, v2, v3
	v_mul_f32_e32 v3, v85, v33
	v_fma_f32 v3, v84, v32, -v3
	v_add_f32_e32 v2, v2, v3
	v_mul_f32_e32 v3, v79, v39
	v_fma_f32 v3, v78, v38, -v3
	v_add_f32_e32 v2, v2, v3
	v_mul_f32_e32 v3, v81, v41
	v_fma_f32 v3, v80, v40, -v3
	v_add_f32_e32 v2, v2, v3
	v_mul_f32_e32 v3, v75, v47
	v_fma_f32 v3, v74, v46, -v3
	v_add_f32_e32 v2, v2, v3
	v_mul_f32_e32 v3, v77, v49
	v_fma_f32 v3, v76, v48, -v3
	v_add_f32_e32 v2, v2, v3
	v_mul_f32_e32 v3, v71, v51
	v_fma_f32 v3, v70, v50, -v3
	v_add_f32_e32 v2, v2, v3
	v_mul_f32_e32 v3, v73, v53
	v_fma_f32 v3, v72, v52, -v3
	v_add_f32_e32 v110, v2, v3
	s_waitcnt vmcnt(5) lgkmcnt(0)
	v_mul_f32_e32 v2, v67, v59
	v_fma_f32 v118, v66, v58, -v2
	v_mul_f32_e32 v2, v69, v61
	v_fma_f32 v120, v68, v60, -v2
	ds_read_b128 v[2:5], v114 offset:736
	ds_read_b128 v[6:9], v114 offset:752
	ds_read_b128 v[10:13], v114 offset:768
	ds_read_b128 v[14:17], v114 offset:784
	v_mul_f32_e32 v119, v66, v59
	v_mul_f32_e32 v121, v68, v61
	v_fmac_f32_e32 v119, v67, v58
	s_waitcnt vmcnt(4) lgkmcnt(3)
	v_pk_mul_f32 v[20:21], v[2:3], v[62:63] op_sel:[1,1] op_sel_hi:[0,1]
	v_fmac_f32_e32 v121, v69, v60
	v_pk_add_f32 v[18:19], v[110:111], v[118:119]
	v_pk_fma_f32 v[22:23], v[2:3], v[62:63], v[20:21] neg_lo:[0,0,1] neg_hi:[0,0,1]
	v_pk_fma_f32 v[2:3], v[2:3], v[62:63], v[20:21] op_sel_hi:[1,0,1]
	v_pk_add_f32 v[18:19], v[18:19], v[120:121]
	v_mov_b32_e32 v23, v3
	v_pk_add_f32 v[2:3], v[18:19], v[22:23]
	v_mov_b32_e32 v18, v65
	v_pk_mul_f32 v[18:19], v[4:5], v[18:19] op_sel:[1,0] op_sel_hi:[0,0]
	v_pk_fma_f32 v[20:21], v[4:5], v[64:65], v[18:19] neg_lo:[0,0,1] neg_hi:[0,0,1]
	v_pk_fma_f32 v[4:5], v[4:5], v[64:65], v[18:19] op_sel_hi:[1,0,1]
	s_nop 0
	v_mov_b32_e32 v21, v5
	s_waitcnt vmcnt(3) lgkmcnt(2)
	v_pk_mul_f32 v[4:5], v[6:7], v[54:55] op_sel:[1,1] op_sel_hi:[0,1]
	v_pk_fma_f32 v[18:19], v[6:7], v[54:55], v[4:5] neg_lo:[0,0,1] neg_hi:[0,0,1]
	v_pk_fma_f32 v[4:5], v[6:7], v[54:55], v[4:5] op_sel_hi:[1,0,1]
	v_pk_add_f32 v[2:3], v[2:3], v[20:21]
	v_mov_b32_e32 v4, v57
	v_mov_b32_e32 v19, v5
	v_pk_mul_f32 v[4:5], v[8:9], v[4:5] op_sel:[1,0] op_sel_hi:[0,0]
	v_pk_fma_f32 v[6:7], v[8:9], v[56:57], v[4:5] neg_lo:[0,0,1] neg_hi:[0,0,1]
	v_pk_fma_f32 v[4:5], v[8:9], v[56:57], v[4:5] op_sel_hi:[1,0,1]
	v_pk_add_f32 v[2:3], v[2:3], v[18:19]
	v_mov_b32_e32 v7, v5
	s_waitcnt vmcnt(2) lgkmcnt(1)
	v_pk_mul_f32 v[4:5], v[10:11], v[42:43] op_sel:[1,1] op_sel_hi:[0,1]
	v_pk_add_f32 v[2:3], v[2:3], v[6:7]
	v_pk_fma_f32 v[6:7], v[10:11], v[42:43], v[4:5] neg_lo:[0,0,1] neg_hi:[0,0,1]
	v_pk_fma_f32 v[4:5], v[10:11], v[42:43], v[4:5] op_sel_hi:[1,0,1]
	s_nop 0
	v_mov_b32_e32 v4, v45
	v_mov_b32_e32 v7, v5
	v_pk_mul_f32 v[4:5], v[12:13], v[4:5] op_sel:[1,0] op_sel_hi:[0,0]
	v_pk_add_f32 v[2:3], v[2:3], v[6:7]
	v_pk_fma_f32 v[6:7], v[12:13], v[44:45], v[4:5] neg_lo:[0,0,1] neg_hi:[0,0,1]
	v_pk_fma_f32 v[4:5], v[12:13], v[44:45], v[4:5] op_sel_hi:[1,0,1]
	s_nop 0
	v_mov_b32_e32 v7, v5
	s_waitcnt vmcnt(1) lgkmcnt(0)
	v_pk_mul_f32 v[4:5], v[14:15], v[34:35] op_sel:[1,1] op_sel_hi:[0,1]
	v_pk_add_f32 v[2:3], v[2:3], v[6:7]
	v_pk_fma_f32 v[6:7], v[14:15], v[34:35], v[4:5] neg_lo:[0,0,1] neg_hi:[0,0,1]
	v_pk_fma_f32 v[4:5], v[14:15], v[34:35], v[4:5] op_sel_hi:[1,0,1]
	s_nop 0
	v_mov_b32_e32 v4, v37
	v_mov_b32_e32 v7, v5
	v_pk_mul_f32 v[4:5], v[16:17], v[4:5] op_sel:[1,0] op_sel_hi:[0,0]
	v_pk_add_f32 v[2:3], v[2:3], v[6:7]
	v_pk_fma_f32 v[6:7], v[16:17], v[36:37], v[4:5] neg_lo:[0,0,1] neg_hi:[0,0,1]
	v_pk_fma_f32 v[4:5], v[16:17], v[36:37], v[4:5] op_sel_hi:[1,0,1]
	s_nop 0
	v_mov_b32_e32 v7, v5
	v_pk_add_f32 v[2:3], v[2:3], v[6:7]
	s_waitcnt vmcnt(0)
	v_pk_add_f32 v[2:3], v[116:117], v[2:3] neg_lo:[0,1] neg_hi:[0,1]
	scratch_store_dwordx2 off, v[2:3], off offset:136
	s_and_saveexec_b64 s[0:1], vcc
	s_cbranch_execz .LBB113_281
; %bb.280:
	scratch_load_dwordx2 v[2:3], off, off offset:128
	v_mov_b32_e32 v4, 0
	v_mov_b32_e32 v5, v4
	scratch_store_dwordx2 off, v[4:5], off offset:128
	s_waitcnt vmcnt(1)
	ds_write_b64 v1, v[2:3]
.LBB113_281:
	s_or_b64 exec, exec, s[0:1]
	s_waitcnt lgkmcnt(0)
	; wave barrier
	scratch_load_dwordx4 v[2:5], off, off offset:136
	scratch_load_dwordx4 v[6:9], off, off offset:152
	;; [unrolled: 1-line block ×13, first 2 shown]
	v_mov_b32_e32 v106, 0
	scratch_load_dwordx2 v[126:127], off, off offset:128
	ds_read2_b64 v[54:57], v106 offset0:67 offset1:68
	ds_read2_b64 v[58:61], v106 offset0:69 offset1:70
	;; [unrolled: 1-line block ×14, first 2 shown]
	v_cmp_lt_u32_e32 vcc, 15, v0
	s_waitcnt vmcnt(13) lgkmcnt(13)
	v_mul_f32_e32 v107, v54, v3
	v_mul_f32_e32 v112, v56, v5
	v_fmac_f32_e32 v107, v55, v2
	s_waitcnt vmcnt(12) lgkmcnt(12)
	v_mul_f32_e32 v113, v58, v7
	v_fmac_f32_e32 v112, v57, v4
	v_add_f32_e32 v107, 0, v107
	v_mul_f32_e32 v114, v60, v9
	v_fmac_f32_e32 v113, v59, v6
	v_add_f32_e32 v107, v107, v112
	s_waitcnt vmcnt(11) lgkmcnt(11)
	v_mul_f32_e32 v115, v62, v11
	v_fmac_f32_e32 v114, v61, v8
	v_add_f32_e32 v107, v107, v113
	v_mul_f32_e32 v116, v64, v13
	v_fmac_f32_e32 v115, v63, v10
	v_add_f32_e32 v107, v107, v114
	;; [unrolled: 7-line block ×8, first 2 shown]
	s_waitcnt vmcnt(4) lgkmcnt(4)
	v_mul_f32_e32 v135, v90, v39
	v_fmac_f32_e32 v134, v89, v36
	v_add_f32_e32 v107, v107, v133
	v_fmac_f32_e32 v135, v91, v38
	v_add_f32_e32 v107, v107, v134
	v_add_f32_e32 v107, v107, v135
	scratch_load_dwordx4 v[112:115], off, off offset:344
	scratch_load_dwordx4 v[116:119], off, off offset:360
	;; [unrolled: 1-line block ×3, first 2 shown]
	scratch_load_dwordx2 v[134:135], off, off offset:392
	v_mul_f32_e32 v3, v55, v3
	v_fma_f32 v2, v54, v2, -v3
	v_mul_f32_e32 v3, v57, v5
	v_add_f32_e32 v2, 0, v2
	v_fma_f32 v3, v56, v4, -v3
	v_add_f32_e32 v2, v2, v3
	v_mul_f32_e32 v3, v59, v7
	v_fma_f32 v3, v58, v6, -v3
	v_add_f32_e32 v2, v2, v3
	v_mul_f32_e32 v3, v61, v9
	;; [unrolled: 3-line block ×18, first 2 shown]
	v_fma_f32 v3, v92, v40, -v3
	v_add_f32_e32 v2, v2, v3
	s_waitcnt vmcnt(7) lgkmcnt(3)
	v_mul_f32_e32 v3, v95, v43
	v_fma_f32 v3, v94, v42, -v3
	v_mul_f32_e32 v136, v92, v41
	v_add_f32_e32 v2, v2, v3
	v_mul_f32_e32 v3, v97, v45
	v_mul_f32_e32 v137, v94, v43
	v_fmac_f32_e32 v136, v93, v40
	v_fma_f32 v3, v96, v44, -v3
	v_mul_f32_e32 v138, v96, v45
	v_fmac_f32_e32 v137, v95, v42
	v_add_f32_e32 v107, v107, v136
	v_add_f32_e32 v2, v2, v3
	s_waitcnt vmcnt(6) lgkmcnt(2)
	v_mul_f32_e32 v3, v99, v47
	v_mul_f32_e32 v139, v98, v47
	v_fmac_f32_e32 v138, v97, v44
	v_add_f32_e32 v107, v107, v137
	v_fma_f32 v3, v98, v46, -v3
	v_mul_f32_e32 v129, v100, v49
	v_fmac_f32_e32 v139, v99, v46
	v_add_f32_e32 v107, v107, v138
	v_add_f32_e32 v132, v2, v3
	v_mul_f32_e32 v2, v101, v49
	s_waitcnt vmcnt(5)
	v_mov_b32_e32 v14, v53
	s_waitcnt lgkmcnt(1)
	v_mul_f32_e32 v131, v102, v51
	v_fmac_f32_e32 v129, v101, v48
	v_add_f32_e32 v133, v107, v139
	v_fma_f32 v128, v100, v48, -v2
	v_mul_f32_e32 v2, v103, v51
	v_pk_mul_f32 v[14:15], v[104:105], v[14:15] op_sel:[1,0] op_sel_hi:[0,0]
	v_fmac_f32_e32 v131, v103, v50
	v_fma_f32 v130, v102, v50, -v2
	v_pk_add_f32 v[12:13], v[132:133], v[128:129]
	v_pk_fma_f32 v[16:17], v[104:105], v[52:53], v[14:15] neg_lo:[0,0,1] neg_hi:[0,0,1]
	v_pk_fma_f32 v[14:15], v[104:105], v[52:53], v[14:15] op_sel_hi:[1,0,1]
	v_pk_add_f32 v[12:13], v[12:13], v[130:131]
	v_mov_b32_e32 v17, v15
	s_waitcnt vmcnt(3) lgkmcnt(0)
	v_pk_mul_f32 v[14:15], v[108:109], v[112:113] op_sel:[1,1] op_sel_hi:[0,1]
	v_pk_add_f32 v[12:13], v[12:13], v[16:17]
	v_pk_fma_f32 v[16:17], v[108:109], v[112:113], v[14:15] neg_lo:[0,0,1] neg_hi:[0,0,1]
	v_pk_fma_f32 v[14:15], v[108:109], v[112:113], v[14:15] op_sel_hi:[1,0,1]
	ds_read2_b64 v[2:5], v106 offset0:95 offset1:96
	ds_read2_b64 v[6:9], v106 offset0:97 offset1:98
	ds_read_b64 v[10:11], v106 offset:792
	v_mov_b32_e32 v14, v115
	v_mov_b32_e32 v17, v15
	v_pk_mul_f32 v[14:15], v[110:111], v[14:15] op_sel:[1,0] op_sel_hi:[0,0]
	v_pk_add_f32 v[12:13], v[12:13], v[16:17]
	v_pk_fma_f32 v[16:17], v[110:111], v[114:115], v[14:15] neg_lo:[0,0,1] neg_hi:[0,0,1]
	v_pk_fma_f32 v[14:15], v[110:111], v[114:115], v[14:15] op_sel_hi:[1,0,1]
	s_nop 0
	v_mov_b32_e32 v17, v15
	s_waitcnt vmcnt(2) lgkmcnt(2)
	v_pk_mul_f32 v[14:15], v[2:3], v[116:117] op_sel:[1,1] op_sel_hi:[0,1]
	v_pk_add_f32 v[12:13], v[12:13], v[16:17]
	v_pk_fma_f32 v[16:17], v[2:3], v[116:117], v[14:15] neg_lo:[0,0,1] neg_hi:[0,0,1]
	v_pk_fma_f32 v[2:3], v[2:3], v[116:117], v[14:15] op_sel_hi:[1,0,1]
	s_nop 0
	v_mov_b32_e32 v17, v3
	v_pk_add_f32 v[2:3], v[12:13], v[16:17]
	v_mov_b32_e32 v12, v119
	v_pk_mul_f32 v[12:13], v[4:5], v[12:13] op_sel:[1,0] op_sel_hi:[0,0]
	v_pk_fma_f32 v[14:15], v[4:5], v[118:119], v[12:13] neg_lo:[0,0,1] neg_hi:[0,0,1]
	v_pk_fma_f32 v[4:5], v[4:5], v[118:119], v[12:13] op_sel_hi:[1,0,1]
	s_nop 0
	v_mov_b32_e32 v15, v5
	s_waitcnt vmcnt(1) lgkmcnt(1)
	v_pk_mul_f32 v[4:5], v[6:7], v[120:121] op_sel:[1,1] op_sel_hi:[0,1]
	v_pk_fma_f32 v[12:13], v[6:7], v[120:121], v[4:5] neg_lo:[0,0,1] neg_hi:[0,0,1]
	v_pk_fma_f32 v[4:5], v[6:7], v[120:121], v[4:5] op_sel_hi:[1,0,1]
	v_pk_add_f32 v[2:3], v[2:3], v[14:15]
	v_mov_b32_e32 v4, v123
	v_mov_b32_e32 v13, v5
	v_pk_mul_f32 v[4:5], v[8:9], v[4:5] op_sel:[1,0] op_sel_hi:[0,0]
	v_pk_fma_f32 v[6:7], v[8:9], v[122:123], v[4:5] neg_lo:[0,0,1] neg_hi:[0,0,1]
	v_pk_fma_f32 v[4:5], v[8:9], v[122:123], v[4:5] op_sel_hi:[1,0,1]
	v_pk_add_f32 v[2:3], v[2:3], v[12:13]
	v_mov_b32_e32 v7, v5
	s_waitcnt vmcnt(0) lgkmcnt(0)
	v_pk_mul_f32 v[4:5], v[10:11], v[134:135] op_sel:[1,1] op_sel_hi:[0,1]
	v_pk_add_f32 v[2:3], v[2:3], v[6:7]
	v_pk_fma_f32 v[6:7], v[10:11], v[134:135], v[4:5] neg_lo:[0,0,1] neg_hi:[0,0,1]
	v_pk_fma_f32 v[4:5], v[10:11], v[134:135], v[4:5] op_sel_hi:[1,0,1]
	s_nop 0
	v_mov_b32_e32 v7, v5
	v_pk_add_f32 v[2:3], v[2:3], v[6:7]
	s_nop 0
	v_pk_add_f32 v[2:3], v[126:127], v[2:3] neg_lo:[0,1] neg_hi:[0,1]
	scratch_store_dwordx2 off, v[2:3], off offset:128
	s_and_saveexec_b64 s[0:1], vcc
	s_cbranch_execz .LBB113_283
; %bb.282:
	scratch_load_dwordx2 v[2:3], off, off offset:120
	v_mov_b32_e32 v107, v106
	scratch_store_dwordx2 off, v[106:107], off offset:120
	s_waitcnt vmcnt(1)
	ds_write_b64 v1, v[2:3]
.LBB113_283:
	s_or_b64 exec, exec, s[0:1]
	s_waitcnt lgkmcnt(0)
	; wave barrier
	scratch_load_dwordx4 v[2:5], off, off offset:128
	scratch_load_dwordx4 v[6:9], off, off offset:144
	;; [unrolled: 1-line block ×13, first 2 shown]
	ds_read_b128 v[102:105], v106 offset:528
	ds_read_b128 v[98:101], v106 offset:544
	;; [unrolled: 1-line block ×14, first 2 shown]
	scratch_load_dwordx2 v[126:127], off, off offset:120
	v_cmp_lt_u32_e32 vcc, 14, v0
	s_waitcnt vmcnt(13) lgkmcnt(13)
	v_mul_f32_e32 v107, v102, v3
	v_mul_f32_e32 v112, v104, v5
	v_fmac_f32_e32 v107, v103, v2
	s_waitcnt vmcnt(12) lgkmcnt(12)
	v_mul_f32_e32 v113, v98, v7
	v_fmac_f32_e32 v112, v105, v4
	v_add_f32_e32 v107, 0, v107
	v_mul_f32_e32 v114, v100, v9
	v_fmac_f32_e32 v113, v99, v6
	v_add_f32_e32 v107, v107, v112
	s_waitcnt vmcnt(11) lgkmcnt(11)
	v_mul_f32_e32 v115, v94, v11
	v_fmac_f32_e32 v114, v101, v8
	v_add_f32_e32 v107, v107, v113
	v_mul_f32_e32 v116, v96, v13
	v_fmac_f32_e32 v115, v95, v10
	v_add_f32_e32 v107, v107, v114
	;; [unrolled: 7-line block ×5, first 2 shown]
	s_waitcnt vmcnt(7) lgkmcnt(7)
	v_mul_f32_e32 v123, v78, v27
	v_fmac_f32_e32 v122, v85, v24
	v_add_f32_e32 v107, v107, v121
	v_fmac_f32_e32 v123, v79, v26
	v_add_f32_e32 v107, v107, v122
	v_add_f32_e32 v107, v107, v123
	scratch_load_dwordx4 v[112:115], off, off offset:336
	scratch_load_dwordx4 v[116:119], off, off offset:352
	;; [unrolled: 1-line block ×4, first 2 shown]
	v_mul_f32_e32 v3, v103, v3
	v_fma_f32 v2, v102, v2, -v3
	v_mul_f32_e32 v3, v105, v5
	v_add_f32_e32 v2, 0, v2
	v_fma_f32 v3, v104, v4, -v3
	v_add_f32_e32 v2, v2, v3
	v_mul_f32_e32 v3, v99, v7
	v_fma_f32 v3, v98, v6, -v3
	v_add_f32_e32 v2, v2, v3
	v_mul_f32_e32 v3, v101, v9
	;; [unrolled: 3-line block ×12, first 2 shown]
	v_fma_f32 v3, v80, v28, -v3
	v_add_f32_e32 v2, v2, v3
	s_waitcnt vmcnt(10) lgkmcnt(6)
	v_mul_f32_e32 v3, v75, v31
	v_fma_f32 v3, v74, v30, -v3
	v_add_f32_e32 v2, v2, v3
	v_mul_f32_e32 v3, v77, v33
	v_fma_f32 v3, v76, v32, -v3
	v_add_f32_e32 v2, v2, v3
	s_waitcnt vmcnt(9) lgkmcnt(5)
	v_mul_f32_e32 v3, v71, v35
	v_fma_f32 v3, v70, v34, -v3
	v_add_f32_e32 v2, v2, v3
	v_mul_f32_e32 v3, v73, v37
	v_fma_f32 v3, v72, v36, -v3
	v_add_f32_e32 v2, v2, v3
	s_waitcnt vmcnt(8) lgkmcnt(4)
	v_mul_f32_e32 v3, v67, v39
	v_mul_f32_e32 v128, v80, v29
	v_fma_f32 v3, v66, v38, -v3
	v_mul_f32_e32 v130, v74, v31
	v_fmac_f32_e32 v128, v81, v28
	v_add_f32_e32 v2, v2, v3
	v_mul_f32_e32 v3, v69, v41
	v_mul_f32_e32 v132, v76, v33
	v_fmac_f32_e32 v130, v75, v30
	v_add_f32_e32 v107, v107, v128
	v_fma_f32 v3, v68, v40, -v3
	v_mul_f32_e32 v133, v70, v35
	v_fmac_f32_e32 v132, v77, v32
	v_add_f32_e32 v107, v107, v130
	v_add_f32_e32 v2, v2, v3
	s_waitcnt vmcnt(7) lgkmcnt(3)
	v_mul_f32_e32 v3, v63, v43
	v_mul_f32_e32 v134, v72, v37
	v_fmac_f32_e32 v133, v71, v34
	v_add_f32_e32 v107, v107, v132
	v_fma_f32 v3, v62, v42, -v3
	v_mul_f32_e32 v135, v66, v39
	v_fmac_f32_e32 v134, v73, v36
	v_add_f32_e32 v107, v107, v133
	v_add_f32_e32 v2, v2, v3
	v_mul_f32_e32 v3, v65, v45
	v_mul_f32_e32 v136, v68, v41
	v_fmac_f32_e32 v135, v67, v38
	v_add_f32_e32 v107, v107, v134
	v_fma_f32 v3, v64, v44, -v3
	v_mul_f32_e32 v137, v62, v43
	v_fmac_f32_e32 v136, v69, v40
	v_add_f32_e32 v107, v107, v135
	v_add_f32_e32 v2, v2, v3
	s_waitcnt vmcnt(6) lgkmcnt(2)
	v_mul_f32_e32 v3, v59, v47
	v_mul_f32_e32 v138, v64, v45
	v_fmac_f32_e32 v137, v63, v42
	v_add_f32_e32 v107, v107, v136
	v_fma_f32 v3, v58, v46, -v3
	v_mul_f32_e32 v139, v58, v47
	v_fmac_f32_e32 v138, v65, v44
	v_add_f32_e32 v107, v107, v137
	v_add_f32_e32 v2, v2, v3
	v_mul_f32_e32 v3, v61, v49
	v_mul_f32_e32 v140, v60, v49
	v_fmac_f32_e32 v139, v59, v46
	v_add_f32_e32 v107, v107, v138
	v_fma_f32 v3, v60, v48, -v3
	s_waitcnt vmcnt(5) lgkmcnt(1)
	v_mul_f32_e32 v129, v54, v51
	v_fmac_f32_e32 v140, v61, v48
	v_add_f32_e32 v107, v107, v139
	v_add_f32_e32 v132, v2, v3
	v_mul_f32_e32 v2, v55, v51
	s_waitcnt vmcnt(3) lgkmcnt(0)
	v_pk_mul_f32 v[16:17], v[108:109], v[112:113] op_sel:[1,1] op_sel_hi:[0,1]
	v_mul_f32_e32 v131, v56, v53
	v_fmac_f32_e32 v129, v55, v50
	v_add_f32_e32 v133, v107, v140
	v_fma_f32 v128, v54, v50, -v2
	v_mul_f32_e32 v2, v57, v53
	v_pk_fma_f32 v[18:19], v[108:109], v[112:113], v[16:17] neg_lo:[0,0,1] neg_hi:[0,0,1]
	v_pk_fma_f32 v[16:17], v[108:109], v[112:113], v[16:17] op_sel_hi:[1,0,1]
	v_fmac_f32_e32 v131, v57, v52
	v_fma_f32 v130, v56, v52, -v2
	ds_read_b128 v[2:5], v106 offset:752
	ds_read_b128 v[6:9], v106 offset:768
	ds_read_b128 v[10:13], v106 offset:784
	v_pk_add_f32 v[14:15], v[132:133], v[128:129]
	v_mov_b32_e32 v16, v115
	v_pk_add_f32 v[14:15], v[14:15], v[130:131]
	v_mov_b32_e32 v19, v17
	v_pk_mul_f32 v[16:17], v[110:111], v[16:17] op_sel:[1,0] op_sel_hi:[0,0]
	v_pk_add_f32 v[14:15], v[14:15], v[18:19]
	v_pk_fma_f32 v[18:19], v[110:111], v[114:115], v[16:17] neg_lo:[0,0,1] neg_hi:[0,0,1]
	v_pk_fma_f32 v[16:17], v[110:111], v[114:115], v[16:17] op_sel_hi:[1,0,1]
	s_nop 0
	v_mov_b32_e32 v19, v17
	s_waitcnt vmcnt(2) lgkmcnt(2)
	v_pk_mul_f32 v[16:17], v[2:3], v[116:117] op_sel:[1,1] op_sel_hi:[0,1]
	v_pk_add_f32 v[14:15], v[14:15], v[18:19]
	v_pk_fma_f32 v[18:19], v[2:3], v[116:117], v[16:17] neg_lo:[0,0,1] neg_hi:[0,0,1]
	v_pk_fma_f32 v[2:3], v[2:3], v[116:117], v[16:17] op_sel_hi:[1,0,1]
	s_nop 0
	v_mov_b32_e32 v19, v3
	v_pk_add_f32 v[2:3], v[14:15], v[18:19]
	v_mov_b32_e32 v14, v119
	v_pk_mul_f32 v[14:15], v[4:5], v[14:15] op_sel:[1,0] op_sel_hi:[0,0]
	v_pk_fma_f32 v[16:17], v[4:5], v[118:119], v[14:15] neg_lo:[0,0,1] neg_hi:[0,0,1]
	v_pk_fma_f32 v[4:5], v[4:5], v[118:119], v[14:15] op_sel_hi:[1,0,1]
	s_nop 0
	v_mov_b32_e32 v17, v5
	s_waitcnt vmcnt(1) lgkmcnt(1)
	v_pk_mul_f32 v[4:5], v[6:7], v[120:121] op_sel:[1,1] op_sel_hi:[0,1]
	v_pk_fma_f32 v[14:15], v[6:7], v[120:121], v[4:5] neg_lo:[0,0,1] neg_hi:[0,0,1]
	v_pk_fma_f32 v[4:5], v[6:7], v[120:121], v[4:5] op_sel_hi:[1,0,1]
	v_pk_add_f32 v[2:3], v[2:3], v[16:17]
	v_mov_b32_e32 v4, v123
	v_mov_b32_e32 v15, v5
	v_pk_mul_f32 v[4:5], v[8:9], v[4:5] op_sel:[1,0] op_sel_hi:[0,0]
	v_pk_fma_f32 v[6:7], v[8:9], v[122:123], v[4:5] neg_lo:[0,0,1] neg_hi:[0,0,1]
	v_pk_fma_f32 v[4:5], v[8:9], v[122:123], v[4:5] op_sel_hi:[1,0,1]
	v_pk_add_f32 v[2:3], v[2:3], v[14:15]
	v_mov_b32_e32 v7, v5
	s_waitcnt vmcnt(0) lgkmcnt(0)
	v_pk_mul_f32 v[4:5], v[10:11], v[224:225] op_sel:[1,1] op_sel_hi:[0,1]
	v_pk_add_f32 v[2:3], v[2:3], v[6:7]
	v_pk_fma_f32 v[6:7], v[10:11], v[224:225], v[4:5] neg_lo:[0,0,1] neg_hi:[0,0,1]
	v_pk_fma_f32 v[4:5], v[10:11], v[224:225], v[4:5] op_sel_hi:[1,0,1]
	s_nop 0
	v_mov_b32_e32 v4, v227
	v_mov_b32_e32 v7, v5
	v_pk_mul_f32 v[4:5], v[12:13], v[4:5] op_sel:[1,0] op_sel_hi:[0,0]
	v_pk_add_f32 v[2:3], v[2:3], v[6:7]
	v_pk_fma_f32 v[6:7], v[12:13], v[226:227], v[4:5] neg_lo:[0,0,1] neg_hi:[0,0,1]
	v_pk_fma_f32 v[4:5], v[12:13], v[226:227], v[4:5] op_sel_hi:[1,0,1]
	s_nop 0
	v_mov_b32_e32 v7, v5
	v_pk_add_f32 v[2:3], v[2:3], v[6:7]
	s_nop 0
	v_pk_add_f32 v[2:3], v[126:127], v[2:3] neg_lo:[0,1] neg_hi:[0,1]
	scratch_store_dwordx2 off, v[2:3], off offset:120
	s_and_saveexec_b64 s[0:1], vcc
	s_cbranch_execz .LBB113_285
; %bb.284:
	scratch_load_dwordx2 v[2:3], off, off offset:112
	v_mov_b32_e32 v4, 0
	v_mov_b32_e32 v5, v4
	scratch_store_dwordx2 off, v[4:5], off offset:112
	s_waitcnt vmcnt(1)
	ds_write_b64 v1, v[2:3]
.LBB113_285:
	s_or_b64 exec, exec, s[0:1]
	s_waitcnt lgkmcnt(0)
	; wave barrier
	scratch_load_dwordx4 v[2:5], off, off offset:120
	scratch_load_dwordx4 v[6:9], off, off offset:136
	;; [unrolled: 1-line block ×13, first 2 shown]
	v_mov_b32_e32 v114, 0
	scratch_load_dwordx4 v[54:57], off, off offset:328
	scratch_load_dwordx2 v[126:127], off, off offset:112
	ds_read2_b64 v[58:61], v114 offset0:65 offset1:66
	ds_read2_b64 v[62:65], v114 offset0:67 offset1:68
	;; [unrolled: 1-line block ×14, first 2 shown]
	v_cmp_lt_u32_e32 vcc, 13, v0
	s_waitcnt vmcnt(14) lgkmcnt(13)
	v_mul_f32_e32 v115, v58, v3
	v_mul_f32_e32 v116, v60, v5
	v_fmac_f32_e32 v115, v59, v2
	s_waitcnt vmcnt(13) lgkmcnt(12)
	v_mul_f32_e32 v117, v62, v7
	v_fmac_f32_e32 v116, v61, v4
	v_add_f32_e32 v115, 0, v115
	v_mul_f32_e32 v118, v64, v9
	v_fmac_f32_e32 v117, v63, v6
	v_add_f32_e32 v115, v115, v116
	s_waitcnt vmcnt(12) lgkmcnt(11)
	v_mul_f32_e32 v119, v66, v11
	v_fmac_f32_e32 v118, v65, v8
	v_add_f32_e32 v115, v115, v117
	v_mul_f32_e32 v120, v68, v13
	v_fmac_f32_e32 v119, v67, v10
	v_add_f32_e32 v115, v115, v118
	;; [unrolled: 7-line block ×4, first 2 shown]
	s_waitcnt vmcnt(9) lgkmcnt(8)
	v_mul_f32_e32 v129, v78, v23
	v_fmac_f32_e32 v128, v77, v20
	v_add_f32_e32 v115, v115, v123
	scratch_load_dwordx4 v[116:119], off, off offset:344
	v_mul_f32_e32 v130, v80, v25
	v_fmac_f32_e32 v129, v79, v22
	v_add_f32_e32 v115, v115, v128
	s_waitcnt vmcnt(9) lgkmcnt(7)
	v_mul_f32_e32 v131, v82, v27
	v_fmac_f32_e32 v130, v81, v24
	v_add_f32_e32 v115, v115, v129
	v_mul_f32_e32 v132, v84, v29
	v_fmac_f32_e32 v131, v83, v26
	v_add_f32_e32 v115, v115, v130
	s_waitcnt vmcnt(8) lgkmcnt(6)
	v_mul_f32_e32 v133, v86, v31
	v_fmac_f32_e32 v132, v85, v28
	v_add_f32_e32 v115, v115, v131
	;; [unrolled: 7-line block ×3, first 2 shown]
	v_fmac_f32_e32 v135, v91, v34
	v_add_f32_e32 v115, v115, v134
	v_add_f32_e32 v115, v115, v135
	scratch_load_dwordx4 v[120:123], off, off offset:360
	scratch_load_dwordx4 v[224:227], off, off offset:376
	scratch_load_dwordx2 v[134:135], off, off offset:392
	v_mul_f32_e32 v3, v59, v3
	v_fma_f32 v2, v58, v2, -v3
	v_mul_f32_e32 v3, v61, v5
	v_add_f32_e32 v2, 0, v2
	v_fma_f32 v3, v60, v4, -v3
	v_add_f32_e32 v2, v2, v3
	v_mul_f32_e32 v3, v63, v7
	v_fma_f32 v3, v62, v6, -v3
	v_add_f32_e32 v2, v2, v3
	v_mul_f32_e32 v3, v65, v9
	;; [unrolled: 3-line block ×16, first 2 shown]
	v_fma_f32 v3, v92, v36, -v3
	v_add_f32_e32 v2, v2, v3
	s_waitcnt vmcnt(9) lgkmcnt(4)
	v_mul_f32_e32 v3, v95, v39
	v_fma_f32 v3, v94, v38, -v3
	v_add_f32_e32 v2, v2, v3
	v_mul_f32_e32 v3, v97, v41
	v_fma_f32 v3, v96, v40, -v3
	v_add_f32_e32 v2, v2, v3
	s_waitcnt vmcnt(8) lgkmcnt(3)
	v_mul_f32_e32 v3, v99, v43
	v_fma_f32 v3, v98, v42, -v3
	v_add_f32_e32 v2, v2, v3
	v_mul_f32_e32 v3, v101, v45
	v_mul_f32_e32 v136, v92, v37
	v_fma_f32 v3, v100, v44, -v3
	v_mul_f32_e32 v137, v94, v39
	v_fmac_f32_e32 v136, v93, v36
	v_add_f32_e32 v2, v2, v3
	s_waitcnt vmcnt(7) lgkmcnt(2)
	v_mul_f32_e32 v3, v103, v47
	v_mul_f32_e32 v138, v96, v41
	v_fmac_f32_e32 v137, v95, v38
	v_add_f32_e32 v115, v115, v136
	v_fma_f32 v3, v102, v46, -v3
	v_mul_f32_e32 v139, v98, v43
	v_fmac_f32_e32 v138, v97, v40
	v_add_f32_e32 v115, v115, v137
	v_add_f32_e32 v2, v2, v3
	v_mul_f32_e32 v3, v105, v49
	v_mul_f32_e32 v140, v100, v45
	v_fmac_f32_e32 v139, v99, v42
	v_add_f32_e32 v115, v115, v138
	v_fma_f32 v3, v104, v48, -v3
	v_mul_f32_e32 v141, v102, v47
	v_fmac_f32_e32 v140, v101, v44
	v_add_f32_e32 v115, v115, v139
	v_add_f32_e32 v2, v2, v3
	s_waitcnt vmcnt(6) lgkmcnt(1)
	v_mul_f32_e32 v3, v107, v51
	v_mul_f32_e32 v142, v104, v49
	v_fmac_f32_e32 v141, v103, v46
	v_add_f32_e32 v115, v115, v140
	v_fma_f32 v3, v106, v50, -v3
	v_mul_f32_e32 v143, v106, v51
	v_fmac_f32_e32 v142, v105, v48
	v_add_f32_e32 v115, v115, v141
	v_add_f32_e32 v128, v2, v3
	v_mul_f32_e32 v2, v109, v53
	v_fmac_f32_e32 v143, v107, v50
	v_add_f32_e32 v115, v115, v142
	v_mul_f32_e32 v131, v108, v53
	v_fma_f32 v130, v108, v52, -v2
	s_waitcnt vmcnt(5) lgkmcnt(0)
	v_mul_f32_e32 v2, v111, v55
	v_mov_b32_e32 v18, v57
	v_add_f32_e32 v129, v115, v143
	v_fmac_f32_e32 v131, v109, v52
	v_mul_f32_e32 v133, v110, v55
	v_fma_f32 v132, v110, v54, -v2
	ds_read2_b64 v[2:5], v114 offset0:93 offset1:94
	ds_read2_b64 v[6:9], v114 offset0:95 offset1:96
	;; [unrolled: 1-line block ×3, first 2 shown]
	ds_read_b64 v[14:15], v114 offset:792
	v_pk_mul_f32 v[18:19], v[112:113], v[18:19] op_sel:[1,0] op_sel_hi:[0,0]
	v_fmac_f32_e32 v133, v111, v54
	v_pk_add_f32 v[16:17], v[128:129], v[130:131]
	v_pk_fma_f32 v[20:21], v[112:113], v[56:57], v[18:19] neg_lo:[0,0,1] neg_hi:[0,0,1]
	v_pk_fma_f32 v[18:19], v[112:113], v[56:57], v[18:19] op_sel_hi:[1,0,1]
	v_pk_add_f32 v[16:17], v[16:17], v[132:133]
	v_mov_b32_e32 v21, v19
	s_waitcnt vmcnt(3) lgkmcnt(3)
	v_pk_mul_f32 v[18:19], v[2:3], v[116:117] op_sel:[1,1] op_sel_hi:[0,1]
	v_pk_add_f32 v[16:17], v[16:17], v[20:21]
	v_pk_fma_f32 v[20:21], v[2:3], v[116:117], v[18:19] neg_lo:[0,0,1] neg_hi:[0,0,1]
	v_pk_fma_f32 v[2:3], v[2:3], v[116:117], v[18:19] op_sel_hi:[1,0,1]
	s_nop 0
	v_mov_b32_e32 v21, v3
	v_pk_add_f32 v[2:3], v[16:17], v[20:21]
	v_mov_b32_e32 v16, v119
	v_pk_mul_f32 v[16:17], v[4:5], v[16:17] op_sel:[1,0] op_sel_hi:[0,0]
	v_pk_fma_f32 v[18:19], v[4:5], v[118:119], v[16:17] neg_lo:[0,0,1] neg_hi:[0,0,1]
	v_pk_fma_f32 v[4:5], v[4:5], v[118:119], v[16:17] op_sel_hi:[1,0,1]
	s_nop 0
	v_mov_b32_e32 v19, v5
	s_waitcnt vmcnt(2) lgkmcnt(2)
	v_pk_mul_f32 v[4:5], v[6:7], v[120:121] op_sel:[1,1] op_sel_hi:[0,1]
	v_pk_fma_f32 v[16:17], v[6:7], v[120:121], v[4:5] neg_lo:[0,0,1] neg_hi:[0,0,1]
	v_pk_fma_f32 v[4:5], v[6:7], v[120:121], v[4:5] op_sel_hi:[1,0,1]
	v_pk_add_f32 v[2:3], v[2:3], v[18:19]
	v_mov_b32_e32 v4, v123
	v_mov_b32_e32 v17, v5
	v_pk_mul_f32 v[4:5], v[8:9], v[4:5] op_sel:[1,0] op_sel_hi:[0,0]
	v_pk_fma_f32 v[6:7], v[8:9], v[122:123], v[4:5] neg_lo:[0,0,1] neg_hi:[0,0,1]
	v_pk_fma_f32 v[4:5], v[8:9], v[122:123], v[4:5] op_sel_hi:[1,0,1]
	v_pk_add_f32 v[2:3], v[2:3], v[16:17]
	v_mov_b32_e32 v7, v5
	s_waitcnt vmcnt(1) lgkmcnt(1)
	v_pk_mul_f32 v[4:5], v[10:11], v[224:225] op_sel:[1,1] op_sel_hi:[0,1]
	v_pk_add_f32 v[2:3], v[2:3], v[6:7]
	v_pk_fma_f32 v[6:7], v[10:11], v[224:225], v[4:5] neg_lo:[0,0,1] neg_hi:[0,0,1]
	v_pk_fma_f32 v[4:5], v[10:11], v[224:225], v[4:5] op_sel_hi:[1,0,1]
	s_nop 0
	v_mov_b32_e32 v4, v227
	v_mov_b32_e32 v7, v5
	v_pk_mul_f32 v[4:5], v[12:13], v[4:5] op_sel:[1,0] op_sel_hi:[0,0]
	v_pk_add_f32 v[2:3], v[2:3], v[6:7]
	v_pk_fma_f32 v[6:7], v[12:13], v[226:227], v[4:5] neg_lo:[0,0,1] neg_hi:[0,0,1]
	v_pk_fma_f32 v[4:5], v[12:13], v[226:227], v[4:5] op_sel_hi:[1,0,1]
	s_nop 0
	v_mov_b32_e32 v7, v5
	s_waitcnt vmcnt(0) lgkmcnt(0)
	v_pk_mul_f32 v[4:5], v[14:15], v[134:135] op_sel:[1,1] op_sel_hi:[0,1]
	v_pk_add_f32 v[2:3], v[2:3], v[6:7]
	v_pk_fma_f32 v[6:7], v[14:15], v[134:135], v[4:5] neg_lo:[0,0,1] neg_hi:[0,0,1]
	v_pk_fma_f32 v[4:5], v[14:15], v[134:135], v[4:5] op_sel_hi:[1,0,1]
	s_nop 0
	v_mov_b32_e32 v7, v5
	v_pk_add_f32 v[2:3], v[2:3], v[6:7]
	s_nop 0
	v_pk_add_f32 v[2:3], v[126:127], v[2:3] neg_lo:[0,1] neg_hi:[0,1]
	scratch_store_dwordx2 off, v[2:3], off offset:112
	s_and_saveexec_b64 s[0:1], vcc
	s_cbranch_execz .LBB113_287
; %bb.286:
	scratch_load_dwordx2 v[2:3], off, off offset:104
	v_mov_b32_e32 v115, v114
	scratch_store_dwordx2 off, v[114:115], off offset:104
	s_waitcnt vmcnt(1)
	ds_write_b64 v1, v[2:3]
.LBB113_287:
	s_or_b64 exec, exec, s[0:1]
	s_waitcnt lgkmcnt(0)
	; wave barrier
	scratch_load_dwordx4 v[2:5], off, off offset:112
	scratch_load_dwordx4 v[6:9], off, off offset:128
	;; [unrolled: 1-line block ×13, first 2 shown]
	ds_read_b128 v[110:113], v114 offset:512
	ds_read_b128 v[106:109], v114 offset:528
	;; [unrolled: 1-line block ×14, first 2 shown]
	scratch_load_dwordx4 v[66:69], off, off offset:320
	scratch_load_dwordx2 v[126:127], off, off offset:104
	v_cmp_lt_u32_e32 vcc, 12, v0
	s_waitcnt vmcnt(14) lgkmcnt(13)
	v_mul_f32_e32 v115, v110, v3
	v_mul_f32_e32 v116, v112, v5
	v_fmac_f32_e32 v115, v111, v2
	s_waitcnt vmcnt(13) lgkmcnt(12)
	v_mul_f32_e32 v117, v106, v7
	v_fmac_f32_e32 v116, v113, v4
	v_add_f32_e32 v115, 0, v115
	v_mul_f32_e32 v118, v108, v9
	v_fmac_f32_e32 v117, v107, v6
	v_add_f32_e32 v115, v115, v116
	s_waitcnt vmcnt(12) lgkmcnt(11)
	v_mul_f32_e32 v119, v102, v11
	v_fmac_f32_e32 v118, v109, v8
	v_add_f32_e32 v115, v115, v117
	v_fmac_f32_e32 v119, v103, v10
	v_add_f32_e32 v115, v115, v118
	v_add_f32_e32 v115, v115, v119
	scratch_load_dwordx4 v[116:119], off, off offset:336
	v_mul_f32_e32 v120, v104, v13
	s_waitcnt vmcnt(12) lgkmcnt(10)
	v_mul_f32_e32 v121, v98, v15
	v_fmac_f32_e32 v120, v105, v12
	v_mul_f32_e32 v122, v100, v17
	v_fmac_f32_e32 v121, v99, v14
	v_add_f32_e32 v115, v115, v120
	s_waitcnt vmcnt(11) lgkmcnt(9)
	v_mul_f32_e32 v123, v94, v19
	v_fmac_f32_e32 v122, v101, v16
	v_add_f32_e32 v115, v115, v121
	v_fmac_f32_e32 v123, v95, v18
	v_add_f32_e32 v115, v115, v122
	v_add_f32_e32 v115, v115, v123
	scratch_load_dwordx4 v[120:123], off, off offset:352
	scratch_load_dwordx4 v[224:227], off, off offset:368
	;; [unrolled: 1-line block ×3, first 2 shown]
	v_mul_f32_e32 v3, v111, v3
	v_fma_f32 v2, v110, v2, -v3
	v_mul_f32_e32 v3, v113, v5
	v_add_f32_e32 v2, 0, v2
	v_fma_f32 v3, v112, v4, -v3
	v_add_f32_e32 v2, v2, v3
	v_mul_f32_e32 v3, v107, v7
	v_fma_f32 v3, v106, v6, -v3
	v_add_f32_e32 v2, v2, v3
	v_mul_f32_e32 v3, v109, v9
	;; [unrolled: 3-line block ×8, first 2 shown]
	v_fma_f32 v3, v96, v20, -v3
	v_add_f32_e32 v2, v2, v3
	s_waitcnt vmcnt(13) lgkmcnt(8)
	v_mul_f32_e32 v3, v91, v23
	v_fma_f32 v3, v90, v22, -v3
	v_add_f32_e32 v2, v2, v3
	v_mul_f32_e32 v3, v93, v25
	v_fma_f32 v3, v92, v24, -v3
	v_add_f32_e32 v2, v2, v3
	s_waitcnt vmcnt(12) lgkmcnt(7)
	v_mul_f32_e32 v3, v87, v27
	v_fma_f32 v3, v86, v26, -v3
	v_add_f32_e32 v2, v2, v3
	v_mul_f32_e32 v3, v89, v29
	;; [unrolled: 7-line block ×4, first 2 shown]
	v_fma_f32 v3, v80, v36, -v3
	v_add_f32_e32 v2, v2, v3
	s_waitcnt vmcnt(9) lgkmcnt(4)
	v_mul_f32_e32 v3, v75, v39
	v_fma_f32 v3, v74, v38, -v3
	v_mul_f32_e32 v128, v96, v21
	v_add_f32_e32 v2, v2, v3
	v_mul_f32_e32 v3, v77, v41
	v_mul_f32_e32 v129, v90, v23
	v_fmac_f32_e32 v128, v97, v20
	v_fma_f32 v3, v76, v40, -v3
	v_mul_f32_e32 v130, v92, v25
	v_fmac_f32_e32 v129, v91, v22
	v_add_f32_e32 v115, v115, v128
	v_add_f32_e32 v2, v2, v3
	s_waitcnt vmcnt(8) lgkmcnt(3)
	v_mul_f32_e32 v3, v71, v43
	v_mul_f32_e32 v131, v86, v27
	v_fmac_f32_e32 v130, v93, v24
	v_add_f32_e32 v115, v115, v129
	v_fma_f32 v3, v70, v42, -v3
	v_mul_f32_e32 v132, v88, v29
	v_fmac_f32_e32 v131, v87, v26
	v_add_f32_e32 v115, v115, v130
	v_add_f32_e32 v2, v2, v3
	v_mul_f32_e32 v3, v73, v45
	v_mul_f32_e32 v133, v82, v31
	v_fmac_f32_e32 v132, v89, v28
	v_add_f32_e32 v115, v115, v131
	v_fma_f32 v3, v72, v44, -v3
	v_mul_f32_e32 v134, v84, v33
	v_fmac_f32_e32 v133, v83, v30
	v_add_f32_e32 v115, v115, v132
	v_add_f32_e32 v2, v2, v3
	s_waitcnt vmcnt(7) lgkmcnt(2)
	v_mul_f32_e32 v3, v63, v47
	v_mul_f32_e32 v135, v78, v35
	v_fmac_f32_e32 v134, v85, v32
	v_add_f32_e32 v115, v115, v133
	v_fma_f32 v3, v62, v46, -v3
	v_mul_f32_e32 v136, v80, v37
	v_fmac_f32_e32 v135, v79, v34
	v_add_f32_e32 v115, v115, v134
	v_add_f32_e32 v2, v2, v3
	v_mul_f32_e32 v3, v65, v49
	v_mul_f32_e32 v137, v74, v39
	v_fmac_f32_e32 v136, v81, v36
	v_add_f32_e32 v115, v115, v135
	;; [unrolled: 19-line block ×3, first 2 shown]
	v_fma_f32 v3, v56, v52, -v3
	v_mul_f32_e32 v142, v64, v49
	v_fmac_f32_e32 v141, v63, v46
	v_add_f32_e32 v115, v115, v140
	v_add_f32_e32 v128, v2, v3
	s_waitcnt vmcnt(5) lgkmcnt(0)
	v_mul_f32_e32 v2, v59, v67
	v_mul_f32_e32 v143, v54, v51
	v_fmac_f32_e32 v142, v65, v48
	v_add_f32_e32 v115, v115, v141
	v_fma_f32 v130, v58, v66, -v2
	v_mul_f32_e32 v2, v61, v69
	v_mul_f32_e32 v144, v56, v53
	v_fmac_f32_e32 v143, v55, v50
	v_add_f32_e32 v115, v115, v142
	v_fma_f32 v132, v60, v68, -v2
	ds_read_b128 v[2:5], v114 offset:736
	ds_read_b128 v[6:9], v114 offset:752
	;; [unrolled: 1-line block ×4, first 2 shown]
	v_add_f32_e32 v115, v115, v143
	v_fmac_f32_e32 v144, v57, v52
	v_mul_f32_e32 v131, v58, v67
	v_add_f32_e32 v129, v115, v144
	v_fmac_f32_e32 v131, v59, v66
	v_mul_f32_e32 v133, v60, v69
	s_waitcnt vmcnt(3) lgkmcnt(3)
	v_pk_mul_f32 v[20:21], v[2:3], v[116:117] op_sel:[1,1] op_sel_hi:[0,1]
	v_fmac_f32_e32 v133, v61, v68
	v_pk_add_f32 v[18:19], v[128:129], v[130:131]
	v_pk_fma_f32 v[22:23], v[2:3], v[116:117], v[20:21] neg_lo:[0,0,1] neg_hi:[0,0,1]
	v_pk_fma_f32 v[2:3], v[2:3], v[116:117], v[20:21] op_sel_hi:[1,0,1]
	v_pk_add_f32 v[18:19], v[18:19], v[132:133]
	v_mov_b32_e32 v23, v3
	v_pk_add_f32 v[2:3], v[18:19], v[22:23]
	v_mov_b32_e32 v18, v119
	v_pk_mul_f32 v[18:19], v[4:5], v[18:19] op_sel:[1,0] op_sel_hi:[0,0]
	v_pk_fma_f32 v[20:21], v[4:5], v[118:119], v[18:19] neg_lo:[0,0,1] neg_hi:[0,0,1]
	v_pk_fma_f32 v[4:5], v[4:5], v[118:119], v[18:19] op_sel_hi:[1,0,1]
	s_nop 0
	v_mov_b32_e32 v21, v5
	s_waitcnt vmcnt(2) lgkmcnt(2)
	v_pk_mul_f32 v[4:5], v[6:7], v[120:121] op_sel:[1,1] op_sel_hi:[0,1]
	v_pk_fma_f32 v[18:19], v[6:7], v[120:121], v[4:5] neg_lo:[0,0,1] neg_hi:[0,0,1]
	v_pk_fma_f32 v[4:5], v[6:7], v[120:121], v[4:5] op_sel_hi:[1,0,1]
	v_pk_add_f32 v[2:3], v[2:3], v[20:21]
	v_mov_b32_e32 v4, v123
	v_mov_b32_e32 v19, v5
	v_pk_mul_f32 v[4:5], v[8:9], v[4:5] op_sel:[1,0] op_sel_hi:[0,0]
	v_pk_fma_f32 v[6:7], v[8:9], v[122:123], v[4:5] neg_lo:[0,0,1] neg_hi:[0,0,1]
	v_pk_fma_f32 v[4:5], v[8:9], v[122:123], v[4:5] op_sel_hi:[1,0,1]
	v_pk_add_f32 v[2:3], v[2:3], v[18:19]
	v_mov_b32_e32 v7, v5
	s_waitcnt vmcnt(1) lgkmcnt(1)
	v_pk_mul_f32 v[4:5], v[10:11], v[224:225] op_sel:[1,1] op_sel_hi:[0,1]
	v_pk_add_f32 v[2:3], v[2:3], v[6:7]
	v_pk_fma_f32 v[6:7], v[10:11], v[224:225], v[4:5] neg_lo:[0,0,1] neg_hi:[0,0,1]
	v_pk_fma_f32 v[4:5], v[10:11], v[224:225], v[4:5] op_sel_hi:[1,0,1]
	s_nop 0
	v_mov_b32_e32 v4, v227
	v_mov_b32_e32 v7, v5
	v_pk_mul_f32 v[4:5], v[12:13], v[4:5] op_sel:[1,0] op_sel_hi:[0,0]
	v_pk_add_f32 v[2:3], v[2:3], v[6:7]
	v_pk_fma_f32 v[6:7], v[12:13], v[226:227], v[4:5] neg_lo:[0,0,1] neg_hi:[0,0,1]
	v_pk_fma_f32 v[4:5], v[12:13], v[226:227], v[4:5] op_sel_hi:[1,0,1]
	s_nop 0
	v_mov_b32_e32 v7, v5
	s_waitcnt vmcnt(0) lgkmcnt(0)
	v_pk_mul_f32 v[4:5], v[14:15], v[228:229] op_sel:[1,1] op_sel_hi:[0,1]
	v_pk_add_f32 v[2:3], v[2:3], v[6:7]
	v_pk_fma_f32 v[6:7], v[14:15], v[228:229], v[4:5] neg_lo:[0,0,1] neg_hi:[0,0,1]
	v_pk_fma_f32 v[4:5], v[14:15], v[228:229], v[4:5] op_sel_hi:[1,0,1]
	s_nop 0
	v_mov_b32_e32 v4, v231
	v_mov_b32_e32 v7, v5
	v_pk_mul_f32 v[4:5], v[16:17], v[4:5] op_sel:[1,0] op_sel_hi:[0,0]
	v_pk_add_f32 v[2:3], v[2:3], v[6:7]
	v_pk_fma_f32 v[6:7], v[16:17], v[230:231], v[4:5] neg_lo:[0,0,1] neg_hi:[0,0,1]
	v_pk_fma_f32 v[4:5], v[16:17], v[230:231], v[4:5] op_sel_hi:[1,0,1]
	s_nop 0
	v_mov_b32_e32 v7, v5
	v_pk_add_f32 v[2:3], v[2:3], v[6:7]
	s_nop 0
	v_pk_add_f32 v[2:3], v[126:127], v[2:3] neg_lo:[0,1] neg_hi:[0,1]
	scratch_store_dwordx2 off, v[2:3], off offset:104
	s_and_saveexec_b64 s[0:1], vcc
	s_cbranch_execz .LBB113_289
; %bb.288:
	scratch_load_dwordx2 v[2:3], off, off offset:96
	v_mov_b32_e32 v4, 0
	v_mov_b32_e32 v5, v4
	scratch_store_dwordx2 off, v[4:5], off offset:96
	s_waitcnt vmcnt(1)
	ds_write_b64 v1, v[2:3]
.LBB113_289:
	s_or_b64 exec, exec, s[0:1]
	s_waitcnt lgkmcnt(0)
	; wave barrier
	scratch_load_dwordx4 v[2:5], off, off offset:104
	scratch_load_dwordx4 v[6:9], off, off offset:120
	;; [unrolled: 1-line block ×13, first 2 shown]
	v_mov_b32_e32 v118, 0
	scratch_load_dwordx4 v[54:57], off, off offset:312
	scratch_load_dwordx4 v[58:61], off, off offset:328
	scratch_load_dwordx2 v[126:127], off, off offset:96
	ds_read2_b64 v[62:65], v118 offset0:63 offset1:64
	ds_read2_b64 v[66:69], v118 offset0:65 offset1:66
	;; [unrolled: 1-line block ×14, first 2 shown]
	v_cmp_lt_u32_e32 vcc, 11, v0
	ds_read2_b64 v[224:227], v118 offset0:93 offset1:94
	s_waitcnt vmcnt(15) lgkmcnt(14)
	v_mul_f32_e32 v119, v62, v3
	v_mul_f32_e32 v120, v64, v5
	v_fmac_f32_e32 v119, v63, v2
	s_waitcnt vmcnt(14) lgkmcnt(13)
	v_mul_f32_e32 v121, v66, v7
	v_fmac_f32_e32 v120, v65, v4
	v_add_f32_e32 v119, 0, v119
	v_mul_f32_e32 v122, v68, v9
	v_fmac_f32_e32 v121, v67, v6
	v_add_f32_e32 v119, v119, v120
	s_waitcnt vmcnt(13) lgkmcnt(12)
	v_mul_f32_e32 v123, v70, v11
	v_fmac_f32_e32 v122, v69, v8
	v_add_f32_e32 v119, v119, v121
	v_mul_f32_e32 v128, v72, v13
	v_fmac_f32_e32 v123, v71, v10
	v_add_f32_e32 v119, v119, v122
	;; [unrolled: 7-line block ×11, first 2 shown]
	s_waitcnt vmcnt(3) lgkmcnt(2)
	v_mul_f32_e32 v147, v110, v51
	v_fmac_f32_e32 v146, v109, v48
	v_add_f32_e32 v119, v119, v145
	v_add_f32_e32 v119, v119, v146
	v_fmac_f32_e32 v147, v111, v50
	v_mul_f32_e32 v120, v112, v53
	v_add_f32_e32 v119, v119, v147
	v_fmac_f32_e32 v120, v113, v52
	v_add_f32_e32 v119, v119, v120
	ds_read2_b64 v[120:123], v118 offset0:91 offset1:92
	scratch_load_dwordx4 v[228:231], off, off offset:344
	scratch_load_dwordx4 v[232:235], off, off offset:360
	;; [unrolled: 1-line block ×3, first 2 shown]
	scratch_load_dwordx2 v[134:135], off, off offset:392
	v_mul_f32_e32 v3, v63, v3
	v_fma_f32 v2, v62, v2, -v3
	v_mul_f32_e32 v3, v65, v5
	v_add_f32_e32 v2, 0, v2
	v_fma_f32 v3, v64, v4, -v3
	v_add_f32_e32 v2, v2, v3
	v_mul_f32_e32 v3, v67, v7
	v_fma_f32 v3, v66, v6, -v3
	v_add_f32_e32 v2, v2, v3
	v_mul_f32_e32 v3, v69, v9
	;; [unrolled: 3-line block ×24, first 2 shown]
	v_fma_f32 v3, v112, v52, -v3
	s_waitcnt vmcnt(6) lgkmcnt(2)
	v_mul_f32_e32 v128, v114, v55
	v_add_f32_e32 v2, v2, v3
	v_mul_f32_e32 v3, v115, v55
	v_fmac_f32_e32 v128, v115, v54
	v_fma_f32 v3, v114, v54, -v3
	v_add_f32_e32 v129, v119, v128
	v_mul_f32_e32 v131, v116, v57
	v_add_f32_e32 v128, v2, v3
	v_mul_f32_e32 v2, v117, v57
	s_waitcnt vmcnt(5)
	v_mov_b32_e32 v14, v61
	v_fmac_f32_e32 v131, v117, v56
	s_waitcnt lgkmcnt(0)
	v_mul_f32_e32 v133, v120, v59
	v_fma_f32 v130, v116, v56, -v2
	v_mul_f32_e32 v2, v121, v59
	v_pk_mul_f32 v[14:15], v[122:123], v[14:15] op_sel:[1,0] op_sel_hi:[0,0]
	v_fmac_f32_e32 v133, v121, v58
	v_fma_f32 v132, v120, v58, -v2
	v_pk_add_f32 v[12:13], v[128:129], v[130:131]
	v_pk_fma_f32 v[16:17], v[122:123], v[60:61], v[14:15] neg_lo:[0,0,1] neg_hi:[0,0,1]
	v_pk_fma_f32 v[14:15], v[122:123], v[60:61], v[14:15] op_sel_hi:[1,0,1]
	v_pk_add_f32 v[12:13], v[12:13], v[132:133]
	v_mov_b32_e32 v17, v15
	s_waitcnt vmcnt(3)
	v_pk_mul_f32 v[14:15], v[224:225], v[228:229] op_sel:[1,1] op_sel_hi:[0,1]
	v_pk_add_f32 v[12:13], v[12:13], v[16:17]
	v_pk_fma_f32 v[16:17], v[224:225], v[228:229], v[14:15] neg_lo:[0,0,1] neg_hi:[0,0,1]
	v_pk_fma_f32 v[14:15], v[224:225], v[228:229], v[14:15] op_sel_hi:[1,0,1]
	ds_read2_b64 v[2:5], v118 offset0:95 offset1:96
	ds_read2_b64 v[6:9], v118 offset0:97 offset1:98
	ds_read_b64 v[10:11], v118 offset:792
	v_mov_b32_e32 v14, v231
	v_mov_b32_e32 v17, v15
	v_pk_mul_f32 v[14:15], v[226:227], v[14:15] op_sel:[1,0] op_sel_hi:[0,0]
	v_pk_add_f32 v[12:13], v[12:13], v[16:17]
	v_pk_fma_f32 v[16:17], v[226:227], v[230:231], v[14:15] neg_lo:[0,0,1] neg_hi:[0,0,1]
	v_pk_fma_f32 v[14:15], v[226:227], v[230:231], v[14:15] op_sel_hi:[1,0,1]
	s_nop 0
	v_mov_b32_e32 v17, v15
	s_waitcnt vmcnt(2) lgkmcnt(2)
	v_pk_mul_f32 v[14:15], v[2:3], v[232:233] op_sel:[1,1] op_sel_hi:[0,1]
	v_pk_add_f32 v[12:13], v[12:13], v[16:17]
	v_pk_fma_f32 v[16:17], v[2:3], v[232:233], v[14:15] neg_lo:[0,0,1] neg_hi:[0,0,1]
	v_pk_fma_f32 v[2:3], v[2:3], v[232:233], v[14:15] op_sel_hi:[1,0,1]
	s_nop 0
	v_mov_b32_e32 v17, v3
	v_pk_add_f32 v[2:3], v[12:13], v[16:17]
	v_mov_b32_e32 v12, v235
	v_pk_mul_f32 v[12:13], v[4:5], v[12:13] op_sel:[1,0] op_sel_hi:[0,0]
	v_pk_fma_f32 v[14:15], v[4:5], v[234:235], v[12:13] neg_lo:[0,0,1] neg_hi:[0,0,1]
	v_pk_fma_f32 v[4:5], v[4:5], v[234:235], v[12:13] op_sel_hi:[1,0,1]
	s_nop 0
	v_mov_b32_e32 v15, v5
	s_waitcnt vmcnt(1) lgkmcnt(1)
	v_pk_mul_f32 v[4:5], v[6:7], v[236:237] op_sel:[1,1] op_sel_hi:[0,1]
	v_pk_fma_f32 v[12:13], v[6:7], v[236:237], v[4:5] neg_lo:[0,0,1] neg_hi:[0,0,1]
	v_pk_fma_f32 v[4:5], v[6:7], v[236:237], v[4:5] op_sel_hi:[1,0,1]
	v_pk_add_f32 v[2:3], v[2:3], v[14:15]
	v_mov_b32_e32 v4, v239
	v_mov_b32_e32 v13, v5
	v_pk_mul_f32 v[4:5], v[8:9], v[4:5] op_sel:[1,0] op_sel_hi:[0,0]
	v_pk_fma_f32 v[6:7], v[8:9], v[238:239], v[4:5] neg_lo:[0,0,1] neg_hi:[0,0,1]
	v_pk_fma_f32 v[4:5], v[8:9], v[238:239], v[4:5] op_sel_hi:[1,0,1]
	v_pk_add_f32 v[2:3], v[2:3], v[12:13]
	v_mov_b32_e32 v7, v5
	s_waitcnt vmcnt(0) lgkmcnt(0)
	v_pk_mul_f32 v[4:5], v[10:11], v[134:135] op_sel:[1,1] op_sel_hi:[0,1]
	v_pk_add_f32 v[2:3], v[2:3], v[6:7]
	v_pk_fma_f32 v[6:7], v[10:11], v[134:135], v[4:5] neg_lo:[0,0,1] neg_hi:[0,0,1]
	v_pk_fma_f32 v[4:5], v[10:11], v[134:135], v[4:5] op_sel_hi:[1,0,1]
	s_nop 0
	v_mov_b32_e32 v7, v5
	v_pk_add_f32 v[2:3], v[2:3], v[6:7]
	s_nop 0
	v_pk_add_f32 v[2:3], v[126:127], v[2:3] neg_lo:[0,1] neg_hi:[0,1]
	scratch_store_dwordx2 off, v[2:3], off offset:96
	s_and_saveexec_b64 s[0:1], vcc
	s_cbranch_execz .LBB113_291
; %bb.290:
	scratch_load_dwordx2 v[2:3], off, off offset:88
	v_mov_b32_e32 v119, v118
	scratch_store_dwordx2 off, v[118:119], off offset:88
	s_waitcnt vmcnt(1)
	ds_write_b64 v1, v[2:3]
.LBB113_291:
	s_or_b64 exec, exec, s[0:1]
	s_waitcnt lgkmcnt(0)
	; wave barrier
	scratch_load_dwordx4 v[2:5], off, off offset:96
	scratch_load_dwordx4 v[6:9], off, off offset:112
	;; [unrolled: 1-line block ×13, first 2 shown]
	ds_read_b128 v[114:117], v118 offset:496
	ds_read_b128 v[110:113], v118 offset:512
	;; [unrolled: 1-line block ×14, first 2 shown]
	scratch_load_dwordx4 v[62:65], off, off offset:304
	scratch_load_dwordx4 v[70:73], off, off offset:320
	scratch_load_dwordx2 v[126:127], off, off offset:88
	v_cmp_lt_u32_e32 vcc, 10, v0
	ds_read_b128 v[224:227], v118 offset:736
	s_waitcnt vmcnt(15) lgkmcnt(14)
	v_mul_f32_e32 v119, v114, v3
	v_mul_f32_e32 v120, v116, v5
	v_fmac_f32_e32 v119, v115, v2
	s_waitcnt vmcnt(14) lgkmcnt(13)
	v_mul_f32_e32 v121, v110, v7
	v_fmac_f32_e32 v120, v117, v4
	v_add_f32_e32 v119, 0, v119
	v_mul_f32_e32 v122, v112, v9
	v_fmac_f32_e32 v121, v111, v6
	v_add_f32_e32 v119, v119, v120
	s_waitcnt vmcnt(13) lgkmcnt(12)
	v_mul_f32_e32 v123, v106, v11
	v_fmac_f32_e32 v122, v113, v8
	v_add_f32_e32 v119, v119, v121
	v_mul_f32_e32 v128, v108, v13
	v_fmac_f32_e32 v123, v107, v10
	v_add_f32_e32 v119, v119, v122
	;; [unrolled: 7-line block ×11, first 2 shown]
	s_waitcnt vmcnt(3) lgkmcnt(2)
	v_mul_f32_e32 v147, v54, v51
	v_fmac_f32_e32 v146, v69, v48
	v_add_f32_e32 v119, v119, v145
	v_fmac_f32_e32 v147, v55, v50
	v_add_f32_e32 v119, v119, v146
	v_mul_f32_e32 v120, v56, v53
	v_add_f32_e32 v119, v119, v147
	v_fmac_f32_e32 v120, v57, v52
	v_add_f32_e32 v119, v119, v120
	s_waitcnt vmcnt(2) lgkmcnt(1)
	v_mul_f32_e32 v120, v58, v63
	v_fmac_f32_e32 v120, v59, v62
	v_add_f32_e32 v119, v119, v120
	ds_read_b128 v[120:123], v118 offset:720
	scratch_load_dwordx4 v[228:231], off, off offset:336
	scratch_load_dwordx4 v[232:235], off, off offset:352
	scratch_load_dwordx4 v[236:239], off, off offset:368
	scratch_load_dwordx4 v[240:243], off, off offset:384
	v_mul_f32_e32 v3, v115, v3
	v_fma_f32 v2, v114, v2, -v3
	v_mul_f32_e32 v3, v117, v5
	v_add_f32_e32 v2, 0, v2
	v_fma_f32 v3, v116, v4, -v3
	v_add_f32_e32 v2, v2, v3
	v_mul_f32_e32 v3, v111, v7
	v_fma_f32 v3, v110, v6, -v3
	v_add_f32_e32 v2, v2, v3
	v_mul_f32_e32 v3, v113, v9
	;; [unrolled: 3-line block ×25, first 2 shown]
	v_fma_f32 v3, v58, v62, -v3
	v_mul_f32_e32 v128, v60, v65
	v_add_f32_e32 v2, v2, v3
	v_mul_f32_e32 v3, v61, v65
	v_fmac_f32_e32 v128, v61, v64
	v_fma_f32 v3, v60, v64, -v3
	v_add_f32_e32 v129, v119, v128
	s_waitcnt vmcnt(5) lgkmcnt(0)
	v_mul_f32_e32 v131, v120, v71
	v_add_f32_e32 v128, v2, v3
	v_mul_f32_e32 v2, v121, v71
	s_waitcnt vmcnt(3)
	v_pk_mul_f32 v[16:17], v[224:225], v[228:229] op_sel:[1,1] op_sel_hi:[0,1]
	v_fmac_f32_e32 v131, v121, v70
	v_mul_f32_e32 v133, v122, v73
	v_fma_f32 v130, v120, v70, -v2
	v_mul_f32_e32 v2, v123, v73
	v_pk_fma_f32 v[18:19], v[224:225], v[228:229], v[16:17] neg_lo:[0,0,1] neg_hi:[0,0,1]
	v_pk_fma_f32 v[16:17], v[224:225], v[228:229], v[16:17] op_sel_hi:[1,0,1]
	v_fmac_f32_e32 v133, v123, v72
	v_fma_f32 v132, v122, v72, -v2
	ds_read_b128 v[2:5], v118 offset:752
	ds_read_b128 v[6:9], v118 offset:768
	;; [unrolled: 1-line block ×3, first 2 shown]
	v_pk_add_f32 v[14:15], v[128:129], v[130:131]
	v_mov_b32_e32 v16, v231
	v_pk_add_f32 v[14:15], v[14:15], v[132:133]
	v_mov_b32_e32 v19, v17
	v_pk_mul_f32 v[16:17], v[226:227], v[16:17] op_sel:[1,0] op_sel_hi:[0,0]
	v_pk_add_f32 v[14:15], v[14:15], v[18:19]
	v_pk_fma_f32 v[18:19], v[226:227], v[230:231], v[16:17] neg_lo:[0,0,1] neg_hi:[0,0,1]
	v_pk_fma_f32 v[16:17], v[226:227], v[230:231], v[16:17] op_sel_hi:[1,0,1]
	s_nop 0
	v_mov_b32_e32 v19, v17
	s_waitcnt vmcnt(2) lgkmcnt(2)
	v_pk_mul_f32 v[16:17], v[2:3], v[232:233] op_sel:[1,1] op_sel_hi:[0,1]
	v_pk_add_f32 v[14:15], v[14:15], v[18:19]
	v_pk_fma_f32 v[18:19], v[2:3], v[232:233], v[16:17] neg_lo:[0,0,1] neg_hi:[0,0,1]
	v_pk_fma_f32 v[2:3], v[2:3], v[232:233], v[16:17] op_sel_hi:[1,0,1]
	s_nop 0
	v_mov_b32_e32 v19, v3
	v_pk_add_f32 v[2:3], v[14:15], v[18:19]
	v_mov_b32_e32 v14, v235
	v_pk_mul_f32 v[14:15], v[4:5], v[14:15] op_sel:[1,0] op_sel_hi:[0,0]
	v_pk_fma_f32 v[16:17], v[4:5], v[234:235], v[14:15] neg_lo:[0,0,1] neg_hi:[0,0,1]
	v_pk_fma_f32 v[4:5], v[4:5], v[234:235], v[14:15] op_sel_hi:[1,0,1]
	s_nop 0
	v_mov_b32_e32 v17, v5
	s_waitcnt vmcnt(1) lgkmcnt(1)
	v_pk_mul_f32 v[4:5], v[6:7], v[236:237] op_sel:[1,1] op_sel_hi:[0,1]
	v_pk_fma_f32 v[14:15], v[6:7], v[236:237], v[4:5] neg_lo:[0,0,1] neg_hi:[0,0,1]
	v_pk_fma_f32 v[4:5], v[6:7], v[236:237], v[4:5] op_sel_hi:[1,0,1]
	v_pk_add_f32 v[2:3], v[2:3], v[16:17]
	v_mov_b32_e32 v4, v239
	v_mov_b32_e32 v15, v5
	v_pk_mul_f32 v[4:5], v[8:9], v[4:5] op_sel:[1,0] op_sel_hi:[0,0]
	v_pk_fma_f32 v[6:7], v[8:9], v[238:239], v[4:5] neg_lo:[0,0,1] neg_hi:[0,0,1]
	v_pk_fma_f32 v[4:5], v[8:9], v[238:239], v[4:5] op_sel_hi:[1,0,1]
	v_pk_add_f32 v[2:3], v[2:3], v[14:15]
	v_mov_b32_e32 v7, v5
	s_waitcnt vmcnt(0) lgkmcnt(0)
	v_pk_mul_f32 v[4:5], v[10:11], v[240:241] op_sel:[1,1] op_sel_hi:[0,1]
	v_pk_add_f32 v[2:3], v[2:3], v[6:7]
	v_pk_fma_f32 v[6:7], v[10:11], v[240:241], v[4:5] neg_lo:[0,0,1] neg_hi:[0,0,1]
	v_pk_fma_f32 v[4:5], v[10:11], v[240:241], v[4:5] op_sel_hi:[1,0,1]
	s_nop 0
	v_mov_b32_e32 v4, v243
	v_mov_b32_e32 v7, v5
	v_pk_mul_f32 v[4:5], v[12:13], v[4:5] op_sel:[1,0] op_sel_hi:[0,0]
	v_pk_add_f32 v[2:3], v[2:3], v[6:7]
	v_pk_fma_f32 v[6:7], v[12:13], v[242:243], v[4:5] neg_lo:[0,0,1] neg_hi:[0,0,1]
	v_pk_fma_f32 v[4:5], v[12:13], v[242:243], v[4:5] op_sel_hi:[1,0,1]
	s_nop 0
	v_mov_b32_e32 v7, v5
	v_pk_add_f32 v[2:3], v[2:3], v[6:7]
	s_nop 0
	v_pk_add_f32 v[2:3], v[126:127], v[2:3] neg_lo:[0,1] neg_hi:[0,1]
	scratch_store_dwordx2 off, v[2:3], off offset:88
	s_and_saveexec_b64 s[0:1], vcc
	s_cbranch_execz .LBB113_293
; %bb.292:
	scratch_load_dwordx2 v[2:3], off, off offset:80
	v_mov_b32_e32 v4, 0
	v_mov_b32_e32 v5, v4
	scratch_store_dwordx2 off, v[4:5], off offset:80
	s_waitcnt vmcnt(1)
	ds_write_b64 v1, v[2:3]
.LBB113_293:
	s_or_b64 exec, exec, s[0:1]
	s_waitcnt lgkmcnt(0)
	; wave barrier
	scratch_load_dwordx4 v[2:5], off, off offset:88
	scratch_load_dwordx4 v[6:9], off, off offset:104
	;; [unrolled: 1-line block ×16, first 2 shown]
	scratch_load_dwordx2 v[126:127], off, off offset:80
	v_mov_b32_e32 v122, 0
	ds_read2_b64 v[66:69], v122 offset0:61 offset1:62
	ds_read2_b64 v[70:73], v122 offset0:63 offset1:64
	;; [unrolled: 1-line block ×14, first 2 shown]
	scratch_load_dwordx4 v[232:235], off, off offset:344
	ds_read2_b64 v[224:227], v122 offset0:89 offset1:90
	ds_read2_b64 v[228:231], v122 offset0:91 offset1:92
	v_cmp_lt_u32_e32 vcc, 9, v0
	s_waitcnt vmcnt(17) lgkmcnt(14)
	v_mul_f32_e32 v123, v66, v3
	v_mul_f32_e32 v128, v68, v5
	v_fmac_f32_e32 v123, v67, v2
	s_waitcnt vmcnt(16)
	v_mul_f32_e32 v129, v70, v7
	v_fmac_f32_e32 v128, v69, v4
	v_add_f32_e32 v123, 0, v123
	v_mul_f32_e32 v130, v72, v9
	v_fmac_f32_e32 v129, v71, v6
	v_add_f32_e32 v123, v123, v128
	s_waitcnt vmcnt(15) lgkmcnt(13)
	v_mul_f32_e32 v131, v74, v11
	v_fmac_f32_e32 v130, v73, v8
	v_add_f32_e32 v123, v123, v129
	v_mul_f32_e32 v132, v76, v13
	v_fmac_f32_e32 v131, v75, v10
	v_add_f32_e32 v123, v123, v130
	s_waitcnt vmcnt(14) lgkmcnt(12)
	;; [unrolled: 7-line block ×3, first 2 shown]
	v_mul_f32_e32 v135, v82, v19
	v_fmac_f32_e32 v134, v81, v16
	v_add_f32_e32 v123, v123, v133
	v_fmac_f32_e32 v135, v83, v18
	v_add_f32_e32 v123, v123, v134
	v_add_f32_e32 v123, v123, v135
	scratch_load_dwordx4 v[236:239], off, off offset:360
	scratch_load_dwordx4 v[240:243], off, off offset:376
	scratch_load_dwordx2 v[134:135], off, off offset:392
	v_mul_f32_e32 v3, v67, v3
	v_fma_f32 v2, v66, v2, -v3
	v_mul_f32_e32 v3, v69, v5
	v_add_f32_e32 v2, 0, v2
	v_fma_f32 v3, v68, v4, -v3
	v_add_f32_e32 v2, v2, v3
	v_mul_f32_e32 v3, v71, v7
	v_fma_f32 v3, v70, v6, -v3
	v_add_f32_e32 v2, v2, v3
	v_mul_f32_e32 v3, v73, v9
	;; [unrolled: 3-line block ×8, first 2 shown]
	v_fma_f32 v3, v84, v20, -v3
	v_add_f32_e32 v2, v2, v3
	s_waitcnt vmcnt(15) lgkmcnt(10)
	v_mul_f32_e32 v3, v87, v23
	v_fma_f32 v3, v86, v22, -v3
	v_add_f32_e32 v2, v2, v3
	v_mul_f32_e32 v3, v89, v25
	v_fma_f32 v3, v88, v24, -v3
	v_add_f32_e32 v2, v2, v3
	s_waitcnt vmcnt(14) lgkmcnt(9)
	v_mul_f32_e32 v3, v91, v27
	v_fma_f32 v3, v90, v26, -v3
	v_add_f32_e32 v2, v2, v3
	v_mul_f32_e32 v3, v93, v29
	;; [unrolled: 7-line block ×3, first 2 shown]
	v_fma_f32 v3, v96, v32, -v3
	v_add_f32_e32 v2, v2, v3
	s_waitcnt vmcnt(12) lgkmcnt(7)
	v_mul_f32_e32 v3, v99, v35
	v_mul_f32_e32 v136, v84, v21
	v_fma_f32 v3, v98, v34, -v3
	v_mul_f32_e32 v137, v86, v23
	v_fmac_f32_e32 v136, v85, v20
	v_add_f32_e32 v2, v2, v3
	v_mul_f32_e32 v3, v101, v37
	v_mul_f32_e32 v138, v88, v25
	v_fmac_f32_e32 v137, v87, v22
	v_add_f32_e32 v123, v123, v136
	v_fma_f32 v3, v100, v36, -v3
	v_mul_f32_e32 v139, v90, v27
	v_fmac_f32_e32 v138, v89, v24
	v_add_f32_e32 v123, v123, v137
	v_add_f32_e32 v2, v2, v3
	s_waitcnt vmcnt(11) lgkmcnt(6)
	v_mul_f32_e32 v3, v103, v39
	v_mul_f32_e32 v140, v92, v29
	v_fmac_f32_e32 v139, v91, v26
	v_add_f32_e32 v123, v123, v138
	v_fma_f32 v3, v102, v38, -v3
	v_mul_f32_e32 v141, v94, v31
	v_fmac_f32_e32 v140, v93, v28
	v_add_f32_e32 v123, v123, v139
	v_add_f32_e32 v2, v2, v3
	v_mul_f32_e32 v3, v105, v41
	v_mul_f32_e32 v142, v96, v33
	v_fmac_f32_e32 v141, v95, v30
	v_add_f32_e32 v123, v123, v140
	v_fma_f32 v3, v104, v40, -v3
	v_mul_f32_e32 v143, v98, v35
	v_fmac_f32_e32 v142, v97, v32
	v_add_f32_e32 v123, v123, v141
	v_add_f32_e32 v2, v2, v3
	s_waitcnt vmcnt(10) lgkmcnt(5)
	v_mul_f32_e32 v3, v107, v43
	v_mul_f32_e32 v144, v100, v37
	v_fmac_f32_e32 v143, v99, v34
	v_add_f32_e32 v123, v123, v142
	v_fma_f32 v3, v106, v42, -v3
	v_mul_f32_e32 v145, v102, v39
	v_fmac_f32_e32 v144, v101, v36
	v_add_f32_e32 v123, v123, v143
	;; [unrolled: 19-line block ×3, first 2 shown]
	v_add_f32_e32 v2, v2, v3
	v_mul_f32_e32 v3, v113, v49
	v_mul_f32_e32 v150, v112, v49
	v_fmac_f32_e32 v149, v111, v46
	v_add_f32_e32 v123, v123, v148
	v_fma_f32 v3, v112, v48, -v3
	v_fmac_f32_e32 v150, v113, v48
	v_add_f32_e32 v123, v123, v149
	s_waitcnt vmcnt(8) lgkmcnt(3)
	v_mul_f32_e32 v128, v114, v51
	v_add_f32_e32 v2, v2, v3
	v_mul_f32_e32 v3, v115, v51
	v_add_f32_e32 v123, v123, v150
	v_fmac_f32_e32 v128, v115, v50
	v_fma_f32 v3, v114, v50, -v3
	v_add_f32_e32 v123, v123, v128
	v_mul_f32_e32 v128, v116, v53
	v_add_f32_e32 v2, v2, v3
	v_mul_f32_e32 v3, v117, v53
	v_fmac_f32_e32 v128, v117, v52
	v_fma_f32 v3, v116, v52, -v3
	v_add_f32_e32 v123, v123, v128
	s_waitcnt vmcnt(7) lgkmcnt(2)
	v_mul_f32_e32 v128, v118, v55
	v_add_f32_e32 v2, v2, v3
	v_mul_f32_e32 v3, v119, v55
	v_fmac_f32_e32 v128, v119, v54
	v_fma_f32 v3, v118, v54, -v3
	v_add_f32_e32 v123, v123, v128
	v_mul_f32_e32 v128, v120, v57
	v_add_f32_e32 v2, v2, v3
	v_mul_f32_e32 v3, v121, v57
	v_fmac_f32_e32 v128, v121, v56
	v_fma_f32 v3, v120, v56, -v3
	v_add_f32_e32 v123, v123, v128
	s_waitcnt vmcnt(6) lgkmcnt(1)
	v_mul_f32_e32 v128, v224, v63
	v_add_f32_e32 v2, v2, v3
	v_mul_f32_e32 v3, v225, v63
	v_fmac_f32_e32 v128, v225, v62
	v_fma_f32 v3, v224, v62, -v3
	v_add_f32_e32 v129, v123, v128
	v_add_f32_e32 v128, v2, v3
	v_mul_f32_e32 v2, v227, v65
	v_mul_f32_e32 v131, v226, v65
	v_fma_f32 v130, v226, v64, -v2
	s_waitcnt vmcnt(5) lgkmcnt(0)
	v_mul_f32_e32 v2, v229, v59
	v_mov_b32_e32 v18, v61
	v_fmac_f32_e32 v131, v227, v64
	v_mul_f32_e32 v133, v228, v59
	v_fma_f32 v132, v228, v58, -v2
	ds_read2_b64 v[2:5], v122 offset0:93 offset1:94
	ds_read2_b64 v[6:9], v122 offset0:95 offset1:96
	;; [unrolled: 1-line block ×3, first 2 shown]
	ds_read_b64 v[14:15], v122 offset:792
	v_pk_mul_f32 v[18:19], v[230:231], v[18:19] op_sel:[1,0] op_sel_hi:[0,0]
	v_fmac_f32_e32 v133, v229, v58
	v_pk_add_f32 v[16:17], v[128:129], v[130:131]
	v_pk_fma_f32 v[20:21], v[230:231], v[60:61], v[18:19] neg_lo:[0,0,1] neg_hi:[0,0,1]
	v_pk_fma_f32 v[18:19], v[230:231], v[60:61], v[18:19] op_sel_hi:[1,0,1]
	v_pk_add_f32 v[16:17], v[16:17], v[132:133]
	v_mov_b32_e32 v21, v19
	s_waitcnt vmcnt(3) lgkmcnt(3)
	v_pk_mul_f32 v[18:19], v[2:3], v[232:233] op_sel:[1,1] op_sel_hi:[0,1]
	v_pk_add_f32 v[16:17], v[16:17], v[20:21]
	v_pk_fma_f32 v[20:21], v[2:3], v[232:233], v[18:19] neg_lo:[0,0,1] neg_hi:[0,0,1]
	v_pk_fma_f32 v[2:3], v[2:3], v[232:233], v[18:19] op_sel_hi:[1,0,1]
	s_nop 0
	v_mov_b32_e32 v21, v3
	v_pk_add_f32 v[2:3], v[16:17], v[20:21]
	v_mov_b32_e32 v16, v235
	v_pk_mul_f32 v[16:17], v[4:5], v[16:17] op_sel:[1,0] op_sel_hi:[0,0]
	v_pk_fma_f32 v[18:19], v[4:5], v[234:235], v[16:17] neg_lo:[0,0,1] neg_hi:[0,0,1]
	v_pk_fma_f32 v[4:5], v[4:5], v[234:235], v[16:17] op_sel_hi:[1,0,1]
	s_nop 0
	v_mov_b32_e32 v19, v5
	s_waitcnt vmcnt(2) lgkmcnt(2)
	v_pk_mul_f32 v[4:5], v[6:7], v[236:237] op_sel:[1,1] op_sel_hi:[0,1]
	v_pk_fma_f32 v[16:17], v[6:7], v[236:237], v[4:5] neg_lo:[0,0,1] neg_hi:[0,0,1]
	v_pk_fma_f32 v[4:5], v[6:7], v[236:237], v[4:5] op_sel_hi:[1,0,1]
	v_pk_add_f32 v[2:3], v[2:3], v[18:19]
	v_mov_b32_e32 v4, v239
	v_mov_b32_e32 v17, v5
	v_pk_mul_f32 v[4:5], v[8:9], v[4:5] op_sel:[1,0] op_sel_hi:[0,0]
	v_pk_fma_f32 v[6:7], v[8:9], v[238:239], v[4:5] neg_lo:[0,0,1] neg_hi:[0,0,1]
	v_pk_fma_f32 v[4:5], v[8:9], v[238:239], v[4:5] op_sel_hi:[1,0,1]
	v_pk_add_f32 v[2:3], v[2:3], v[16:17]
	v_mov_b32_e32 v7, v5
	s_waitcnt vmcnt(1) lgkmcnt(1)
	v_pk_mul_f32 v[4:5], v[10:11], v[240:241] op_sel:[1,1] op_sel_hi:[0,1]
	v_pk_add_f32 v[2:3], v[2:3], v[6:7]
	v_pk_fma_f32 v[6:7], v[10:11], v[240:241], v[4:5] neg_lo:[0,0,1] neg_hi:[0,0,1]
	v_pk_fma_f32 v[4:5], v[10:11], v[240:241], v[4:5] op_sel_hi:[1,0,1]
	s_nop 0
	v_mov_b32_e32 v4, v243
	v_mov_b32_e32 v7, v5
	v_pk_mul_f32 v[4:5], v[12:13], v[4:5] op_sel:[1,0] op_sel_hi:[0,0]
	v_pk_add_f32 v[2:3], v[2:3], v[6:7]
	v_pk_fma_f32 v[6:7], v[12:13], v[242:243], v[4:5] neg_lo:[0,0,1] neg_hi:[0,0,1]
	v_pk_fma_f32 v[4:5], v[12:13], v[242:243], v[4:5] op_sel_hi:[1,0,1]
	s_nop 0
	v_mov_b32_e32 v7, v5
	s_waitcnt vmcnt(0) lgkmcnt(0)
	v_pk_mul_f32 v[4:5], v[14:15], v[134:135] op_sel:[1,1] op_sel_hi:[0,1]
	v_pk_add_f32 v[2:3], v[2:3], v[6:7]
	v_pk_fma_f32 v[6:7], v[14:15], v[134:135], v[4:5] neg_lo:[0,0,1] neg_hi:[0,0,1]
	v_pk_fma_f32 v[4:5], v[14:15], v[134:135], v[4:5] op_sel_hi:[1,0,1]
	s_nop 0
	v_mov_b32_e32 v7, v5
	v_pk_add_f32 v[2:3], v[2:3], v[6:7]
	s_nop 0
	v_pk_add_f32 v[2:3], v[126:127], v[2:3] neg_lo:[0,1] neg_hi:[0,1]
	scratch_store_dwordx2 off, v[2:3], off offset:80
	s_and_saveexec_b64 s[0:1], vcc
	s_cbranch_execz .LBB113_295
; %bb.294:
	scratch_load_dwordx2 v[2:3], off, off offset:72
	v_mov_b32_e32 v123, v122
	scratch_store_dwordx2 off, v[122:123], off offset:72
	s_waitcnt vmcnt(1)
	ds_write_b64 v1, v[2:3]
.LBB113_295:
	s_or_b64 exec, exec, s[0:1]
	s_waitcnt lgkmcnt(0)
	; wave barrier
	scratch_load_dwordx4 v[2:5], off, off offset:80
	scratch_load_dwordx4 v[6:9], off, off offset:96
	;; [unrolled: 1-line block ×13, first 2 shown]
	ds_read_b128 v[118:121], v122 offset:480
	ds_read_b128 v[114:117], v122 offset:496
	;; [unrolled: 1-line block ×14, first 2 shown]
	scratch_load_dwordx4 v[62:65], off, off offset:288
	scratch_load_dwordx4 v[70:73], off, off offset:304
	;; [unrolled: 1-line block ×3, first 2 shown]
	scratch_load_dwordx2 v[126:127], off, off offset:72
	scratch_load_dwordx4 v[232:235], off, off offset:336
	ds_read_b128 v[224:227], v122 offset:704
	ds_read_b128 v[228:231], v122 offset:720
	scratch_load_dwordx4 v[236:239], off, off offset:352
	scratch_load_dwordx4 v[240:243], off, off offset:368
	;; [unrolled: 1-line block ×3, first 2 shown]
	v_cmp_lt_u32_e32 vcc, 8, v0
	s_waitcnt vmcnt(20) lgkmcnt(14)
	v_mul_f32_e32 v123, v118, v3
	v_mul_f32_e32 v3, v119, v3
	v_fmac_f32_e32 v123, v119, v2
	v_fma_f32 v2, v118, v2, -v3
	v_mul_f32_e32 v3, v121, v5
	v_add_f32_e32 v2, 0, v2
	v_fma_f32 v3, v120, v4, -v3
	v_add_f32_e32 v2, v2, v3
	s_waitcnt vmcnt(19)
	v_mul_f32_e32 v3, v115, v7
	v_fma_f32 v3, v114, v6, -v3
	v_add_f32_e32 v2, v2, v3
	v_mul_f32_e32 v3, v117, v9
	v_fma_f32 v3, v116, v8, -v3
	v_add_f32_e32 v2, v2, v3
	s_waitcnt vmcnt(18) lgkmcnt(13)
	v_mul_f32_e32 v3, v111, v11
	v_fma_f32 v3, v110, v10, -v3
	v_add_f32_e32 v2, v2, v3
	v_mul_f32_e32 v3, v113, v13
	v_fma_f32 v3, v112, v12, -v3
	v_add_f32_e32 v2, v2, v3
	s_waitcnt vmcnt(17) lgkmcnt(12)
	;; [unrolled: 7-line block ×5, first 2 shown]
	v_mul_f32_e32 v3, v95, v27
	v_fma_f32 v3, v94, v26, -v3
	v_mul_f32_e32 v128, v120, v5
	v_add_f32_e32 v2, v2, v3
	v_mul_f32_e32 v3, v97, v29
	v_mul_f32_e32 v129, v114, v7
	v_fmac_f32_e32 v128, v121, v4
	v_add_f32_e32 v123, 0, v123
	v_fma_f32 v3, v96, v28, -v3
	v_mul_f32_e32 v130, v116, v9
	v_fmac_f32_e32 v129, v115, v6
	v_add_f32_e32 v123, v123, v128
	v_add_f32_e32 v2, v2, v3
	s_waitcnt vmcnt(13) lgkmcnt(8)
	v_mul_f32_e32 v3, v91, v31
	v_mul_f32_e32 v131, v110, v11
	v_fmac_f32_e32 v130, v117, v8
	v_add_f32_e32 v123, v123, v129
	v_fma_f32 v3, v90, v30, -v3
	v_mul_f32_e32 v132, v112, v13
	v_fmac_f32_e32 v131, v111, v10
	v_add_f32_e32 v123, v123, v130
	v_add_f32_e32 v2, v2, v3
	v_mul_f32_e32 v3, v93, v33
	v_mul_f32_e32 v133, v106, v15
	v_fmac_f32_e32 v132, v113, v12
	v_add_f32_e32 v123, v123, v131
	v_fma_f32 v3, v92, v32, -v3
	v_mul_f32_e32 v134, v108, v17
	v_fmac_f32_e32 v133, v107, v14
	v_add_f32_e32 v123, v123, v132
	v_add_f32_e32 v2, v2, v3
	s_waitcnt vmcnt(12) lgkmcnt(7)
	v_mul_f32_e32 v3, v87, v35
	v_mul_f32_e32 v135, v102, v19
	v_fmac_f32_e32 v134, v109, v16
	v_add_f32_e32 v123, v123, v133
	v_fma_f32 v3, v86, v34, -v3
	v_mul_f32_e32 v136, v104, v21
	v_fmac_f32_e32 v135, v103, v18
	v_add_f32_e32 v123, v123, v134
	;; [unrolled: 19-line block ×5, first 2 shown]
	v_add_f32_e32 v2, v2, v3
	v_mul_f32_e32 v3, v69, v49
	v_mul_f32_e32 v149, v66, v47
	v_fmac_f32_e32 v148, v77, v44
	v_add_f32_e32 v123, v123, v147
	v_fma_f32 v3, v68, v48, -v3
	v_mul_f32_e32 v150, v68, v49
	v_fmac_f32_e32 v149, v67, v46
	v_add_f32_e32 v123, v123, v148
	v_add_f32_e32 v2, v2, v3
	s_waitcnt vmcnt(8) lgkmcnt(3)
	v_mul_f32_e32 v3, v55, v51
	v_mul_f32_e32 v151, v54, v51
	v_fmac_f32_e32 v150, v69, v48
	v_add_f32_e32 v123, v123, v149
	v_fma_f32 v3, v54, v50, -v3
	v_add_f32_e32 v123, v123, v150
	v_fmac_f32_e32 v151, v55, v50
	v_mul_f32_e32 v128, v56, v53
	v_add_f32_e32 v2, v2, v3
	v_mul_f32_e32 v3, v57, v53
	v_add_f32_e32 v123, v123, v151
	v_fmac_f32_e32 v128, v57, v52
	v_fma_f32 v3, v56, v52, -v3
	v_add_f32_e32 v123, v123, v128
	s_waitcnt vmcnt(7) lgkmcnt(2)
	v_mul_f32_e32 v128, v58, v63
	v_add_f32_e32 v2, v2, v3
	v_mul_f32_e32 v3, v59, v63
	v_fmac_f32_e32 v128, v59, v62
	v_fma_f32 v3, v58, v62, -v3
	v_add_f32_e32 v123, v123, v128
	v_mul_f32_e32 v128, v60, v65
	v_add_f32_e32 v2, v2, v3
	v_mul_f32_e32 v3, v61, v65
	v_fmac_f32_e32 v128, v61, v64
	v_fma_f32 v3, v60, v64, -v3
	v_add_f32_e32 v123, v123, v128
	s_waitcnt vmcnt(6) lgkmcnt(1)
	v_mul_f32_e32 v128, v224, v71
	v_add_f32_e32 v2, v2, v3
	v_mul_f32_e32 v3, v225, v71
	v_fmac_f32_e32 v128, v225, v70
	v_fma_f32 v3, v224, v70, -v3
	v_add_f32_e32 v123, v123, v128
	v_mul_f32_e32 v128, v226, v73
	v_add_f32_e32 v2, v2, v3
	v_mul_f32_e32 v3, v227, v73
	v_fmac_f32_e32 v128, v227, v72
	v_fma_f32 v3, v226, v72, -v3
	v_add_f32_e32 v129, v123, v128
	v_add_f32_e32 v128, v2, v3
	s_waitcnt vmcnt(5) lgkmcnt(0)
	v_mul_f32_e32 v2, v229, v79
	v_fma_f32 v130, v228, v78, -v2
	v_mul_f32_e32 v2, v231, v81
	v_fma_f32 v132, v230, v80, -v2
	ds_read_b128 v[2:5], v122 offset:736
	ds_read_b128 v[6:9], v122 offset:752
	ds_read_b128 v[10:13], v122 offset:768
	ds_read_b128 v[14:17], v122 offset:784
	v_mul_f32_e32 v131, v228, v79
	v_fmac_f32_e32 v131, v229, v78
	v_mul_f32_e32 v133, v230, v81
	s_waitcnt vmcnt(3) lgkmcnt(3)
	v_pk_mul_f32 v[20:21], v[2:3], v[232:233] op_sel:[1,1] op_sel_hi:[0,1]
	v_fmac_f32_e32 v133, v231, v80
	v_pk_add_f32 v[18:19], v[128:129], v[130:131]
	v_pk_fma_f32 v[22:23], v[2:3], v[232:233], v[20:21] neg_lo:[0,0,1] neg_hi:[0,0,1]
	v_pk_fma_f32 v[2:3], v[2:3], v[232:233], v[20:21] op_sel_hi:[1,0,1]
	v_pk_add_f32 v[18:19], v[18:19], v[132:133]
	v_mov_b32_e32 v23, v3
	v_pk_add_f32 v[2:3], v[18:19], v[22:23]
	v_mov_b32_e32 v18, v235
	v_pk_mul_f32 v[18:19], v[4:5], v[18:19] op_sel:[1,0] op_sel_hi:[0,0]
	v_pk_fma_f32 v[20:21], v[4:5], v[234:235], v[18:19] neg_lo:[0,0,1] neg_hi:[0,0,1]
	v_pk_fma_f32 v[4:5], v[4:5], v[234:235], v[18:19] op_sel_hi:[1,0,1]
	s_nop 0
	v_mov_b32_e32 v21, v5
	s_waitcnt vmcnt(2) lgkmcnt(2)
	v_pk_mul_f32 v[4:5], v[6:7], v[236:237] op_sel:[1,1] op_sel_hi:[0,1]
	v_pk_fma_f32 v[18:19], v[6:7], v[236:237], v[4:5] neg_lo:[0,0,1] neg_hi:[0,0,1]
	v_pk_fma_f32 v[4:5], v[6:7], v[236:237], v[4:5] op_sel_hi:[1,0,1]
	v_pk_add_f32 v[2:3], v[2:3], v[20:21]
	v_mov_b32_e32 v4, v239
	v_mov_b32_e32 v19, v5
	v_pk_mul_f32 v[4:5], v[8:9], v[4:5] op_sel:[1,0] op_sel_hi:[0,0]
	v_pk_fma_f32 v[6:7], v[8:9], v[238:239], v[4:5] neg_lo:[0,0,1] neg_hi:[0,0,1]
	v_pk_fma_f32 v[4:5], v[8:9], v[238:239], v[4:5] op_sel_hi:[1,0,1]
	v_pk_add_f32 v[2:3], v[2:3], v[18:19]
	v_mov_b32_e32 v7, v5
	s_waitcnt vmcnt(1) lgkmcnt(1)
	v_pk_mul_f32 v[4:5], v[10:11], v[240:241] op_sel:[1,1] op_sel_hi:[0,1]
	v_pk_add_f32 v[2:3], v[2:3], v[6:7]
	v_pk_fma_f32 v[6:7], v[10:11], v[240:241], v[4:5] neg_lo:[0,0,1] neg_hi:[0,0,1]
	v_pk_fma_f32 v[4:5], v[10:11], v[240:241], v[4:5] op_sel_hi:[1,0,1]
	s_nop 0
	v_mov_b32_e32 v4, v243
	v_mov_b32_e32 v7, v5
	v_pk_mul_f32 v[4:5], v[12:13], v[4:5] op_sel:[1,0] op_sel_hi:[0,0]
	v_pk_add_f32 v[2:3], v[2:3], v[6:7]
	v_pk_fma_f32 v[6:7], v[12:13], v[242:243], v[4:5] neg_lo:[0,0,1] neg_hi:[0,0,1]
	v_pk_fma_f32 v[4:5], v[12:13], v[242:243], v[4:5] op_sel_hi:[1,0,1]
	s_nop 0
	v_mov_b32_e32 v7, v5
	s_waitcnt vmcnt(0) lgkmcnt(0)
	v_pk_mul_f32 v[4:5], v[14:15], v[244:245] op_sel:[1,1] op_sel_hi:[0,1]
	v_pk_add_f32 v[2:3], v[2:3], v[6:7]
	v_pk_fma_f32 v[6:7], v[14:15], v[244:245], v[4:5] neg_lo:[0,0,1] neg_hi:[0,0,1]
	v_pk_fma_f32 v[4:5], v[14:15], v[244:245], v[4:5] op_sel_hi:[1,0,1]
	s_nop 0
	v_mov_b32_e32 v4, v247
	v_mov_b32_e32 v7, v5
	v_pk_mul_f32 v[4:5], v[16:17], v[4:5] op_sel:[1,0] op_sel_hi:[0,0]
	v_pk_add_f32 v[2:3], v[2:3], v[6:7]
	v_pk_fma_f32 v[6:7], v[16:17], v[246:247], v[4:5] neg_lo:[0,0,1] neg_hi:[0,0,1]
	v_pk_fma_f32 v[4:5], v[16:17], v[246:247], v[4:5] op_sel_hi:[1,0,1]
	s_nop 0
	v_mov_b32_e32 v7, v5
	v_pk_add_f32 v[2:3], v[2:3], v[6:7]
	s_nop 0
	v_pk_add_f32 v[2:3], v[126:127], v[2:3] neg_lo:[0,1] neg_hi:[0,1]
	scratch_store_dwordx2 off, v[2:3], off offset:72
	s_and_saveexec_b64 s[0:1], vcc
	s_cbranch_execz .LBB113_297
; %bb.296:
	scratch_load_dwordx2 v[2:3], off, off offset:64
	v_mov_b32_e32 v4, 0
	v_mov_b32_e32 v5, v4
	scratch_store_dwordx2 off, v[4:5], off offset:64
	s_waitcnt vmcnt(1)
	ds_write_b64 v1, v[2:3]
.LBB113_297:
	s_or_b64 exec, exec, s[0:1]
	s_waitcnt lgkmcnt(0)
	; wave barrier
	scratch_load_dwordx4 v[6:9], off, off offset:72
	scratch_load_dwordx4 v[14:17], off, off offset:88
	;; [unrolled: 1-line block ×10, first 2 shown]
	v_mov_b32_e32 v102, 0
	ds_read2_b64 v[2:5], v102 offset0:59 offset1:60
	ds_read2_b64 v[224:227], v102 offset0:89 offset1:90
	scratch_load_dwordx4 v[86:89], off, off offset:232
	scratch_load_dwordx4 v[94:97], off, off offset:248
	;; [unrolled: 1-line block ×7, first 2 shown]
	v_cmp_lt_u32_e32 vcc, 7, v0
	ds_read2_b64 v[232:235], v102 offset0:91 offset1:92
	s_waitcnt vmcnt(16) lgkmcnt(2)
	v_mul_f32_e32 v10, v2, v7
	v_fmac_f32_e32 v10, v3, v6
	v_mul_f32_e32 v11, v4, v9
	v_add_f32_e32 v10, 0, v10
	v_fmac_f32_e32 v11, v5, v8
	v_add_f32_e32 v18, v10, v11
	ds_read2_b64 v[10:13], v102 offset0:61 offset1:62
	v_mul_f32_e32 v3, v3, v7
	v_fma_f32 v2, v2, v6, -v3
	v_mul_f32_e32 v3, v5, v9
	v_add_f32_e32 v2, 0, v2
	s_waitcnt vmcnt(15) lgkmcnt(0)
	v_mul_f32_e32 v19, v10, v15
	v_fmac_f32_e32 v19, v11, v14
	v_add_f32_e32 v18, v18, v19
	v_mul_f32_e32 v19, v12, v17
	v_fmac_f32_e32 v19, v13, v16
	v_add_f32_e32 v26, v18, v19
	ds_read2_b64 v[18:21], v102 offset0:63 offset1:64
	v_fma_f32 v3, v4, v8, -v3
	v_add_f32_e32 v2, v2, v3
	v_mul_f32_e32 v3, v11, v15
	v_fma_f32 v3, v10, v14, -v3
	s_waitcnt vmcnt(14) lgkmcnt(0)
	v_mul_f32_e32 v27, v18, v23
	v_fmac_f32_e32 v27, v19, v22
	v_add_f32_e32 v26, v26, v27
	v_mul_f32_e32 v27, v20, v25
	v_fmac_f32_e32 v27, v21, v24
	v_add_f32_e32 v34, v26, v27
	ds_read2_b64 v[26:29], v102 offset0:65 offset1:66
	v_add_f32_e32 v2, v2, v3
	v_mul_f32_e32 v3, v13, v17
	v_fma_f32 v3, v12, v16, -v3
	v_add_f32_e32 v2, v2, v3
	s_waitcnt vmcnt(13) lgkmcnt(0)
	v_mul_f32_e32 v35, v26, v31
	v_fmac_f32_e32 v35, v27, v30
	v_add_f32_e32 v34, v34, v35
	v_mul_f32_e32 v35, v28, v33
	v_fmac_f32_e32 v35, v29, v32
	v_add_f32_e32 v42, v34, v35
	ds_read2_b64 v[34:37], v102 offset0:67 offset1:68
	v_mul_f32_e32 v3, v19, v23
	v_fma_f32 v3, v18, v22, -v3
	v_add_f32_e32 v2, v2, v3
	v_mul_f32_e32 v3, v21, v25
	s_waitcnt vmcnt(12) lgkmcnt(0)
	v_mul_f32_e32 v43, v34, v39
	v_fmac_f32_e32 v43, v35, v38
	v_add_f32_e32 v42, v42, v43
	v_mul_f32_e32 v43, v36, v41
	v_fmac_f32_e32 v43, v37, v40
	v_add_f32_e32 v50, v42, v43
	ds_read2_b64 v[42:45], v102 offset0:69 offset1:70
	v_fma_f32 v3, v20, v24, -v3
	v_add_f32_e32 v2, v2, v3
	v_mul_f32_e32 v3, v27, v31
	v_fma_f32 v3, v26, v30, -v3
	s_waitcnt vmcnt(11) lgkmcnt(0)
	v_mul_f32_e32 v51, v42, v47
	v_fmac_f32_e32 v51, v43, v46
	v_add_f32_e32 v50, v50, v51
	v_mul_f32_e32 v51, v44, v49
	v_fmac_f32_e32 v51, v45, v48
	v_add_f32_e32 v58, v50, v51
	ds_read2_b64 v[50:53], v102 offset0:71 offset1:72
	v_add_f32_e32 v2, v2, v3
	v_mul_f32_e32 v3, v29, v33
	v_fma_f32 v3, v28, v32, -v3
	v_add_f32_e32 v2, v2, v3
	s_waitcnt vmcnt(10) lgkmcnt(0)
	v_mul_f32_e32 v59, v50, v55
	v_fmac_f32_e32 v59, v51, v54
	v_add_f32_e32 v58, v58, v59
	v_mul_f32_e32 v59, v52, v57
	v_fmac_f32_e32 v59, v53, v56
	v_add_f32_e32 v66, v58, v59
	ds_read2_b64 v[58:61], v102 offset0:73 offset1:74
	v_mul_f32_e32 v3, v35, v39
	v_fma_f32 v3, v34, v38, -v3
	v_add_f32_e32 v2, v2, v3
	v_mul_f32_e32 v3, v37, v41
	;; [unrolled: 36-line block ×4, first 2 shown]
	s_waitcnt vmcnt(3) lgkmcnt(0)
	v_mul_f32_e32 v116, v108, v113
	v_fmac_f32_e32 v116, v109, v112
	v_add_f32_e32 v103, v103, v116
	v_mul_f32_e32 v116, v110, v115
	v_fmac_f32_e32 v116, v111, v114
	v_add_f32_e32 v103, v103, v116
	ds_read2_b64 v[116:119], v102 offset0:87 offset1:88
	scratch_load_dwordx4 v[240:243], off, off offset:344
	scratch_load_dwordx4 v[244:247], off, off offset:360
	;; [unrolled: 1-line block ×3, first 2 shown]
	scratch_load_dwordx2 v[132:133], off, off offset:392
	v_fma_f32 v3, v68, v72, -v3
	v_add_f32_e32 v2, v2, v3
	v_mul_f32_e32 v3, v75, v79
	v_fma_f32 v3, v74, v78, -v3
	v_add_f32_e32 v2, v2, v3
	v_mul_f32_e32 v3, v77, v81
	;; [unrolled: 3-line block ×10, first 2 shown]
	v_fma_f32 v3, v110, v114, -v3
	s_waitcnt vmcnt(6) lgkmcnt(0)
	v_mul_f32_e32 v126, v116, v121
	v_add_f32_e32 v2, v2, v3
	v_mul_f32_e32 v3, v117, v121
	v_fmac_f32_e32 v126, v117, v120
	v_fma_f32 v3, v116, v120, -v3
	v_add_f32_e32 v103, v103, v126
	v_mul_f32_e32 v126, v118, v123
	v_add_f32_e32 v2, v2, v3
	v_mul_f32_e32 v3, v119, v123
	v_fmac_f32_e32 v126, v119, v122
	v_fma_f32 v3, v118, v122, -v3
	v_add_f32_e32 v103, v103, v126
	s_waitcnt vmcnt(5)
	v_mul_f32_e32 v126, v224, v229
	v_add_f32_e32 v2, v2, v3
	v_mul_f32_e32 v3, v225, v229
	v_fmac_f32_e32 v126, v225, v228
	v_fma_f32 v3, v224, v228, -v3
	v_add_f32_e32 v127, v103, v126
	v_add_f32_e32 v126, v2, v3
	v_mul_f32_e32 v2, v227, v231
	v_mul_f32_e32 v129, v226, v231
	v_fma_f32 v128, v226, v230, -v2
	s_waitcnt vmcnt(4)
	v_mul_f32_e32 v2, v233, v237
	v_mov_b32_e32 v18, v239
	v_fmac_f32_e32 v129, v227, v230
	v_mul_f32_e32 v131, v232, v237
	v_fma_f32 v130, v232, v236, -v2
	ds_read2_b64 v[2:5], v102 offset0:93 offset1:94
	ds_read2_b64 v[6:9], v102 offset0:95 offset1:96
	;; [unrolled: 1-line block ×3, first 2 shown]
	ds_read_b64 v[14:15], v102 offset:792
	v_pk_mul_f32 v[18:19], v[234:235], v[18:19] op_sel:[1,0] op_sel_hi:[0,0]
	v_fmac_f32_e32 v131, v233, v236
	v_pk_add_f32 v[16:17], v[126:127], v[128:129]
	v_pk_fma_f32 v[20:21], v[234:235], v[238:239], v[18:19] neg_lo:[0,0,1] neg_hi:[0,0,1]
	v_pk_fma_f32 v[18:19], v[234:235], v[238:239], v[18:19] op_sel_hi:[1,0,1]
	v_pk_add_f32 v[16:17], v[16:17], v[130:131]
	v_mov_b32_e32 v21, v19
	v_pk_add_f32 v[16:17], v[16:17], v[20:21]
	s_waitcnt vmcnt(3) lgkmcnt(3)
	v_pk_mul_f32 v[18:19], v[2:3], v[240:241] op_sel:[1,1] op_sel_hi:[0,1]
	v_pk_fma_f32 v[20:21], v[2:3], v[240:241], v[18:19] neg_lo:[0,0,1] neg_hi:[0,0,1]
	v_pk_fma_f32 v[2:3], v[2:3], v[240:241], v[18:19] op_sel_hi:[1,0,1]
	s_nop 0
	v_mov_b32_e32 v21, v3
	v_pk_add_f32 v[2:3], v[16:17], v[20:21]
	v_mov_b32_e32 v16, v243
	v_pk_mul_f32 v[16:17], v[4:5], v[16:17] op_sel:[1,0] op_sel_hi:[0,0]
	v_pk_fma_f32 v[18:19], v[4:5], v[242:243], v[16:17] neg_lo:[0,0,1] neg_hi:[0,0,1]
	v_pk_fma_f32 v[4:5], v[4:5], v[242:243], v[16:17] op_sel_hi:[1,0,1]
	s_nop 0
	v_mov_b32_e32 v19, v5
	s_waitcnt vmcnt(2) lgkmcnt(2)
	v_pk_mul_f32 v[4:5], v[6:7], v[244:245] op_sel:[1,1] op_sel_hi:[0,1]
	v_pk_fma_f32 v[16:17], v[6:7], v[244:245], v[4:5] neg_lo:[0,0,1] neg_hi:[0,0,1]
	v_pk_fma_f32 v[4:5], v[6:7], v[244:245], v[4:5] op_sel_hi:[1,0,1]
	v_pk_add_f32 v[2:3], v[2:3], v[18:19]
	v_mov_b32_e32 v4, v247
	v_mov_b32_e32 v17, v5
	v_pk_mul_f32 v[4:5], v[8:9], v[4:5] op_sel:[1,0] op_sel_hi:[0,0]
	v_pk_fma_f32 v[6:7], v[8:9], v[246:247], v[4:5] neg_lo:[0,0,1] neg_hi:[0,0,1]
	v_pk_fma_f32 v[4:5], v[8:9], v[246:247], v[4:5] op_sel_hi:[1,0,1]
	v_pk_add_f32 v[2:3], v[2:3], v[16:17]
	v_mov_b32_e32 v7, v5
	s_waitcnt vmcnt(1) lgkmcnt(1)
	v_pk_mul_f32 v[4:5], v[10:11], v[248:249] op_sel:[1,1] op_sel_hi:[0,1]
	v_pk_add_f32 v[2:3], v[2:3], v[6:7]
	v_pk_fma_f32 v[6:7], v[10:11], v[248:249], v[4:5] neg_lo:[0,0,1] neg_hi:[0,0,1]
	v_pk_fma_f32 v[4:5], v[10:11], v[248:249], v[4:5] op_sel_hi:[1,0,1]
	s_nop 0
	v_mov_b32_e32 v4, v251
	v_mov_b32_e32 v7, v5
	v_pk_mul_f32 v[4:5], v[12:13], v[4:5] op_sel:[1,0] op_sel_hi:[0,0]
	v_pk_add_f32 v[2:3], v[2:3], v[6:7]
	v_pk_fma_f32 v[6:7], v[12:13], v[250:251], v[4:5] neg_lo:[0,0,1] neg_hi:[0,0,1]
	v_pk_fma_f32 v[4:5], v[12:13], v[250:251], v[4:5] op_sel_hi:[1,0,1]
	s_nop 0
	v_mov_b32_e32 v7, v5
	s_waitcnt vmcnt(0) lgkmcnt(0)
	v_pk_mul_f32 v[4:5], v[14:15], v[132:133] op_sel:[1,1] op_sel_hi:[0,1]
	v_pk_add_f32 v[2:3], v[2:3], v[6:7]
	v_pk_fma_f32 v[6:7], v[14:15], v[132:133], v[4:5] neg_lo:[0,0,1] neg_hi:[0,0,1]
	v_pk_fma_f32 v[4:5], v[14:15], v[132:133], v[4:5] op_sel_hi:[1,0,1]
	s_nop 0
	v_mov_b32_e32 v7, v5
	scratch_load_dwordx2 v[4:5], off, off offset:64
	v_pk_add_f32 v[2:3], v[2:3], v[6:7]
	s_waitcnt vmcnt(0)
	v_pk_add_f32 v[2:3], v[4:5], v[2:3] neg_lo:[0,1] neg_hi:[0,1]
	scratch_store_dwordx2 off, v[2:3], off offset:64
	s_and_saveexec_b64 s[0:1], vcc
	s_cbranch_execz .LBB113_299
; %bb.298:
	scratch_load_dwordx2 v[2:3], off, off offset:56
	v_mov_b32_e32 v103, v102
	scratch_store_dwordx2 off, v[102:103], off offset:56
	s_waitcnt vmcnt(1)
	ds_write_b64 v1, v[2:3]
.LBB113_299:
	s_or_b64 exec, exec, s[0:1]
	s_waitcnt lgkmcnt(0)
	; wave barrier
	ds_read_b128 v[14:17], v102 offset:464
	ds_read_b128 v[10:13], v102 offset:480
	;; [unrolled: 1-line block ×4, first 2 shown]
	scratch_load_dwordx4 v[18:21], off, off offset:64
	scratch_load_dwordx4 v[38:41], off, off offset:128
	;; [unrolled: 1-line block ×11, first 2 shown]
	v_cmp_lt_u32_e32 vcc, 6, v0
	scratch_load_dwordx4 v[46:49], off, off offset:144
	scratch_load_dwordx4 v[54:57], off, off offset:160
	;; [unrolled: 1-line block ×3, first 2 shown]
	ds_read_b128 v[224:227], v102 offset:704
	ds_read_b128 v[232:235], v102 offset:720
	s_waitcnt vmcnt(13) lgkmcnt(5)
	v_mul_f32_e32 v22, v14, v19
	v_fmac_f32_e32 v22, v15, v18
	v_mul_f32_e32 v23, v16, v21
	v_add_f32_e32 v22, 0, v22
	v_fmac_f32_e32 v23, v17, v20
	v_add_f32_e32 v26, v22, v23
	scratch_load_dwordx4 v[22:25], off, off offset:80
	v_mul_f32_e32 v15, v15, v19
	v_fma_f32 v14, v14, v18, -v15
	v_mul_f32_e32 v15, v17, v21
	v_add_f32_e32 v14, 0, v14
	v_fma_f32 v15, v16, v20, -v15
	v_add_f32_e32 v14, v14, v15
	s_waitcnt vmcnt(4) lgkmcnt(0)
	v_mul_f32_e32 v129, v232, v237
	v_mul_f32_e32 v131, v234, v239
	v_fmac_f32_e32 v129, v233, v236
	v_fmac_f32_e32 v131, v235, v238
	s_waitcnt vmcnt(0)
	v_mul_f32_e32 v27, v10, v23
	v_fmac_f32_e32 v27, v11, v22
	v_add_f32_e32 v26, v26, v27
	v_mul_f32_e32 v27, v12, v25
	v_fmac_f32_e32 v27, v13, v24
	v_add_f32_e32 v30, v26, v27
	scratch_load_dwordx4 v[26:29], off, off offset:96
	v_mul_f32_e32 v11, v11, v23
	v_fma_f32 v10, v10, v22, -v11
	v_mul_f32_e32 v11, v13, v25
	v_add_f32_e32 v10, v14, v10
	v_fma_f32 v11, v12, v24, -v11
	v_add_f32_e32 v10, v10, v11
	s_waitcnt vmcnt(0)
	v_mul_f32_e32 v31, v6, v27
	v_fmac_f32_e32 v31, v7, v26
	v_add_f32_e32 v30, v30, v31
	v_mul_f32_e32 v31, v8, v29
	v_fmac_f32_e32 v31, v9, v28
	v_add_f32_e32 v34, v30, v31
	scratch_load_dwordx4 v[30:33], off, off offset:112
	v_mul_f32_e32 v7, v7, v27
	v_fma_f32 v6, v6, v26, -v7
	v_mul_f32_e32 v7, v9, v29
	v_add_f32_e32 v6, v10, v6
	v_fma_f32 v7, v8, v28, -v7
	v_add_f32_e32 v6, v6, v7
	s_waitcnt vmcnt(0)
	v_mul_f32_e32 v35, v2, v31
	v_fmac_f32_e32 v35, v3, v30
	v_add_f32_e32 v34, v34, v35
	v_mul_f32_e32 v35, v4, v33
	v_fmac_f32_e32 v35, v5, v32
	v_add_f32_e32 v42, v34, v35
	ds_read_b128 v[34:37], v102 offset:528
	v_mul_f32_e32 v3, v3, v31
	v_fma_f32 v2, v2, v30, -v3
	v_mul_f32_e32 v3, v5, v33
	v_add_f32_e32 v2, v6, v2
	s_waitcnt lgkmcnt(0)
	v_mul_f32_e32 v43, v34, v39
	v_fmac_f32_e32 v43, v35, v38
	v_add_f32_e32 v42, v42, v43
	v_mul_f32_e32 v43, v36, v41
	v_fmac_f32_e32 v43, v37, v40
	v_add_f32_e32 v50, v42, v43
	ds_read_b128 v[42:45], v102 offset:544
	v_fma_f32 v3, v4, v32, -v3
	v_add_f32_e32 v2, v2, v3
	v_mul_f32_e32 v3, v35, v39
	v_fma_f32 v3, v34, v38, -v3
	s_waitcnt lgkmcnt(0)
	v_mul_f32_e32 v51, v42, v47
	v_fmac_f32_e32 v51, v43, v46
	v_add_f32_e32 v50, v50, v51
	v_mul_f32_e32 v51, v44, v49
	v_fmac_f32_e32 v51, v45, v48
	v_add_f32_e32 v58, v50, v51
	ds_read_b128 v[50:53], v102 offset:560
	v_add_f32_e32 v2, v2, v3
	v_mul_f32_e32 v3, v37, v41
	v_fma_f32 v3, v36, v40, -v3
	v_add_f32_e32 v2, v2, v3
	s_waitcnt lgkmcnt(0)
	v_mul_f32_e32 v59, v50, v55
	v_fmac_f32_e32 v59, v51, v54
	v_add_f32_e32 v58, v58, v59
	v_mul_f32_e32 v59, v52, v57
	v_fmac_f32_e32 v59, v53, v56
	v_add_f32_e32 v66, v58, v59
	ds_read_b128 v[58:61], v102 offset:576
	v_mul_f32_e32 v3, v43, v47
	v_fma_f32 v3, v42, v46, -v3
	v_add_f32_e32 v2, v2, v3
	v_mul_f32_e32 v3, v45, v49
	s_waitcnt lgkmcnt(0)
	v_mul_f32_e32 v67, v58, v63
	v_fmac_f32_e32 v67, v59, v62
	v_add_f32_e32 v66, v66, v67
	v_mul_f32_e32 v67, v60, v65
	v_fmac_f32_e32 v67, v61, v64
	v_add_f32_e32 v74, v66, v67
	ds_read_b128 v[66:69], v102 offset:592
	v_fma_f32 v3, v44, v48, -v3
	v_add_f32_e32 v2, v2, v3
	v_mul_f32_e32 v3, v51, v55
	v_fma_f32 v3, v50, v54, -v3
	s_waitcnt lgkmcnt(0)
	v_mul_f32_e32 v75, v66, v71
	v_fmac_f32_e32 v75, v67, v70
	v_add_f32_e32 v74, v74, v75
	v_mul_f32_e32 v75, v68, v73
	v_fmac_f32_e32 v75, v69, v72
	v_add_f32_e32 v82, v74, v75
	ds_read_b128 v[74:77], v102 offset:608
	v_add_f32_e32 v2, v2, v3
	v_mul_f32_e32 v3, v53, v57
	v_fma_f32 v3, v52, v56, -v3
	v_add_f32_e32 v2, v2, v3
	s_waitcnt lgkmcnt(0)
	v_mul_f32_e32 v83, v74, v79
	v_fmac_f32_e32 v83, v75, v78
	v_add_f32_e32 v82, v82, v83
	v_mul_f32_e32 v83, v76, v81
	v_fmac_f32_e32 v83, v77, v80
	v_add_f32_e32 v90, v82, v83
	ds_read_b128 v[82:85], v102 offset:624
	v_mul_f32_e32 v3, v59, v63
	v_fma_f32 v3, v58, v62, -v3
	v_add_f32_e32 v2, v2, v3
	v_mul_f32_e32 v3, v61, v65
	;; [unrolled: 36-line block ×3, first 2 shown]
	s_waitcnt lgkmcnt(0)
	v_mul_f32_e32 v116, v108, v113
	v_fmac_f32_e32 v116, v109, v112
	v_add_f32_e32 v103, v103, v116
	v_mul_f32_e32 v116, v110, v115
	v_fmac_f32_e32 v116, v111, v114
	v_add_f32_e32 v103, v103, v116
	ds_read_b128 v[116:119], v102 offset:688
	scratch_load_dwordx4 v[240:243], off, off offset:336
	scratch_load_dwordx4 v[244:247], off, off offset:352
	;; [unrolled: 1-line block ×4, first 2 shown]
	v_fma_f32 v3, v76, v80, -v3
	v_add_f32_e32 v2, v2, v3
	v_mul_f32_e32 v3, v83, v87
	v_fma_f32 v3, v82, v86, -v3
	v_add_f32_e32 v2, v2, v3
	v_mul_f32_e32 v3, v85, v89
	;; [unrolled: 3-line block ×8, first 2 shown]
	v_fma_f32 v3, v110, v114, -v3
	s_waitcnt lgkmcnt(0)
	v_mul_f32_e32 v126, v116, v121
	v_add_f32_e32 v2, v2, v3
	v_mul_f32_e32 v3, v117, v121
	v_fmac_f32_e32 v126, v117, v120
	v_fma_f32 v3, v116, v120, -v3
	v_add_f32_e32 v103, v103, v126
	v_mul_f32_e32 v126, v118, v123
	v_add_f32_e32 v2, v2, v3
	v_mul_f32_e32 v3, v119, v123
	v_fmac_f32_e32 v126, v119, v122
	v_fma_f32 v3, v118, v122, -v3
	v_add_f32_e32 v103, v103, v126
	;; [unrolled: 6-line block ×4, first 2 shown]
	v_add_f32_e32 v126, v2, v3
	v_mul_f32_e32 v2, v233, v237
	v_fma_f32 v128, v232, v236, -v2
	v_mul_f32_e32 v2, v235, v239
	v_fma_f32 v130, v234, v238, -v2
	ds_read_b128 v[2:5], v102 offset:736
	ds_read_b128 v[6:9], v102 offset:752
	;; [unrolled: 1-line block ×4, first 2 shown]
	v_pk_add_f32 v[18:19], v[126:127], v[128:129]
	s_waitcnt vmcnt(3) lgkmcnt(3)
	v_pk_mul_f32 v[20:21], v[2:3], v[240:241] op_sel:[1,1] op_sel_hi:[0,1]
	v_pk_fma_f32 v[22:23], v[2:3], v[240:241], v[20:21] neg_lo:[0,0,1] neg_hi:[0,0,1]
	v_pk_fma_f32 v[2:3], v[2:3], v[240:241], v[20:21] op_sel_hi:[1,0,1]
	v_pk_add_f32 v[18:19], v[18:19], v[130:131]
	v_mov_b32_e32 v23, v3
	v_pk_add_f32 v[2:3], v[18:19], v[22:23]
	v_mov_b32_e32 v18, v243
	v_pk_mul_f32 v[18:19], v[4:5], v[18:19] op_sel:[1,0] op_sel_hi:[0,0]
	v_pk_fma_f32 v[20:21], v[4:5], v[242:243], v[18:19] neg_lo:[0,0,1] neg_hi:[0,0,1]
	v_pk_fma_f32 v[4:5], v[4:5], v[242:243], v[18:19] op_sel_hi:[1,0,1]
	s_nop 0
	v_mov_b32_e32 v21, v5
	s_waitcnt vmcnt(2) lgkmcnt(2)
	v_pk_mul_f32 v[4:5], v[6:7], v[244:245] op_sel:[1,1] op_sel_hi:[0,1]
	v_pk_fma_f32 v[18:19], v[6:7], v[244:245], v[4:5] neg_lo:[0,0,1] neg_hi:[0,0,1]
	v_pk_fma_f32 v[4:5], v[6:7], v[244:245], v[4:5] op_sel_hi:[1,0,1]
	v_pk_add_f32 v[2:3], v[2:3], v[20:21]
	v_mov_b32_e32 v4, v247
	v_mov_b32_e32 v19, v5
	v_pk_mul_f32 v[4:5], v[8:9], v[4:5] op_sel:[1,0] op_sel_hi:[0,0]
	v_pk_fma_f32 v[6:7], v[8:9], v[246:247], v[4:5] neg_lo:[0,0,1] neg_hi:[0,0,1]
	v_pk_fma_f32 v[4:5], v[8:9], v[246:247], v[4:5] op_sel_hi:[1,0,1]
	v_pk_add_f32 v[2:3], v[2:3], v[18:19]
	v_mov_b32_e32 v7, v5
	s_waitcnt vmcnt(1) lgkmcnt(1)
	v_pk_mul_f32 v[4:5], v[10:11], v[248:249] op_sel:[1,1] op_sel_hi:[0,1]
	v_pk_add_f32 v[2:3], v[2:3], v[6:7]
	v_pk_fma_f32 v[6:7], v[10:11], v[248:249], v[4:5] neg_lo:[0,0,1] neg_hi:[0,0,1]
	v_pk_fma_f32 v[4:5], v[10:11], v[248:249], v[4:5] op_sel_hi:[1,0,1]
	s_nop 0
	v_mov_b32_e32 v4, v251
	v_mov_b32_e32 v7, v5
	v_pk_mul_f32 v[4:5], v[12:13], v[4:5] op_sel:[1,0] op_sel_hi:[0,0]
	v_pk_add_f32 v[2:3], v[2:3], v[6:7]
	v_pk_fma_f32 v[6:7], v[12:13], v[250:251], v[4:5] neg_lo:[0,0,1] neg_hi:[0,0,1]
	v_pk_fma_f32 v[4:5], v[12:13], v[250:251], v[4:5] op_sel_hi:[1,0,1]
	s_nop 0
	v_mov_b32_e32 v7, v5
	s_waitcnt vmcnt(0) lgkmcnt(0)
	v_pk_mul_f32 v[4:5], v[14:15], v[252:253] op_sel:[1,1] op_sel_hi:[0,1]
	v_pk_add_f32 v[2:3], v[2:3], v[6:7]
	v_pk_fma_f32 v[6:7], v[14:15], v[252:253], v[4:5] neg_lo:[0,0,1] neg_hi:[0,0,1]
	v_pk_fma_f32 v[4:5], v[14:15], v[252:253], v[4:5] op_sel_hi:[1,0,1]
	s_nop 0
	v_mov_b32_e32 v4, v255
	v_mov_b32_e32 v7, v5
	v_pk_mul_f32 v[4:5], v[16:17], v[4:5] op_sel:[1,0] op_sel_hi:[0,0]
	v_pk_add_f32 v[2:3], v[2:3], v[6:7]
	v_pk_fma_f32 v[6:7], v[16:17], v[254:255], v[4:5] neg_lo:[0,0,1] neg_hi:[0,0,1]
	v_pk_fma_f32 v[4:5], v[16:17], v[254:255], v[4:5] op_sel_hi:[1,0,1]
	s_nop 0
	v_mov_b32_e32 v7, v5
	scratch_load_dwordx2 v[4:5], off, off offset:56
	v_pk_add_f32 v[2:3], v[2:3], v[6:7]
	s_waitcnt vmcnt(0)
	v_pk_add_f32 v[2:3], v[4:5], v[2:3] neg_lo:[0,1] neg_hi:[0,1]
	scratch_store_dwordx2 off, v[2:3], off offset:56
	s_and_saveexec_b64 s[0:1], vcc
	s_cbranch_execz .LBB113_301
; %bb.300:
	scratch_load_dwordx2 v[2:3], off, off offset:48
	v_mov_b32_e32 v4, 0
	v_mov_b32_e32 v5, v4
	scratch_store_dwordx2 off, v[4:5], off offset:48
	s_waitcnt vmcnt(1)
	ds_write_b64 v1, v[2:3]
.LBB113_301:
	s_or_b64 exec, exec, s[0:1]
	s_waitcnt lgkmcnt(0)
	; wave barrier
	scratch_load_dwordx4 v[6:9], off, off offset:56
	scratch_load_dwordx4 v[14:17], off, off offset:72
	;; [unrolled: 1-line block ×10, first 2 shown]
	v_mov_b32_e32 v102, 0
	ds_read2_b64 v[2:5], v102 offset0:57 offset1:58
	ds_read2_b64 v[224:227], v102 offset0:87 offset1:88
	scratch_load_dwordx4 v[86:89], off, off offset:216
	scratch_load_dwordx4 v[94:97], off, off offset:232
	;; [unrolled: 1-line block ×8, first 2 shown]
	v_cmp_lt_u32_e32 vcc, 5, v0
	ds_read2_b64 v[232:235], v102 offset0:89 offset1:90
	ds_read2_b64 v[240:243], v102 offset0:91 offset1:92
	s_waitcnt vmcnt(17) lgkmcnt(3)
	v_mul_f32_e32 v10, v2, v7
	v_fmac_f32_e32 v10, v3, v6
	v_mul_f32_e32 v11, v4, v9
	v_add_f32_e32 v10, 0, v10
	v_fmac_f32_e32 v11, v5, v8
	v_add_f32_e32 v18, v10, v11
	ds_read2_b64 v[10:13], v102 offset0:59 offset1:60
	v_mul_f32_e32 v3, v3, v7
	v_fma_f32 v2, v2, v6, -v3
	v_mul_f32_e32 v3, v5, v9
	v_add_f32_e32 v2, 0, v2
	s_waitcnt vmcnt(16) lgkmcnt(0)
	v_mul_f32_e32 v19, v10, v15
	v_fmac_f32_e32 v19, v11, v14
	v_add_f32_e32 v18, v18, v19
	v_mul_f32_e32 v19, v12, v17
	v_fmac_f32_e32 v19, v13, v16
	v_add_f32_e32 v26, v18, v19
	ds_read2_b64 v[18:21], v102 offset0:61 offset1:62
	v_fma_f32 v3, v4, v8, -v3
	v_add_f32_e32 v2, v2, v3
	v_mul_f32_e32 v3, v11, v15
	v_fma_f32 v3, v10, v14, -v3
	s_waitcnt vmcnt(15) lgkmcnt(0)
	v_mul_f32_e32 v27, v18, v23
	v_fmac_f32_e32 v27, v19, v22
	v_add_f32_e32 v26, v26, v27
	v_mul_f32_e32 v27, v20, v25
	v_fmac_f32_e32 v27, v21, v24
	v_add_f32_e32 v34, v26, v27
	ds_read2_b64 v[26:29], v102 offset0:63 offset1:64
	v_add_f32_e32 v2, v2, v3
	v_mul_f32_e32 v3, v13, v17
	v_fma_f32 v3, v12, v16, -v3
	v_add_f32_e32 v2, v2, v3
	s_waitcnt vmcnt(14) lgkmcnt(0)
	v_mul_f32_e32 v35, v26, v31
	v_fmac_f32_e32 v35, v27, v30
	v_add_f32_e32 v34, v34, v35
	v_mul_f32_e32 v35, v28, v33
	v_fmac_f32_e32 v35, v29, v32
	v_add_f32_e32 v42, v34, v35
	ds_read2_b64 v[34:37], v102 offset0:65 offset1:66
	v_mul_f32_e32 v3, v19, v23
	v_fma_f32 v3, v18, v22, -v3
	v_add_f32_e32 v2, v2, v3
	v_mul_f32_e32 v3, v21, v25
	s_waitcnt vmcnt(13) lgkmcnt(0)
	v_mul_f32_e32 v43, v34, v39
	v_fmac_f32_e32 v43, v35, v38
	v_add_f32_e32 v42, v42, v43
	v_mul_f32_e32 v43, v36, v41
	v_fmac_f32_e32 v43, v37, v40
	v_add_f32_e32 v50, v42, v43
	ds_read2_b64 v[42:45], v102 offset0:67 offset1:68
	v_fma_f32 v3, v20, v24, -v3
	v_add_f32_e32 v2, v2, v3
	v_mul_f32_e32 v3, v27, v31
	v_fma_f32 v3, v26, v30, -v3
	s_waitcnt vmcnt(12) lgkmcnt(0)
	v_mul_f32_e32 v51, v42, v47
	v_fmac_f32_e32 v51, v43, v46
	v_add_f32_e32 v50, v50, v51
	v_mul_f32_e32 v51, v44, v49
	v_fmac_f32_e32 v51, v45, v48
	v_add_f32_e32 v58, v50, v51
	ds_read2_b64 v[50:53], v102 offset0:69 offset1:70
	v_add_f32_e32 v2, v2, v3
	v_mul_f32_e32 v3, v29, v33
	v_fma_f32 v3, v28, v32, -v3
	v_add_f32_e32 v2, v2, v3
	s_waitcnt vmcnt(11) lgkmcnt(0)
	v_mul_f32_e32 v59, v50, v55
	v_fmac_f32_e32 v59, v51, v54
	v_add_f32_e32 v58, v58, v59
	v_mul_f32_e32 v59, v52, v57
	v_fmac_f32_e32 v59, v53, v56
	v_add_f32_e32 v66, v58, v59
	ds_read2_b64 v[58:61], v102 offset0:71 offset1:72
	v_mul_f32_e32 v3, v35, v39
	v_fma_f32 v3, v34, v38, -v3
	v_add_f32_e32 v2, v2, v3
	v_mul_f32_e32 v3, v37, v41
	;; [unrolled: 36-line block ×4, first 2 shown]
	s_waitcnt vmcnt(4) lgkmcnt(0)
	v_mul_f32_e32 v116, v108, v113
	v_fmac_f32_e32 v116, v109, v112
	v_add_f32_e32 v103, v103, v116
	v_mul_f32_e32 v116, v110, v115
	v_fmac_f32_e32 v116, v111, v114
	v_add_f32_e32 v103, v103, v116
	ds_read2_b64 v[116:119], v102 offset0:85 offset1:86
	v_fma_f32 v3, v68, v72, -v3
	v_add_f32_e32 v2, v2, v3
	v_mul_f32_e32 v3, v75, v79
	v_fma_f32 v3, v74, v78, -v3
	s_waitcnt vmcnt(3) lgkmcnt(0)
	v_mul_f32_e32 v126, v116, v121
	v_fmac_f32_e32 v126, v117, v120
	v_add_f32_e32 v103, v103, v126
	v_mul_f32_e32 v126, v118, v123
	v_fmac_f32_e32 v126, v119, v122
	v_add_f32_e32 v103, v103, v126
	s_waitcnt vmcnt(2)
	v_mul_f32_e32 v126, v224, v229
	v_fmac_f32_e32 v126, v225, v228
	v_add_f32_e32 v103, v103, v126
	v_mul_f32_e32 v126, v226, v231
	v_fmac_f32_e32 v126, v227, v230
	v_add_f32_e32 v103, v103, v126
	s_waitcnt vmcnt(1)
	v_mul_f32_e32 v126, v232, v237
	v_fmac_f32_e32 v126, v233, v236
	v_add_f32_e32 v131, v103, v126
	scratch_load_dwordx4 v[248:251], off, off offset:344
	scratch_load_dwordx4 v[252:255], off, off offset:360
	;; [unrolled: 1-line block ×3, first 2 shown]
	scratch_load_dwordx2 v[136:137], off, off offset:392
	v_add_f32_e32 v2, v2, v3
	v_mul_f32_e32 v3, v77, v81
	v_fma_f32 v3, v76, v80, -v3
	v_add_f32_e32 v2, v2, v3
	v_mul_f32_e32 v3, v83, v87
	v_fma_f32 v3, v82, v86, -v3
	;; [unrolled: 3-line block ×14, first 2 shown]
	v_add_f32_e32 v130, v2, v3
	v_mul_f32_e32 v2, v235, v239
	v_mul_f32_e32 v133, v234, v239
	v_fma_f32 v132, v234, v238, -v2
	s_waitcnt vmcnt(4)
	v_mul_f32_e32 v2, v241, v245
	v_mov_b32_e32 v18, v247
	v_fmac_f32_e32 v133, v235, v238
	v_mul_f32_e32 v135, v240, v245
	v_fma_f32 v134, v240, v244, -v2
	ds_read2_b64 v[2:5], v102 offset0:93 offset1:94
	ds_read2_b64 v[6:9], v102 offset0:95 offset1:96
	;; [unrolled: 1-line block ×3, first 2 shown]
	ds_read_b64 v[14:15], v102 offset:792
	v_pk_mul_f32 v[18:19], v[242:243], v[18:19] op_sel:[1,0] op_sel_hi:[0,0]
	v_fmac_f32_e32 v135, v241, v244
	v_pk_add_f32 v[16:17], v[130:131], v[132:133]
	v_pk_fma_f32 v[20:21], v[242:243], v[246:247], v[18:19] neg_lo:[0,0,1] neg_hi:[0,0,1]
	v_pk_fma_f32 v[18:19], v[242:243], v[246:247], v[18:19] op_sel_hi:[1,0,1]
	v_pk_add_f32 v[16:17], v[16:17], v[134:135]
	v_mov_b32_e32 v21, v19
	v_pk_add_f32 v[16:17], v[16:17], v[20:21]
	s_waitcnt vmcnt(3) lgkmcnt(3)
	v_pk_mul_f32 v[18:19], v[2:3], v[248:249] op_sel:[1,1] op_sel_hi:[0,1]
	v_pk_fma_f32 v[20:21], v[2:3], v[248:249], v[18:19] neg_lo:[0,0,1] neg_hi:[0,0,1]
	v_pk_fma_f32 v[2:3], v[2:3], v[248:249], v[18:19] op_sel_hi:[1,0,1]
	s_nop 0
	v_mov_b32_e32 v21, v3
	v_pk_add_f32 v[2:3], v[16:17], v[20:21]
	v_mov_b32_e32 v16, v251
	v_pk_mul_f32 v[16:17], v[4:5], v[16:17] op_sel:[1,0] op_sel_hi:[0,0]
	v_pk_fma_f32 v[18:19], v[4:5], v[250:251], v[16:17] neg_lo:[0,0,1] neg_hi:[0,0,1]
	v_pk_fma_f32 v[4:5], v[4:5], v[250:251], v[16:17] op_sel_hi:[1,0,1]
	s_nop 0
	v_mov_b32_e32 v19, v5
	s_waitcnt vmcnt(2) lgkmcnt(2)
	v_pk_mul_f32 v[4:5], v[6:7], v[252:253] op_sel:[1,1] op_sel_hi:[0,1]
	v_pk_fma_f32 v[16:17], v[6:7], v[252:253], v[4:5] neg_lo:[0,0,1] neg_hi:[0,0,1]
	v_pk_fma_f32 v[4:5], v[6:7], v[252:253], v[4:5] op_sel_hi:[1,0,1]
	v_pk_add_f32 v[2:3], v[2:3], v[18:19]
	v_mov_b32_e32 v4, v255
	v_mov_b32_e32 v17, v5
	v_pk_mul_f32 v[4:5], v[8:9], v[4:5] op_sel:[1,0] op_sel_hi:[0,0]
	v_pk_fma_f32 v[6:7], v[8:9], v[254:255], v[4:5] neg_lo:[0,0,1] neg_hi:[0,0,1]
	v_pk_fma_f32 v[4:5], v[8:9], v[254:255], v[4:5] op_sel_hi:[1,0,1]
	v_pk_add_f32 v[2:3], v[2:3], v[16:17]
	v_mov_b32_e32 v7, v5
	s_waitcnt vmcnt(1) lgkmcnt(1)
	v_pk_mul_f32 v[4:5], v[10:11], v[126:127] op_sel:[1,1] op_sel_hi:[0,1]
	v_pk_add_f32 v[2:3], v[2:3], v[6:7]
	v_pk_fma_f32 v[6:7], v[10:11], v[126:127], v[4:5] neg_lo:[0,0,1] neg_hi:[0,0,1]
	v_pk_fma_f32 v[4:5], v[10:11], v[126:127], v[4:5] op_sel_hi:[1,0,1]
	s_nop 0
	v_mov_b32_e32 v4, v129
	v_mov_b32_e32 v7, v5
	v_pk_mul_f32 v[4:5], v[12:13], v[4:5] op_sel:[1,0] op_sel_hi:[0,0]
	v_pk_add_f32 v[2:3], v[2:3], v[6:7]
	v_pk_fma_f32 v[6:7], v[12:13], v[128:129], v[4:5] neg_lo:[0,0,1] neg_hi:[0,0,1]
	v_pk_fma_f32 v[4:5], v[12:13], v[128:129], v[4:5] op_sel_hi:[1,0,1]
	s_nop 0
	v_mov_b32_e32 v7, v5
	s_waitcnt vmcnt(0) lgkmcnt(0)
	v_pk_mul_f32 v[4:5], v[14:15], v[136:137] op_sel:[1,1] op_sel_hi:[0,1]
	v_pk_add_f32 v[2:3], v[2:3], v[6:7]
	v_pk_fma_f32 v[6:7], v[14:15], v[136:137], v[4:5] neg_lo:[0,0,1] neg_hi:[0,0,1]
	v_pk_fma_f32 v[4:5], v[14:15], v[136:137], v[4:5] op_sel_hi:[1,0,1]
	s_nop 0
	v_mov_b32_e32 v7, v5
	scratch_load_dwordx2 v[4:5], off, off offset:48
	v_pk_add_f32 v[2:3], v[2:3], v[6:7]
	s_waitcnt vmcnt(0)
	v_pk_add_f32 v[2:3], v[4:5], v[2:3] neg_lo:[0,1] neg_hi:[0,1]
	scratch_store_dwordx2 off, v[2:3], off offset:48
	s_and_saveexec_b64 s[0:1], vcc
	s_cbranch_execz .LBB113_303
; %bb.302:
	scratch_load_dwordx2 v[2:3], off, off offset:40
	v_mov_b32_e32 v103, v102
	scratch_store_dwordx2 off, v[102:103], off offset:40
	s_waitcnt vmcnt(1)
	ds_write_b64 v1, v[2:3]
.LBB113_303:
	s_or_b64 exec, exec, s[0:1]
	s_waitcnt lgkmcnt(0)
	; wave barrier
	ds_read_b128 v[14:17], v102 offset:448
	ds_read_b128 v[10:13], v102 offset:464
	;; [unrolled: 1-line block ×4, first 2 shown]
	scratch_load_dwordx4 v[18:21], off, off offset:48
	scratch_load_dwordx4 v[38:41], off, off offset:112
	;; [unrolled: 1-line block ×12, first 2 shown]
	v_cmp_lt_u32_e32 vcc, 4, v0
	scratch_load_dwordx4 v[46:49], off, off offset:128
	scratch_load_dwordx4 v[54:57], off, off offset:144
	;; [unrolled: 1-line block ×3, first 2 shown]
	ds_read_b128 v[228:231], v102 offset:704
	ds_read_b128 v[236:239], v102 offset:720
	s_waitcnt vmcnt(14) lgkmcnt(5)
	v_mul_f32_e32 v22, v14, v19
	v_fmac_f32_e32 v22, v15, v18
	v_mul_f32_e32 v23, v16, v21
	v_add_f32_e32 v22, 0, v22
	v_fmac_f32_e32 v23, v17, v20
	v_add_f32_e32 v26, v22, v23
	scratch_load_dwordx4 v[22:25], off, off offset:64
	v_mul_f32_e32 v15, v15, v19
	v_fma_f32 v14, v14, v18, -v15
	v_mul_f32_e32 v15, v17, v21
	v_add_f32_e32 v14, 0, v14
	v_fma_f32 v15, v16, v20, -v15
	v_add_f32_e32 v14, v14, v15
	s_waitcnt vmcnt(4) lgkmcnt(0)
	v_mul_f32_e32 v137, v236, v241
	v_mul_f32_e32 v139, v238, v243
	v_fmac_f32_e32 v137, v237, v240
	v_fmac_f32_e32 v139, v239, v242
	s_waitcnt vmcnt(0)
	v_mul_f32_e32 v27, v10, v23
	v_fmac_f32_e32 v27, v11, v22
	v_add_f32_e32 v26, v26, v27
	v_mul_f32_e32 v27, v12, v25
	v_fmac_f32_e32 v27, v13, v24
	v_add_f32_e32 v30, v26, v27
	scratch_load_dwordx4 v[26:29], off, off offset:80
	v_mul_f32_e32 v11, v11, v23
	v_fma_f32 v10, v10, v22, -v11
	v_mul_f32_e32 v11, v13, v25
	v_add_f32_e32 v10, v14, v10
	v_fma_f32 v11, v12, v24, -v11
	v_add_f32_e32 v10, v10, v11
	s_waitcnt vmcnt(0)
	v_mul_f32_e32 v31, v6, v27
	v_fmac_f32_e32 v31, v7, v26
	v_add_f32_e32 v30, v30, v31
	v_mul_f32_e32 v31, v8, v29
	v_fmac_f32_e32 v31, v9, v28
	v_add_f32_e32 v34, v30, v31
	scratch_load_dwordx4 v[30:33], off, off offset:96
	v_mul_f32_e32 v7, v7, v27
	v_fma_f32 v6, v6, v26, -v7
	v_mul_f32_e32 v7, v9, v29
	v_add_f32_e32 v6, v10, v6
	v_fma_f32 v7, v8, v28, -v7
	v_add_f32_e32 v6, v6, v7
	s_waitcnt vmcnt(0)
	v_mul_f32_e32 v35, v2, v31
	v_fmac_f32_e32 v35, v3, v30
	v_add_f32_e32 v34, v34, v35
	v_mul_f32_e32 v35, v4, v33
	v_fmac_f32_e32 v35, v5, v32
	v_add_f32_e32 v42, v34, v35
	ds_read_b128 v[34:37], v102 offset:512
	v_mul_f32_e32 v3, v3, v31
	v_fma_f32 v2, v2, v30, -v3
	v_mul_f32_e32 v3, v5, v33
	v_add_f32_e32 v2, v6, v2
	s_waitcnt lgkmcnt(0)
	v_mul_f32_e32 v43, v34, v39
	v_fmac_f32_e32 v43, v35, v38
	v_add_f32_e32 v42, v42, v43
	v_mul_f32_e32 v43, v36, v41
	v_fmac_f32_e32 v43, v37, v40
	v_add_f32_e32 v50, v42, v43
	ds_read_b128 v[42:45], v102 offset:528
	v_fma_f32 v3, v4, v32, -v3
	v_add_f32_e32 v2, v2, v3
	v_mul_f32_e32 v3, v35, v39
	v_fma_f32 v3, v34, v38, -v3
	s_waitcnt lgkmcnt(0)
	v_mul_f32_e32 v51, v42, v47
	v_fmac_f32_e32 v51, v43, v46
	v_add_f32_e32 v50, v50, v51
	v_mul_f32_e32 v51, v44, v49
	v_fmac_f32_e32 v51, v45, v48
	v_add_f32_e32 v58, v50, v51
	ds_read_b128 v[50:53], v102 offset:544
	v_add_f32_e32 v2, v2, v3
	v_mul_f32_e32 v3, v37, v41
	v_fma_f32 v3, v36, v40, -v3
	v_add_f32_e32 v2, v2, v3
	s_waitcnt lgkmcnt(0)
	v_mul_f32_e32 v59, v50, v55
	v_fmac_f32_e32 v59, v51, v54
	v_add_f32_e32 v58, v58, v59
	v_mul_f32_e32 v59, v52, v57
	v_fmac_f32_e32 v59, v53, v56
	v_add_f32_e32 v66, v58, v59
	ds_read_b128 v[58:61], v102 offset:560
	v_mul_f32_e32 v3, v43, v47
	v_fma_f32 v3, v42, v46, -v3
	v_add_f32_e32 v2, v2, v3
	v_mul_f32_e32 v3, v45, v49
	s_waitcnt lgkmcnt(0)
	v_mul_f32_e32 v67, v58, v63
	v_fmac_f32_e32 v67, v59, v62
	v_add_f32_e32 v66, v66, v67
	v_mul_f32_e32 v67, v60, v65
	v_fmac_f32_e32 v67, v61, v64
	v_add_f32_e32 v74, v66, v67
	ds_read_b128 v[66:69], v102 offset:576
	v_fma_f32 v3, v44, v48, -v3
	v_add_f32_e32 v2, v2, v3
	v_mul_f32_e32 v3, v51, v55
	v_fma_f32 v3, v50, v54, -v3
	s_waitcnt lgkmcnt(0)
	v_mul_f32_e32 v75, v66, v71
	v_fmac_f32_e32 v75, v67, v70
	v_add_f32_e32 v74, v74, v75
	v_mul_f32_e32 v75, v68, v73
	v_fmac_f32_e32 v75, v69, v72
	v_add_f32_e32 v82, v74, v75
	ds_read_b128 v[74:77], v102 offset:592
	v_add_f32_e32 v2, v2, v3
	v_mul_f32_e32 v3, v53, v57
	v_fma_f32 v3, v52, v56, -v3
	v_add_f32_e32 v2, v2, v3
	s_waitcnt lgkmcnt(0)
	v_mul_f32_e32 v83, v74, v79
	v_fmac_f32_e32 v83, v75, v78
	v_add_f32_e32 v82, v82, v83
	v_mul_f32_e32 v83, v76, v81
	v_fmac_f32_e32 v83, v77, v80
	v_add_f32_e32 v90, v82, v83
	ds_read_b128 v[82:85], v102 offset:608
	v_mul_f32_e32 v3, v59, v63
	v_fma_f32 v3, v58, v62, -v3
	v_add_f32_e32 v2, v2, v3
	v_mul_f32_e32 v3, v61, v65
	s_waitcnt lgkmcnt(0)
	v_mul_f32_e32 v91, v82, v87
	v_fmac_f32_e32 v91, v83, v86
	v_add_f32_e32 v90, v90, v91
	v_mul_f32_e32 v91, v84, v89
	v_fmac_f32_e32 v91, v85, v88
	v_add_f32_e32 v98, v90, v91
	ds_read_b128 v[90:93], v102 offset:624
	v_fma_f32 v3, v60, v64, -v3
	v_add_f32_e32 v2, v2, v3
	v_mul_f32_e32 v3, v67, v71
	v_fma_f32 v3, v66, v70, -v3
	s_waitcnt lgkmcnt(0)
	v_mul_f32_e32 v99, v90, v95
	v_fmac_f32_e32 v99, v91, v94
	v_add_f32_e32 v98, v98, v99
	v_mul_f32_e32 v99, v92, v97
	v_fmac_f32_e32 v99, v93, v96
	v_add_f32_e32 v103, v98, v99
	ds_read_b128 v[98:101], v102 offset:640
	v_add_f32_e32 v2, v2, v3
	v_mul_f32_e32 v3, v69, v73
	v_fma_f32 v3, v68, v72, -v3
	v_add_f32_e32 v2, v2, v3
	s_waitcnt lgkmcnt(0)
	v_mul_f32_e32 v108, v98, v105
	v_fmac_f32_e32 v108, v99, v104
	v_add_f32_e32 v103, v103, v108
	v_mul_f32_e32 v108, v100, v107
	v_fmac_f32_e32 v108, v101, v106
	v_add_f32_e32 v103, v103, v108
	ds_read_b128 v[108:111], v102 offset:656
	v_mul_f32_e32 v3, v75, v79
	v_fma_f32 v3, v74, v78, -v3
	v_add_f32_e32 v2, v2, v3
	v_mul_f32_e32 v3, v77, v81
	s_waitcnt lgkmcnt(0)
	v_mul_f32_e32 v116, v108, v113
	v_fmac_f32_e32 v116, v109, v112
	v_add_f32_e32 v103, v103, v116
	v_mul_f32_e32 v116, v110, v115
	v_fmac_f32_e32 v116, v111, v114
	v_add_f32_e32 v103, v103, v116
	ds_read_b128 v[116:119], v102 offset:672
	v_fma_f32 v3, v76, v80, -v3
	v_add_f32_e32 v2, v2, v3
	v_mul_f32_e32 v3, v83, v87
	v_fma_f32 v3, v82, v86, -v3
	s_waitcnt lgkmcnt(0)
	v_mul_f32_e32 v126, v116, v121
	v_fmac_f32_e32 v126, v117, v120
	v_add_f32_e32 v103, v103, v126
	v_mul_f32_e32 v126, v118, v123
	v_fmac_f32_e32 v126, v119, v122
	v_add_f32_e32 v103, v103, v126
	ds_read_b128 v[126:129], v102 offset:688
	v_add_f32_e32 v2, v2, v3
	v_mul_f32_e32 v3, v85, v89
	v_fma_f32 v3, v84, v88, -v3
	v_add_f32_e32 v2, v2, v3
	s_waitcnt lgkmcnt(0)
	v_mul_f32_e32 v130, v126, v225
	v_fmac_f32_e32 v130, v127, v224
	v_add_f32_e32 v103, v103, v130
	v_mul_f32_e32 v130, v128, v227
	v_fmac_f32_e32 v130, v129, v226
	v_add_f32_e32 v103, v103, v130
	;; [unrolled: 3-line block ×4, first 2 shown]
	scratch_load_dwordx4 v[244:247], off, off offset:336
	scratch_load_dwordx4 v[248:251], off, off offset:352
	;; [unrolled: 1-line block ×4, first 2 shown]
	v_mul_f32_e32 v3, v91, v95
	v_fma_f32 v3, v90, v94, -v3
	v_add_f32_e32 v2, v2, v3
	v_mul_f32_e32 v3, v93, v97
	v_fma_f32 v3, v92, v96, -v3
	v_add_f32_e32 v2, v2, v3
	;; [unrolled: 3-line block ×12, first 2 shown]
	v_mul_f32_e32 v2, v237, v241
	v_fma_f32 v136, v236, v240, -v2
	v_mul_f32_e32 v2, v239, v243
	v_fma_f32 v138, v238, v242, -v2
	ds_read_b128 v[2:5], v102 offset:736
	ds_read_b128 v[6:9], v102 offset:752
	;; [unrolled: 1-line block ×4, first 2 shown]
	v_pk_add_f32 v[18:19], v[134:135], v[136:137]
	s_waitcnt vmcnt(3) lgkmcnt(3)
	v_pk_mul_f32 v[20:21], v[2:3], v[244:245] op_sel:[1,1] op_sel_hi:[0,1]
	v_pk_fma_f32 v[22:23], v[2:3], v[244:245], v[20:21] neg_lo:[0,0,1] neg_hi:[0,0,1]
	v_pk_fma_f32 v[2:3], v[2:3], v[244:245], v[20:21] op_sel_hi:[1,0,1]
	v_pk_add_f32 v[18:19], v[18:19], v[138:139]
	v_mov_b32_e32 v23, v3
	v_pk_add_f32 v[2:3], v[18:19], v[22:23]
	v_mov_b32_e32 v18, v247
	v_pk_mul_f32 v[18:19], v[4:5], v[18:19] op_sel:[1,0] op_sel_hi:[0,0]
	v_pk_fma_f32 v[20:21], v[4:5], v[246:247], v[18:19] neg_lo:[0,0,1] neg_hi:[0,0,1]
	v_pk_fma_f32 v[4:5], v[4:5], v[246:247], v[18:19] op_sel_hi:[1,0,1]
	s_nop 0
	v_mov_b32_e32 v21, v5
	s_waitcnt vmcnt(2) lgkmcnt(2)
	v_pk_mul_f32 v[4:5], v[6:7], v[248:249] op_sel:[1,1] op_sel_hi:[0,1]
	v_pk_fma_f32 v[18:19], v[6:7], v[248:249], v[4:5] neg_lo:[0,0,1] neg_hi:[0,0,1]
	v_pk_fma_f32 v[4:5], v[6:7], v[248:249], v[4:5] op_sel_hi:[1,0,1]
	v_pk_add_f32 v[2:3], v[2:3], v[20:21]
	v_mov_b32_e32 v4, v251
	v_mov_b32_e32 v19, v5
	v_pk_mul_f32 v[4:5], v[8:9], v[4:5] op_sel:[1,0] op_sel_hi:[0,0]
	v_pk_fma_f32 v[6:7], v[8:9], v[250:251], v[4:5] neg_lo:[0,0,1] neg_hi:[0,0,1]
	v_pk_fma_f32 v[4:5], v[8:9], v[250:251], v[4:5] op_sel_hi:[1,0,1]
	v_pk_add_f32 v[2:3], v[2:3], v[18:19]
	v_mov_b32_e32 v7, v5
	s_waitcnt vmcnt(1) lgkmcnt(1)
	v_pk_mul_f32 v[4:5], v[10:11], v[252:253] op_sel:[1,1] op_sel_hi:[0,1]
	v_pk_add_f32 v[2:3], v[2:3], v[6:7]
	v_pk_fma_f32 v[6:7], v[10:11], v[252:253], v[4:5] neg_lo:[0,0,1] neg_hi:[0,0,1]
	v_pk_fma_f32 v[4:5], v[10:11], v[252:253], v[4:5] op_sel_hi:[1,0,1]
	s_nop 0
	v_mov_b32_e32 v4, v255
	v_mov_b32_e32 v7, v5
	v_pk_mul_f32 v[4:5], v[12:13], v[4:5] op_sel:[1,0] op_sel_hi:[0,0]
	v_pk_add_f32 v[2:3], v[2:3], v[6:7]
	v_pk_fma_f32 v[6:7], v[12:13], v[254:255], v[4:5] neg_lo:[0,0,1] neg_hi:[0,0,1]
	v_pk_fma_f32 v[4:5], v[12:13], v[254:255], v[4:5] op_sel_hi:[1,0,1]
	s_nop 0
	v_mov_b32_e32 v7, v5
	s_waitcnt vmcnt(0) lgkmcnt(0)
	v_pk_mul_f32 v[4:5], v[14:15], v[130:131] op_sel:[1,1] op_sel_hi:[0,1]
	v_pk_add_f32 v[2:3], v[2:3], v[6:7]
	v_pk_fma_f32 v[6:7], v[14:15], v[130:131], v[4:5] neg_lo:[0,0,1] neg_hi:[0,0,1]
	v_pk_fma_f32 v[4:5], v[14:15], v[130:131], v[4:5] op_sel_hi:[1,0,1]
	s_nop 0
	v_mov_b32_e32 v4, v133
	v_mov_b32_e32 v7, v5
	v_pk_mul_f32 v[4:5], v[16:17], v[4:5] op_sel:[1,0] op_sel_hi:[0,0]
	v_pk_add_f32 v[2:3], v[2:3], v[6:7]
	v_pk_fma_f32 v[6:7], v[16:17], v[132:133], v[4:5] neg_lo:[0,0,1] neg_hi:[0,0,1]
	v_pk_fma_f32 v[4:5], v[16:17], v[132:133], v[4:5] op_sel_hi:[1,0,1]
	s_nop 0
	v_mov_b32_e32 v7, v5
	scratch_load_dwordx2 v[4:5], off, off offset:40
	v_pk_add_f32 v[2:3], v[2:3], v[6:7]
	s_waitcnt vmcnt(0)
	v_pk_add_f32 v[2:3], v[4:5], v[2:3] neg_lo:[0,1] neg_hi:[0,1]
	scratch_store_dwordx2 off, v[2:3], off offset:40
	s_and_saveexec_b64 s[0:1], vcc
	s_cbranch_execz .LBB113_305
; %bb.304:
	scratch_load_dwordx2 v[2:3], off, off offset:32
	v_mov_b32_e32 v4, 0
	v_mov_b32_e32 v5, v4
	scratch_store_dwordx2 off, v[4:5], off offset:32
	s_waitcnt vmcnt(1)
	ds_write_b64 v1, v[2:3]
.LBB113_305:
	s_or_b64 exec, exec, s[0:1]
	s_waitcnt lgkmcnt(0)
	; wave barrier
	scratch_load_dwordx4 v[6:9], off, off offset:40
	scratch_load_dwordx4 v[14:17], off, off offset:56
	;; [unrolled: 1-line block ×10, first 2 shown]
	v_mov_b32_e32 v110, 0
	ds_read2_b64 v[2:5], v110 offset0:55 offset1:56
	ds_read2_b64 v[224:227], v110 offset0:87 offset1:88
	scratch_load_dwordx4 v[86:89], off, off offset:200
	scratch_load_dwordx4 v[94:97], off, off offset:216
	;; [unrolled: 1-line block ×9, first 2 shown]
	v_cmp_lt_u32_e32 vcc, 3, v0
	ds_read2_b64 v[232:235], v110 offset0:89 offset1:90
	ds_read2_b64 v[240:243], v110 offset0:91 offset1:92
	s_waitcnt vmcnt(18) lgkmcnt(3)
	v_mul_f32_e32 v10, v2, v7
	v_fmac_f32_e32 v10, v3, v6
	v_mul_f32_e32 v11, v4, v9
	v_add_f32_e32 v10, 0, v10
	v_fmac_f32_e32 v11, v5, v8
	v_add_f32_e32 v18, v10, v11
	ds_read2_b64 v[10:13], v110 offset0:57 offset1:58
	v_mul_f32_e32 v3, v3, v7
	v_fma_f32 v2, v2, v6, -v3
	v_mul_f32_e32 v3, v5, v9
	v_add_f32_e32 v2, 0, v2
	s_waitcnt vmcnt(17) lgkmcnt(0)
	v_mul_f32_e32 v19, v10, v15
	v_fmac_f32_e32 v19, v11, v14
	v_add_f32_e32 v18, v18, v19
	v_mul_f32_e32 v19, v12, v17
	v_fmac_f32_e32 v19, v13, v16
	v_add_f32_e32 v26, v18, v19
	ds_read2_b64 v[18:21], v110 offset0:59 offset1:60
	v_fma_f32 v3, v4, v8, -v3
	v_add_f32_e32 v2, v2, v3
	v_mul_f32_e32 v3, v11, v15
	v_fma_f32 v3, v10, v14, -v3
	s_waitcnt vmcnt(16) lgkmcnt(0)
	v_mul_f32_e32 v27, v18, v23
	v_fmac_f32_e32 v27, v19, v22
	v_add_f32_e32 v26, v26, v27
	v_mul_f32_e32 v27, v20, v25
	v_fmac_f32_e32 v27, v21, v24
	v_add_f32_e32 v34, v26, v27
	ds_read2_b64 v[26:29], v110 offset0:61 offset1:62
	v_add_f32_e32 v2, v2, v3
	v_mul_f32_e32 v3, v13, v17
	v_fma_f32 v3, v12, v16, -v3
	v_add_f32_e32 v2, v2, v3
	s_waitcnt vmcnt(15) lgkmcnt(0)
	v_mul_f32_e32 v35, v26, v31
	v_fmac_f32_e32 v35, v27, v30
	v_add_f32_e32 v34, v34, v35
	v_mul_f32_e32 v35, v28, v33
	v_fmac_f32_e32 v35, v29, v32
	v_add_f32_e32 v42, v34, v35
	ds_read2_b64 v[34:37], v110 offset0:63 offset1:64
	v_mul_f32_e32 v3, v19, v23
	v_fma_f32 v3, v18, v22, -v3
	v_add_f32_e32 v2, v2, v3
	v_mul_f32_e32 v3, v21, v25
	s_waitcnt vmcnt(14) lgkmcnt(0)
	v_mul_f32_e32 v43, v34, v39
	v_fmac_f32_e32 v43, v35, v38
	v_add_f32_e32 v42, v42, v43
	v_mul_f32_e32 v43, v36, v41
	v_fmac_f32_e32 v43, v37, v40
	v_add_f32_e32 v50, v42, v43
	ds_read2_b64 v[42:45], v110 offset0:65 offset1:66
	v_fma_f32 v3, v20, v24, -v3
	v_add_f32_e32 v2, v2, v3
	v_mul_f32_e32 v3, v27, v31
	v_fma_f32 v3, v26, v30, -v3
	s_waitcnt vmcnt(13) lgkmcnt(0)
	v_mul_f32_e32 v51, v42, v47
	v_fmac_f32_e32 v51, v43, v46
	v_add_f32_e32 v50, v50, v51
	v_mul_f32_e32 v51, v44, v49
	v_fmac_f32_e32 v51, v45, v48
	v_add_f32_e32 v58, v50, v51
	ds_read2_b64 v[50:53], v110 offset0:67 offset1:68
	v_add_f32_e32 v2, v2, v3
	v_mul_f32_e32 v3, v29, v33
	v_fma_f32 v3, v28, v32, -v3
	v_add_f32_e32 v2, v2, v3
	s_waitcnt vmcnt(12) lgkmcnt(0)
	v_mul_f32_e32 v59, v50, v55
	v_fmac_f32_e32 v59, v51, v54
	v_add_f32_e32 v58, v58, v59
	v_mul_f32_e32 v59, v52, v57
	v_fmac_f32_e32 v59, v53, v56
	v_add_f32_e32 v66, v58, v59
	ds_read2_b64 v[58:61], v110 offset0:69 offset1:70
	v_mul_f32_e32 v3, v35, v39
	v_fma_f32 v3, v34, v38, -v3
	v_add_f32_e32 v2, v2, v3
	v_mul_f32_e32 v3, v37, v41
	;; [unrolled: 36-line block ×4, first 2 shown]
	s_waitcnt vmcnt(5) lgkmcnt(0)
	v_mul_f32_e32 v116, v106, v113
	v_fmac_f32_e32 v116, v107, v112
	v_add_f32_e32 v111, v111, v116
	v_mul_f32_e32 v116, v108, v115
	v_fmac_f32_e32 v116, v109, v114
	v_add_f32_e32 v111, v111, v116
	ds_read2_b64 v[116:119], v110 offset0:83 offset1:84
	v_fma_f32 v3, v68, v72, -v3
	v_add_f32_e32 v2, v2, v3
	v_mul_f32_e32 v3, v75, v79
	v_fma_f32 v3, v74, v78, -v3
	s_waitcnt vmcnt(4) lgkmcnt(0)
	v_mul_f32_e32 v126, v116, v121
	v_fmac_f32_e32 v126, v117, v120
	v_add_f32_e32 v111, v111, v126
	v_mul_f32_e32 v126, v118, v123
	v_fmac_f32_e32 v126, v119, v122
	v_add_f32_e32 v111, v111, v126
	ds_read2_b64 v[126:129], v110 offset0:85 offset1:86
	v_add_f32_e32 v2, v2, v3
	v_mul_f32_e32 v3, v77, v81
	v_fma_f32 v3, v76, v80, -v3
	v_add_f32_e32 v2, v2, v3
	s_waitcnt vmcnt(3) lgkmcnt(0)
	v_mul_f32_e32 v134, v126, v131
	v_fmac_f32_e32 v134, v127, v130
	v_add_f32_e32 v111, v111, v134
	v_mul_f32_e32 v134, v128, v133
	v_fmac_f32_e32 v134, v129, v132
	v_add_f32_e32 v111, v111, v134
	s_waitcnt vmcnt(2)
	v_mul_f32_e32 v134, v224, v229
	v_fmac_f32_e32 v134, v225, v228
	v_add_f32_e32 v111, v111, v134
	v_mul_f32_e32 v134, v226, v231
	v_fmac_f32_e32 v134, v227, v230
	v_add_f32_e32 v111, v111, v134
	s_waitcnt vmcnt(1)
	v_mul_f32_e32 v134, v232, v237
	v_fmac_f32_e32 v134, v233, v236
	v_add_f32_e32 v139, v111, v134
	scratch_load_dwordx4 v[248:251], off, off offset:344
	scratch_load_dwordx4 v[252:255], off, off offset:360
	;; [unrolled: 1-line block ×3, first 2 shown]
	scratch_load_dwordx2 v[144:145], off, off offset:392
	v_mul_f32_e32 v3, v83, v87
	v_fma_f32 v3, v82, v86, -v3
	v_add_f32_e32 v2, v2, v3
	v_mul_f32_e32 v3, v85, v89
	v_fma_f32 v3, v84, v88, -v3
	v_add_f32_e32 v2, v2, v3
	;; [unrolled: 3-line block ×15, first 2 shown]
	v_mul_f32_e32 v2, v235, v239
	v_mul_f32_e32 v141, v234, v239
	v_fma_f32 v140, v234, v238, -v2
	s_waitcnt vmcnt(4)
	v_mul_f32_e32 v2, v241, v245
	v_mov_b32_e32 v18, v247
	v_fmac_f32_e32 v141, v235, v238
	v_mul_f32_e32 v143, v240, v245
	v_fma_f32 v142, v240, v244, -v2
	ds_read2_b64 v[2:5], v110 offset0:93 offset1:94
	ds_read2_b64 v[6:9], v110 offset0:95 offset1:96
	;; [unrolled: 1-line block ×3, first 2 shown]
	ds_read_b64 v[14:15], v110 offset:792
	v_pk_mul_f32 v[18:19], v[242:243], v[18:19] op_sel:[1,0] op_sel_hi:[0,0]
	v_fmac_f32_e32 v143, v241, v244
	v_pk_add_f32 v[16:17], v[138:139], v[140:141]
	v_pk_fma_f32 v[20:21], v[242:243], v[246:247], v[18:19] neg_lo:[0,0,1] neg_hi:[0,0,1]
	v_pk_fma_f32 v[18:19], v[242:243], v[246:247], v[18:19] op_sel_hi:[1,0,1]
	v_pk_add_f32 v[16:17], v[16:17], v[142:143]
	v_mov_b32_e32 v21, v19
	v_pk_add_f32 v[16:17], v[16:17], v[20:21]
	s_waitcnt vmcnt(3) lgkmcnt(3)
	v_pk_mul_f32 v[18:19], v[2:3], v[248:249] op_sel:[1,1] op_sel_hi:[0,1]
	v_pk_fma_f32 v[20:21], v[2:3], v[248:249], v[18:19] neg_lo:[0,0,1] neg_hi:[0,0,1]
	v_pk_fma_f32 v[2:3], v[2:3], v[248:249], v[18:19] op_sel_hi:[1,0,1]
	s_nop 0
	v_mov_b32_e32 v21, v3
	v_pk_add_f32 v[2:3], v[16:17], v[20:21]
	v_mov_b32_e32 v16, v251
	v_pk_mul_f32 v[16:17], v[4:5], v[16:17] op_sel:[1,0] op_sel_hi:[0,0]
	v_pk_fma_f32 v[18:19], v[4:5], v[250:251], v[16:17] neg_lo:[0,0,1] neg_hi:[0,0,1]
	v_pk_fma_f32 v[4:5], v[4:5], v[250:251], v[16:17] op_sel_hi:[1,0,1]
	s_nop 0
	v_mov_b32_e32 v19, v5
	s_waitcnt vmcnt(2) lgkmcnt(2)
	v_pk_mul_f32 v[4:5], v[6:7], v[252:253] op_sel:[1,1] op_sel_hi:[0,1]
	v_pk_fma_f32 v[16:17], v[6:7], v[252:253], v[4:5] neg_lo:[0,0,1] neg_hi:[0,0,1]
	v_pk_fma_f32 v[4:5], v[6:7], v[252:253], v[4:5] op_sel_hi:[1,0,1]
	v_pk_add_f32 v[2:3], v[2:3], v[18:19]
	v_mov_b32_e32 v4, v255
	v_mov_b32_e32 v17, v5
	v_pk_mul_f32 v[4:5], v[8:9], v[4:5] op_sel:[1,0] op_sel_hi:[0,0]
	v_pk_fma_f32 v[6:7], v[8:9], v[254:255], v[4:5] neg_lo:[0,0,1] neg_hi:[0,0,1]
	v_pk_fma_f32 v[4:5], v[8:9], v[254:255], v[4:5] op_sel_hi:[1,0,1]
	v_pk_add_f32 v[2:3], v[2:3], v[16:17]
	v_mov_b32_e32 v7, v5
	s_waitcnt vmcnt(1) lgkmcnt(1)
	v_pk_mul_f32 v[4:5], v[10:11], v[134:135] op_sel:[1,1] op_sel_hi:[0,1]
	v_pk_add_f32 v[2:3], v[2:3], v[6:7]
	v_pk_fma_f32 v[6:7], v[10:11], v[134:135], v[4:5] neg_lo:[0,0,1] neg_hi:[0,0,1]
	v_pk_fma_f32 v[4:5], v[10:11], v[134:135], v[4:5] op_sel_hi:[1,0,1]
	s_nop 0
	v_mov_b32_e32 v4, v137
	v_mov_b32_e32 v7, v5
	v_pk_mul_f32 v[4:5], v[12:13], v[4:5] op_sel:[1,0] op_sel_hi:[0,0]
	v_pk_add_f32 v[2:3], v[2:3], v[6:7]
	v_pk_fma_f32 v[6:7], v[12:13], v[136:137], v[4:5] neg_lo:[0,0,1] neg_hi:[0,0,1]
	v_pk_fma_f32 v[4:5], v[12:13], v[136:137], v[4:5] op_sel_hi:[1,0,1]
	s_nop 0
	v_mov_b32_e32 v7, v5
	s_waitcnt vmcnt(0) lgkmcnt(0)
	v_pk_mul_f32 v[4:5], v[14:15], v[144:145] op_sel:[1,1] op_sel_hi:[0,1]
	v_pk_add_f32 v[2:3], v[2:3], v[6:7]
	v_pk_fma_f32 v[6:7], v[14:15], v[144:145], v[4:5] neg_lo:[0,0,1] neg_hi:[0,0,1]
	v_pk_fma_f32 v[4:5], v[14:15], v[144:145], v[4:5] op_sel_hi:[1,0,1]
	s_nop 0
	v_mov_b32_e32 v7, v5
	scratch_load_dwordx2 v[4:5], off, off offset:32
	v_pk_add_f32 v[2:3], v[2:3], v[6:7]
	s_waitcnt vmcnt(0)
	v_pk_add_f32 v[2:3], v[4:5], v[2:3] neg_lo:[0,1] neg_hi:[0,1]
	scratch_store_dwordx2 off, v[2:3], off offset:32
	s_and_saveexec_b64 s[0:1], vcc
	s_cbranch_execz .LBB113_307
; %bb.306:
	scratch_load_dwordx2 v[2:3], off, off offset:24
	v_mov_b32_e32 v111, v110
	scratch_store_dwordx2 off, v[110:111], off offset:24
	s_waitcnt vmcnt(1)
	ds_write_b64 v1, v[2:3]
.LBB113_307:
	s_or_b64 exec, exec, s[0:1]
	s_waitcnt lgkmcnt(0)
	; wave barrier
	ds_read_b128 v[14:17], v110 offset:432
	ds_read_b128 v[10:13], v110 offset:448
	;; [unrolled: 1-line block ×4, first 2 shown]
	scratch_load_dwordx4 v[18:21], off, off offset:32
	scratch_load_dwordx4 v[38:41], off, off offset:96
	;; [unrolled: 1-line block ×13, first 2 shown]
	v_cmp_lt_u32_e32 vcc, 2, v0
	scratch_load_dwordx4 v[46:49], off, off offset:112
	scratch_load_dwordx4 v[54:57], off, off offset:128
	;; [unrolled: 1-line block ×3, first 2 shown]
	ds_read_b128 v[228:231], v110 offset:704
	ds_read_b128 v[236:239], v110 offset:720
	s_waitcnt vmcnt(15) lgkmcnt(5)
	v_mul_f32_e32 v22, v14, v19
	v_fmac_f32_e32 v22, v15, v18
	v_mul_f32_e32 v23, v16, v21
	v_add_f32_e32 v22, 0, v22
	v_fmac_f32_e32 v23, v17, v20
	v_add_f32_e32 v26, v22, v23
	scratch_load_dwordx4 v[22:25], off, off offset:48
	v_mul_f32_e32 v15, v15, v19
	v_fma_f32 v14, v14, v18, -v15
	v_mul_f32_e32 v15, v17, v21
	v_add_f32_e32 v14, 0, v14
	v_fma_f32 v15, v16, v20, -v15
	v_add_f32_e32 v14, v14, v15
	s_waitcnt vmcnt(4) lgkmcnt(0)
	v_mul_f32_e32 v145, v236, v241
	v_mul_f32_e32 v147, v238, v243
	v_fmac_f32_e32 v145, v237, v240
	v_fmac_f32_e32 v147, v239, v242
	s_waitcnt vmcnt(0)
	v_mul_f32_e32 v27, v10, v23
	v_fmac_f32_e32 v27, v11, v22
	v_add_f32_e32 v26, v26, v27
	v_mul_f32_e32 v27, v12, v25
	v_fmac_f32_e32 v27, v13, v24
	v_add_f32_e32 v30, v26, v27
	scratch_load_dwordx4 v[26:29], off, off offset:64
	v_mul_f32_e32 v11, v11, v23
	v_fma_f32 v10, v10, v22, -v11
	v_mul_f32_e32 v11, v13, v25
	v_add_f32_e32 v10, v14, v10
	v_fma_f32 v11, v12, v24, -v11
	v_add_f32_e32 v10, v10, v11
	s_waitcnt vmcnt(0)
	v_mul_f32_e32 v31, v6, v27
	v_fmac_f32_e32 v31, v7, v26
	v_add_f32_e32 v30, v30, v31
	v_mul_f32_e32 v31, v8, v29
	v_fmac_f32_e32 v31, v9, v28
	v_add_f32_e32 v34, v30, v31
	scratch_load_dwordx4 v[30:33], off, off offset:80
	v_mul_f32_e32 v7, v7, v27
	v_fma_f32 v6, v6, v26, -v7
	v_mul_f32_e32 v7, v9, v29
	v_add_f32_e32 v6, v10, v6
	v_fma_f32 v7, v8, v28, -v7
	v_add_f32_e32 v6, v6, v7
	s_waitcnt vmcnt(0)
	v_mul_f32_e32 v35, v2, v31
	v_fmac_f32_e32 v35, v3, v30
	v_add_f32_e32 v34, v34, v35
	v_mul_f32_e32 v35, v4, v33
	v_fmac_f32_e32 v35, v5, v32
	v_add_f32_e32 v42, v34, v35
	ds_read_b128 v[34:37], v110 offset:496
	v_mul_f32_e32 v3, v3, v31
	v_fma_f32 v2, v2, v30, -v3
	v_mul_f32_e32 v3, v5, v33
	v_add_f32_e32 v2, v6, v2
	s_waitcnt lgkmcnt(0)
	v_mul_f32_e32 v43, v34, v39
	v_fmac_f32_e32 v43, v35, v38
	v_add_f32_e32 v42, v42, v43
	v_mul_f32_e32 v43, v36, v41
	v_fmac_f32_e32 v43, v37, v40
	v_add_f32_e32 v50, v42, v43
	ds_read_b128 v[42:45], v110 offset:512
	v_fma_f32 v3, v4, v32, -v3
	v_add_f32_e32 v2, v2, v3
	v_mul_f32_e32 v3, v35, v39
	v_fma_f32 v3, v34, v38, -v3
	s_waitcnt lgkmcnt(0)
	v_mul_f32_e32 v51, v42, v47
	v_fmac_f32_e32 v51, v43, v46
	v_add_f32_e32 v50, v50, v51
	v_mul_f32_e32 v51, v44, v49
	v_fmac_f32_e32 v51, v45, v48
	v_add_f32_e32 v58, v50, v51
	ds_read_b128 v[50:53], v110 offset:528
	v_add_f32_e32 v2, v2, v3
	v_mul_f32_e32 v3, v37, v41
	v_fma_f32 v3, v36, v40, -v3
	v_add_f32_e32 v2, v2, v3
	s_waitcnt lgkmcnt(0)
	v_mul_f32_e32 v59, v50, v55
	v_fmac_f32_e32 v59, v51, v54
	v_add_f32_e32 v58, v58, v59
	v_mul_f32_e32 v59, v52, v57
	v_fmac_f32_e32 v59, v53, v56
	v_add_f32_e32 v66, v58, v59
	ds_read_b128 v[58:61], v110 offset:544
	v_mul_f32_e32 v3, v43, v47
	v_fma_f32 v3, v42, v46, -v3
	v_add_f32_e32 v2, v2, v3
	v_mul_f32_e32 v3, v45, v49
	s_waitcnt lgkmcnt(0)
	v_mul_f32_e32 v67, v58, v63
	v_fmac_f32_e32 v67, v59, v62
	v_add_f32_e32 v66, v66, v67
	v_mul_f32_e32 v67, v60, v65
	v_fmac_f32_e32 v67, v61, v64
	v_add_f32_e32 v74, v66, v67
	ds_read_b128 v[66:69], v110 offset:560
	v_fma_f32 v3, v44, v48, -v3
	v_add_f32_e32 v2, v2, v3
	v_mul_f32_e32 v3, v51, v55
	v_fma_f32 v3, v50, v54, -v3
	s_waitcnt lgkmcnt(0)
	v_mul_f32_e32 v75, v66, v71
	v_fmac_f32_e32 v75, v67, v70
	v_add_f32_e32 v74, v74, v75
	v_mul_f32_e32 v75, v68, v73
	v_fmac_f32_e32 v75, v69, v72
	v_add_f32_e32 v82, v74, v75
	ds_read_b128 v[74:77], v110 offset:576
	v_add_f32_e32 v2, v2, v3
	v_mul_f32_e32 v3, v53, v57
	v_fma_f32 v3, v52, v56, -v3
	v_add_f32_e32 v2, v2, v3
	s_waitcnt lgkmcnt(0)
	v_mul_f32_e32 v83, v74, v79
	v_fmac_f32_e32 v83, v75, v78
	v_add_f32_e32 v82, v82, v83
	v_mul_f32_e32 v83, v76, v81
	v_fmac_f32_e32 v83, v77, v80
	v_add_f32_e32 v90, v82, v83
	ds_read_b128 v[82:85], v110 offset:592
	v_mul_f32_e32 v3, v59, v63
	v_fma_f32 v3, v58, v62, -v3
	v_add_f32_e32 v2, v2, v3
	v_mul_f32_e32 v3, v61, v65
	;; [unrolled: 36-line block ×4, first 2 shown]
	s_waitcnt lgkmcnt(0)
	v_mul_f32_e32 v138, v134, v225
	v_fmac_f32_e32 v138, v135, v224
	v_add_f32_e32 v111, v111, v138
	v_mul_f32_e32 v138, v136, v227
	v_fmac_f32_e32 v138, v137, v226
	v_add_f32_e32 v111, v111, v138
	;; [unrolled: 3-line block ×4, first 2 shown]
	scratch_load_dwordx4 v[244:247], off, off offset:336
	scratch_load_dwordx4 v[248:251], off, off offset:352
	;; [unrolled: 1-line block ×4, first 2 shown]
	v_fma_f32 v3, v92, v96, -v3
	v_add_f32_e32 v2, v2, v3
	v_mul_f32_e32 v3, v99, v103
	v_fma_f32 v3, v98, v102, -v3
	v_add_f32_e32 v2, v2, v3
	v_mul_f32_e32 v3, v101, v105
	;; [unrolled: 3-line block ×13, first 2 shown]
	v_fma_f32 v144, v236, v240, -v2
	v_mul_f32_e32 v2, v239, v243
	v_fma_f32 v146, v238, v242, -v2
	ds_read_b128 v[2:5], v110 offset:736
	ds_read_b128 v[6:9], v110 offset:752
	;; [unrolled: 1-line block ×4, first 2 shown]
	v_pk_add_f32 v[18:19], v[142:143], v[144:145]
	s_waitcnt vmcnt(3) lgkmcnt(3)
	v_pk_mul_f32 v[20:21], v[2:3], v[244:245] op_sel:[1,1] op_sel_hi:[0,1]
	v_pk_fma_f32 v[22:23], v[2:3], v[244:245], v[20:21] neg_lo:[0,0,1] neg_hi:[0,0,1]
	v_pk_fma_f32 v[2:3], v[2:3], v[244:245], v[20:21] op_sel_hi:[1,0,1]
	v_pk_add_f32 v[18:19], v[18:19], v[146:147]
	v_mov_b32_e32 v23, v3
	v_pk_add_f32 v[2:3], v[18:19], v[22:23]
	v_mov_b32_e32 v18, v247
	v_pk_mul_f32 v[18:19], v[4:5], v[18:19] op_sel:[1,0] op_sel_hi:[0,0]
	v_pk_fma_f32 v[20:21], v[4:5], v[246:247], v[18:19] neg_lo:[0,0,1] neg_hi:[0,0,1]
	v_pk_fma_f32 v[4:5], v[4:5], v[246:247], v[18:19] op_sel_hi:[1,0,1]
	s_nop 0
	v_mov_b32_e32 v21, v5
	s_waitcnt vmcnt(2) lgkmcnt(2)
	v_pk_mul_f32 v[4:5], v[6:7], v[248:249] op_sel:[1,1] op_sel_hi:[0,1]
	v_pk_fma_f32 v[18:19], v[6:7], v[248:249], v[4:5] neg_lo:[0,0,1] neg_hi:[0,0,1]
	v_pk_fma_f32 v[4:5], v[6:7], v[248:249], v[4:5] op_sel_hi:[1,0,1]
	v_pk_add_f32 v[2:3], v[2:3], v[20:21]
	v_mov_b32_e32 v4, v251
	v_mov_b32_e32 v19, v5
	v_pk_mul_f32 v[4:5], v[8:9], v[4:5] op_sel:[1,0] op_sel_hi:[0,0]
	v_pk_fma_f32 v[6:7], v[8:9], v[250:251], v[4:5] neg_lo:[0,0,1] neg_hi:[0,0,1]
	v_pk_fma_f32 v[4:5], v[8:9], v[250:251], v[4:5] op_sel_hi:[1,0,1]
	v_pk_add_f32 v[2:3], v[2:3], v[18:19]
	v_mov_b32_e32 v7, v5
	s_waitcnt vmcnt(1) lgkmcnt(1)
	v_pk_mul_f32 v[4:5], v[10:11], v[252:253] op_sel:[1,1] op_sel_hi:[0,1]
	v_pk_add_f32 v[2:3], v[2:3], v[6:7]
	v_pk_fma_f32 v[6:7], v[10:11], v[252:253], v[4:5] neg_lo:[0,0,1] neg_hi:[0,0,1]
	v_pk_fma_f32 v[4:5], v[10:11], v[252:253], v[4:5] op_sel_hi:[1,0,1]
	s_nop 0
	v_mov_b32_e32 v4, v255
	v_mov_b32_e32 v7, v5
	v_pk_mul_f32 v[4:5], v[12:13], v[4:5] op_sel:[1,0] op_sel_hi:[0,0]
	v_pk_add_f32 v[2:3], v[2:3], v[6:7]
	v_pk_fma_f32 v[6:7], v[12:13], v[254:255], v[4:5] neg_lo:[0,0,1] neg_hi:[0,0,1]
	v_pk_fma_f32 v[4:5], v[12:13], v[254:255], v[4:5] op_sel_hi:[1,0,1]
	s_nop 0
	v_mov_b32_e32 v7, v5
	s_waitcnt vmcnt(0) lgkmcnt(0)
	v_pk_mul_f32 v[4:5], v[14:15], v[138:139] op_sel:[1,1] op_sel_hi:[0,1]
	v_pk_add_f32 v[2:3], v[2:3], v[6:7]
	v_pk_fma_f32 v[6:7], v[14:15], v[138:139], v[4:5] neg_lo:[0,0,1] neg_hi:[0,0,1]
	v_pk_fma_f32 v[4:5], v[14:15], v[138:139], v[4:5] op_sel_hi:[1,0,1]
	s_nop 0
	v_mov_b32_e32 v4, v141
	v_mov_b32_e32 v7, v5
	v_pk_mul_f32 v[4:5], v[16:17], v[4:5] op_sel:[1,0] op_sel_hi:[0,0]
	v_pk_add_f32 v[2:3], v[2:3], v[6:7]
	v_pk_fma_f32 v[6:7], v[16:17], v[140:141], v[4:5] neg_lo:[0,0,1] neg_hi:[0,0,1]
	v_pk_fma_f32 v[4:5], v[16:17], v[140:141], v[4:5] op_sel_hi:[1,0,1]
	s_nop 0
	v_mov_b32_e32 v7, v5
	scratch_load_dwordx2 v[4:5], off, off offset:24
	v_pk_add_f32 v[2:3], v[2:3], v[6:7]
	s_waitcnt vmcnt(0)
	v_pk_add_f32 v[2:3], v[4:5], v[2:3] neg_lo:[0,1] neg_hi:[0,1]
	scratch_store_dwordx2 off, v[2:3], off offset:24
	s_and_saveexec_b64 s[0:1], vcc
	s_cbranch_execz .LBB113_309
; %bb.308:
	scratch_load_dwordx2 v[2:3], off, off offset:16
	v_mov_b32_e32 v4, 0
	v_mov_b32_e32 v5, v4
	scratch_store_dwordx2 off, v[4:5], off offset:16
	s_waitcnt vmcnt(1)
	ds_write_b64 v1, v[2:3]
.LBB113_309:
	s_or_b64 exec, exec, s[0:1]
	s_waitcnt lgkmcnt(0)
	; wave barrier
	scratch_load_dwordx4 v[6:9], off, off offset:24
	scratch_load_dwordx4 v[14:17], off, off offset:40
	;; [unrolled: 1-line block ×10, first 2 shown]
	v_mov_b32_e32 v118, 0
	ds_read2_b64 v[2:5], v118 offset0:53 offset1:54
	ds_read2_b64 v[224:227], v118 offset0:87 offset1:88
	scratch_load_dwordx4 v[86:89], off, off offset:184
	scratch_load_dwordx4 v[94:97], off, off offset:200
	;; [unrolled: 1-line block ×10, first 2 shown]
	v_cmp_lt_u32_e32 vcc, 1, v0
	ds_read2_b64 v[232:235], v118 offset0:89 offset1:90
	ds_read2_b64 v[240:243], v118 offset0:91 offset1:92
	s_waitcnt vmcnt(19) lgkmcnt(3)
	v_mul_f32_e32 v10, v2, v7
	v_fmac_f32_e32 v10, v3, v6
	v_mul_f32_e32 v11, v4, v9
	v_add_f32_e32 v10, 0, v10
	v_fmac_f32_e32 v11, v5, v8
	v_add_f32_e32 v18, v10, v11
	ds_read2_b64 v[10:13], v118 offset0:55 offset1:56
	v_mul_f32_e32 v3, v3, v7
	v_fma_f32 v2, v2, v6, -v3
	v_mul_f32_e32 v3, v5, v9
	v_add_f32_e32 v2, 0, v2
	s_waitcnt vmcnt(18) lgkmcnt(0)
	v_mul_f32_e32 v19, v10, v15
	v_fmac_f32_e32 v19, v11, v14
	v_add_f32_e32 v18, v18, v19
	v_mul_f32_e32 v19, v12, v17
	v_fmac_f32_e32 v19, v13, v16
	v_add_f32_e32 v26, v18, v19
	ds_read2_b64 v[18:21], v118 offset0:57 offset1:58
	v_fma_f32 v3, v4, v8, -v3
	v_add_f32_e32 v2, v2, v3
	v_mul_f32_e32 v3, v11, v15
	v_fma_f32 v3, v10, v14, -v3
	s_waitcnt vmcnt(17) lgkmcnt(0)
	v_mul_f32_e32 v27, v18, v23
	v_fmac_f32_e32 v27, v19, v22
	v_add_f32_e32 v26, v26, v27
	v_mul_f32_e32 v27, v20, v25
	v_fmac_f32_e32 v27, v21, v24
	v_add_f32_e32 v34, v26, v27
	ds_read2_b64 v[26:29], v118 offset0:59 offset1:60
	v_add_f32_e32 v2, v2, v3
	v_mul_f32_e32 v3, v13, v17
	v_fma_f32 v3, v12, v16, -v3
	v_add_f32_e32 v2, v2, v3
	s_waitcnt vmcnt(16) lgkmcnt(0)
	v_mul_f32_e32 v35, v26, v31
	v_fmac_f32_e32 v35, v27, v30
	v_add_f32_e32 v34, v34, v35
	v_mul_f32_e32 v35, v28, v33
	v_fmac_f32_e32 v35, v29, v32
	v_add_f32_e32 v42, v34, v35
	ds_read2_b64 v[34:37], v118 offset0:61 offset1:62
	v_mul_f32_e32 v3, v19, v23
	v_fma_f32 v3, v18, v22, -v3
	v_add_f32_e32 v2, v2, v3
	v_mul_f32_e32 v3, v21, v25
	s_waitcnt vmcnt(15) lgkmcnt(0)
	v_mul_f32_e32 v43, v34, v39
	v_fmac_f32_e32 v43, v35, v38
	v_add_f32_e32 v42, v42, v43
	v_mul_f32_e32 v43, v36, v41
	v_fmac_f32_e32 v43, v37, v40
	v_add_f32_e32 v50, v42, v43
	ds_read2_b64 v[42:45], v118 offset0:63 offset1:64
	v_fma_f32 v3, v20, v24, -v3
	v_add_f32_e32 v2, v2, v3
	v_mul_f32_e32 v3, v27, v31
	v_fma_f32 v3, v26, v30, -v3
	s_waitcnt vmcnt(14) lgkmcnt(0)
	v_mul_f32_e32 v51, v42, v47
	v_fmac_f32_e32 v51, v43, v46
	v_add_f32_e32 v50, v50, v51
	v_mul_f32_e32 v51, v44, v49
	v_fmac_f32_e32 v51, v45, v48
	v_add_f32_e32 v58, v50, v51
	ds_read2_b64 v[50:53], v118 offset0:65 offset1:66
	v_add_f32_e32 v2, v2, v3
	v_mul_f32_e32 v3, v29, v33
	v_fma_f32 v3, v28, v32, -v3
	v_add_f32_e32 v2, v2, v3
	s_waitcnt vmcnt(13) lgkmcnt(0)
	v_mul_f32_e32 v59, v50, v55
	v_fmac_f32_e32 v59, v51, v54
	v_add_f32_e32 v58, v58, v59
	v_mul_f32_e32 v59, v52, v57
	v_fmac_f32_e32 v59, v53, v56
	v_add_f32_e32 v66, v58, v59
	ds_read2_b64 v[58:61], v118 offset0:67 offset1:68
	v_mul_f32_e32 v3, v35, v39
	v_fma_f32 v3, v34, v38, -v3
	v_add_f32_e32 v2, v2, v3
	v_mul_f32_e32 v3, v37, v41
	;; [unrolled: 36-line block ×5, first 2 shown]
	s_waitcnt vmcnt(3) lgkmcnt(0)
	v_mul_f32_e32 v142, v134, v139
	v_fmac_f32_e32 v142, v135, v138
	v_add_f32_e32 v119, v119, v142
	v_mul_f32_e32 v142, v136, v141
	v_fmac_f32_e32 v142, v137, v140
	v_add_f32_e32 v119, v119, v142
	s_waitcnt vmcnt(2)
	v_mul_f32_e32 v142, v224, v229
	v_fmac_f32_e32 v142, v225, v228
	v_add_f32_e32 v119, v119, v142
	v_mul_f32_e32 v142, v226, v231
	v_fmac_f32_e32 v142, v227, v230
	v_add_f32_e32 v119, v119, v142
	s_waitcnt vmcnt(1)
	v_mul_f32_e32 v142, v232, v237
	v_fmac_f32_e32 v142, v233, v236
	v_add_f32_e32 v147, v119, v142
	scratch_load_dwordx4 v[248:251], off, off offset:344
	scratch_load_dwordx4 v[252:255], off, off offset:360
	;; [unrolled: 1-line block ×3, first 2 shown]
	scratch_load_dwordx2 v[152:153], off, off offset:392
	v_fma_f32 v3, v84, v88, -v3
	v_add_f32_e32 v2, v2, v3
	v_mul_f32_e32 v3, v91, v95
	v_fma_f32 v3, v90, v94, -v3
	v_add_f32_e32 v2, v2, v3
	v_mul_f32_e32 v3, v93, v97
	;; [unrolled: 3-line block ×16, first 2 shown]
	v_mul_f32_e32 v149, v234, v239
	v_fma_f32 v148, v234, v238, -v2
	s_waitcnt vmcnt(4)
	v_mul_f32_e32 v2, v241, v245
	v_mov_b32_e32 v18, v247
	v_fmac_f32_e32 v149, v235, v238
	v_mul_f32_e32 v151, v240, v245
	v_fma_f32 v150, v240, v244, -v2
	ds_read2_b64 v[2:5], v118 offset0:93 offset1:94
	ds_read2_b64 v[6:9], v118 offset0:95 offset1:96
	;; [unrolled: 1-line block ×3, first 2 shown]
	ds_read_b64 v[14:15], v118 offset:792
	v_pk_mul_f32 v[18:19], v[242:243], v[18:19] op_sel:[1,0] op_sel_hi:[0,0]
	v_fmac_f32_e32 v151, v241, v244
	v_pk_add_f32 v[16:17], v[146:147], v[148:149]
	v_pk_fma_f32 v[20:21], v[242:243], v[246:247], v[18:19] neg_lo:[0,0,1] neg_hi:[0,0,1]
	v_pk_fma_f32 v[18:19], v[242:243], v[246:247], v[18:19] op_sel_hi:[1,0,1]
	v_pk_add_f32 v[16:17], v[16:17], v[150:151]
	v_mov_b32_e32 v21, v19
	v_pk_add_f32 v[16:17], v[16:17], v[20:21]
	s_waitcnt vmcnt(3) lgkmcnt(3)
	v_pk_mul_f32 v[18:19], v[2:3], v[248:249] op_sel:[1,1] op_sel_hi:[0,1]
	v_pk_fma_f32 v[20:21], v[2:3], v[248:249], v[18:19] neg_lo:[0,0,1] neg_hi:[0,0,1]
	v_pk_fma_f32 v[2:3], v[2:3], v[248:249], v[18:19] op_sel_hi:[1,0,1]
	s_nop 0
	v_mov_b32_e32 v21, v3
	v_pk_add_f32 v[2:3], v[16:17], v[20:21]
	v_mov_b32_e32 v16, v251
	v_pk_mul_f32 v[16:17], v[4:5], v[16:17] op_sel:[1,0] op_sel_hi:[0,0]
	v_pk_fma_f32 v[18:19], v[4:5], v[250:251], v[16:17] neg_lo:[0,0,1] neg_hi:[0,0,1]
	v_pk_fma_f32 v[4:5], v[4:5], v[250:251], v[16:17] op_sel_hi:[1,0,1]
	s_nop 0
	v_mov_b32_e32 v19, v5
	s_waitcnt vmcnt(2) lgkmcnt(2)
	v_pk_mul_f32 v[4:5], v[6:7], v[252:253] op_sel:[1,1] op_sel_hi:[0,1]
	v_pk_fma_f32 v[16:17], v[6:7], v[252:253], v[4:5] neg_lo:[0,0,1] neg_hi:[0,0,1]
	v_pk_fma_f32 v[4:5], v[6:7], v[252:253], v[4:5] op_sel_hi:[1,0,1]
	v_pk_add_f32 v[2:3], v[2:3], v[18:19]
	v_mov_b32_e32 v4, v255
	v_mov_b32_e32 v17, v5
	v_pk_mul_f32 v[4:5], v[8:9], v[4:5] op_sel:[1,0] op_sel_hi:[0,0]
	v_pk_fma_f32 v[6:7], v[8:9], v[254:255], v[4:5] neg_lo:[0,0,1] neg_hi:[0,0,1]
	v_pk_fma_f32 v[4:5], v[8:9], v[254:255], v[4:5] op_sel_hi:[1,0,1]
	v_pk_add_f32 v[2:3], v[2:3], v[16:17]
	v_mov_b32_e32 v7, v5
	s_waitcnt vmcnt(1) lgkmcnt(1)
	v_pk_mul_f32 v[4:5], v[10:11], v[142:143] op_sel:[1,1] op_sel_hi:[0,1]
	v_pk_add_f32 v[2:3], v[2:3], v[6:7]
	v_pk_fma_f32 v[6:7], v[10:11], v[142:143], v[4:5] neg_lo:[0,0,1] neg_hi:[0,0,1]
	v_pk_fma_f32 v[4:5], v[10:11], v[142:143], v[4:5] op_sel_hi:[1,0,1]
	s_nop 0
	v_mov_b32_e32 v4, v145
	v_mov_b32_e32 v7, v5
	v_pk_mul_f32 v[4:5], v[12:13], v[4:5] op_sel:[1,0] op_sel_hi:[0,0]
	v_pk_add_f32 v[2:3], v[2:3], v[6:7]
	v_pk_fma_f32 v[6:7], v[12:13], v[144:145], v[4:5] neg_lo:[0,0,1] neg_hi:[0,0,1]
	v_pk_fma_f32 v[4:5], v[12:13], v[144:145], v[4:5] op_sel_hi:[1,0,1]
	s_nop 0
	v_mov_b32_e32 v7, v5
	s_waitcnt vmcnt(0) lgkmcnt(0)
	v_pk_mul_f32 v[4:5], v[14:15], v[152:153] op_sel:[1,1] op_sel_hi:[0,1]
	v_pk_add_f32 v[2:3], v[2:3], v[6:7]
	v_pk_fma_f32 v[6:7], v[14:15], v[152:153], v[4:5] neg_lo:[0,0,1] neg_hi:[0,0,1]
	v_pk_fma_f32 v[4:5], v[14:15], v[152:153], v[4:5] op_sel_hi:[1,0,1]
	s_nop 0
	v_mov_b32_e32 v7, v5
	scratch_load_dwordx2 v[4:5], off, off offset:16
	v_pk_add_f32 v[2:3], v[2:3], v[6:7]
	s_waitcnt vmcnt(0)
	v_pk_add_f32 v[2:3], v[4:5], v[2:3] neg_lo:[0,1] neg_hi:[0,1]
	scratch_store_dwordx2 off, v[2:3], off offset:16
	s_and_saveexec_b64 s[0:1], vcc
	s_cbranch_execz .LBB113_311
; %bb.310:
	scratch_load_dwordx2 v[2:3], off, off offset:8
	v_mov_b32_e32 v119, v118
	scratch_store_dwordx2 off, v[118:119], off offset:8
	s_waitcnt vmcnt(1)
	ds_write_b64 v1, v[2:3]
.LBB113_311:
	s_or_b64 exec, exec, s[0:1]
	s_waitcnt lgkmcnt(0)
	; wave barrier
	ds_read_b128 v[14:17], v118 offset:416
	ds_read_b128 v[10:13], v118 offset:432
	;; [unrolled: 1-line block ×4, first 2 shown]
	scratch_load_dwordx4 v[18:21], off, off offset:16
	scratch_load_dwordx4 v[38:41], off, off offset:80
	scratch_load_dwordx4 v[70:73], off, off offset:144
	scratch_load_dwordx4 v[78:81], off, off offset:160
	scratch_load_dwordx4 v[86:89], off, off offset:176
	scratch_load_dwordx4 v[94:97], off, off offset:192
	scratch_load_dwordx4 v[102:105], off, off offset:208
	scratch_load_dwordx4 v[110:113], off, off offset:224
	scratch_load_dwordx4 v[120:123], off, off offset:240
	scratch_load_dwordx4 v[130:133], off, off offset:256
	scratch_load_dwordx4 v[138:141], off, off offset:272
	scratch_load_dwordx4 v[224:227], off, off offset:288
	scratch_load_dwordx4 v[232:235], off, off offset:304
	scratch_load_dwordx4 v[240:243], off, off offset:320
	v_cmp_ne_u32_e32 vcc, 0, v0
	scratch_load_dwordx4 v[46:49], off, off offset:96
	scratch_load_dwordx4 v[54:57], off, off offset:112
	;; [unrolled: 1-line block ×3, first 2 shown]
	ds_read_b128 v[228:231], v118 offset:704
	ds_read_b128 v[236:239], v118 offset:720
	s_waitcnt vmcnt(16) lgkmcnt(5)
	v_mul_f32_e32 v22, v14, v19
	v_fmac_f32_e32 v22, v15, v18
	v_mul_f32_e32 v23, v16, v21
	v_add_f32_e32 v22, 0, v22
	v_fmac_f32_e32 v23, v17, v20
	v_add_f32_e32 v26, v22, v23
	scratch_load_dwordx4 v[22:25], off, off offset:32
	v_mul_f32_e32 v15, v15, v19
	v_fma_f32 v14, v14, v18, -v15
	v_mul_f32_e32 v15, v17, v21
	v_add_f32_e32 v14, 0, v14
	v_fma_f32 v15, v16, v20, -v15
	v_add_f32_e32 v14, v14, v15
	s_waitcnt vmcnt(4) lgkmcnt(0)
	v_mul_f32_e32 v153, v236, v241
	v_mul_f32_e32 v155, v238, v243
	v_fmac_f32_e32 v153, v237, v240
	v_fmac_f32_e32 v155, v239, v242
	s_waitcnt vmcnt(0)
	v_mul_f32_e32 v27, v10, v23
	v_fmac_f32_e32 v27, v11, v22
	v_add_f32_e32 v26, v26, v27
	v_mul_f32_e32 v27, v12, v25
	v_fmac_f32_e32 v27, v13, v24
	v_add_f32_e32 v30, v26, v27
	scratch_load_dwordx4 v[26:29], off, off offset:48
	v_mul_f32_e32 v11, v11, v23
	v_fma_f32 v10, v10, v22, -v11
	v_mul_f32_e32 v11, v13, v25
	v_add_f32_e32 v10, v14, v10
	v_fma_f32 v11, v12, v24, -v11
	v_add_f32_e32 v10, v10, v11
	s_waitcnt vmcnt(0)
	v_mul_f32_e32 v31, v6, v27
	v_fmac_f32_e32 v31, v7, v26
	v_add_f32_e32 v30, v30, v31
	v_mul_f32_e32 v31, v8, v29
	v_fmac_f32_e32 v31, v9, v28
	v_add_f32_e32 v34, v30, v31
	scratch_load_dwordx4 v[30:33], off, off offset:64
	v_mul_f32_e32 v7, v7, v27
	v_fma_f32 v6, v6, v26, -v7
	v_mul_f32_e32 v7, v9, v29
	v_add_f32_e32 v6, v10, v6
	v_fma_f32 v7, v8, v28, -v7
	v_add_f32_e32 v6, v6, v7
	s_waitcnt vmcnt(0)
	v_mul_f32_e32 v35, v2, v31
	v_fmac_f32_e32 v35, v3, v30
	v_add_f32_e32 v34, v34, v35
	v_mul_f32_e32 v35, v4, v33
	v_fmac_f32_e32 v35, v5, v32
	v_add_f32_e32 v42, v34, v35
	ds_read_b128 v[34:37], v118 offset:480
	v_mul_f32_e32 v3, v3, v31
	v_fma_f32 v2, v2, v30, -v3
	v_mul_f32_e32 v3, v5, v33
	v_add_f32_e32 v2, v6, v2
	s_waitcnt lgkmcnt(0)
	v_mul_f32_e32 v43, v34, v39
	v_fmac_f32_e32 v43, v35, v38
	v_add_f32_e32 v42, v42, v43
	v_mul_f32_e32 v43, v36, v41
	v_fmac_f32_e32 v43, v37, v40
	v_add_f32_e32 v50, v42, v43
	ds_read_b128 v[42:45], v118 offset:496
	v_fma_f32 v3, v4, v32, -v3
	v_add_f32_e32 v2, v2, v3
	v_mul_f32_e32 v3, v35, v39
	v_fma_f32 v3, v34, v38, -v3
	s_waitcnt lgkmcnt(0)
	v_mul_f32_e32 v51, v42, v47
	v_fmac_f32_e32 v51, v43, v46
	v_add_f32_e32 v50, v50, v51
	v_mul_f32_e32 v51, v44, v49
	v_fmac_f32_e32 v51, v45, v48
	v_add_f32_e32 v58, v50, v51
	ds_read_b128 v[50:53], v118 offset:512
	v_add_f32_e32 v2, v2, v3
	v_mul_f32_e32 v3, v37, v41
	v_fma_f32 v3, v36, v40, -v3
	v_add_f32_e32 v2, v2, v3
	s_waitcnt lgkmcnt(0)
	v_mul_f32_e32 v59, v50, v55
	v_fmac_f32_e32 v59, v51, v54
	v_add_f32_e32 v58, v58, v59
	v_mul_f32_e32 v59, v52, v57
	v_fmac_f32_e32 v59, v53, v56
	v_add_f32_e32 v66, v58, v59
	ds_read_b128 v[58:61], v118 offset:528
	v_mul_f32_e32 v3, v43, v47
	v_fma_f32 v3, v42, v46, -v3
	v_add_f32_e32 v2, v2, v3
	v_mul_f32_e32 v3, v45, v49
	s_waitcnt lgkmcnt(0)
	v_mul_f32_e32 v67, v58, v63
	v_fmac_f32_e32 v67, v59, v62
	v_add_f32_e32 v66, v66, v67
	v_mul_f32_e32 v67, v60, v65
	v_fmac_f32_e32 v67, v61, v64
	v_add_f32_e32 v74, v66, v67
	ds_read_b128 v[66:69], v118 offset:544
	v_fma_f32 v3, v44, v48, -v3
	v_add_f32_e32 v2, v2, v3
	v_mul_f32_e32 v3, v51, v55
	v_fma_f32 v3, v50, v54, -v3
	s_waitcnt lgkmcnt(0)
	v_mul_f32_e32 v75, v66, v71
	v_fmac_f32_e32 v75, v67, v70
	v_add_f32_e32 v74, v74, v75
	v_mul_f32_e32 v75, v68, v73
	v_fmac_f32_e32 v75, v69, v72
	v_add_f32_e32 v82, v74, v75
	ds_read_b128 v[74:77], v118 offset:560
	v_add_f32_e32 v2, v2, v3
	v_mul_f32_e32 v3, v53, v57
	v_fma_f32 v3, v52, v56, -v3
	v_add_f32_e32 v2, v2, v3
	s_waitcnt lgkmcnt(0)
	v_mul_f32_e32 v83, v74, v79
	v_fmac_f32_e32 v83, v75, v78
	v_add_f32_e32 v82, v82, v83
	v_mul_f32_e32 v83, v76, v81
	v_fmac_f32_e32 v83, v77, v80
	v_add_f32_e32 v90, v82, v83
	ds_read_b128 v[82:85], v118 offset:576
	v_mul_f32_e32 v3, v59, v63
	v_fma_f32 v3, v58, v62, -v3
	v_add_f32_e32 v2, v2, v3
	v_mul_f32_e32 v3, v61, v65
	;; [unrolled: 36-line block ×4, first 2 shown]
	s_waitcnt lgkmcnt(0)
	v_mul_f32_e32 v142, v134, v139
	v_fmac_f32_e32 v142, v135, v138
	v_add_f32_e32 v119, v119, v142
	v_mul_f32_e32 v142, v136, v141
	v_fmac_f32_e32 v142, v137, v140
	v_add_f32_e32 v119, v119, v142
	ds_read_b128 v[142:145], v118 offset:688
	v_fma_f32 v3, v92, v96, -v3
	v_add_f32_e32 v2, v2, v3
	v_mul_f32_e32 v3, v99, v103
	v_fma_f32 v3, v98, v102, -v3
	s_waitcnt lgkmcnt(0)
	v_mul_f32_e32 v146, v142, v225
	v_fmac_f32_e32 v146, v143, v224
	v_add_f32_e32 v119, v119, v146
	v_mul_f32_e32 v146, v144, v227
	v_fmac_f32_e32 v146, v145, v226
	v_add_f32_e32 v119, v119, v146
	;; [unrolled: 3-line block ×4, first 2 shown]
	scratch_load_dwordx4 v[244:247], off, off offset:336
	scratch_load_dwordx4 v[248:251], off, off offset:352
	;; [unrolled: 1-line block ×4, first 2 shown]
	v_add_f32_e32 v2, v2, v3
	v_mul_f32_e32 v3, v101, v105
	v_fma_f32 v3, v100, v104, -v3
	v_add_f32_e32 v2, v2, v3
	v_mul_f32_e32 v3, v107, v111
	v_fma_f32 v3, v106, v110, -v3
	;; [unrolled: 3-line block ×14, first 2 shown]
	v_mul_f32_e32 v2, v239, v243
	v_fma_f32 v154, v238, v242, -v2
	ds_read_b128 v[2:5], v118 offset:736
	ds_read_b128 v[6:9], v118 offset:752
	;; [unrolled: 1-line block ×4, first 2 shown]
	v_pk_add_f32 v[18:19], v[150:151], v[152:153]
	s_waitcnt vmcnt(3) lgkmcnt(3)
	v_pk_mul_f32 v[20:21], v[2:3], v[244:245] op_sel:[1,1] op_sel_hi:[0,1]
	v_pk_fma_f32 v[22:23], v[2:3], v[244:245], v[20:21] neg_lo:[0,0,1] neg_hi:[0,0,1]
	v_pk_fma_f32 v[2:3], v[2:3], v[244:245], v[20:21] op_sel_hi:[1,0,1]
	v_pk_add_f32 v[18:19], v[18:19], v[154:155]
	v_mov_b32_e32 v23, v3
	v_pk_add_f32 v[2:3], v[18:19], v[22:23]
	v_mov_b32_e32 v18, v247
	v_pk_mul_f32 v[18:19], v[4:5], v[18:19] op_sel:[1,0] op_sel_hi:[0,0]
	v_pk_fma_f32 v[20:21], v[4:5], v[246:247], v[18:19] neg_lo:[0,0,1] neg_hi:[0,0,1]
	v_pk_fma_f32 v[4:5], v[4:5], v[246:247], v[18:19] op_sel_hi:[1,0,1]
	s_nop 0
	v_mov_b32_e32 v21, v5
	s_waitcnt vmcnt(2) lgkmcnt(2)
	v_pk_mul_f32 v[4:5], v[6:7], v[248:249] op_sel:[1,1] op_sel_hi:[0,1]
	v_pk_fma_f32 v[18:19], v[6:7], v[248:249], v[4:5] neg_lo:[0,0,1] neg_hi:[0,0,1]
	v_pk_fma_f32 v[4:5], v[6:7], v[248:249], v[4:5] op_sel_hi:[1,0,1]
	v_pk_add_f32 v[2:3], v[2:3], v[20:21]
	v_mov_b32_e32 v4, v251
	v_mov_b32_e32 v19, v5
	v_pk_mul_f32 v[4:5], v[8:9], v[4:5] op_sel:[1,0] op_sel_hi:[0,0]
	v_pk_fma_f32 v[6:7], v[8:9], v[250:251], v[4:5] neg_lo:[0,0,1] neg_hi:[0,0,1]
	v_pk_fma_f32 v[4:5], v[8:9], v[250:251], v[4:5] op_sel_hi:[1,0,1]
	v_pk_add_f32 v[2:3], v[2:3], v[18:19]
	v_mov_b32_e32 v7, v5
	s_waitcnt vmcnt(1) lgkmcnt(1)
	v_pk_mul_f32 v[4:5], v[10:11], v[252:253] op_sel:[1,1] op_sel_hi:[0,1]
	v_pk_add_f32 v[2:3], v[2:3], v[6:7]
	v_pk_fma_f32 v[6:7], v[10:11], v[252:253], v[4:5] neg_lo:[0,0,1] neg_hi:[0,0,1]
	v_pk_fma_f32 v[4:5], v[10:11], v[252:253], v[4:5] op_sel_hi:[1,0,1]
	s_nop 0
	v_mov_b32_e32 v4, v255
	v_mov_b32_e32 v7, v5
	v_pk_mul_f32 v[4:5], v[12:13], v[4:5] op_sel:[1,0] op_sel_hi:[0,0]
	v_pk_add_f32 v[2:3], v[2:3], v[6:7]
	v_pk_fma_f32 v[6:7], v[12:13], v[254:255], v[4:5] neg_lo:[0,0,1] neg_hi:[0,0,1]
	v_pk_fma_f32 v[4:5], v[12:13], v[254:255], v[4:5] op_sel_hi:[1,0,1]
	s_nop 0
	v_mov_b32_e32 v7, v5
	s_waitcnt vmcnt(0) lgkmcnt(0)
	v_pk_mul_f32 v[4:5], v[14:15], v[146:147] op_sel:[1,1] op_sel_hi:[0,1]
	v_pk_add_f32 v[2:3], v[2:3], v[6:7]
	v_pk_fma_f32 v[6:7], v[14:15], v[146:147], v[4:5] neg_lo:[0,0,1] neg_hi:[0,0,1]
	v_pk_fma_f32 v[4:5], v[14:15], v[146:147], v[4:5] op_sel_hi:[1,0,1]
	s_nop 0
	v_mov_b32_e32 v4, v149
	v_mov_b32_e32 v7, v5
	v_pk_mul_f32 v[4:5], v[16:17], v[4:5] op_sel:[1,0] op_sel_hi:[0,0]
	v_pk_add_f32 v[2:3], v[2:3], v[6:7]
	v_pk_fma_f32 v[6:7], v[16:17], v[148:149], v[4:5] neg_lo:[0,0,1] neg_hi:[0,0,1]
	v_pk_fma_f32 v[4:5], v[16:17], v[148:149], v[4:5] op_sel_hi:[1,0,1]
	s_nop 0
	v_mov_b32_e32 v7, v5
	scratch_load_dwordx2 v[4:5], off, off offset:8
	v_pk_add_f32 v[2:3], v[2:3], v[6:7]
	s_waitcnt vmcnt(0)
	v_pk_add_f32 v[2:3], v[4:5], v[2:3] neg_lo:[0,1] neg_hi:[0,1]
	scratch_store_dwordx2 off, v[2:3], off offset:8
	s_and_saveexec_b64 s[0:1], vcc
	s_cbranch_execz .LBB113_313
; %bb.312:
	scratch_load_dwordx2 v[2:3], off, off
	v_mov_b32_e32 v4, 0
	v_mov_b32_e32 v5, v4
	scratch_store_dwordx2 off, v[4:5], off
	s_waitcnt vmcnt(1)
	ds_write_b64 v1, v[2:3]
.LBB113_313:
	s_or_b64 exec, exec, s[0:1]
	s_waitcnt lgkmcnt(0)
	; wave barrier
	scratch_load_dwordx4 v[4:7], off, off offset:8
	scratch_load_dwordx4 v[12:15], off, off offset:24
	scratch_load_dwordx4 v[20:23], off, off offset:40
	scratch_load_dwordx4 v[28:31], off, off offset:56
	scratch_load_dwordx4 v[36:39], off, off offset:72
	scratch_load_dwordx4 v[44:47], off, off offset:88
	scratch_load_dwordx4 v[52:55], off, off offset:104
	scratch_load_dwordx4 v[60:63], off, off offset:120
	scratch_load_dwordx4 v[68:71], off, off offset:136
	scratch_load_dwordx4 v[76:79], off, off offset:152
	v_mov_b32_e32 v224, 0
	ds_read2_b64 v[0:3], v224 offset0:51 offset1:52
	ds_read2_b64 v[230:233], v224 offset0:89 offset1:90
	scratch_load_dwordx4 v[84:87], off, off offset:168
	scratch_load_dwordx4 v[92:95], off, off offset:184
	;; [unrolled: 1-line block ×11, first 2 shown]
	s_and_b64 vcc, exec, s[10:11]
	ds_read2_b64 v[238:241], v224 offset0:91 offset1:92
	s_waitcnt vmcnt(20) lgkmcnt(2)
	v_mul_f32_e32 v8, v0, v5
	v_fmac_f32_e32 v8, v1, v4
	v_mul_f32_e32 v9, v2, v7
	v_add_f32_e32 v8, 0, v8
	v_fmac_f32_e32 v9, v3, v6
	v_add_f32_e32 v16, v8, v9
	ds_read2_b64 v[8:11], v224 offset0:53 offset1:54
	v_mul_f32_e32 v1, v1, v5
	v_fma_f32 v0, v0, v4, -v1
	v_mul_f32_e32 v1, v3, v7
	v_add_f32_e32 v0, 0, v0
	s_waitcnt vmcnt(19) lgkmcnt(0)
	v_mul_f32_e32 v17, v8, v13
	v_fmac_f32_e32 v17, v9, v12
	v_add_f32_e32 v16, v16, v17
	v_mul_f32_e32 v17, v10, v15
	v_fmac_f32_e32 v17, v11, v14
	v_add_f32_e32 v24, v16, v17
	ds_read2_b64 v[16:19], v224 offset0:55 offset1:56
	v_fma_f32 v1, v2, v6, -v1
	v_add_f32_e32 v0, v0, v1
	v_mul_f32_e32 v1, v9, v13
	v_fma_f32 v1, v8, v12, -v1
	s_waitcnt vmcnt(18) lgkmcnt(0)
	v_mul_f32_e32 v25, v16, v21
	v_fmac_f32_e32 v25, v17, v20
	v_add_f32_e32 v24, v24, v25
	v_mul_f32_e32 v25, v18, v23
	v_fmac_f32_e32 v25, v19, v22
	v_add_f32_e32 v32, v24, v25
	ds_read2_b64 v[24:27], v224 offset0:57 offset1:58
	v_add_f32_e32 v0, v0, v1
	v_mul_f32_e32 v1, v11, v15
	v_fma_f32 v1, v10, v14, -v1
	v_add_f32_e32 v0, v0, v1
	s_waitcnt vmcnt(17) lgkmcnt(0)
	v_mul_f32_e32 v33, v24, v29
	v_fmac_f32_e32 v33, v25, v28
	v_add_f32_e32 v32, v32, v33
	v_mul_f32_e32 v33, v26, v31
	v_fmac_f32_e32 v33, v27, v30
	v_add_f32_e32 v40, v32, v33
	ds_read2_b64 v[32:35], v224 offset0:59 offset1:60
	v_mul_f32_e32 v1, v17, v21
	v_fma_f32 v1, v16, v20, -v1
	v_add_f32_e32 v0, v0, v1
	v_mul_f32_e32 v1, v19, v23
	s_waitcnt vmcnt(16) lgkmcnt(0)
	v_mul_f32_e32 v41, v32, v37
	v_fmac_f32_e32 v41, v33, v36
	v_add_f32_e32 v40, v40, v41
	v_mul_f32_e32 v41, v34, v39
	v_fmac_f32_e32 v41, v35, v38
	v_add_f32_e32 v48, v40, v41
	ds_read2_b64 v[40:43], v224 offset0:61 offset1:62
	v_fma_f32 v1, v18, v22, -v1
	v_add_f32_e32 v0, v0, v1
	v_mul_f32_e32 v1, v25, v29
	v_fma_f32 v1, v24, v28, -v1
	s_waitcnt vmcnt(15) lgkmcnt(0)
	v_mul_f32_e32 v49, v40, v45
	v_fmac_f32_e32 v49, v41, v44
	v_add_f32_e32 v48, v48, v49
	v_mul_f32_e32 v49, v42, v47
	v_fmac_f32_e32 v49, v43, v46
	v_add_f32_e32 v56, v48, v49
	ds_read2_b64 v[48:51], v224 offset0:63 offset1:64
	v_add_f32_e32 v0, v0, v1
	v_mul_f32_e32 v1, v27, v31
	v_fma_f32 v1, v26, v30, -v1
	v_add_f32_e32 v0, v0, v1
	s_waitcnt vmcnt(14) lgkmcnt(0)
	v_mul_f32_e32 v57, v48, v53
	v_fmac_f32_e32 v57, v49, v52
	v_add_f32_e32 v56, v56, v57
	v_mul_f32_e32 v57, v50, v55
	v_fmac_f32_e32 v57, v51, v54
	v_add_f32_e32 v64, v56, v57
	ds_read2_b64 v[56:59], v224 offset0:65 offset1:66
	v_mul_f32_e32 v1, v33, v37
	v_fma_f32 v1, v32, v36, -v1
	v_add_f32_e32 v0, v0, v1
	v_mul_f32_e32 v1, v35, v39
	;; [unrolled: 36-line block ×5, first 2 shown]
	s_waitcnt vmcnt(4) lgkmcnt(0)
	v_mul_f32_e32 v139, v130, v135
	v_fmac_f32_e32 v139, v131, v134
	v_add_f32_e32 v138, v138, v139
	v_mul_f32_e32 v139, v132, v137
	v_fmac_f32_e32 v139, v133, v136
	v_add_f32_e32 v146, v138, v139
	ds_read2_b64 v[138:141], v224 offset0:85 offset1:86
	v_fma_f32 v1, v82, v86, -v1
	v_add_f32_e32 v0, v0, v1
	v_mul_f32_e32 v1, v89, v93
	v_fma_f32 v1, v88, v92, -v1
	s_waitcnt vmcnt(3) lgkmcnt(0)
	v_mul_f32_e32 v147, v138, v143
	v_fmac_f32_e32 v147, v139, v142
	v_add_f32_e32 v146, v146, v147
	v_mul_f32_e32 v147, v140, v145
	v_fmac_f32_e32 v147, v141, v144
	v_add_f32_e32 v150, v146, v147
	ds_read2_b64 v[146:149], v224 offset0:87 offset1:88
	v_add_f32_e32 v0, v0, v1
	v_mul_f32_e32 v1, v91, v95
	v_fma_f32 v1, v90, v94, -v1
	v_add_f32_e32 v0, v0, v1
	s_waitcnt vmcnt(2) lgkmcnt(0)
	v_mul_f32_e32 v151, v146, v227
	v_fmac_f32_e32 v151, v147, v226
	v_add_f32_e32 v150, v150, v151
	v_mul_f32_e32 v151, v148, v229
	v_fmac_f32_e32 v151, v149, v228
	v_add_f32_e32 v150, v150, v151
	s_waitcnt vmcnt(1)
	v_mul_f32_e32 v151, v230, v235
	v_fmac_f32_e32 v151, v231, v234
	v_add_f32_e32 v155, v150, v151
	scratch_load_dwordx4 v[246:249], off, off offset:344
	scratch_load_dwordx4 v[250:253], off, off offset:360
	;; [unrolled: 1-line block ×3, first 2 shown]
	scratch_load_dwordx2 v[158:159], off, off offset:392
	v_mul_f32_e32 v1, v97, v101
	v_fma_f32 v1, v96, v100, -v1
	v_add_f32_e32 v0, v0, v1
	v_mul_f32_e32 v1, v99, v103
	v_fma_f32 v1, v98, v102, -v1
	v_add_f32_e32 v0, v0, v1
	;; [unrolled: 3-line block ×15, first 2 shown]
	v_mul_f32_e32 v0, v233, v237
	v_mul_f32_e32 v255, v232, v237
	v_fma_f32 v254, v232, v236, -v0
	s_waitcnt vmcnt(4)
	v_mul_f32_e32 v0, v239, v243
	v_mov_b32_e32 v16, v245
	v_fmac_f32_e32 v255, v233, v236
	v_mul_f32_e32 v157, v238, v243
	v_fma_f32 v156, v238, v242, -v0
	ds_read2_b64 v[0:3], v224 offset0:93 offset1:94
	ds_read2_b64 v[4:7], v224 offset0:95 offset1:96
	;; [unrolled: 1-line block ×3, first 2 shown]
	ds_read_b64 v[12:13], v224 offset:792
	v_pk_mul_f32 v[16:17], v[240:241], v[16:17] op_sel:[1,0] op_sel_hi:[0,0]
	v_fmac_f32_e32 v157, v239, v242
	v_pk_add_f32 v[14:15], v[154:155], v[254:255]
	v_pk_fma_f32 v[18:19], v[240:241], v[244:245], v[16:17] neg_lo:[0,0,1] neg_hi:[0,0,1]
	v_pk_fma_f32 v[16:17], v[240:241], v[244:245], v[16:17] op_sel_hi:[1,0,1]
	v_pk_add_f32 v[14:15], v[14:15], v[156:157]
	v_mov_b32_e32 v19, v17
	v_pk_add_f32 v[14:15], v[14:15], v[18:19]
	s_waitcnt vmcnt(3) lgkmcnt(3)
	v_pk_mul_f32 v[16:17], v[0:1], v[246:247] op_sel:[1,1] op_sel_hi:[0,1]
	v_pk_fma_f32 v[18:19], v[0:1], v[246:247], v[16:17] neg_lo:[0,0,1] neg_hi:[0,0,1]
	v_pk_fma_f32 v[0:1], v[0:1], v[246:247], v[16:17] op_sel_hi:[1,0,1]
	s_nop 0
	v_mov_b32_e32 v19, v1
	v_pk_add_f32 v[0:1], v[14:15], v[18:19]
	v_mov_b32_e32 v14, v249
	v_pk_mul_f32 v[14:15], v[2:3], v[14:15] op_sel:[1,0] op_sel_hi:[0,0]
	v_pk_fma_f32 v[16:17], v[2:3], v[248:249], v[14:15] neg_lo:[0,0,1] neg_hi:[0,0,1]
	v_pk_fma_f32 v[2:3], v[2:3], v[248:249], v[14:15] op_sel_hi:[1,0,1]
	s_nop 0
	v_mov_b32_e32 v17, v3
	s_waitcnt vmcnt(2) lgkmcnt(2)
	v_pk_mul_f32 v[2:3], v[4:5], v[250:251] op_sel:[1,1] op_sel_hi:[0,1]
	v_pk_fma_f32 v[14:15], v[4:5], v[250:251], v[2:3] neg_lo:[0,0,1] neg_hi:[0,0,1]
	v_pk_fma_f32 v[2:3], v[4:5], v[250:251], v[2:3] op_sel_hi:[1,0,1]
	v_pk_add_f32 v[0:1], v[0:1], v[16:17]
	v_mov_b32_e32 v2, v253
	v_mov_b32_e32 v15, v3
	v_pk_mul_f32 v[2:3], v[6:7], v[2:3] op_sel:[1,0] op_sel_hi:[0,0]
	v_pk_fma_f32 v[4:5], v[6:7], v[252:253], v[2:3] neg_lo:[0,0,1] neg_hi:[0,0,1]
	v_pk_fma_f32 v[2:3], v[6:7], v[252:253], v[2:3] op_sel_hi:[1,0,1]
	v_pk_add_f32 v[0:1], v[0:1], v[14:15]
	v_mov_b32_e32 v5, v3
	s_waitcnt vmcnt(1) lgkmcnt(1)
	v_pk_mul_f32 v[2:3], v[8:9], v[150:151] op_sel:[1,1] op_sel_hi:[0,1]
	v_pk_add_f32 v[0:1], v[0:1], v[4:5]
	v_pk_fma_f32 v[4:5], v[8:9], v[150:151], v[2:3] neg_lo:[0,0,1] neg_hi:[0,0,1]
	v_pk_fma_f32 v[2:3], v[8:9], v[150:151], v[2:3] op_sel_hi:[1,0,1]
	s_nop 0
	v_mov_b32_e32 v2, v153
	v_mov_b32_e32 v5, v3
	v_pk_mul_f32 v[2:3], v[10:11], v[2:3] op_sel:[1,0] op_sel_hi:[0,0]
	v_pk_add_f32 v[0:1], v[0:1], v[4:5]
	v_pk_fma_f32 v[4:5], v[10:11], v[152:153], v[2:3] neg_lo:[0,0,1] neg_hi:[0,0,1]
	v_pk_fma_f32 v[2:3], v[10:11], v[152:153], v[2:3] op_sel_hi:[1,0,1]
	s_nop 0
	v_mov_b32_e32 v5, v3
	s_waitcnt vmcnt(0) lgkmcnt(0)
	v_pk_mul_f32 v[2:3], v[12:13], v[158:159] op_sel:[1,1] op_sel_hi:[0,1]
	v_pk_add_f32 v[0:1], v[0:1], v[4:5]
	v_pk_fma_f32 v[4:5], v[12:13], v[158:159], v[2:3] neg_lo:[0,0,1] neg_hi:[0,0,1]
	v_pk_fma_f32 v[2:3], v[12:13], v[158:159], v[2:3] op_sel_hi:[1,0,1]
	s_nop 0
	v_mov_b32_e32 v5, v3
	scratch_load_dwordx2 v[2:3], off, off
	v_pk_add_f32 v[0:1], v[0:1], v[4:5]
	s_waitcnt vmcnt(0)
	v_pk_add_f32 v[0:1], v[2:3], v[0:1] neg_lo:[0,1] neg_hi:[0,1]
	scratch_store_dwordx2 off, v[0:1], off
	s_cbranch_vccz .LBB113_412
; %bb.314:
	global_load_dword v0, v224, s[8:9] offset:192
	s_waitcnt vmcnt(0)
	v_readfirstlane_b32 s0, v0
	s_add_i32 s0, s0, -1
	s_cmp_lg_u32 s0, 48
	s_cbranch_scc0 .LBB113_316
; %bb.315:
	s_lshl_b32 s0, s0, 3
	s_nop 0
	scratch_load_dwordx2 v[0:1], off, s0
	scratch_load_dwordx2 v[2:3], off, off offset:384
	s_waitcnt vmcnt(1)
	scratch_store_dwordx2 off, v[0:1], off offset:384
	s_waitcnt vmcnt(1)
	scratch_store_dwordx2 off, v[2:3], s0
.LBB113_316:
	v_mov_b32_e32 v0, 0
	global_load_dword v1, v0, s[8:9] offset:188
	s_waitcnt vmcnt(0)
	v_readfirstlane_b32 s0, v1
	s_add_i32 s0, s0, -1
	s_cmp_eq_u32 s0, 47
	s_cbranch_scc1 .LBB113_318
; %bb.317:
	s_lshl_b32 s0, s0, 3
	s_nop 0
	scratch_load_dwordx2 v[2:3], off, s0
	scratch_load_dwordx2 v[4:5], off, off offset:376
	s_waitcnt vmcnt(1)
	scratch_store_dwordx2 off, v[2:3], off offset:376
	s_waitcnt vmcnt(1)
	scratch_store_dwordx2 off, v[4:5], s0
.LBB113_318:
	global_load_dword v0, v0, s[8:9] offset:184
	s_waitcnt vmcnt(0)
	v_readfirstlane_b32 s0, v0
	s_add_i32 s0, s0, -1
	s_cmp_eq_u32 s0, 46
	s_cbranch_scc1 .LBB113_320
; %bb.319:
	s_lshl_b32 s0, s0, 3
	s_nop 0
	scratch_load_dwordx2 v[0:1], off, s0
	scratch_load_dwordx2 v[2:3], off, off offset:368
	s_waitcnt vmcnt(1)
	scratch_store_dwordx2 off, v[0:1], off offset:368
	s_waitcnt vmcnt(1)
	scratch_store_dwordx2 off, v[2:3], s0
.LBB113_320:
	v_mov_b32_e32 v0, 0
	global_load_dword v1, v0, s[8:9] offset:180
	s_waitcnt vmcnt(0)
	v_readfirstlane_b32 s0, v1
	s_add_i32 s0, s0, -1
	s_cmp_eq_u32 s0, 45
	s_cbranch_scc1 .LBB113_322
; %bb.321:
	s_lshl_b32 s0, s0, 3
	s_nop 0
	scratch_load_dwordx2 v[2:3], off, s0
	scratch_load_dwordx2 v[4:5], off, off offset:360
	s_waitcnt vmcnt(1)
	scratch_store_dwordx2 off, v[2:3], off offset:360
	s_waitcnt vmcnt(1)
	scratch_store_dwordx2 off, v[4:5], s0
.LBB113_322:
	global_load_dword v0, v0, s[8:9] offset:176
	s_waitcnt vmcnt(0)
	v_readfirstlane_b32 s0, v0
	s_add_i32 s0, s0, -1
	s_cmp_eq_u32 s0, 44
	s_cbranch_scc1 .LBB113_324
; %bb.323:
	s_lshl_b32 s0, s0, 3
	s_nop 0
	scratch_load_dwordx2 v[0:1], off, s0
	scratch_load_dwordx2 v[2:3], off, off offset:352
	s_waitcnt vmcnt(1)
	scratch_store_dwordx2 off, v[0:1], off offset:352
	s_waitcnt vmcnt(1)
	scratch_store_dwordx2 off, v[2:3], s0
.LBB113_324:
	;; [unrolled: 33-line block ×23, first 2 shown]
	v_mov_b32_e32 v0, 0
	global_load_dword v1, v0, s[8:9] offset:4
	s_waitcnt vmcnt(0)
	v_readfirstlane_b32 s0, v1
	s_add_i32 s0, s0, -1
	s_cmp_eq_u32 s0, 1
	s_cbranch_scc1 .LBB113_410
; %bb.409:
	s_lshl_b32 s0, s0, 3
	s_nop 0
	scratch_load_dwordx2 v[2:3], off, s0
	scratch_load_dwordx2 v[4:5], off, off offset:8
	s_waitcnt vmcnt(1)
	scratch_store_dwordx2 off, v[2:3], off offset:8
	s_waitcnt vmcnt(1)
	scratch_store_dwordx2 off, v[4:5], s0
.LBB113_410:
	global_load_dword v2, v0, s[8:9]
	s_nop 0
	scratch_load_dwordx2 v[0:1], off, off
	s_waitcnt vmcnt(1)
	v_readfirstlane_b32 s0, v2
	s_add_i32 s0, s0, -1
	s_cmp_eq_u32 s0, 0
	s_cbranch_scc1 .LBB113_412
; %bb.411:
	s_lshl_b32 s0, s0, 3
	s_nop 0
	scratch_load_dwordx2 v[2:3], off, s0
	s_waitcnt vmcnt(0)
	scratch_store_dwordx2 off, v[2:3], off
	scratch_store_dwordx2 off, v[0:1], s0
	scratch_load_dwordx2 v[0:1], off, off
.LBB113_412:
	s_waitcnt vmcnt(0)
	flat_store_dwordx2 v[124:125], v[0:1]
	scratch_load_dwordx2 v[0:1], off, off offset:8
	v_accvgpr_read_b32 v3, a1
	v_accvgpr_read_b32 v2, a0
	s_waitcnt vmcnt(0)
	flat_store_dwordx2 v[2:3], v[0:1]
	scratch_load_dwordx2 v[0:1], off, off offset:16
	v_accvgpr_read_b32 v2, a2
	v_accvgpr_read_b32 v3, a3
	;; [unrolled: 5-line block ×17, first 2 shown]
	s_waitcnt vmcnt(0)
	flat_store_dwordx2 v[2:3], v[0:1]
	scratch_load_dwordx2 v[0:1], off, off offset:144
	s_waitcnt vmcnt(0)
	flat_store_dwordx2 v[160:161], v[0:1]
	scratch_load_dwordx2 v[0:1], off, off offset:152
	;; [unrolled: 3-line block ×32, first 2 shown]
	s_waitcnt vmcnt(0)
	flat_store_dwordx2 v[222:223], v[0:1]
	s_endpgm
	.section	.rodata,"a",@progbits
	.p2align	6, 0x0
	.amdhsa_kernel _ZN9rocsolver6v33100L18getri_kernel_smallILi50E19rocblas_complex_numIfEPKPS3_EEvT1_iilPiilS8_bb
		.amdhsa_group_segment_fixed_size 804
		.amdhsa_private_segment_fixed_size 416
		.amdhsa_kernarg_size 60
		.amdhsa_user_sgpr_count 2
		.amdhsa_user_sgpr_dispatch_ptr 0
		.amdhsa_user_sgpr_queue_ptr 0
		.amdhsa_user_sgpr_kernarg_segment_ptr 1
		.amdhsa_user_sgpr_dispatch_id 0
		.amdhsa_user_sgpr_kernarg_preload_length 0
		.amdhsa_user_sgpr_kernarg_preload_offset 0
		.amdhsa_user_sgpr_private_segment_size 0
		.amdhsa_uses_dynamic_stack 0
		.amdhsa_enable_private_segment 1
		.amdhsa_system_sgpr_workgroup_id_x 1
		.amdhsa_system_sgpr_workgroup_id_y 0
		.amdhsa_system_sgpr_workgroup_id_z 0
		.amdhsa_system_sgpr_workgroup_info 0
		.amdhsa_system_vgpr_workitem_id 0
		.amdhsa_next_free_vgpr 290
		.amdhsa_next_free_sgpr 17
		.amdhsa_accum_offset 256
		.amdhsa_reserve_vcc 1
		.amdhsa_float_round_mode_32 0
		.amdhsa_float_round_mode_16_64 0
		.amdhsa_float_denorm_mode_32 3
		.amdhsa_float_denorm_mode_16_64 3
		.amdhsa_dx10_clamp 1
		.amdhsa_ieee_mode 1
		.amdhsa_fp16_overflow 0
		.amdhsa_tg_split 0
		.amdhsa_exception_fp_ieee_invalid_op 0
		.amdhsa_exception_fp_denorm_src 0
		.amdhsa_exception_fp_ieee_div_zero 0
		.amdhsa_exception_fp_ieee_overflow 0
		.amdhsa_exception_fp_ieee_underflow 0
		.amdhsa_exception_fp_ieee_inexact 0
		.amdhsa_exception_int_div_zero 0
	.end_amdhsa_kernel
	.section	.text._ZN9rocsolver6v33100L18getri_kernel_smallILi50E19rocblas_complex_numIfEPKPS3_EEvT1_iilPiilS8_bb,"axG",@progbits,_ZN9rocsolver6v33100L18getri_kernel_smallILi50E19rocblas_complex_numIfEPKPS3_EEvT1_iilPiilS8_bb,comdat
.Lfunc_end113:
	.size	_ZN9rocsolver6v33100L18getri_kernel_smallILi50E19rocblas_complex_numIfEPKPS3_EEvT1_iilPiilS8_bb, .Lfunc_end113-_ZN9rocsolver6v33100L18getri_kernel_smallILi50E19rocblas_complex_numIfEPKPS3_EEvT1_iilPiilS8_bb
                                        ; -- End function
	.set _ZN9rocsolver6v33100L18getri_kernel_smallILi50E19rocblas_complex_numIfEPKPS3_EEvT1_iilPiilS8_bb.num_vgpr, 256
	.set _ZN9rocsolver6v33100L18getri_kernel_smallILi50E19rocblas_complex_numIfEPKPS3_EEvT1_iilPiilS8_bb.num_agpr, 34
	.set _ZN9rocsolver6v33100L18getri_kernel_smallILi50E19rocblas_complex_numIfEPKPS3_EEvT1_iilPiilS8_bb.numbered_sgpr, 17
	.set _ZN9rocsolver6v33100L18getri_kernel_smallILi50E19rocblas_complex_numIfEPKPS3_EEvT1_iilPiilS8_bb.num_named_barrier, 0
	.set _ZN9rocsolver6v33100L18getri_kernel_smallILi50E19rocblas_complex_numIfEPKPS3_EEvT1_iilPiilS8_bb.private_seg_size, 416
	.set _ZN9rocsolver6v33100L18getri_kernel_smallILi50E19rocblas_complex_numIfEPKPS3_EEvT1_iilPiilS8_bb.uses_vcc, 1
	.set _ZN9rocsolver6v33100L18getri_kernel_smallILi50E19rocblas_complex_numIfEPKPS3_EEvT1_iilPiilS8_bb.uses_flat_scratch, 0
	.set _ZN9rocsolver6v33100L18getri_kernel_smallILi50E19rocblas_complex_numIfEPKPS3_EEvT1_iilPiilS8_bb.has_dyn_sized_stack, 0
	.set _ZN9rocsolver6v33100L18getri_kernel_smallILi50E19rocblas_complex_numIfEPKPS3_EEvT1_iilPiilS8_bb.has_recursion, 0
	.set _ZN9rocsolver6v33100L18getri_kernel_smallILi50E19rocblas_complex_numIfEPKPS3_EEvT1_iilPiilS8_bb.has_indirect_call, 0
	.section	.AMDGPU.csdata,"",@progbits
; Kernel info:
; codeLenInByte = 73896
; TotalNumSgprs: 23
; NumVgprs: 256
; NumAgprs: 34
; TotalNumVgprs: 290
; ScratchSize: 416
; MemoryBound: 0
; FloatMode: 240
; IeeeMode: 1
; LDSByteSize: 804 bytes/workgroup (compile time only)
; SGPRBlocks: 2
; VGPRBlocks: 36
; NumSGPRsForWavesPerEU: 23
; NumVGPRsForWavesPerEU: 290
; AccumOffset: 256
; Occupancy: 1
; WaveLimiterHint : 1
; COMPUTE_PGM_RSRC2:SCRATCH_EN: 1
; COMPUTE_PGM_RSRC2:USER_SGPR: 2
; COMPUTE_PGM_RSRC2:TRAP_HANDLER: 0
; COMPUTE_PGM_RSRC2:TGID_X_EN: 1
; COMPUTE_PGM_RSRC2:TGID_Y_EN: 0
; COMPUTE_PGM_RSRC2:TGID_Z_EN: 0
; COMPUTE_PGM_RSRC2:TIDIG_COMP_CNT: 0
; COMPUTE_PGM_RSRC3_GFX90A:ACCUM_OFFSET: 63
; COMPUTE_PGM_RSRC3_GFX90A:TG_SPLIT: 0
	.section	.text._ZN9rocsolver6v33100L18getri_kernel_smallILi51E19rocblas_complex_numIfEPKPS3_EEvT1_iilPiilS8_bb,"axG",@progbits,_ZN9rocsolver6v33100L18getri_kernel_smallILi51E19rocblas_complex_numIfEPKPS3_EEvT1_iilPiilS8_bb,comdat
	.globl	_ZN9rocsolver6v33100L18getri_kernel_smallILi51E19rocblas_complex_numIfEPKPS3_EEvT1_iilPiilS8_bb ; -- Begin function _ZN9rocsolver6v33100L18getri_kernel_smallILi51E19rocblas_complex_numIfEPKPS3_EEvT1_iilPiilS8_bb
	.p2align	8
	.type	_ZN9rocsolver6v33100L18getri_kernel_smallILi51E19rocblas_complex_numIfEPKPS3_EEvT1_iilPiilS8_bb,@function
_ZN9rocsolver6v33100L18getri_kernel_smallILi51E19rocblas_complex_numIfEPKPS3_EEvT1_iilPiilS8_bb: ; @_ZN9rocsolver6v33100L18getri_kernel_smallILi51E19rocblas_complex_numIfEPKPS3_EEvT1_iilPiilS8_bb
; %bb.0:
	v_cmp_gt_u32_e32 vcc, 51, v0
	s_and_saveexec_b64 s[4:5], vcc
	s_cbranch_execz .LBB114_218
; %bb.1:
	s_load_dword s14, s[0:1], 0x38
	s_load_dwordx2 s[8:9], s[0:1], 0x0
	s_load_dwordx4 s[4:7], s[0:1], 0x28
	s_waitcnt lgkmcnt(0)
	s_bitcmp1_b32 s14, 8
	s_cselect_b64 s[10:11], -1, 0
	s_ashr_i32 s3, s2, 31
	s_lshl_b64 s[12:13], s[2:3], 3
	s_add_u32 s8, s8, s12
	s_addc_u32 s9, s9, s13
	s_load_dwordx2 s[12:13], s[8:9], 0x0
	s_bfe_u32 s8, s14, 0x10008
	s_cmp_eq_u32 s8, 0
                                        ; implicit-def: $sgpr8_sgpr9
	s_cbranch_scc1 .LBB114_3
; %bb.2:
	s_load_dword s8, s[0:1], 0x20
	s_load_dwordx2 s[14:15], s[0:1], 0x18
	s_mul_i32 s9, s4, s3
	s_mul_hi_u32 s16, s4, s2
	s_add_i32 s16, s16, s9
	s_mul_i32 s5, s5, s2
	s_add_i32 s5, s16, s5
	s_mul_i32 s4, s4, s2
	s_waitcnt lgkmcnt(0)
	s_ashr_i32 s9, s8, 31
	s_lshl_b64 s[4:5], s[4:5], 2
	s_add_u32 s14, s14, s4
	s_addc_u32 s15, s15, s5
	s_lshl_b64 s[4:5], s[8:9], 2
	s_add_u32 s8, s14, s4
	s_addc_u32 s9, s15, s5
.LBB114_3:
	s_load_dwordx2 s[4:5], s[0:1], 0x8
	s_load_dword s14, s[0:1], 0x38
	v_lshlrev_b32_e32 v2, 3, v0
	v_mov_b32_e32 v3, 0
	s_waitcnt lgkmcnt(0)
	s_ashr_i32 s1, s4, 31
	s_mov_b32 s0, s4
	s_lshl_b64 s[0:1], s[0:1], 3
	s_add_u32 s0, s12, s0
	s_addc_u32 s1, s13, s1
	v_lshl_add_u64 v[132:133], s[0:1], 0, v[2:3]
	flat_load_dwordx2 v[4:5], v[132:133]
	s_mov_b32 s12, s5
	s_ashr_i32 s13, s5, 31
	v_lshl_add_u64 v[6:7], s[12:13], 3, v[132:133]
	v_accvgpr_write_b32 a0, v6
	s_add_i32 s4, s5, s5
	v_accvgpr_write_b32 a1, v7
	s_bitcmp0_b32 s14, 0
	s_waitcnt vmcnt(0) lgkmcnt(0)
	scratch_store_dwordx2 off, v[4:5], off
	flat_load_dwordx2 v[4:5], v[6:7]
	v_add_u32_e32 v6, s4, v0
	v_ashrrev_i32_e32 v7, 31, v6
	v_lshl_add_u64 v[8:9], v[6:7], 3, s[0:1]
	v_add_u32_e32 v6, s5, v6
	v_accvgpr_write_b32 a2, v8
	v_ashrrev_i32_e32 v7, 31, v6
	v_accvgpr_write_b32 a3, v9
	s_waitcnt vmcnt(0) lgkmcnt(0)
	scratch_store_dwordx2 off, v[4:5], off offset:8
	flat_load_dwordx2 v[4:5], v[8:9]
	v_lshl_add_u64 v[8:9], v[6:7], 3, s[0:1]
	v_add_u32_e32 v6, s5, v6
	v_accvgpr_write_b32 a4, v8
	v_ashrrev_i32_e32 v7, 31, v6
	v_accvgpr_write_b32 a5, v9
	s_waitcnt vmcnt(0) lgkmcnt(0)
	scratch_store_dwordx2 off, v[4:5], off offset:16
	flat_load_dwordx2 v[4:5], v[8:9]
	v_lshl_add_u64 v[8:9], v[6:7], 3, s[0:1]
	v_add_u32_e32 v6, s5, v6
	v_accvgpr_write_b32 a6, v8
	v_ashrrev_i32_e32 v7, 31, v6
	v_accvgpr_write_b32 a7, v9
	s_waitcnt vmcnt(0) lgkmcnt(0)
	scratch_store_dwordx2 off, v[4:5], off offset:24
	flat_load_dwordx2 v[4:5], v[8:9]
	v_lshl_add_u64 v[8:9], v[6:7], 3, s[0:1]
	v_add_u32_e32 v6, s5, v6
	v_accvgpr_write_b32 a8, v8
	v_ashrrev_i32_e32 v7, 31, v6
	v_accvgpr_write_b32 a9, v9
	s_waitcnt vmcnt(0) lgkmcnt(0)
	scratch_store_dwordx2 off, v[4:5], off offset:32
	flat_load_dwordx2 v[4:5], v[8:9]
	v_lshl_add_u64 v[8:9], v[6:7], 3, s[0:1]
	v_add_u32_e32 v6, s5, v6
	v_accvgpr_write_b32 a11, v9
	v_ashrrev_i32_e32 v7, 31, v6
	v_accvgpr_write_b32 a10, v8
	s_waitcnt vmcnt(0) lgkmcnt(0)
	scratch_store_dwordx2 off, v[4:5], off offset:40
	flat_load_dwordx2 v[4:5], v[8:9]
	v_lshl_add_u64 v[8:9], v[6:7], 3, s[0:1]
	v_add_u32_e32 v6, s5, v6
	v_accvgpr_write_b32 a13, v9
	v_ashrrev_i32_e32 v7, 31, v6
	v_accvgpr_write_b32 a12, v8
	s_waitcnt vmcnt(0) lgkmcnt(0)
	scratch_store_dwordx2 off, v[4:5], off offset:48
	flat_load_dwordx2 v[4:5], v[8:9]
	v_lshl_add_u64 v[8:9], v[6:7], 3, s[0:1]
	v_add_u32_e32 v6, s5, v6
	v_accvgpr_write_b32 a15, v9
	v_ashrrev_i32_e32 v7, 31, v6
	v_accvgpr_write_b32 a14, v8
	s_waitcnt vmcnt(0) lgkmcnt(0)
	scratch_store_dwordx2 off, v[4:5], off offset:56
	flat_load_dwordx2 v[4:5], v[8:9]
	v_lshl_add_u64 v[8:9], v[6:7], 3, s[0:1]
	v_add_u32_e32 v6, s5, v6
	v_accvgpr_write_b32 a17, v9
	v_ashrrev_i32_e32 v7, 31, v6
	v_accvgpr_write_b32 a16, v8
	s_waitcnt vmcnt(0) lgkmcnt(0)
	scratch_store_dwordx2 off, v[4:5], off offset:64
	flat_load_dwordx2 v[4:5], v[8:9]
	v_lshl_add_u64 v[8:9], v[6:7], 3, s[0:1]
	v_add_u32_e32 v6, s5, v6
	v_accvgpr_write_b32 a19, v9
	v_ashrrev_i32_e32 v7, 31, v6
	v_accvgpr_write_b32 a18, v8
	s_waitcnt vmcnt(0) lgkmcnt(0)
	scratch_store_dwordx2 off, v[4:5], off offset:72
	flat_load_dwordx2 v[4:5], v[8:9]
	v_lshl_add_u64 v[8:9], v[6:7], 3, s[0:1]
	v_add_u32_e32 v6, s5, v6
	v_accvgpr_write_b32 a21, v9
	v_ashrrev_i32_e32 v7, 31, v6
	v_accvgpr_write_b32 a20, v8
	s_waitcnt vmcnt(0) lgkmcnt(0)
	scratch_store_dwordx2 off, v[4:5], off offset:80
	flat_load_dwordx2 v[4:5], v[8:9]
	v_lshl_add_u64 v[8:9], v[6:7], 3, s[0:1]
	v_add_u32_e32 v6, s5, v6
	v_accvgpr_write_b32 a23, v9
	v_ashrrev_i32_e32 v7, 31, v6
	v_accvgpr_write_b32 a22, v8
	s_waitcnt vmcnt(0) lgkmcnt(0)
	scratch_store_dwordx2 off, v[4:5], off offset:88
	flat_load_dwordx2 v[4:5], v[8:9]
	v_lshl_add_u64 v[8:9], v[6:7], 3, s[0:1]
	v_add_u32_e32 v6, s5, v6
	v_accvgpr_write_b32 a25, v9
	v_ashrrev_i32_e32 v7, 31, v6
	v_accvgpr_write_b32 a24, v8
	s_waitcnt vmcnt(0) lgkmcnt(0)
	scratch_store_dwordx2 off, v[4:5], off offset:96
	flat_load_dwordx2 v[4:5], v[8:9]
	v_lshl_add_u64 v[8:9], v[6:7], 3, s[0:1]
	v_add_u32_e32 v6, s5, v6
	v_accvgpr_write_b32 a27, v9
	v_ashrrev_i32_e32 v7, 31, v6
	v_accvgpr_write_b32 a26, v8
	s_waitcnt vmcnt(0) lgkmcnt(0)
	scratch_store_dwordx2 off, v[4:5], off offset:104
	flat_load_dwordx2 v[4:5], v[8:9]
	v_lshl_add_u64 v[8:9], v[6:7], 3, s[0:1]
	v_add_u32_e32 v6, s5, v6
	v_accvgpr_write_b32 a29, v9
	v_ashrrev_i32_e32 v7, 31, v6
	v_accvgpr_write_b32 a28, v8
	s_waitcnt vmcnt(0) lgkmcnt(0)
	scratch_store_dwordx2 off, v[4:5], off offset:112
	flat_load_dwordx2 v[4:5], v[8:9]
	v_lshl_add_u64 v[8:9], v[6:7], 3, s[0:1]
	v_add_u32_e32 v6, s5, v6
	v_accvgpr_write_b32 a31, v9
	v_ashrrev_i32_e32 v7, 31, v6
	v_accvgpr_write_b32 a30, v8
	s_waitcnt vmcnt(0) lgkmcnt(0)
	scratch_store_dwordx2 off, v[4:5], off offset:120
	flat_load_dwordx2 v[4:5], v[8:9]
	v_lshl_add_u64 v[8:9], v[6:7], 3, s[0:1]
	v_add_u32_e32 v6, s5, v6
	v_accvgpr_write_b32 a33, v9
	v_ashrrev_i32_e32 v7, 31, v6
	v_accvgpr_write_b32 a32, v8
	s_waitcnt vmcnt(0) lgkmcnt(0)
	scratch_store_dwordx2 off, v[4:5], off offset:128
	flat_load_dwordx2 v[4:5], v[8:9]
	v_lshl_add_u64 v[8:9], v[6:7], 3, s[0:1]
	v_add_u32_e32 v6, s5, v6
	v_accvgpr_write_b32 a35, v9
	v_ashrrev_i32_e32 v7, 31, v6
	v_accvgpr_write_b32 a34, v8
	s_waitcnt vmcnt(0) lgkmcnt(0)
	scratch_store_dwordx2 off, v[4:5], off offset:136
	flat_load_dwordx2 v[4:5], v[8:9]
	v_lshl_add_u64 v[8:9], v[6:7], 3, s[0:1]
	v_add_u32_e32 v6, s5, v6
	v_ashrrev_i32_e32 v7, 31, v6
	v_lshl_add_u64 v[172:173], v[6:7], 3, s[0:1]
	v_add_u32_e32 v6, s5, v6
	v_ashrrev_i32_e32 v7, 31, v6
	;; [unrolled: 3-line block ×26, first 2 shown]
	v_lshl_add_u64 v[222:223], v[6:7], 3, s[0:1]
	s_waitcnt vmcnt(0) lgkmcnt(0)
	scratch_store_dwordx2 off, v[4:5], off offset:144
	flat_load_dwordx2 v[4:5], v[8:9]
	v_add_u32_e32 v6, s5, v6
	v_ashrrev_i32_e32 v7, 31, v6
	v_lshl_add_u64 v[224:225], v[6:7], 3, s[0:1]
	v_add_u32_e32 v6, s5, v6
	v_ashrrev_i32_e32 v7, 31, v6
	v_lshl_add_u64 v[226:227], v[6:7], 3, s[0:1]
	;; [unrolled: 3-line block ×5, first 2 shown]
	v_accvgpr_write_b32 a37, v9
	v_accvgpr_write_b32 a36, v8
	s_mov_b64 s[4:5], -1
	s_waitcnt vmcnt(0) lgkmcnt(0)
	scratch_store_dwordx2 off, v[4:5], off offset:152
	flat_load_dwordx2 v[4:5], v[172:173]
	s_waitcnt vmcnt(0) lgkmcnt(0)
	scratch_store_dwordx2 off, v[4:5], off offset:160
	flat_load_dwordx2 v[4:5], v[174:175]
	;; [unrolled: 3-line block ×31, first 2 shown]
	s_waitcnt vmcnt(0) lgkmcnt(0)
	scratch_store_dwordx2 off, v[4:5], off offset:400
	s_cbranch_scc1 .LBB114_216
; %bb.4:
	v_cmp_eq_u32_e64 s[0:1], 0, v0
	s_and_saveexec_b64 s[4:5], s[0:1]
; %bb.5:
	v_mov_b32_e32 v1, 0
	ds_write_b32 v1, v1 offset:408
; %bb.6:
	s_or_b64 exec, exec, s[4:5]
	s_waitcnt lgkmcnt(0)
	; wave barrier
	scratch_load_dwordx2 v[4:5], v2, off
	s_waitcnt vmcnt(0)
	v_cmp_eq_f32_e32 vcc, 0, v4
	v_cmp_eq_f32_e64 s[4:5], 0, v5
	s_and_b64 s[4:5], vcc, s[4:5]
	s_and_saveexec_b64 s[12:13], s[4:5]
	s_cbranch_execz .LBB114_10
; %bb.7:
	v_mov_b32_e32 v1, 0
	ds_read_b32 v4, v1 offset:408
	v_add_u32_e32 v3, 1, v0
	s_waitcnt lgkmcnt(0)
	v_readfirstlane_b32 s4, v4
	s_cmp_eq_u32 s4, 0
	s_cselect_b64 s[14:15], -1, 0
	v_cmp_gt_i32_e32 vcc, s4, v3
	s_or_b64 s[14:15], s[14:15], vcc
	s_and_b64 exec, exec, s[14:15]
	s_cbranch_execz .LBB114_10
; %bb.8:
	s_mov_b64 s[14:15], 0
	v_mov_b32_e32 v4, s4
.LBB114_9:                              ; =>This Inner Loop Header: Depth=1
	ds_cmpst_rtn_b32 v4, v1, v4, v3 offset:408
	s_waitcnt lgkmcnt(0)
	v_cmp_ne_u32_e32 vcc, 0, v4
	v_cmp_le_i32_e64 s[4:5], v4, v3
	s_and_b64 s[4:5], vcc, s[4:5]
	s_and_b64 s[4:5], exec, s[4:5]
	s_or_b64 s[14:15], s[4:5], s[14:15]
	s_andn2_b64 exec, exec, s[14:15]
	s_cbranch_execnz .LBB114_9
.LBB114_10:
	s_or_b64 exec, exec, s[12:13]
	v_mov_b32_e32 v3, 0
	; wave barrier
	ds_read_b32 v1, v3 offset:408
	s_and_saveexec_b64 s[4:5], s[0:1]
	s_cbranch_execz .LBB114_12
; %bb.11:
	s_lshl_b64 s[12:13], s[2:3], 2
	s_add_u32 s12, s6, s12
	s_addc_u32 s13, s7, s13
	s_waitcnt lgkmcnt(0)
	global_store_dword v3, v1, s[12:13]
.LBB114_12:
	s_or_b64 exec, exec, s[4:5]
	s_waitcnt lgkmcnt(0)
	v_cmp_ne_u32_e32 vcc, 0, v1
	s_mov_b64 s[4:5], 0
	s_cbranch_vccnz .LBB114_216
; %bb.13:
	v_mov_b32_e32 v3, v2
	scratch_load_dwordx2 v[4:5], v3, off
                                        ; implicit-def: $vgpr7
                                        ; implicit-def: $vgpr8
	s_waitcnt vmcnt(0)
	v_cmp_ngt_f32_e64 s[4:5], |v4|, |v5|
	s_and_saveexec_b64 s[12:13], s[4:5]
	s_xor_b64 s[4:5], exec, s[12:13]
	s_cbranch_execz .LBB114_15
; %bb.14:
	v_div_scale_f32 v1, s[12:13], v5, v5, v4
	v_rcp_f32_e32 v6, v1
	v_div_scale_f32 v7, vcc, v4, v5, v4
	v_fma_f32 v8, -v1, v6, 1.0
	v_fmac_f32_e32 v6, v8, v6
	v_mul_f32_e32 v8, v7, v6
	v_fma_f32 v9, -v1, v8, v7
	v_fmac_f32_e32 v8, v9, v6
	v_fma_f32 v1, -v1, v8, v7
	v_div_fmas_f32 v1, v1, v6, v8
	v_div_fixup_f32 v1, v1, v5, v4
	v_fmac_f32_e32 v5, v4, v1
	v_div_scale_f32 v4, s[12:13], v5, v5, -1.0
	v_rcp_f32_e32 v6, v4
	s_nop 0
	v_fma_f32 v7, -v4, v6, 1.0
	v_fmac_f32_e32 v6, v7, v6
	v_div_scale_f32 v7, vcc, -1.0, v5, -1.0
	v_mul_f32_e32 v8, v7, v6
	v_fma_f32 v9, -v4, v8, v7
	v_fmac_f32_e32 v8, v9, v6
	v_fma_f32 v4, -v4, v8, v7
	v_div_fmas_f32 v4, v4, v6, v8
	v_div_fixup_f32 v7, v4, v5, -1.0
	v_mul_f32_e32 v8, v1, v7
	v_xor_b32_e32 v6, 0x80000000, v8
                                        ; implicit-def: $vgpr4_vgpr5
.LBB114_15:
	s_andn2_saveexec_b64 s[4:5], s[4:5]
	s_cbranch_execz .LBB114_17
; %bb.16:
	v_div_scale_f32 v1, s[12:13], v4, v4, v5
	v_rcp_f32_e32 v6, v1
	v_div_scale_f32 v7, vcc, v5, v4, v5
	v_fma_f32 v8, -v1, v6, 1.0
	v_fmac_f32_e32 v6, v8, v6
	v_mul_f32_e32 v8, v7, v6
	v_fma_f32 v9, -v1, v8, v7
	v_fmac_f32_e32 v8, v9, v6
	v_fma_f32 v1, -v1, v8, v7
	v_div_fmas_f32 v1, v1, v6, v8
	v_div_fixup_f32 v1, v1, v4, v5
	v_fmac_f32_e32 v4, v5, v1
	v_div_scale_f32 v5, s[12:13], v4, v4, 1.0
	v_rcp_f32_e32 v6, v5
	s_nop 0
	v_fma_f32 v7, -v5, v6, 1.0
	v_fmac_f32_e32 v6, v7, v6
	v_div_scale_f32 v7, vcc, 1.0, v4, 1.0
	v_mul_f32_e32 v8, v7, v6
	v_fma_f32 v9, -v5, v8, v7
	v_fmac_f32_e32 v8, v9, v6
	v_fma_f32 v5, -v5, v8, v7
	v_div_fmas_f32 v5, v5, v6, v8
	v_div_fixup_f32 v6, v5, v4, 1.0
	v_xor_b32_e32 v8, 0x80000000, v6
	v_mul_f32_e64 v7, v1, -v6
.LBB114_17:
	s_or_b64 exec, exec, s[4:5]
	scratch_store_dwordx2 v3, v[6:7], off
	scratch_load_dwordx2 v[4:5], off, off offset:8
	v_xor_b32_e32 v9, 0x80000000, v7
	v_add_u32_e32 v1, 0x1a0, v2
	s_waitcnt vmcnt(0)
	ds_write2_b64 v2, v[8:9], v[4:5] offset1:52
	s_waitcnt lgkmcnt(0)
	; wave barrier
	s_and_saveexec_b64 s[4:5], s[0:1]
	s_cbranch_execz .LBB114_19
; %bb.18:
	scratch_load_dwordx2 v[4:5], v3, off
	ds_read_b64 v[6:7], v1
	v_mov_b32_e32 v8, 0
	ds_read_b64 v[8:9], v8 offset:8
	s_waitcnt vmcnt(0) lgkmcnt(1)
	v_pk_mul_f32 v[10:11], v[6:7], v[4:5] op_sel:[1,1] op_sel_hi:[0,1]
	v_pk_fma_f32 v[12:13], v[6:7], v[4:5], v[10:11] neg_lo:[0,0,1] neg_hi:[0,0,1]
	v_pk_fma_f32 v[4:5], v[6:7], v[4:5], v[10:11] op_sel_hi:[1,0,1]
	s_nop 0
	v_mov_b32_e32 v13, v5
	v_pk_add_f32 v[4:5], v[12:13], 0 op_sel_hi:[1,0]
	s_waitcnt lgkmcnt(0)
	v_pk_mul_f32 v[6:7], v[4:5], v[8:9] op_sel:[1,1] op_sel_hi:[0,1]
	v_pk_fma_f32 v[10:11], v[4:5], v[8:9], v[6:7] neg_lo:[0,0,1] neg_hi:[0,0,1]
	v_pk_fma_f32 v[4:5], v[4:5], v[8:9], v[6:7] op_sel_hi:[1,0,1]
	s_nop 0
	v_mov_b32_e32 v11, v5
	scratch_store_dwordx2 off, v[10:11], off offset:8
.LBB114_19:
	s_or_b64 exec, exec, s[4:5]
	; wave barrier
	scratch_load_dwordx2 v[4:5], off, off offset:16
	v_cmp_gt_u32_e32 vcc, 2, v0
	s_waitcnt vmcnt(0)
	ds_write_b64 v1, v[4:5]
	s_waitcnt lgkmcnt(0)
	; wave barrier
	s_and_saveexec_b64 s[4:5], vcc
	s_cbranch_execz .LBB114_23
; %bb.20:
	scratch_load_dwordx2 v[4:5], v3, off
	ds_read_b64 v[6:7], v1
	s_waitcnt vmcnt(0) lgkmcnt(0)
	v_pk_mul_f32 v[8:9], v[6:7], v[4:5] op_sel:[1,1] op_sel_hi:[0,1]
	v_pk_fma_f32 v[10:11], v[6:7], v[4:5], v[8:9] neg_lo:[0,0,1] neg_hi:[0,0,1]
	v_pk_fma_f32 v[4:5], v[6:7], v[4:5], v[8:9] op_sel_hi:[1,0,1]
	s_nop 0
	v_mov_b32_e32 v11, v5
	v_pk_add_f32 v[4:5], v[10:11], 0 op_sel_hi:[1,0]
	s_and_saveexec_b64 s[12:13], s[0:1]
	s_cbranch_execz .LBB114_22
; %bb.21:
	scratch_load_dwordx2 v[6:7], off, off offset:8
	v_mov_b32_e32 v3, 0
	ds_read_b64 v[8:9], v3 offset:424
	s_waitcnt vmcnt(0) lgkmcnt(0)
	v_pk_mul_f32 v[10:11], v[8:9], v[6:7] op_sel:[1,1] op_sel_hi:[0,1]
	v_pk_fma_f32 v[12:13], v[8:9], v[6:7], v[10:11] neg_lo:[0,0,1] neg_hi:[0,0,1]
	v_pk_fma_f32 v[6:7], v[8:9], v[6:7], v[10:11] op_sel_hi:[1,0,1]
	s_nop 0
	v_mov_b32_e32 v13, v7
	v_pk_add_f32 v[4:5], v[4:5], v[12:13]
.LBB114_22:
	s_or_b64 exec, exec, s[12:13]
	v_mov_b32_e32 v3, 0
	ds_read_b64 v[6:7], v3 offset:16
	s_waitcnt lgkmcnt(0)
	v_pk_mul_f32 v[8:9], v[4:5], v[6:7] op_sel:[1,1] op_sel_hi:[0,1]
	v_pk_fma_f32 v[10:11], v[4:5], v[6:7], v[8:9] neg_lo:[0,0,1] neg_hi:[0,0,1]
	v_pk_fma_f32 v[4:5], v[4:5], v[6:7], v[8:9] op_sel_hi:[1,0,1]
	s_nop 0
	v_mov_b32_e32 v11, v5
	scratch_store_dwordx2 off, v[10:11], off offset:16
.LBB114_23:
	s_or_b64 exec, exec, s[4:5]
	; wave barrier
	scratch_load_dwordx2 v[4:5], off, off offset:24
	v_cmp_gt_u32_e32 vcc, 3, v0
	v_add_u32_e32 v6, -1, v0
	s_waitcnt vmcnt(0)
	ds_write_b64 v1, v[4:5]
	s_waitcnt lgkmcnt(0)
	; wave barrier
	s_and_saveexec_b64 s[0:1], vcc
	s_cbranch_execz .LBB114_27
; %bb.24:
	v_mov_b32_e32 v4, 0
	v_add_u32_e32 v3, -1, v0
	v_add_u32_e32 v7, 0x1a0, v2
	v_mov_b32_e32 v8, v2
	s_mov_b64 s[4:5], 0
	v_mov_b32_e32 v5, v4
.LBB114_25:                             ; =>This Inner Loop Header: Depth=1
	scratch_load_dwordx2 v[10:11], v8, off
	ds_read_b64 v[12:13], v7
	v_add_u32_e32 v3, 1, v3
	v_cmp_lt_u32_e32 vcc, 1, v3
	v_add_u32_e32 v7, 8, v7
	v_add_u32_e32 v8, 8, v8
	s_or_b64 s[4:5], vcc, s[4:5]
	s_waitcnt vmcnt(0) lgkmcnt(0)
	v_pk_mul_f32 v[14:15], v[12:13], v[10:11] op_sel:[1,1] op_sel_hi:[0,1]
	v_pk_fma_f32 v[16:17], v[12:13], v[10:11], v[14:15] neg_lo:[0,0,1] neg_hi:[0,0,1]
	v_pk_fma_f32 v[10:11], v[12:13], v[10:11], v[14:15] op_sel_hi:[1,0,1]
	s_nop 0
	v_mov_b32_e32 v17, v11
	v_pk_add_f32 v[4:5], v[4:5], v[16:17]
	s_andn2_b64 exec, exec, s[4:5]
	s_cbranch_execnz .LBB114_25
; %bb.26:
	s_or_b64 exec, exec, s[4:5]
	v_mov_b32_e32 v3, 0
	ds_read_b64 v[8:9], v3 offset:24
	s_waitcnt lgkmcnt(0)
	v_pk_mul_f32 v[10:11], v[4:5], v[8:9] op_sel:[1,1] op_sel_hi:[0,1]
	v_pk_fma_f32 v[12:13], v[4:5], v[8:9], v[10:11] neg_lo:[0,0,1] neg_hi:[0,0,1]
	v_pk_fma_f32 v[4:5], v[4:5], v[8:9], v[10:11] op_sel_hi:[1,0,1]
	s_nop 0
	v_mov_b32_e32 v13, v5
	scratch_store_dwordx2 off, v[12:13], off offset:24
.LBB114_27:
	s_or_b64 exec, exec, s[0:1]
	; wave barrier
	scratch_load_dwordx2 v[4:5], off, off offset:32
	v_cmp_gt_u32_e32 vcc, 4, v0
	s_waitcnt vmcnt(0)
	ds_write_b64 v1, v[4:5]
	s_waitcnt lgkmcnt(0)
	; wave barrier
	s_and_saveexec_b64 s[0:1], vcc
	s_cbranch_execz .LBB114_31
; %bb.28:
	v_mov_b32_e32 v4, 0
	v_add_u32_e32 v3, -1, v0
	v_add_u32_e32 v7, 0x1a0, v2
	v_mov_b32_e32 v8, v2
	s_mov_b64 s[4:5], 0
	v_mov_b32_e32 v5, v4
.LBB114_29:                             ; =>This Inner Loop Header: Depth=1
	scratch_load_dwordx2 v[10:11], v8, off
	ds_read_b64 v[12:13], v7
	v_add_u32_e32 v3, 1, v3
	v_cmp_lt_u32_e32 vcc, 2, v3
	v_add_u32_e32 v7, 8, v7
	v_add_u32_e32 v8, 8, v8
	s_or_b64 s[4:5], vcc, s[4:5]
	s_waitcnt vmcnt(0) lgkmcnt(0)
	v_pk_mul_f32 v[14:15], v[12:13], v[10:11] op_sel:[1,1] op_sel_hi:[0,1]
	v_pk_fma_f32 v[16:17], v[12:13], v[10:11], v[14:15] neg_lo:[0,0,1] neg_hi:[0,0,1]
	v_pk_fma_f32 v[10:11], v[12:13], v[10:11], v[14:15] op_sel_hi:[1,0,1]
	s_nop 0
	v_mov_b32_e32 v17, v11
	v_pk_add_f32 v[4:5], v[4:5], v[16:17]
	s_andn2_b64 exec, exec, s[4:5]
	s_cbranch_execnz .LBB114_29
; %bb.30:
	s_or_b64 exec, exec, s[4:5]
	v_mov_b32_e32 v3, 0
	ds_read_b64 v[8:9], v3 offset:32
	s_waitcnt lgkmcnt(0)
	v_pk_mul_f32 v[10:11], v[4:5], v[8:9] op_sel:[1,1] op_sel_hi:[0,1]
	v_pk_fma_f32 v[12:13], v[4:5], v[8:9], v[10:11] neg_lo:[0,0,1] neg_hi:[0,0,1]
	v_pk_fma_f32 v[4:5], v[4:5], v[8:9], v[10:11] op_sel_hi:[1,0,1]
	s_nop 0
	v_mov_b32_e32 v13, v5
	scratch_store_dwordx2 off, v[12:13], off offset:32
.LBB114_31:
	s_or_b64 exec, exec, s[0:1]
	; wave barrier
	scratch_load_dwordx2 v[4:5], off, off offset:40
	v_cmp_gt_u32_e32 vcc, 5, v0
	;; [unrolled: 46-line block ×19, first 2 shown]
	s_waitcnt vmcnt(0)
	ds_write_b64 v1, v[4:5]
	s_waitcnt lgkmcnt(0)
	; wave barrier
	s_and_saveexec_b64 s[0:1], vcc
	s_cbranch_execz .LBB114_103
; %bb.100:
	v_mov_b32_e32 v4, 0
	v_add_u32_e32 v3, -1, v0
	v_add_u32_e32 v7, 0x1a0, v2
	v_mov_b32_e32 v8, v2
	s_mov_b64 s[4:5], 0
	v_mov_b32_e32 v5, v4
.LBB114_101:                            ; =>This Inner Loop Header: Depth=1
	scratch_load_dwordx2 v[10:11], v8, off
	ds_read_b64 v[12:13], v7
	v_add_u32_e32 v3, 1, v3
	v_cmp_lt_u32_e32 vcc, 20, v3
	v_add_u32_e32 v7, 8, v7
	v_add_u32_e32 v8, 8, v8
	s_or_b64 s[4:5], vcc, s[4:5]
	s_waitcnt vmcnt(0) lgkmcnt(0)
	v_pk_mul_f32 v[14:15], v[12:13], v[10:11] op_sel:[1,1] op_sel_hi:[0,1]
	v_pk_fma_f32 v[16:17], v[12:13], v[10:11], v[14:15] neg_lo:[0,0,1] neg_hi:[0,0,1]
	v_pk_fma_f32 v[10:11], v[12:13], v[10:11], v[14:15] op_sel_hi:[1,0,1]
	s_nop 0
	v_mov_b32_e32 v17, v11
	v_pk_add_f32 v[4:5], v[4:5], v[16:17]
	s_andn2_b64 exec, exec, s[4:5]
	s_cbranch_execnz .LBB114_101
; %bb.102:
	s_or_b64 exec, exec, s[4:5]
	v_mov_b32_e32 v3, 0
	ds_read_b64 v[8:9], v3 offset:176
	s_waitcnt lgkmcnt(0)
	v_pk_mul_f32 v[10:11], v[4:5], v[8:9] op_sel:[1,1] op_sel_hi:[0,1]
	v_pk_fma_f32 v[12:13], v[4:5], v[8:9], v[10:11] neg_lo:[0,0,1] neg_hi:[0,0,1]
	v_pk_fma_f32 v[4:5], v[4:5], v[8:9], v[10:11] op_sel_hi:[1,0,1]
	s_nop 0
	v_mov_b32_e32 v13, v5
	scratch_store_dwordx2 off, v[12:13], off offset:176
.LBB114_103:
	s_or_b64 exec, exec, s[0:1]
	; wave barrier
	scratch_load_dwordx2 v[4:5], off, off offset:184
	v_cmp_gt_u32_e32 vcc, 23, v0
	s_waitcnt vmcnt(0)
	ds_write_b64 v1, v[4:5]
	s_waitcnt lgkmcnt(0)
	; wave barrier
	s_and_saveexec_b64 s[0:1], vcc
	s_cbranch_execz .LBB114_107
; %bb.104:
	v_mov_b32_e32 v4, 0
	v_add_u32_e32 v3, -1, v0
	v_add_u32_e32 v7, 0x1a0, v2
	v_mov_b32_e32 v8, v2
	s_mov_b64 s[4:5], 0
	v_mov_b32_e32 v5, v4
.LBB114_105:                            ; =>This Inner Loop Header: Depth=1
	scratch_load_dwordx2 v[10:11], v8, off
	ds_read_b64 v[12:13], v7
	v_add_u32_e32 v3, 1, v3
	v_cmp_lt_u32_e32 vcc, 21, v3
	v_add_u32_e32 v7, 8, v7
	v_add_u32_e32 v8, 8, v8
	s_or_b64 s[4:5], vcc, s[4:5]
	s_waitcnt vmcnt(0) lgkmcnt(0)
	v_pk_mul_f32 v[14:15], v[12:13], v[10:11] op_sel:[1,1] op_sel_hi:[0,1]
	v_pk_fma_f32 v[16:17], v[12:13], v[10:11], v[14:15] neg_lo:[0,0,1] neg_hi:[0,0,1]
	v_pk_fma_f32 v[10:11], v[12:13], v[10:11], v[14:15] op_sel_hi:[1,0,1]
	s_nop 0
	v_mov_b32_e32 v17, v11
	v_pk_add_f32 v[4:5], v[4:5], v[16:17]
	s_andn2_b64 exec, exec, s[4:5]
	s_cbranch_execnz .LBB114_105
; %bb.106:
	s_or_b64 exec, exec, s[4:5]
	v_mov_b32_e32 v3, 0
	ds_read_b64 v[8:9], v3 offset:184
	s_waitcnt lgkmcnt(0)
	v_pk_mul_f32 v[10:11], v[4:5], v[8:9] op_sel:[1,1] op_sel_hi:[0,1]
	v_pk_fma_f32 v[12:13], v[4:5], v[8:9], v[10:11] neg_lo:[0,0,1] neg_hi:[0,0,1]
	v_pk_fma_f32 v[4:5], v[4:5], v[8:9], v[10:11] op_sel_hi:[1,0,1]
	s_nop 0
	v_mov_b32_e32 v13, v5
	scratch_store_dwordx2 off, v[12:13], off offset:184
.LBB114_107:
	s_or_b64 exec, exec, s[0:1]
	; wave barrier
	scratch_load_dwordx2 v[4:5], off, off offset:192
	v_cmp_gt_u32_e32 vcc, 24, v0
	;; [unrolled: 46-line block ×27, first 2 shown]
	s_waitcnt vmcnt(0)
	ds_write_b64 v1, v[4:5]
	s_waitcnt lgkmcnt(0)
	; wave barrier
	s_and_saveexec_b64 s[0:1], vcc
	s_cbranch_execz .LBB114_211
; %bb.208:
	v_mov_b32_e32 v4, 0
	v_add_u32_e32 v3, -1, v0
	v_add_u32_e32 v7, 0x1a0, v2
	v_mov_b32_e32 v8, v2
	s_mov_b64 s[4:5], 0
	v_mov_b32_e32 v5, v4
.LBB114_209:                            ; =>This Inner Loop Header: Depth=1
	scratch_load_dwordx2 v[10:11], v8, off
	ds_read_b64 v[12:13], v7
	v_add_u32_e32 v3, 1, v3
	v_cmp_lt_u32_e32 vcc, 47, v3
	v_add_u32_e32 v7, 8, v7
	v_add_u32_e32 v8, 8, v8
	s_or_b64 s[4:5], vcc, s[4:5]
	s_waitcnt vmcnt(0) lgkmcnt(0)
	v_pk_mul_f32 v[14:15], v[12:13], v[10:11] op_sel:[1,1] op_sel_hi:[0,1]
	v_pk_fma_f32 v[16:17], v[12:13], v[10:11], v[14:15] neg_lo:[0,0,1] neg_hi:[0,0,1]
	v_pk_fma_f32 v[10:11], v[12:13], v[10:11], v[14:15] op_sel_hi:[1,0,1]
	s_nop 0
	v_mov_b32_e32 v17, v11
	v_pk_add_f32 v[4:5], v[4:5], v[16:17]
	s_andn2_b64 exec, exec, s[4:5]
	s_cbranch_execnz .LBB114_209
; %bb.210:
	s_or_b64 exec, exec, s[4:5]
	v_mov_b32_e32 v3, 0
	ds_read_b64 v[8:9], v3 offset:392
	s_waitcnt lgkmcnt(0)
	v_pk_mul_f32 v[10:11], v[4:5], v[8:9] op_sel:[1,1] op_sel_hi:[0,1]
	v_pk_fma_f32 v[12:13], v[4:5], v[8:9], v[10:11] neg_lo:[0,0,1] neg_hi:[0,0,1]
	v_pk_fma_f32 v[4:5], v[4:5], v[8:9], v[10:11] op_sel_hi:[1,0,1]
	s_nop 0
	v_mov_b32_e32 v13, v5
	scratch_store_dwordx2 off, v[12:13], off offset:392
.LBB114_211:
	s_or_b64 exec, exec, s[0:1]
	; wave barrier
	scratch_load_dwordx2 v[4:5], off, off offset:400
	v_cmp_ne_u32_e32 vcc, 50, v0
	s_waitcnt vmcnt(0)
	ds_write_b64 v1, v[4:5]
	s_waitcnt lgkmcnt(0)
	; wave barrier
	s_and_saveexec_b64 s[0:1], vcc
	s_cbranch_execz .LBB114_215
; %bb.212:
	v_add_u32_e32 v1, 0x1a0, v2
	v_mov_b32_e32 v4, v2
	v_mov_b32_e32 v2, 0
	s_mov_b64 s[4:5], 0
	v_mov_b32_e32 v3, v2
.LBB114_213:                            ; =>This Inner Loop Header: Depth=1
	scratch_load_dwordx2 v[8:9], v4, off
	ds_read_b64 v[10:11], v1
	v_add_u32_e32 v6, 1, v6
	v_cmp_lt_u32_e32 vcc, 48, v6
	v_add_u32_e32 v1, 8, v1
	v_add_u32_e32 v4, 8, v4
	s_or_b64 s[4:5], vcc, s[4:5]
	s_waitcnt vmcnt(0) lgkmcnt(0)
	v_pk_mul_f32 v[12:13], v[10:11], v[8:9] op_sel:[1,1] op_sel_hi:[0,1]
	v_pk_fma_f32 v[14:15], v[10:11], v[8:9], v[12:13] neg_lo:[0,0,1] neg_hi:[0,0,1]
	v_pk_fma_f32 v[8:9], v[10:11], v[8:9], v[12:13] op_sel_hi:[1,0,1]
	s_nop 0
	v_mov_b32_e32 v15, v9
	v_pk_add_f32 v[2:3], v[2:3], v[14:15]
	s_andn2_b64 exec, exec, s[4:5]
	s_cbranch_execnz .LBB114_213
; %bb.214:
	s_or_b64 exec, exec, s[4:5]
	v_mov_b32_e32 v1, 0
	ds_read_b64 v[4:5], v1 offset:400
	s_waitcnt lgkmcnt(0)
	v_pk_mul_f32 v[6:7], v[2:3], v[4:5] op_sel:[1,1] op_sel_hi:[0,1]
	v_pk_fma_f32 v[8:9], v[2:3], v[4:5], v[6:7] neg_lo:[0,0,1] neg_hi:[0,0,1]
	v_pk_fma_f32 v[2:3], v[2:3], v[4:5], v[6:7] op_sel_hi:[1,0,1]
	s_nop 0
	v_mov_b32_e32 v9, v3
	scratch_store_dwordx2 off, v[8:9], off offset:400
.LBB114_215:
	s_or_b64 exec, exec, s[0:1]
	s_mov_b64 s[4:5], -1
	; wave barrier
.LBB114_216:
	s_and_b64 vcc, exec, s[4:5]
	s_cbranch_vccz .LBB114_218
; %bb.217:
	s_lshl_b64 s[0:1], s[2:3], 2
	s_add_u32 s0, s6, s0
	s_addc_u32 s1, s7, s1
	v_mov_b32_e32 v1, 0
	global_load_dword v1, v1, s[0:1]
	s_waitcnt vmcnt(0)
	v_cmp_ne_u32_e32 vcc, 0, v1
	s_cbranch_vccz .LBB114_219
.LBB114_218:
	s_endpgm
.LBB114_219:
	v_mov_b32_e32 v1, 0x1a0
	v_lshl_add_u32 v1, v0, 3, v1
	v_cmp_eq_u32_e32 vcc, 50, v0
	s_and_saveexec_b64 s[0:1], vcc
	s_cbranch_execz .LBB114_221
; %bb.220:
	scratch_load_dwordx2 v[2:3], off, off offset:392
	v_mov_b32_e32 v4, 0
	v_mov_b32_e32 v5, v4
	scratch_store_dwordx2 off, v[4:5], off offset:392
	s_waitcnt vmcnt(1)
	ds_write_b64 v1, v[2:3]
.LBB114_221:
	s_or_b64 exec, exec, s[0:1]
	s_waitcnt lgkmcnt(0)
	; wave barrier
	scratch_load_dwordx2 v[4:5], off, off offset:400
	scratch_load_dwordx2 v[6:7], off, off offset:392
	v_mov_b32_e32 v2, 0
	ds_read_b64 v[8:9], v2 offset:816
	v_cmp_lt_u32_e32 vcc, 48, v0
	s_waitcnt vmcnt(1) lgkmcnt(0)
	v_pk_mul_f32 v[10:11], v[8:9], v[4:5] op_sel:[1,1] op_sel_hi:[0,1]
	v_pk_fma_f32 v[12:13], v[8:9], v[4:5], v[10:11] neg_lo:[0,0,1] neg_hi:[0,0,1]
	v_pk_fma_f32 v[4:5], v[8:9], v[4:5], v[10:11] op_sel_hi:[1,0,1]
	s_nop 0
	v_mov_b32_e32 v13, v5
	v_pk_add_f32 v[4:5], v[12:13], 0 op_sel_hi:[1,0]
	s_waitcnt vmcnt(0)
	v_pk_add_f32 v[4:5], v[6:7], v[4:5] neg_lo:[0,1] neg_hi:[0,1]
	scratch_store_dwordx2 off, v[4:5], off offset:392
	s_and_saveexec_b64 s[0:1], vcc
	s_cbranch_execz .LBB114_223
; %bb.222:
	scratch_load_dwordx2 v[4:5], off, off offset:384
	v_mov_b32_e32 v3, v2
	scratch_store_dwordx2 off, v[2:3], off offset:384
	s_waitcnt vmcnt(1)
	ds_write_b64 v1, v[4:5]
.LBB114_223:
	s_or_b64 exec, exec, s[0:1]
	s_waitcnt lgkmcnt(0)
	; wave barrier
	scratch_load_dwordx4 v[4:7], off, off offset:392
	scratch_load_dwordx2 v[12:13], off, off offset:384
	ds_read2_b64 v[8:11], v2 offset0:101 offset1:102
	v_cmp_lt_u32_e32 vcc, 47, v0
	s_waitcnt vmcnt(1) lgkmcnt(0)
	v_pk_mul_f32 v[2:3], v[8:9], v[4:5] op_sel:[1,1] op_sel_hi:[0,1]
	v_mov_b32_e32 v14, v7
	v_pk_fma_f32 v[16:17], v[8:9], v[4:5], v[2:3] neg_lo:[0,0,1] neg_hi:[0,0,1]
	v_pk_fma_f32 v[2:3], v[8:9], v[4:5], v[2:3] op_sel_hi:[1,0,1]
	v_pk_mul_f32 v[4:5], v[10:11], v[14:15] op_sel:[1,0] op_sel_hi:[0,0]
	v_mov_b32_e32 v17, v3
	v_pk_fma_f32 v[2:3], v[10:11], v[6:7], v[4:5] neg_lo:[0,0,1] neg_hi:[0,0,1]
	v_pk_fma_f32 v[4:5], v[10:11], v[6:7], v[4:5] op_sel_hi:[1,0,1]
	v_pk_add_f32 v[6:7], v[16:17], 0 op_sel_hi:[1,0]
	v_mov_b32_e32 v3, v5
	v_pk_add_f32 v[2:3], v[6:7], v[2:3]
	s_waitcnt vmcnt(0)
	v_pk_add_f32 v[2:3], v[12:13], v[2:3] neg_lo:[0,1] neg_hi:[0,1]
	scratch_store_dwordx2 off, v[2:3], off offset:384
	s_and_saveexec_b64 s[0:1], vcc
	s_cbranch_execz .LBB114_225
; %bb.224:
	scratch_load_dwordx2 v[2:3], off, off offset:376
	v_mov_b32_e32 v4, 0
	v_mov_b32_e32 v5, v4
	scratch_store_dwordx2 off, v[4:5], off offset:376
	s_waitcnt vmcnt(1)
	ds_write_b64 v1, v[2:3]
.LBB114_225:
	s_or_b64 exec, exec, s[0:1]
	s_waitcnt lgkmcnt(0)
	; wave barrier
	scratch_load_dwordx4 v[4:7], off, off offset:384
	scratch_load_dwordx2 v[12:13], off, off offset:400
	scratch_load_dwordx2 v[14:15], off, off offset:376
	v_mov_b32_e32 v2, 0
	ds_read_b128 v[8:11], v2 offset:800
	ds_read_b64 v[16:17], v2 offset:816
	v_cmp_lt_u32_e32 vcc, 46, v0
	s_waitcnt vmcnt(2) lgkmcnt(1)
	v_pk_mul_f32 v[18:19], v[8:9], v[4:5] op_sel:[1,1] op_sel_hi:[0,1]
	v_mov_b32_e32 v20, v7
	v_pk_fma_f32 v[24:25], v[8:9], v[4:5], v[18:19] neg_lo:[0,0,1] neg_hi:[0,0,1]
	v_pk_fma_f32 v[4:5], v[8:9], v[4:5], v[18:19] op_sel_hi:[1,0,1]
	v_pk_mul_f32 v[8:9], v[10:11], v[20:21] op_sel:[1,0] op_sel_hi:[0,0]
	s_waitcnt vmcnt(1) lgkmcnt(0)
	v_pk_mul_f32 v[22:23], v[16:17], v[12:13] op_sel:[1,1] op_sel_hi:[0,1]
	v_mov_b32_e32 v25, v5
	v_pk_fma_f32 v[4:5], v[10:11], v[6:7], v[8:9] neg_lo:[0,0,1] neg_hi:[0,0,1]
	v_pk_fma_f32 v[6:7], v[10:11], v[6:7], v[8:9] op_sel_hi:[1,0,1]
	v_pk_fma_f32 v[18:19], v[16:17], v[12:13], v[22:23] neg_lo:[0,0,1] neg_hi:[0,0,1]
	v_pk_fma_f32 v[12:13], v[16:17], v[12:13], v[22:23] op_sel_hi:[1,0,1]
	v_pk_add_f32 v[8:9], v[24:25], 0 op_sel_hi:[1,0]
	v_mov_b32_e32 v5, v7
	v_mov_b32_e32 v19, v13
	v_pk_add_f32 v[4:5], v[8:9], v[4:5]
	s_nop 0
	v_pk_add_f32 v[4:5], v[4:5], v[18:19]
	s_waitcnt vmcnt(0)
	v_pk_add_f32 v[4:5], v[14:15], v[4:5] neg_lo:[0,1] neg_hi:[0,1]
	scratch_store_dwordx2 off, v[4:5], off offset:376
	s_and_saveexec_b64 s[0:1], vcc
	s_cbranch_execz .LBB114_227
; %bb.226:
	scratch_load_dwordx2 v[4:5], off, off offset:368
	v_mov_b32_e32 v3, v2
	scratch_store_dwordx2 off, v[2:3], off offset:368
	s_waitcnt vmcnt(1)
	ds_write_b64 v1, v[4:5]
.LBB114_227:
	s_or_b64 exec, exec, s[0:1]
	s_waitcnt lgkmcnt(0)
	; wave barrier
	scratch_load_dwordx4 v[4:7], off, off offset:376
	scratch_load_dwordx4 v[8:11], off, off offset:392
	ds_read2_b64 v[12:15], v2 offset0:99 offset1:100
	ds_read2_b64 v[16:19], v2 offset0:101 offset1:102
	v_cmp_lt_u32_e32 vcc, 45, v0
	s_waitcnt vmcnt(1) lgkmcnt(1)
	v_pk_mul_f32 v[2:3], v[12:13], v[4:5] op_sel:[1,1] op_sel_hi:[0,1]
	v_pk_fma_f32 v[20:21], v[12:13], v[4:5], v[2:3] neg_lo:[0,0,1] neg_hi:[0,0,1]
	v_pk_fma_f32 v[2:3], v[12:13], v[4:5], v[2:3] op_sel_hi:[1,0,1]
	v_mov_b32_e32 v4, v7
	v_pk_mul_f32 v[4:5], v[14:15], v[4:5] op_sel:[1,0] op_sel_hi:[0,0]
	v_pk_fma_f32 v[12:13], v[14:15], v[6:7], v[4:5] neg_lo:[0,0,1] neg_hi:[0,0,1]
	v_pk_fma_f32 v[4:5], v[14:15], v[6:7], v[4:5] op_sel_hi:[1,0,1]
	v_mov_b32_e32 v21, v3
	v_mov_b32_e32 v13, v5
	s_waitcnt vmcnt(0) lgkmcnt(0)
	v_pk_mul_f32 v[4:5], v[16:17], v[8:9] op_sel:[1,1] op_sel_hi:[0,1]
	v_pk_fma_f32 v[6:7], v[16:17], v[8:9], v[4:5] neg_lo:[0,0,1] neg_hi:[0,0,1]
	v_pk_fma_f32 v[4:5], v[16:17], v[8:9], v[4:5] op_sel_hi:[1,0,1]
	v_pk_add_f32 v[2:3], v[20:21], 0 op_sel_hi:[1,0]
	v_mov_b32_e32 v4, v11
	v_pk_add_f32 v[2:3], v[2:3], v[12:13]
	v_mov_b32_e32 v7, v5
	v_pk_mul_f32 v[4:5], v[18:19], v[4:5] op_sel:[1,0] op_sel_hi:[0,0]
	v_pk_add_f32 v[2:3], v[2:3], v[6:7]
	v_pk_fma_f32 v[6:7], v[18:19], v[10:11], v[4:5] neg_lo:[0,0,1] neg_hi:[0,0,1]
	v_pk_fma_f32 v[4:5], v[18:19], v[10:11], v[4:5] op_sel_hi:[1,0,1]
	s_nop 0
	v_mov_b32_e32 v7, v5
	scratch_load_dwordx2 v[4:5], off, off offset:368
	v_pk_add_f32 v[2:3], v[2:3], v[6:7]
	s_waitcnt vmcnt(0)
	v_pk_add_f32 v[2:3], v[4:5], v[2:3] neg_lo:[0,1] neg_hi:[0,1]
	scratch_store_dwordx2 off, v[2:3], off offset:368
	s_and_saveexec_b64 s[0:1], vcc
	s_cbranch_execz .LBB114_229
; %bb.228:
	scratch_load_dwordx2 v[2:3], off, off offset:360
	v_mov_b32_e32 v4, 0
	v_mov_b32_e32 v5, v4
	scratch_store_dwordx2 off, v[4:5], off offset:360
	s_waitcnt vmcnt(1)
	ds_write_b64 v1, v[2:3]
.LBB114_229:
	s_or_b64 exec, exec, s[0:1]
	s_waitcnt lgkmcnt(0)
	; wave barrier
	scratch_load_dwordx4 v[4:7], off, off offset:368
	scratch_load_dwordx4 v[8:11], off, off offset:384
	scratch_load_dwordx2 v[20:21], off, off offset:400
	scratch_load_dwordx2 v[22:23], off, off offset:360
	v_mov_b32_e32 v2, 0
	ds_read_b128 v[12:15], v2 offset:784
	ds_read_b128 v[16:19], v2 offset:800
	ds_read_b64 v[24:25], v2 offset:816
	v_cmp_lt_u32_e32 vcc, 44, v0
	s_waitcnt vmcnt(3) lgkmcnt(2)
	v_pk_mul_f32 v[26:27], v[12:13], v[4:5] op_sel:[1,1] op_sel_hi:[0,1]
	v_mov_b32_e32 v28, v7
	v_pk_fma_f32 v[36:37], v[12:13], v[4:5], v[26:27] neg_lo:[0,0,1] neg_hi:[0,0,1]
	v_pk_fma_f32 v[4:5], v[12:13], v[4:5], v[26:27] op_sel_hi:[1,0,1]
	v_pk_mul_f32 v[12:13], v[14:15], v[28:29] op_sel:[1,0] op_sel_hi:[0,0]
	s_waitcnt vmcnt(2) lgkmcnt(1)
	v_pk_mul_f32 v[30:31], v[16:17], v[8:9] op_sel:[1,1] op_sel_hi:[0,1]
	v_mov_b32_e32 v32, v11
	v_mov_b32_e32 v37, v5
	v_pk_fma_f32 v[4:5], v[14:15], v[6:7], v[12:13] neg_lo:[0,0,1] neg_hi:[0,0,1]
	v_pk_fma_f32 v[6:7], v[14:15], v[6:7], v[12:13] op_sel_hi:[1,0,1]
	v_pk_fma_f32 v[26:27], v[16:17], v[8:9], v[30:31] neg_lo:[0,0,1] neg_hi:[0,0,1]
	v_pk_fma_f32 v[8:9], v[16:17], v[8:9], v[30:31] op_sel_hi:[1,0,1]
	v_pk_mul_f32 v[16:17], v[18:19], v[32:33] op_sel:[1,0] op_sel_hi:[0,0]
	v_pk_add_f32 v[12:13], v[36:37], 0 op_sel_hi:[1,0]
	v_mov_b32_e32 v5, v7
	s_waitcnt vmcnt(1) lgkmcnt(0)
	v_pk_mul_f32 v[34:35], v[24:25], v[20:21] op_sel:[1,1] op_sel_hi:[0,1]
	v_mov_b32_e32 v27, v9
	v_pk_fma_f32 v[8:9], v[18:19], v[10:11], v[16:17] neg_lo:[0,0,1] neg_hi:[0,0,1]
	v_pk_fma_f32 v[10:11], v[18:19], v[10:11], v[16:17] op_sel_hi:[1,0,1]
	v_pk_add_f32 v[4:5], v[12:13], v[4:5]
	v_pk_fma_f32 v[28:29], v[24:25], v[20:21], v[34:35] neg_lo:[0,0,1] neg_hi:[0,0,1]
	v_pk_fma_f32 v[20:21], v[24:25], v[20:21], v[34:35] op_sel_hi:[1,0,1]
	v_mov_b32_e32 v9, v11
	v_pk_add_f32 v[4:5], v[4:5], v[26:27]
	v_mov_b32_e32 v29, v21
	v_pk_add_f32 v[4:5], v[4:5], v[8:9]
	s_nop 0
	v_pk_add_f32 v[4:5], v[4:5], v[28:29]
	s_waitcnt vmcnt(0)
	v_pk_add_f32 v[4:5], v[22:23], v[4:5] neg_lo:[0,1] neg_hi:[0,1]
	scratch_store_dwordx2 off, v[4:5], off offset:360
	s_and_saveexec_b64 s[0:1], vcc
	s_cbranch_execz .LBB114_231
; %bb.230:
	scratch_load_dwordx2 v[4:5], off, off offset:352
	v_mov_b32_e32 v3, v2
	scratch_store_dwordx2 off, v[2:3], off offset:352
	s_waitcnt vmcnt(1)
	ds_write_b64 v1, v[4:5]
.LBB114_231:
	s_or_b64 exec, exec, s[0:1]
	s_waitcnt lgkmcnt(0)
	; wave barrier
	scratch_load_dwordx4 v[4:7], off, off offset:360
	scratch_load_dwordx4 v[8:11], off, off offset:376
	;; [unrolled: 1-line block ×3, first 2 shown]
	scratch_load_dwordx2 v[28:29], off, off offset:352
	ds_read2_b64 v[16:19], v2 offset0:97 offset1:98
	ds_read2_b64 v[20:23], v2 offset0:99 offset1:100
	ds_read2_b64 v[24:27], v2 offset0:101 offset1:102
	v_cmp_lt_u32_e32 vcc, 43, v0
	s_waitcnt vmcnt(3) lgkmcnt(2)
	v_pk_mul_f32 v[2:3], v[16:17], v[4:5] op_sel:[1,1] op_sel_hi:[0,1]
	v_mov_b32_e32 v30, v7
	s_waitcnt vmcnt(2) lgkmcnt(1)
	v_pk_mul_f32 v[32:33], v[20:21], v[8:9] op_sel:[1,1] op_sel_hi:[0,1]
	v_mov_b32_e32 v34, v11
	;; [unrolled: 3-line block ×3, first 2 shown]
	v_pk_fma_f32 v[40:41], v[16:17], v[4:5], v[2:3] neg_lo:[0,0,1] neg_hi:[0,0,1]
	v_pk_fma_f32 v[2:3], v[16:17], v[4:5], v[2:3] op_sel_hi:[1,0,1]
	v_pk_mul_f32 v[4:5], v[18:19], v[30:31] op_sel:[1,0] op_sel_hi:[0,0]
	v_pk_fma_f32 v[16:17], v[20:21], v[8:9], v[32:33] neg_lo:[0,0,1] neg_hi:[0,0,1]
	v_pk_fma_f32 v[8:9], v[20:21], v[8:9], v[32:33] op_sel_hi:[1,0,1]
	v_pk_mul_f32 v[20:21], v[22:23], v[34:35] op_sel:[1,0] op_sel_hi:[0,0]
	;; [unrolled: 3-line block ×3, first 2 shown]
	v_mov_b32_e32 v41, v3
	v_pk_fma_f32 v[2:3], v[18:19], v[6:7], v[4:5] neg_lo:[0,0,1] neg_hi:[0,0,1]
	v_pk_fma_f32 v[4:5], v[18:19], v[6:7], v[4:5] op_sel_hi:[1,0,1]
	v_mov_b32_e32 v17, v9
	v_pk_fma_f32 v[6:7], v[22:23], v[10:11], v[20:21] neg_lo:[0,0,1] neg_hi:[0,0,1]
	v_pk_fma_f32 v[8:9], v[22:23], v[10:11], v[20:21] op_sel_hi:[1,0,1]
	;; [unrolled: 3-line block ×3, first 2 shown]
	v_pk_add_f32 v[14:15], v[40:41], 0 op_sel_hi:[1,0]
	v_mov_b32_e32 v3, v5
	v_pk_add_f32 v[2:3], v[14:15], v[2:3]
	v_mov_b32_e32 v7, v9
	v_pk_add_f32 v[2:3], v[2:3], v[16:17]
	;; [unrolled: 2-line block ×3, first 2 shown]
	s_nop 0
	v_pk_add_f32 v[2:3], v[2:3], v[30:31]
	s_nop 0
	v_pk_add_f32 v[2:3], v[2:3], v[10:11]
	s_waitcnt vmcnt(0)
	v_pk_add_f32 v[2:3], v[28:29], v[2:3] neg_lo:[0,1] neg_hi:[0,1]
	scratch_store_dwordx2 off, v[2:3], off offset:352
	s_and_saveexec_b64 s[0:1], vcc
	s_cbranch_execz .LBB114_233
; %bb.232:
	scratch_load_dwordx2 v[2:3], off, off offset:344
	v_mov_b32_e32 v4, 0
	v_mov_b32_e32 v5, v4
	scratch_store_dwordx2 off, v[4:5], off offset:344
	s_waitcnt vmcnt(1)
	ds_write_b64 v1, v[2:3]
.LBB114_233:
	s_or_b64 exec, exec, s[0:1]
	s_waitcnt lgkmcnt(0)
	; wave barrier
	scratch_load_dwordx4 v[4:7], off, off offset:352
	scratch_load_dwordx4 v[8:11], off, off offset:368
	;; [unrolled: 1-line block ×3, first 2 shown]
	scratch_load_dwordx2 v[28:29], off, off offset:400
	scratch_load_dwordx2 v[30:31], off, off offset:344
	v_mov_b32_e32 v2, 0
	ds_read_b128 v[16:19], v2 offset:768
	ds_read_b128 v[20:23], v2 offset:784
	;; [unrolled: 1-line block ×3, first 2 shown]
	ds_read_b64 v[32:33], v2 offset:816
	v_cmp_lt_u32_e32 vcc, 42, v0
	s_waitcnt vmcnt(4) lgkmcnt(3)
	v_pk_mul_f32 v[34:35], v[16:17], v[4:5] op_sel:[1,1] op_sel_hi:[0,1]
	v_mov_b32_e32 v36, v7
	v_pk_fma_f32 v[48:49], v[16:17], v[4:5], v[34:35] neg_lo:[0,0,1] neg_hi:[0,0,1]
	v_pk_fma_f32 v[4:5], v[16:17], v[4:5], v[34:35] op_sel_hi:[1,0,1]
	v_pk_mul_f32 v[16:17], v[18:19], v[36:37] op_sel:[1,0] op_sel_hi:[0,0]
	s_waitcnt vmcnt(3) lgkmcnt(2)
	v_pk_mul_f32 v[38:39], v[20:21], v[8:9] op_sel:[1,1] op_sel_hi:[0,1]
	v_mov_b32_e32 v40, v11
	v_mov_b32_e32 v49, v5
	v_pk_fma_f32 v[4:5], v[18:19], v[6:7], v[16:17] neg_lo:[0,0,1] neg_hi:[0,0,1]
	v_pk_fma_f32 v[6:7], v[18:19], v[6:7], v[16:17] op_sel_hi:[1,0,1]
	v_pk_fma_f32 v[34:35], v[20:21], v[8:9], v[38:39] neg_lo:[0,0,1] neg_hi:[0,0,1]
	v_pk_fma_f32 v[8:9], v[20:21], v[8:9], v[38:39] op_sel_hi:[1,0,1]
	v_pk_mul_f32 v[20:21], v[22:23], v[40:41] op_sel:[1,0] op_sel_hi:[0,0]
	v_pk_add_f32 v[16:17], v[48:49], 0 op_sel_hi:[1,0]
	v_mov_b32_e32 v5, v7
	s_waitcnt vmcnt(2) lgkmcnt(1)
	v_pk_mul_f32 v[42:43], v[24:25], v[12:13] op_sel:[1,1] op_sel_hi:[0,1]
	v_mov_b32_e32 v44, v15
	v_mov_b32_e32 v35, v9
	v_pk_fma_f32 v[8:9], v[22:23], v[10:11], v[20:21] neg_lo:[0,0,1] neg_hi:[0,0,1]
	v_pk_fma_f32 v[10:11], v[22:23], v[10:11], v[20:21] op_sel_hi:[1,0,1]
	v_pk_add_f32 v[4:5], v[16:17], v[4:5]
	v_pk_fma_f32 v[36:37], v[24:25], v[12:13], v[42:43] neg_lo:[0,0,1] neg_hi:[0,0,1]
	v_pk_fma_f32 v[12:13], v[24:25], v[12:13], v[42:43] op_sel_hi:[1,0,1]
	v_pk_mul_f32 v[24:25], v[26:27], v[44:45] op_sel:[1,0] op_sel_hi:[0,0]
	v_mov_b32_e32 v9, v11
	v_pk_add_f32 v[4:5], v[4:5], v[34:35]
	s_waitcnt vmcnt(1) lgkmcnt(0)
	v_pk_mul_f32 v[46:47], v[32:33], v[28:29] op_sel:[1,1] op_sel_hi:[0,1]
	v_mov_b32_e32 v37, v13
	v_pk_fma_f32 v[12:13], v[26:27], v[14:15], v[24:25] neg_lo:[0,0,1] neg_hi:[0,0,1]
	v_pk_fma_f32 v[14:15], v[26:27], v[14:15], v[24:25] op_sel_hi:[1,0,1]
	v_pk_add_f32 v[4:5], v[4:5], v[8:9]
	v_pk_fma_f32 v[38:39], v[32:33], v[28:29], v[46:47] neg_lo:[0,0,1] neg_hi:[0,0,1]
	v_pk_fma_f32 v[28:29], v[32:33], v[28:29], v[46:47] op_sel_hi:[1,0,1]
	v_mov_b32_e32 v13, v15
	v_pk_add_f32 v[4:5], v[4:5], v[36:37]
	v_mov_b32_e32 v39, v29
	v_pk_add_f32 v[4:5], v[4:5], v[12:13]
	s_nop 0
	v_pk_add_f32 v[4:5], v[4:5], v[38:39]
	s_waitcnt vmcnt(0)
	v_pk_add_f32 v[4:5], v[30:31], v[4:5] neg_lo:[0,1] neg_hi:[0,1]
	scratch_store_dwordx2 off, v[4:5], off offset:344
	s_and_saveexec_b64 s[0:1], vcc
	s_cbranch_execz .LBB114_235
; %bb.234:
	scratch_load_dwordx2 v[4:5], off, off offset:336
	v_mov_b32_e32 v3, v2
	scratch_store_dwordx2 off, v[2:3], off offset:336
	s_waitcnt vmcnt(1)
	ds_write_b64 v1, v[4:5]
.LBB114_235:
	s_or_b64 exec, exec, s[0:1]
	s_waitcnt lgkmcnt(0)
	; wave barrier
	scratch_load_dwordx4 v[4:7], off, off offset:344
	scratch_load_dwordx4 v[8:11], off, off offset:360
	;; [unrolled: 1-line block ×4, first 2 shown]
	scratch_load_dwordx2 v[36:37], off, off offset:336
	ds_read2_b64 v[20:23], v2 offset0:95 offset1:96
	ds_read2_b64 v[24:27], v2 offset0:97 offset1:98
	;; [unrolled: 1-line block ×4, first 2 shown]
	v_cmp_lt_u32_e32 vcc, 41, v0
	s_waitcnt vmcnt(4) lgkmcnt(3)
	v_pk_mul_f32 v[2:3], v[20:21], v[4:5] op_sel:[1,1] op_sel_hi:[0,1]
	v_mov_b32_e32 v38, v7
	s_waitcnt vmcnt(3) lgkmcnt(2)
	v_pk_mul_f32 v[40:41], v[24:25], v[8:9] op_sel:[1,1] op_sel_hi:[0,1]
	v_mov_b32_e32 v42, v11
	;; [unrolled: 3-line block ×4, first 2 shown]
	v_pk_fma_f32 v[52:53], v[20:21], v[4:5], v[2:3] neg_lo:[0,0,1] neg_hi:[0,0,1]
	v_pk_fma_f32 v[2:3], v[20:21], v[4:5], v[2:3] op_sel_hi:[1,0,1]
	v_pk_mul_f32 v[4:5], v[22:23], v[38:39] op_sel:[1,0] op_sel_hi:[0,0]
	v_pk_fma_f32 v[20:21], v[24:25], v[8:9], v[40:41] neg_lo:[0,0,1] neg_hi:[0,0,1]
	v_pk_fma_f32 v[8:9], v[24:25], v[8:9], v[40:41] op_sel_hi:[1,0,1]
	v_pk_mul_f32 v[24:25], v[26:27], v[42:43] op_sel:[1,0] op_sel_hi:[0,0]
	v_pk_fma_f32 v[38:39], v[28:29], v[12:13], v[44:45] neg_lo:[0,0,1] neg_hi:[0,0,1]
	v_pk_fma_f32 v[12:13], v[28:29], v[12:13], v[44:45] op_sel_hi:[1,0,1]
	v_pk_mul_f32 v[28:29], v[30:31], v[46:47] op_sel:[1,0] op_sel_hi:[0,0]
	v_pk_fma_f32 v[40:41], v[32:33], v[16:17], v[48:49] neg_lo:[0,0,1] neg_hi:[0,0,1]
	v_pk_fma_f32 v[16:17], v[32:33], v[16:17], v[48:49] op_sel_hi:[1,0,1]
	v_pk_mul_f32 v[32:33], v[34:35], v[50:51] op_sel:[1,0] op_sel_hi:[0,0]
	v_mov_b32_e32 v53, v3
	v_pk_fma_f32 v[2:3], v[22:23], v[6:7], v[4:5] neg_lo:[0,0,1] neg_hi:[0,0,1]
	v_pk_fma_f32 v[4:5], v[22:23], v[6:7], v[4:5] op_sel_hi:[1,0,1]
	v_mov_b32_e32 v21, v9
	v_pk_fma_f32 v[6:7], v[26:27], v[10:11], v[24:25] neg_lo:[0,0,1] neg_hi:[0,0,1]
	v_pk_fma_f32 v[8:9], v[26:27], v[10:11], v[24:25] op_sel_hi:[1,0,1]
	v_mov_b32_e32 v39, v13
	v_pk_fma_f32 v[10:11], v[30:31], v[14:15], v[28:29] neg_lo:[0,0,1] neg_hi:[0,0,1]
	v_pk_fma_f32 v[12:13], v[30:31], v[14:15], v[28:29] op_sel_hi:[1,0,1]
	v_mov_b32_e32 v41, v17
	v_pk_fma_f32 v[14:15], v[34:35], v[18:19], v[32:33] neg_lo:[0,0,1] neg_hi:[0,0,1]
	v_pk_fma_f32 v[16:17], v[34:35], v[18:19], v[32:33] op_sel_hi:[1,0,1]
	v_pk_add_f32 v[18:19], v[52:53], 0 op_sel_hi:[1,0]
	v_mov_b32_e32 v3, v5
	v_pk_add_f32 v[2:3], v[18:19], v[2:3]
	v_mov_b32_e32 v7, v9
	v_pk_add_f32 v[2:3], v[2:3], v[20:21]
	;; [unrolled: 2-line block ×4, first 2 shown]
	s_nop 0
	v_pk_add_f32 v[2:3], v[2:3], v[10:11]
	s_nop 0
	v_pk_add_f32 v[2:3], v[2:3], v[40:41]
	s_nop 0
	v_pk_add_f32 v[2:3], v[2:3], v[14:15]
	s_waitcnt vmcnt(0)
	v_pk_add_f32 v[2:3], v[36:37], v[2:3] neg_lo:[0,1] neg_hi:[0,1]
	scratch_store_dwordx2 off, v[2:3], off offset:336
	s_and_saveexec_b64 s[0:1], vcc
	s_cbranch_execz .LBB114_237
; %bb.236:
	scratch_load_dwordx2 v[2:3], off, off offset:328
	v_mov_b32_e32 v4, 0
	v_mov_b32_e32 v5, v4
	scratch_store_dwordx2 off, v[4:5], off offset:328
	s_waitcnt vmcnt(1)
	ds_write_b64 v1, v[2:3]
.LBB114_237:
	s_or_b64 exec, exec, s[0:1]
	s_waitcnt lgkmcnt(0)
	; wave barrier
	scratch_load_dwordx4 v[4:7], off, off offset:336
	scratch_load_dwordx4 v[8:11], off, off offset:352
	scratch_load_dwordx4 v[12:15], off, off offset:368
	scratch_load_dwordx4 v[16:19], off, off offset:384
	scratch_load_dwordx2 v[36:37], off, off offset:400
	scratch_load_dwordx2 v[38:39], off, off offset:328
	v_mov_b32_e32 v2, 0
	ds_read_b128 v[20:23], v2 offset:752
	ds_read_b128 v[24:27], v2 offset:768
	;; [unrolled: 1-line block ×4, first 2 shown]
	ds_read_b64 v[40:41], v2 offset:816
	v_cmp_lt_u32_e32 vcc, 40, v0
	s_waitcnt vmcnt(5) lgkmcnt(4)
	v_mul_f32_e32 v43, v20, v5
	v_mul_f32_e32 v3, v21, v5
	v_mov_b32_e32 v44, v7
	s_waitcnt vmcnt(4) lgkmcnt(3)
	v_pk_mul_f32 v[46:47], v[24:25], v[8:9] op_sel:[1,1] op_sel_hi:[0,1]
	v_mov_b32_e32 v48, v11
	s_waitcnt vmcnt(1) lgkmcnt(0)
	v_pk_mul_f32 v[58:59], v[40:41], v[36:37] op_sel:[1,1] op_sel_hi:[0,1]
	v_fmac_f32_e32 v43, v21, v4
	v_fma_f32 v42, v20, v4, -v3
	v_pk_mul_f32 v[4:5], v[22:23], v[44:45] op_sel:[1,0] op_sel_hi:[0,0]
	v_pk_fma_f32 v[20:21], v[24:25], v[8:9], v[46:47] neg_lo:[0,0,1] neg_hi:[0,0,1]
	v_pk_fma_f32 v[8:9], v[24:25], v[8:9], v[46:47] op_sel_hi:[1,0,1]
	v_pk_mul_f32 v[24:25], v[26:27], v[48:49] op_sel:[1,0] op_sel_hi:[0,0]
	v_pk_fma_f32 v[48:49], v[40:41], v[36:37], v[58:59] neg_lo:[0,0,1] neg_hi:[0,0,1]
	v_pk_fma_f32 v[36:37], v[40:41], v[36:37], v[58:59] op_sel_hi:[1,0,1]
	v_pk_add_f32 v[40:41], v[42:43], 0 op_sel_hi:[1,0]
	v_pk_fma_f32 v[42:43], v[22:23], v[6:7], v[4:5] neg_lo:[0,0,1] neg_hi:[0,0,1]
	v_pk_fma_f32 v[4:5], v[22:23], v[6:7], v[4:5] op_sel_hi:[1,0,1]
	v_pk_mul_f32 v[50:51], v[28:29], v[12:13] op_sel:[1,1] op_sel_hi:[0,1]
	v_mov_b32_e32 v43, v5
	v_mov_b32_e32 v52, v15
	;; [unrolled: 1-line block ×3, first 2 shown]
	v_pk_fma_f32 v[6:7], v[26:27], v[10:11], v[24:25] neg_lo:[0,0,1] neg_hi:[0,0,1]
	v_pk_fma_f32 v[8:9], v[26:27], v[10:11], v[24:25] op_sel_hi:[1,0,1]
	v_pk_add_f32 v[4:5], v[40:41], v[42:43]
	v_pk_fma_f32 v[44:45], v[28:29], v[12:13], v[50:51] neg_lo:[0,0,1] neg_hi:[0,0,1]
	v_pk_fma_f32 v[12:13], v[28:29], v[12:13], v[50:51] op_sel_hi:[1,0,1]
	v_pk_mul_f32 v[28:29], v[30:31], v[52:53] op_sel:[1,0] op_sel_hi:[0,0]
	v_mov_b32_e32 v7, v9
	v_pk_add_f32 v[4:5], v[4:5], v[20:21]
	v_pk_mul_f32 v[54:55], v[32:33], v[16:17] op_sel:[1,1] op_sel_hi:[0,1]
	v_mov_b32_e32 v56, v19
	v_mov_b32_e32 v45, v13
	v_pk_fma_f32 v[10:11], v[30:31], v[14:15], v[28:29] neg_lo:[0,0,1] neg_hi:[0,0,1]
	v_pk_fma_f32 v[12:13], v[30:31], v[14:15], v[28:29] op_sel_hi:[1,0,1]
	v_pk_add_f32 v[4:5], v[4:5], v[6:7]
	v_pk_fma_f32 v[46:47], v[32:33], v[16:17], v[54:55] neg_lo:[0,0,1] neg_hi:[0,0,1]
	v_pk_fma_f32 v[16:17], v[32:33], v[16:17], v[54:55] op_sel_hi:[1,0,1]
	v_pk_mul_f32 v[32:33], v[34:35], v[56:57] op_sel:[1,0] op_sel_hi:[0,0]
	v_mov_b32_e32 v11, v13
	v_pk_add_f32 v[4:5], v[4:5], v[44:45]
	v_mov_b32_e32 v47, v17
	v_pk_fma_f32 v[14:15], v[34:35], v[18:19], v[32:33] neg_lo:[0,0,1] neg_hi:[0,0,1]
	v_pk_fma_f32 v[16:17], v[34:35], v[18:19], v[32:33] op_sel_hi:[1,0,1]
	v_pk_add_f32 v[4:5], v[4:5], v[10:11]
	v_mov_b32_e32 v15, v17
	v_pk_add_f32 v[4:5], v[4:5], v[46:47]
	v_mov_b32_e32 v49, v37
	v_pk_add_f32 v[4:5], v[4:5], v[14:15]
	s_nop 0
	v_pk_add_f32 v[4:5], v[4:5], v[48:49]
	s_waitcnt vmcnt(0)
	v_pk_add_f32 v[4:5], v[38:39], v[4:5] neg_lo:[0,1] neg_hi:[0,1]
	scratch_store_dwordx2 off, v[4:5], off offset:328
	s_and_saveexec_b64 s[0:1], vcc
	s_cbranch_execz .LBB114_239
; %bb.238:
	scratch_load_dwordx2 v[4:5], off, off offset:320
	v_mov_b32_e32 v3, v2
	scratch_store_dwordx2 off, v[2:3], off offset:320
	s_waitcnt vmcnt(1)
	ds_write_b64 v1, v[4:5]
.LBB114_239:
	s_or_b64 exec, exec, s[0:1]
	s_waitcnt lgkmcnt(0)
	; wave barrier
	scratch_load_dwordx4 v[4:7], off, off offset:328
	scratch_load_dwordx4 v[8:11], off, off offset:344
	;; [unrolled: 1-line block ×5, first 2 shown]
	scratch_load_dwordx2 v[44:45], off, off offset:320
	ds_read2_b64 v[24:27], v2 offset0:93 offset1:94
	ds_read2_b64 v[28:31], v2 offset0:95 offset1:96
	;; [unrolled: 1-line block ×5, first 2 shown]
	v_cmp_lt_u32_e32 vcc, 39, v0
	s_waitcnt vmcnt(5) lgkmcnt(4)
	v_mul_f32_e32 v3, v24, v5
	v_mul_f32_e32 v2, v25, v5
	;; [unrolled: 1-line block ×4, first 2 shown]
	s_waitcnt vmcnt(4) lgkmcnt(3)
	v_pk_mul_f32 v[48:49], v[28:29], v[8:9] op_sel:[1,1] op_sel_hi:[0,1]
	v_mov_b32_e32 v50, v11
	v_fmac_f32_e32 v3, v25, v4
	v_fma_f32 v2, v24, v4, -v2
	v_fmac_f32_e32 v47, v27, v6
	v_fma_f32 v46, v26, v6, -v5
	v_pk_fma_f32 v[4:5], v[28:29], v[8:9], v[48:49] neg_lo:[0,0,1] neg_hi:[0,0,1]
	v_pk_fma_f32 v[6:7], v[28:29], v[8:9], v[48:49] op_sel_hi:[1,0,1]
	v_pk_mul_f32 v[8:9], v[30:31], v[50:51] op_sel:[1,0] op_sel_hi:[0,0]
	v_pk_add_f32 v[2:3], v[2:3], 0 op_sel_hi:[1,0]
	s_waitcnt vmcnt(3) lgkmcnt(2)
	v_pk_mul_f32 v[52:53], v[32:33], v[12:13] op_sel:[1,1] op_sel_hi:[0,1]
	v_mov_b32_e32 v54, v15
	v_mov_b32_e32 v5, v7
	v_pk_fma_f32 v[6:7], v[30:31], v[10:11], v[8:9] neg_lo:[0,0,1] neg_hi:[0,0,1]
	v_pk_fma_f32 v[8:9], v[30:31], v[10:11], v[8:9] op_sel_hi:[1,0,1]
	v_pk_add_f32 v[2:3], v[2:3], v[46:47]
	v_pk_fma_f32 v[24:25], v[32:33], v[12:13], v[52:53] neg_lo:[0,0,1] neg_hi:[0,0,1]
	v_pk_fma_f32 v[12:13], v[32:33], v[12:13], v[52:53] op_sel_hi:[1,0,1]
	v_pk_mul_f32 v[26:27], v[34:35], v[54:55] op_sel:[1,0] op_sel_hi:[0,0]
	v_mov_b32_e32 v7, v9
	v_pk_add_f32 v[2:3], v[2:3], v[4:5]
	s_waitcnt vmcnt(2) lgkmcnt(1)
	v_pk_mul_f32 v[56:57], v[36:37], v[16:17] op_sel:[1,1] op_sel_hi:[0,1]
	v_mov_b32_e32 v58, v19
	v_mov_b32_e32 v25, v13
	v_pk_fma_f32 v[10:11], v[34:35], v[14:15], v[26:27] neg_lo:[0,0,1] neg_hi:[0,0,1]
	v_pk_fma_f32 v[12:13], v[34:35], v[14:15], v[26:27] op_sel_hi:[1,0,1]
	v_pk_add_f32 v[2:3], v[2:3], v[6:7]
	v_pk_fma_f32 v[28:29], v[36:37], v[16:17], v[56:57] neg_lo:[0,0,1] neg_hi:[0,0,1]
	v_pk_fma_f32 v[16:17], v[36:37], v[16:17], v[56:57] op_sel_hi:[1,0,1]
	v_pk_mul_f32 v[32:33], v[38:39], v[58:59] op_sel:[1,0] op_sel_hi:[0,0]
	v_mov_b32_e32 v11, v13
	v_pk_add_f32 v[2:3], v[2:3], v[24:25]
	;; [unrolled: 12-line block ×3, first 2 shown]
	v_mov_b32_e32 v37, v21
	v_pk_fma_f32 v[18:19], v[42:43], v[22:23], v[40:41] neg_lo:[0,0,1] neg_hi:[0,0,1]
	v_pk_fma_f32 v[20:21], v[42:43], v[22:23], v[40:41] op_sel_hi:[1,0,1]
	v_pk_add_f32 v[2:3], v[2:3], v[14:15]
	v_mov_b32_e32 v19, v21
	v_pk_add_f32 v[2:3], v[2:3], v[36:37]
	s_nop 0
	v_pk_add_f32 v[2:3], v[2:3], v[18:19]
	s_waitcnt vmcnt(0)
	v_pk_add_f32 v[2:3], v[44:45], v[2:3] neg_lo:[0,1] neg_hi:[0,1]
	scratch_store_dwordx2 off, v[2:3], off offset:320
	s_and_saveexec_b64 s[0:1], vcc
	s_cbranch_execz .LBB114_241
; %bb.240:
	scratch_load_dwordx2 v[2:3], off, off offset:312
	v_mov_b32_e32 v4, 0
	v_mov_b32_e32 v5, v4
	scratch_store_dwordx2 off, v[4:5], off offset:312
	s_waitcnt vmcnt(1)
	ds_write_b64 v1, v[2:3]
.LBB114_241:
	s_or_b64 exec, exec, s[0:1]
	s_waitcnt lgkmcnt(0)
	; wave barrier
	scratch_load_dwordx4 v[4:7], off, off offset:320
	scratch_load_dwordx4 v[8:11], off, off offset:336
	;; [unrolled: 1-line block ×5, first 2 shown]
	scratch_load_dwordx2 v[44:45], off, off offset:400
	scratch_load_dwordx2 v[46:47], off, off offset:312
	v_mov_b32_e32 v2, 0
	ds_read_b128 v[24:27], v2 offset:736
	ds_read_b128 v[28:31], v2 offset:752
	ds_read_b128 v[32:35], v2 offset:768
	ds_read_b128 v[36:39], v2 offset:784
	ds_read_b128 v[40:43], v2 offset:800
	ds_read_b64 v[48:49], v2 offset:816
	v_cmp_lt_u32_e32 vcc, 38, v0
	s_waitcnt vmcnt(6) lgkmcnt(5)
	v_mul_f32_e32 v3, v24, v5
	v_mul_f32_e32 v5, v25, v5
	;; [unrolled: 1-line block ×3, first 2 shown]
	s_waitcnt vmcnt(5) lgkmcnt(4)
	v_mul_f32_e32 v53, v28, v9
	v_mul_f32_e32 v7, v27, v7
	;; [unrolled: 1-line block ×3, first 2 shown]
	v_mov_b32_e32 v54, v11
	s_waitcnt vmcnt(3) lgkmcnt(2)
	v_pk_mul_f32 v[60:61], v[36:37], v[16:17] op_sel:[1,1] op_sel_hi:[0,1]
	s_waitcnt vmcnt(2) lgkmcnt(1)
	v_pk_mul_f32 v[64:65], v[40:41], v[20:21] op_sel:[1,1] op_sel_hi:[0,1]
	;; [unrolled: 2-line block ×3, first 2 shown]
	v_fmac_f32_e32 v3, v25, v4
	v_fma_f32 v55, v24, v4, -v5
	v_fmac_f32_e32 v51, v27, v6
	v_fmac_f32_e32 v53, v29, v8
	v_fma_f32 v50, v26, v6, -v7
	v_fma_f32 v52, v28, v8, -v9
	v_pk_mul_f32 v[4:5], v[30:31], v[54:55] op_sel:[1,0] op_sel_hi:[0,0]
	v_pk_fma_f32 v[24:25], v[36:37], v[16:17], v[60:61] neg_lo:[0,0,1] neg_hi:[0,0,1]
	v_pk_fma_f32 v[16:17], v[36:37], v[16:17], v[60:61] op_sel_hi:[1,0,1]
	v_pk_fma_f32 v[28:29], v[40:41], v[20:21], v[64:65] neg_lo:[0,0,1] neg_hi:[0,0,1]
	v_pk_fma_f32 v[20:21], v[40:41], v[20:21], v[64:65] op_sel_hi:[1,0,1]
	v_pk_fma_f32 v[36:37], v[48:49], v[44:45], v[68:69] neg_lo:[0,0,1] neg_hi:[0,0,1]
	v_pk_fma_f32 v[40:41], v[48:49], v[44:45], v[68:69] op_sel_hi:[1,0,1]
	v_add_f32_e32 v45, 0, v3
	v_add_f32_e32 v44, 0, v55
	v_pk_mul_f32 v[56:57], v[32:33], v[12:13] op_sel:[1,1] op_sel_hi:[0,1]
	v_mov_b32_e32 v58, v15
	v_pk_fma_f32 v[48:49], v[30:31], v[10:11], v[4:5] neg_lo:[0,0,1] neg_hi:[0,0,1]
	v_pk_fma_f32 v[4:5], v[30:31], v[10:11], v[4:5] op_sel_hi:[1,0,1]
	v_mov_b32_e32 v29, v21
	v_pk_add_f32 v[20:21], v[44:45], v[50:51]
	v_pk_fma_f32 v[6:7], v[32:33], v[12:13], v[56:57] neg_lo:[0,0,1] neg_hi:[0,0,1]
	v_pk_fma_f32 v[8:9], v[32:33], v[12:13], v[56:57] op_sel_hi:[1,0,1]
	v_pk_mul_f32 v[12:13], v[34:35], v[58:59] op_sel:[1,0] op_sel_hi:[0,0]
	v_mov_b32_e32 v49, v5
	v_pk_add_f32 v[4:5], v[20:21], v[52:53]
	v_mov_b32_e32 v62, v19
	v_mov_b32_e32 v7, v9
	v_pk_fma_f32 v[8:9], v[34:35], v[14:15], v[12:13] neg_lo:[0,0,1] neg_hi:[0,0,1]
	v_pk_fma_f32 v[10:11], v[34:35], v[14:15], v[12:13] op_sel_hi:[1,0,1]
	v_pk_add_f32 v[4:5], v[4:5], v[48:49]
	v_pk_mul_f32 v[26:27], v[38:39], v[62:63] op_sel:[1,0] op_sel_hi:[0,0]
	v_mov_b32_e32 v9, v11
	v_pk_add_f32 v[4:5], v[4:5], v[6:7]
	v_mov_b32_e32 v66, v23
	v_mov_b32_e32 v25, v17
	v_pk_fma_f32 v[12:13], v[38:39], v[18:19], v[26:27] neg_lo:[0,0,1] neg_hi:[0,0,1]
	v_pk_fma_f32 v[14:15], v[38:39], v[18:19], v[26:27] op_sel_hi:[1,0,1]
	v_pk_add_f32 v[4:5], v[4:5], v[8:9]
	v_pk_mul_f32 v[32:33], v[42:43], v[66:67] op_sel:[1,0] op_sel_hi:[0,0]
	v_mov_b32_e32 v13, v15
	v_pk_add_f32 v[4:5], v[4:5], v[24:25]
	v_pk_fma_f32 v[16:17], v[42:43], v[22:23], v[32:33] neg_lo:[0,0,1] neg_hi:[0,0,1]
	v_pk_fma_f32 v[18:19], v[42:43], v[22:23], v[32:33] op_sel_hi:[1,0,1]
	v_pk_add_f32 v[4:5], v[4:5], v[12:13]
	v_mov_b32_e32 v17, v19
	v_pk_add_f32 v[4:5], v[4:5], v[28:29]
	v_mov_b32_e32 v37, v41
	v_pk_add_f32 v[4:5], v[4:5], v[16:17]
	s_nop 0
	v_pk_add_f32 v[4:5], v[4:5], v[36:37]
	s_waitcnt vmcnt(0)
	v_pk_add_f32 v[4:5], v[46:47], v[4:5] neg_lo:[0,1] neg_hi:[0,1]
	scratch_store_dwordx2 off, v[4:5], off offset:312
	s_and_saveexec_b64 s[0:1], vcc
	s_cbranch_execz .LBB114_243
; %bb.242:
	scratch_load_dwordx2 v[4:5], off, off offset:304
	v_mov_b32_e32 v3, v2
	scratch_store_dwordx2 off, v[2:3], off offset:304
	s_waitcnt vmcnt(1)
	ds_write_b64 v1, v[4:5]
.LBB114_243:
	s_or_b64 exec, exec, s[0:1]
	s_waitcnt lgkmcnt(0)
	; wave barrier
	scratch_load_dwordx4 v[8:11], off, off offset:312
	scratch_load_dwordx4 v[16:19], off, off offset:328
	ds_read2_b64 v[4:7], v2 offset0:91 offset1:92
	v_cmp_lt_u32_e32 vcc, 37, v0
	s_waitcnt vmcnt(1) lgkmcnt(0)
	v_mul_f32_e32 v3, v4, v9
	v_fmac_f32_e32 v3, v5, v8
	v_mul_f32_e32 v12, v6, v11
	v_add_f32_e32 v3, 0, v3
	v_fmac_f32_e32 v12, v7, v10
	v_add_f32_e32 v37, v3, v12
	ds_read2_b64 v[12:15], v2 offset0:93 offset1:94
	scratch_load_dwordx4 v[20:23], off, off offset:344
	scratch_load_dwordx4 v[24:27], off, off offset:360
	;; [unrolled: 1-line block ×4, first 2 shown]
	v_mul_f32_e32 v3, v5, v9
	v_fma_f32 v3, v4, v8, -v3
	v_mul_f32_e32 v4, v7, v11
	v_add_f32_e32 v3, 0, v3
	v_fma_f32 v4, v6, v10, -v4
	v_add_f32_e32 v36, v3, v4
	s_waitcnt vmcnt(4) lgkmcnt(0)
	v_mul_f32_e32 v3, v13, v17
	v_mul_f32_e32 v39, v12, v17
	v_mul_f32_e32 v41, v14, v19
	v_fma_f32 v38, v12, v16, -v3
	v_mul_f32_e32 v3, v15, v19
	v_fmac_f32_e32 v39, v13, v16
	v_fmac_f32_e32 v41, v15, v18
	v_fma_f32 v40, v14, v18, -v3
	ds_read2_b64 v[4:7], v2 offset0:95 offset1:96
	ds_read2_b64 v[8:11], v2 offset0:97 offset1:98
	;; [unrolled: 1-line block ×4, first 2 shown]
	v_pk_add_f32 v[2:3], v[36:37], v[38:39]
	s_waitcnt vmcnt(3) lgkmcnt(3)
	v_pk_mul_f32 v[36:37], v[4:5], v[20:21] op_sel:[1,1] op_sel_hi:[0,1]
	v_pk_fma_f32 v[38:39], v[4:5], v[20:21], v[36:37] neg_lo:[0,0,1] neg_hi:[0,0,1]
	v_pk_fma_f32 v[4:5], v[4:5], v[20:21], v[36:37] op_sel_hi:[1,0,1]
	v_pk_add_f32 v[2:3], v[2:3], v[40:41]
	v_mov_b32_e32 v4, v23
	v_mov_b32_e32 v39, v5
	v_pk_mul_f32 v[4:5], v[6:7], v[4:5] op_sel:[1,0] op_sel_hi:[0,0]
	v_pk_fma_f32 v[20:21], v[6:7], v[22:23], v[4:5] neg_lo:[0,0,1] neg_hi:[0,0,1]
	v_pk_fma_f32 v[4:5], v[6:7], v[22:23], v[4:5] op_sel_hi:[1,0,1]
	v_pk_add_f32 v[2:3], v[2:3], v[38:39]
	v_mov_b32_e32 v21, v5
	s_waitcnt vmcnt(2) lgkmcnt(2)
	v_pk_mul_f32 v[4:5], v[8:9], v[24:25] op_sel:[1,1] op_sel_hi:[0,1]
	v_pk_fma_f32 v[6:7], v[8:9], v[24:25], v[4:5] neg_lo:[0,0,1] neg_hi:[0,0,1]
	v_pk_fma_f32 v[4:5], v[8:9], v[24:25], v[4:5] op_sel_hi:[1,0,1]
	v_pk_add_f32 v[2:3], v[2:3], v[20:21]
	v_mov_b32_e32 v4, v27
	v_mov_b32_e32 v7, v5
	v_pk_mul_f32 v[4:5], v[10:11], v[4:5] op_sel:[1,0] op_sel_hi:[0,0]
	v_pk_add_f32 v[2:3], v[2:3], v[6:7]
	v_pk_fma_f32 v[6:7], v[10:11], v[26:27], v[4:5] neg_lo:[0,0,1] neg_hi:[0,0,1]
	v_pk_fma_f32 v[4:5], v[10:11], v[26:27], v[4:5] op_sel_hi:[1,0,1]
	s_nop 0
	v_mov_b32_e32 v7, v5
	s_waitcnt vmcnt(1) lgkmcnt(1)
	v_pk_mul_f32 v[4:5], v[12:13], v[28:29] op_sel:[1,1] op_sel_hi:[0,1]
	v_pk_add_f32 v[2:3], v[2:3], v[6:7]
	v_pk_fma_f32 v[6:7], v[12:13], v[28:29], v[4:5] neg_lo:[0,0,1] neg_hi:[0,0,1]
	v_pk_fma_f32 v[4:5], v[12:13], v[28:29], v[4:5] op_sel_hi:[1,0,1]
	s_nop 0
	v_mov_b32_e32 v4, v31
	v_mov_b32_e32 v7, v5
	v_pk_mul_f32 v[4:5], v[14:15], v[4:5] op_sel:[1,0] op_sel_hi:[0,0]
	v_pk_add_f32 v[2:3], v[2:3], v[6:7]
	v_pk_fma_f32 v[6:7], v[14:15], v[30:31], v[4:5] neg_lo:[0,0,1] neg_hi:[0,0,1]
	v_pk_fma_f32 v[4:5], v[14:15], v[30:31], v[4:5] op_sel_hi:[1,0,1]
	s_nop 0
	v_mov_b32_e32 v7, v5
	s_waitcnt vmcnt(0) lgkmcnt(0)
	v_pk_mul_f32 v[4:5], v[16:17], v[32:33] op_sel:[1,1] op_sel_hi:[0,1]
	v_pk_add_f32 v[2:3], v[2:3], v[6:7]
	v_pk_fma_f32 v[6:7], v[16:17], v[32:33], v[4:5] neg_lo:[0,0,1] neg_hi:[0,0,1]
	v_pk_fma_f32 v[4:5], v[16:17], v[32:33], v[4:5] op_sel_hi:[1,0,1]
	s_nop 0
	v_mov_b32_e32 v4, v35
	v_mov_b32_e32 v7, v5
	v_pk_mul_f32 v[4:5], v[18:19], v[4:5] op_sel:[1,0] op_sel_hi:[0,0]
	v_pk_add_f32 v[2:3], v[2:3], v[6:7]
	v_pk_fma_f32 v[6:7], v[18:19], v[34:35], v[4:5] neg_lo:[0,0,1] neg_hi:[0,0,1]
	v_pk_fma_f32 v[4:5], v[18:19], v[34:35], v[4:5] op_sel_hi:[1,0,1]
	s_nop 0
	v_mov_b32_e32 v7, v5
	scratch_load_dwordx2 v[4:5], off, off offset:304
	v_pk_add_f32 v[2:3], v[2:3], v[6:7]
	s_waitcnt vmcnt(0)
	v_pk_add_f32 v[2:3], v[4:5], v[2:3] neg_lo:[0,1] neg_hi:[0,1]
	scratch_store_dwordx2 off, v[2:3], off offset:304
	s_and_saveexec_b64 s[0:1], vcc
	s_cbranch_execz .LBB114_245
; %bb.244:
	scratch_load_dwordx2 v[2:3], off, off offset:296
	v_mov_b32_e32 v4, 0
	v_mov_b32_e32 v5, v4
	scratch_store_dwordx2 off, v[4:5], off offset:296
	s_waitcnt vmcnt(1)
	ds_write_b64 v1, v[2:3]
.LBB114_245:
	s_or_b64 exec, exec, s[0:1]
	v_mov_b32_e32 v2, 0
	s_waitcnt lgkmcnt(0)
	; wave barrier
	ds_read_b128 v[4:7], v2 offset:720
	ds_read_b128 v[8:11], v2 offset:736
	;; [unrolled: 1-line block ×4, first 2 shown]
	scratch_load_dwordx4 v[20:23], off, off offset:304
	v_cmp_lt_u32_e32 vcc, 36, v0
	s_waitcnt vmcnt(0) lgkmcnt(3)
	v_mul_f32_e32 v3, v4, v21
	v_fmac_f32_e32 v3, v5, v20
	v_mul_f32_e32 v24, v6, v23
	v_add_f32_e32 v3, 0, v3
	v_fmac_f32_e32 v24, v7, v22
	v_add_f32_e32 v3, v3, v24
	scratch_load_dwordx4 v[24:27], off, off offset:320
	s_waitcnt vmcnt(0) lgkmcnt(2)
	v_mul_f32_e32 v28, v8, v25
	v_fmac_f32_e32 v28, v9, v24
	v_add_f32_e32 v45, v3, v28
	scratch_load_dwordx4 v[28:31], off, off offset:336
	scratch_load_dwordx4 v[32:35], off, off offset:352
	;; [unrolled: 1-line block ×4, first 2 shown]
	scratch_load_dwordx2 v[50:51], off, off offset:400
	v_mul_f32_e32 v3, v5, v21
	v_fma_f32 v3, v4, v20, -v3
	v_mul_f32_e32 v4, v7, v23
	v_add_f32_e32 v3, 0, v3
	v_fma_f32 v4, v6, v22, -v4
	v_add_f32_e32 v3, v3, v4
	v_mul_f32_e32 v4, v9, v25
	v_fma_f32 v4, v8, v24, -v4
	v_mul_f32_e32 v47, v10, v27
	v_add_f32_e32 v44, v3, v4
	v_mul_f32_e32 v3, v11, v27
	v_fmac_f32_e32 v47, v11, v26
	v_fma_f32 v46, v10, v26, -v3
	v_pk_add_f32 v[20:21], v[44:45], v[46:47]
	s_waitcnt vmcnt(4)
	v_mov_b32_e32 v22, v31
	s_waitcnt lgkmcnt(1)
	v_mul_f32_e32 v49, v12, v29
	v_mul_f32_e32 v3, v13, v29
	v_pk_mul_f32 v[22:23], v[14:15], v[22:23] op_sel:[1,0] op_sel_hi:[0,0]
	v_fmac_f32_e32 v49, v13, v28
	v_fma_f32 v48, v12, v28, -v3
	v_pk_fma_f32 v[24:25], v[14:15], v[30:31], v[22:23] neg_lo:[0,0,1] neg_hi:[0,0,1]
	v_pk_fma_f32 v[14:15], v[14:15], v[30:31], v[22:23] op_sel_hi:[1,0,1]
	v_pk_add_f32 v[20:21], v[20:21], v[48:49]
	v_mov_b32_e32 v25, v15
	v_pk_add_f32 v[14:15], v[20:21], v[24:25]
	s_waitcnt vmcnt(3) lgkmcnt(0)
	v_pk_mul_f32 v[20:21], v[16:17], v[32:33] op_sel:[1,1] op_sel_hi:[0,1]
	v_pk_fma_f32 v[22:23], v[16:17], v[32:33], v[20:21] neg_lo:[0,0,1] neg_hi:[0,0,1]
	v_pk_fma_f32 v[16:17], v[16:17], v[32:33], v[20:21] op_sel_hi:[1,0,1]
	ds_read_b128 v[4:7], v2 offset:784
	ds_read_b128 v[8:11], v2 offset:800
	ds_read_b64 v[12:13], v2 offset:816
	v_mov_b32_e32 v16, v35
	v_mov_b32_e32 v23, v17
	v_pk_mul_f32 v[16:17], v[18:19], v[16:17] op_sel:[1,0] op_sel_hi:[0,0]
	v_pk_fma_f32 v[20:21], v[18:19], v[34:35], v[16:17] neg_lo:[0,0,1] neg_hi:[0,0,1]
	v_pk_fma_f32 v[16:17], v[18:19], v[34:35], v[16:17] op_sel_hi:[1,0,1]
	v_pk_add_f32 v[14:15], v[14:15], v[22:23]
	v_mov_b32_e32 v21, v17
	s_waitcnt vmcnt(2) lgkmcnt(2)
	v_pk_mul_f32 v[16:17], v[4:5], v[36:37] op_sel:[1,1] op_sel_hi:[0,1]
	v_pk_fma_f32 v[18:19], v[4:5], v[36:37], v[16:17] neg_lo:[0,0,1] neg_hi:[0,0,1]
	v_pk_fma_f32 v[4:5], v[4:5], v[36:37], v[16:17] op_sel_hi:[1,0,1]
	v_pk_add_f32 v[14:15], v[14:15], v[20:21]
	v_mov_b32_e32 v19, v5
	v_pk_add_f32 v[4:5], v[14:15], v[18:19]
	v_mov_b32_e32 v14, v39
	v_pk_mul_f32 v[14:15], v[6:7], v[14:15] op_sel:[1,0] op_sel_hi:[0,0]
	v_pk_fma_f32 v[16:17], v[6:7], v[38:39], v[14:15] neg_lo:[0,0,1] neg_hi:[0,0,1]
	v_pk_fma_f32 v[6:7], v[6:7], v[38:39], v[14:15] op_sel_hi:[1,0,1]
	s_nop 0
	v_mov_b32_e32 v17, v7
	s_waitcnt vmcnt(1) lgkmcnt(1)
	v_pk_mul_f32 v[6:7], v[8:9], v[40:41] op_sel:[1,1] op_sel_hi:[0,1]
	v_pk_fma_f32 v[14:15], v[8:9], v[40:41], v[6:7] neg_lo:[0,0,1] neg_hi:[0,0,1]
	v_pk_fma_f32 v[6:7], v[8:9], v[40:41], v[6:7] op_sel_hi:[1,0,1]
	v_pk_add_f32 v[4:5], v[4:5], v[16:17]
	v_mov_b32_e32 v6, v43
	v_mov_b32_e32 v15, v7
	v_pk_mul_f32 v[6:7], v[10:11], v[6:7] op_sel:[1,0] op_sel_hi:[0,0]
	v_pk_fma_f32 v[8:9], v[10:11], v[42:43], v[6:7] neg_lo:[0,0,1] neg_hi:[0,0,1]
	v_pk_fma_f32 v[6:7], v[10:11], v[42:43], v[6:7] op_sel_hi:[1,0,1]
	v_pk_add_f32 v[4:5], v[4:5], v[14:15]
	v_mov_b32_e32 v9, v7
	s_waitcnt vmcnt(0) lgkmcnt(0)
	v_pk_mul_f32 v[6:7], v[12:13], v[50:51] op_sel:[1,1] op_sel_hi:[0,1]
	v_pk_add_f32 v[4:5], v[4:5], v[8:9]
	v_pk_fma_f32 v[8:9], v[12:13], v[50:51], v[6:7] neg_lo:[0,0,1] neg_hi:[0,0,1]
	v_pk_fma_f32 v[6:7], v[12:13], v[50:51], v[6:7] op_sel_hi:[1,0,1]
	s_nop 0
	v_mov_b32_e32 v9, v7
	scratch_load_dwordx2 v[6:7], off, off offset:296
	v_pk_add_f32 v[4:5], v[4:5], v[8:9]
	s_waitcnt vmcnt(0)
	v_pk_add_f32 v[4:5], v[6:7], v[4:5] neg_lo:[0,1] neg_hi:[0,1]
	scratch_store_dwordx2 off, v[4:5], off offset:296
	s_and_saveexec_b64 s[0:1], vcc
	s_cbranch_execz .LBB114_247
; %bb.246:
	scratch_load_dwordx2 v[4:5], off, off offset:288
	v_mov_b32_e32 v3, v2
	scratch_store_dwordx2 off, v[2:3], off offset:288
	s_waitcnt vmcnt(1)
	ds_write_b64 v1, v[4:5]
.LBB114_247:
	s_or_b64 exec, exec, s[0:1]
	s_waitcnt lgkmcnt(0)
	; wave barrier
	scratch_load_dwordx4 v[8:11], off, off offset:296
	scratch_load_dwordx4 v[16:19], off, off offset:312
	ds_read2_b64 v[4:7], v2 offset0:89 offset1:90
	scratch_load_dwordx4 v[24:27], off, off offset:328
	v_cmp_lt_u32_e32 vcc, 35, v0
	s_waitcnt vmcnt(2) lgkmcnt(0)
	v_mul_f32_e32 v3, v4, v9
	v_fmac_f32_e32 v3, v5, v8
	v_mul_f32_e32 v12, v6, v11
	v_add_f32_e32 v3, 0, v3
	v_fmac_f32_e32 v12, v7, v10
	v_add_f32_e32 v3, v3, v12
	ds_read2_b64 v[12:15], v2 offset0:91 offset1:92
	s_waitcnt vmcnt(1) lgkmcnt(0)
	v_mul_f32_e32 v20, v12, v17
	v_fmac_f32_e32 v20, v13, v16
	v_add_f32_e32 v3, v3, v20
	v_mul_f32_e32 v20, v14, v19
	v_fmac_f32_e32 v20, v15, v18
	v_add_f32_e32 v45, v3, v20
	ds_read2_b64 v[20:23], v2 offset0:93 offset1:94
	scratch_load_dwordx4 v[28:31], off, off offset:344
	scratch_load_dwordx4 v[32:35], off, off offset:360
	;; [unrolled: 1-line block ×4, first 2 shown]
	v_mul_f32_e32 v3, v5, v9
	v_fma_f32 v3, v4, v8, -v3
	v_mul_f32_e32 v4, v7, v11
	v_add_f32_e32 v3, 0, v3
	v_fma_f32 v4, v6, v10, -v4
	v_add_f32_e32 v3, v3, v4
	v_mul_f32_e32 v4, v13, v17
	v_fma_f32 v4, v12, v16, -v4
	v_add_f32_e32 v3, v3, v4
	v_mul_f32_e32 v4, v15, v19
	v_fma_f32 v4, v14, v18, -v4
	v_add_f32_e32 v44, v3, v4
	ds_read2_b64 v[4:7], v2 offset0:95 offset1:96
	ds_read2_b64 v[8:11], v2 offset0:97 offset1:98
	;; [unrolled: 1-line block ×4, first 2 shown]
	s_waitcnt vmcnt(4) lgkmcnt(4)
	v_mul_f32_e32 v47, v20, v25
	v_mul_f32_e32 v3, v21, v25
	v_fmac_f32_e32 v47, v21, v24
	v_mul_f32_e32 v49, v22, v27
	v_fma_f32 v46, v20, v24, -v3
	v_mul_f32_e32 v3, v23, v27
	v_fmac_f32_e32 v49, v23, v26
	v_fma_f32 v48, v22, v26, -v3
	v_pk_add_f32 v[2:3], v[44:45], v[46:47]
	s_waitcnt vmcnt(3) lgkmcnt(3)
	v_pk_mul_f32 v[20:21], v[4:5], v[28:29] op_sel:[1,1] op_sel_hi:[0,1]
	v_pk_fma_f32 v[22:23], v[4:5], v[28:29], v[20:21] neg_lo:[0,0,1] neg_hi:[0,0,1]
	v_pk_fma_f32 v[4:5], v[4:5], v[28:29], v[20:21] op_sel_hi:[1,0,1]
	v_pk_add_f32 v[2:3], v[2:3], v[48:49]
	v_mov_b32_e32 v4, v31
	v_mov_b32_e32 v23, v5
	v_pk_mul_f32 v[4:5], v[6:7], v[4:5] op_sel:[1,0] op_sel_hi:[0,0]
	v_pk_fma_f32 v[20:21], v[6:7], v[30:31], v[4:5] neg_lo:[0,0,1] neg_hi:[0,0,1]
	v_pk_fma_f32 v[4:5], v[6:7], v[30:31], v[4:5] op_sel_hi:[1,0,1]
	v_pk_add_f32 v[2:3], v[2:3], v[22:23]
	v_mov_b32_e32 v21, v5
	s_waitcnt vmcnt(2) lgkmcnt(2)
	v_pk_mul_f32 v[4:5], v[8:9], v[32:33] op_sel:[1,1] op_sel_hi:[0,1]
	v_pk_fma_f32 v[6:7], v[8:9], v[32:33], v[4:5] neg_lo:[0,0,1] neg_hi:[0,0,1]
	v_pk_fma_f32 v[4:5], v[8:9], v[32:33], v[4:5] op_sel_hi:[1,0,1]
	v_pk_add_f32 v[2:3], v[2:3], v[20:21]
	v_mov_b32_e32 v4, v35
	v_mov_b32_e32 v7, v5
	v_pk_mul_f32 v[4:5], v[10:11], v[4:5] op_sel:[1,0] op_sel_hi:[0,0]
	v_pk_add_f32 v[2:3], v[2:3], v[6:7]
	v_pk_fma_f32 v[6:7], v[10:11], v[34:35], v[4:5] neg_lo:[0,0,1] neg_hi:[0,0,1]
	v_pk_fma_f32 v[4:5], v[10:11], v[34:35], v[4:5] op_sel_hi:[1,0,1]
	s_nop 0
	v_mov_b32_e32 v7, v5
	s_waitcnt vmcnt(1) lgkmcnt(1)
	v_pk_mul_f32 v[4:5], v[12:13], v[36:37] op_sel:[1,1] op_sel_hi:[0,1]
	v_pk_add_f32 v[2:3], v[2:3], v[6:7]
	v_pk_fma_f32 v[6:7], v[12:13], v[36:37], v[4:5] neg_lo:[0,0,1] neg_hi:[0,0,1]
	v_pk_fma_f32 v[4:5], v[12:13], v[36:37], v[4:5] op_sel_hi:[1,0,1]
	s_nop 0
	v_mov_b32_e32 v4, v39
	v_mov_b32_e32 v7, v5
	v_pk_mul_f32 v[4:5], v[14:15], v[4:5] op_sel:[1,0] op_sel_hi:[0,0]
	v_pk_add_f32 v[2:3], v[2:3], v[6:7]
	v_pk_fma_f32 v[6:7], v[14:15], v[38:39], v[4:5] neg_lo:[0,0,1] neg_hi:[0,0,1]
	v_pk_fma_f32 v[4:5], v[14:15], v[38:39], v[4:5] op_sel_hi:[1,0,1]
	s_nop 0
	v_mov_b32_e32 v7, v5
	s_waitcnt vmcnt(0) lgkmcnt(0)
	v_pk_mul_f32 v[4:5], v[16:17], v[40:41] op_sel:[1,1] op_sel_hi:[0,1]
	v_pk_add_f32 v[2:3], v[2:3], v[6:7]
	v_pk_fma_f32 v[6:7], v[16:17], v[40:41], v[4:5] neg_lo:[0,0,1] neg_hi:[0,0,1]
	v_pk_fma_f32 v[4:5], v[16:17], v[40:41], v[4:5] op_sel_hi:[1,0,1]
	s_nop 0
	v_mov_b32_e32 v4, v43
	v_mov_b32_e32 v7, v5
	v_pk_mul_f32 v[4:5], v[18:19], v[4:5] op_sel:[1,0] op_sel_hi:[0,0]
	v_pk_add_f32 v[2:3], v[2:3], v[6:7]
	v_pk_fma_f32 v[6:7], v[18:19], v[42:43], v[4:5] neg_lo:[0,0,1] neg_hi:[0,0,1]
	v_pk_fma_f32 v[4:5], v[18:19], v[42:43], v[4:5] op_sel_hi:[1,0,1]
	s_nop 0
	v_mov_b32_e32 v7, v5
	scratch_load_dwordx2 v[4:5], off, off offset:288
	v_pk_add_f32 v[2:3], v[2:3], v[6:7]
	s_waitcnt vmcnt(0)
	v_pk_add_f32 v[2:3], v[4:5], v[2:3] neg_lo:[0,1] neg_hi:[0,1]
	scratch_store_dwordx2 off, v[2:3], off offset:288
	s_and_saveexec_b64 s[0:1], vcc
	s_cbranch_execz .LBB114_249
; %bb.248:
	scratch_load_dwordx2 v[2:3], off, off offset:280
	v_mov_b32_e32 v4, 0
	v_mov_b32_e32 v5, v4
	scratch_store_dwordx2 off, v[4:5], off offset:280
	s_waitcnt vmcnt(1)
	ds_write_b64 v1, v[2:3]
.LBB114_249:
	s_or_b64 exec, exec, s[0:1]
	v_mov_b32_e32 v2, 0
	s_waitcnt lgkmcnt(0)
	; wave barrier
	ds_read_b128 v[4:7], v2 offset:704
	ds_read_b128 v[8:11], v2 offset:720
	ds_read_b128 v[12:15], v2 offset:736
	ds_read_b128 v[16:19], v2 offset:752
	scratch_load_dwordx4 v[20:23], off, off offset:288
	v_cmp_lt_u32_e32 vcc, 34, v0
	s_waitcnt vmcnt(0) lgkmcnt(3)
	v_mul_f32_e32 v3, v4, v21
	v_fmac_f32_e32 v3, v5, v20
	v_mul_f32_e32 v24, v6, v23
	v_add_f32_e32 v3, 0, v3
	v_fmac_f32_e32 v24, v7, v22
	v_add_f32_e32 v3, v3, v24
	scratch_load_dwordx4 v[24:27], off, off offset:304
	s_waitcnt vmcnt(0) lgkmcnt(2)
	v_mul_f32_e32 v28, v8, v25
	v_fmac_f32_e32 v28, v9, v24
	v_add_f32_e32 v3, v3, v28
	v_mul_f32_e32 v28, v10, v27
	v_fmac_f32_e32 v28, v11, v26
	v_add_f32_e32 v3, v3, v28
	scratch_load_dwordx4 v[28:31], off, off offset:320
	s_waitcnt vmcnt(0) lgkmcnt(1)
	v_mul_f32_e32 v32, v12, v29
	v_fmac_f32_e32 v32, v13, v28
	v_add_f32_e32 v49, v3, v32
	scratch_load_dwordx4 v[32:35], off, off offset:336
	scratch_load_dwordx4 v[36:39], off, off offset:352
	;; [unrolled: 1-line block ×4, first 2 shown]
	scratch_load_dwordx2 v[54:55], off, off offset:400
	v_mul_f32_e32 v3, v5, v21
	v_fma_f32 v3, v4, v20, -v3
	v_mul_f32_e32 v4, v7, v23
	v_add_f32_e32 v3, 0, v3
	v_fma_f32 v4, v6, v22, -v4
	v_add_f32_e32 v3, v3, v4
	v_mul_f32_e32 v4, v9, v25
	v_fma_f32 v4, v8, v24, -v4
	v_add_f32_e32 v3, v3, v4
	v_mul_f32_e32 v4, v11, v27
	;; [unrolled: 3-line block ×3, first 2 shown]
	v_fma_f32 v4, v12, v28, -v4
	v_mul_f32_e32 v51, v14, v31
	v_add_f32_e32 v48, v3, v4
	v_mul_f32_e32 v3, v15, v31
	v_fmac_f32_e32 v51, v15, v30
	v_fma_f32 v50, v14, v30, -v3
	v_pk_add_f32 v[20:21], v[48:49], v[50:51]
	s_waitcnt vmcnt(4)
	v_mov_b32_e32 v22, v35
	s_waitcnt lgkmcnt(0)
	v_mul_f32_e32 v53, v16, v33
	v_mul_f32_e32 v3, v17, v33
	v_pk_mul_f32 v[22:23], v[18:19], v[22:23] op_sel:[1,0] op_sel_hi:[0,0]
	v_fmac_f32_e32 v53, v17, v32
	v_fma_f32 v52, v16, v32, -v3
	ds_read_b128 v[4:7], v2 offset:768
	ds_read_b128 v[8:11], v2 offset:784
	;; [unrolled: 1-line block ×3, first 2 shown]
	ds_read_b64 v[16:17], v2 offset:816
	v_pk_fma_f32 v[24:25], v[18:19], v[34:35], v[22:23] neg_lo:[0,0,1] neg_hi:[0,0,1]
	v_pk_fma_f32 v[18:19], v[18:19], v[34:35], v[22:23] op_sel_hi:[1,0,1]
	v_pk_add_f32 v[20:21], v[20:21], v[52:53]
	v_mov_b32_e32 v25, v19
	v_pk_add_f32 v[18:19], v[20:21], v[24:25]
	s_waitcnt vmcnt(3) lgkmcnt(3)
	v_pk_mul_f32 v[20:21], v[4:5], v[36:37] op_sel:[1,1] op_sel_hi:[0,1]
	v_pk_fma_f32 v[22:23], v[4:5], v[36:37], v[20:21] neg_lo:[0,0,1] neg_hi:[0,0,1]
	v_pk_fma_f32 v[4:5], v[4:5], v[36:37], v[20:21] op_sel_hi:[1,0,1]
	s_nop 0
	v_mov_b32_e32 v23, v5
	v_pk_add_f32 v[4:5], v[18:19], v[22:23]
	v_mov_b32_e32 v18, v39
	v_pk_mul_f32 v[18:19], v[6:7], v[18:19] op_sel:[1,0] op_sel_hi:[0,0]
	v_pk_fma_f32 v[20:21], v[6:7], v[38:39], v[18:19] neg_lo:[0,0,1] neg_hi:[0,0,1]
	v_pk_fma_f32 v[6:7], v[6:7], v[38:39], v[18:19] op_sel_hi:[1,0,1]
	s_nop 0
	v_mov_b32_e32 v21, v7
	s_waitcnt vmcnt(2) lgkmcnt(2)
	v_pk_mul_f32 v[6:7], v[8:9], v[40:41] op_sel:[1,1] op_sel_hi:[0,1]
	v_pk_fma_f32 v[18:19], v[8:9], v[40:41], v[6:7] neg_lo:[0,0,1] neg_hi:[0,0,1]
	v_pk_fma_f32 v[6:7], v[8:9], v[40:41], v[6:7] op_sel_hi:[1,0,1]
	v_pk_add_f32 v[4:5], v[4:5], v[20:21]
	v_mov_b32_e32 v6, v43
	v_mov_b32_e32 v19, v7
	v_pk_mul_f32 v[6:7], v[10:11], v[6:7] op_sel:[1,0] op_sel_hi:[0,0]
	v_pk_fma_f32 v[8:9], v[10:11], v[42:43], v[6:7] neg_lo:[0,0,1] neg_hi:[0,0,1]
	v_pk_fma_f32 v[6:7], v[10:11], v[42:43], v[6:7] op_sel_hi:[1,0,1]
	v_pk_add_f32 v[4:5], v[4:5], v[18:19]
	v_mov_b32_e32 v9, v7
	s_waitcnt vmcnt(1) lgkmcnt(1)
	v_pk_mul_f32 v[6:7], v[12:13], v[44:45] op_sel:[1,1] op_sel_hi:[0,1]
	v_pk_add_f32 v[4:5], v[4:5], v[8:9]
	v_pk_fma_f32 v[8:9], v[12:13], v[44:45], v[6:7] neg_lo:[0,0,1] neg_hi:[0,0,1]
	v_pk_fma_f32 v[6:7], v[12:13], v[44:45], v[6:7] op_sel_hi:[1,0,1]
	s_nop 0
	v_mov_b32_e32 v6, v47
	v_mov_b32_e32 v9, v7
	v_pk_mul_f32 v[6:7], v[14:15], v[6:7] op_sel:[1,0] op_sel_hi:[0,0]
	v_pk_add_f32 v[4:5], v[4:5], v[8:9]
	v_pk_fma_f32 v[8:9], v[14:15], v[46:47], v[6:7] neg_lo:[0,0,1] neg_hi:[0,0,1]
	v_pk_fma_f32 v[6:7], v[14:15], v[46:47], v[6:7] op_sel_hi:[1,0,1]
	s_nop 0
	v_mov_b32_e32 v9, v7
	s_waitcnt vmcnt(0) lgkmcnt(0)
	v_pk_mul_f32 v[6:7], v[16:17], v[54:55] op_sel:[1,1] op_sel_hi:[0,1]
	v_pk_add_f32 v[4:5], v[4:5], v[8:9]
	v_pk_fma_f32 v[8:9], v[16:17], v[54:55], v[6:7] neg_lo:[0,0,1] neg_hi:[0,0,1]
	v_pk_fma_f32 v[6:7], v[16:17], v[54:55], v[6:7] op_sel_hi:[1,0,1]
	s_nop 0
	v_mov_b32_e32 v9, v7
	scratch_load_dwordx2 v[6:7], off, off offset:280
	v_pk_add_f32 v[4:5], v[4:5], v[8:9]
	s_waitcnt vmcnt(0)
	v_pk_add_f32 v[4:5], v[6:7], v[4:5] neg_lo:[0,1] neg_hi:[0,1]
	scratch_store_dwordx2 off, v[4:5], off offset:280
	s_and_saveexec_b64 s[0:1], vcc
	s_cbranch_execz .LBB114_251
; %bb.250:
	scratch_load_dwordx2 v[4:5], off, off offset:272
	v_mov_b32_e32 v3, v2
	scratch_store_dwordx2 off, v[2:3], off offset:272
	s_waitcnt vmcnt(1)
	ds_write_b64 v1, v[4:5]
.LBB114_251:
	s_or_b64 exec, exec, s[0:1]
	s_waitcnt lgkmcnt(0)
	; wave barrier
	scratch_load_dwordx4 v[8:11], off, off offset:280
	scratch_load_dwordx4 v[16:19], off, off offset:296
	;; [unrolled: 1-line block ×4, first 2 shown]
	ds_read2_b64 v[4:7], v2 offset0:87 offset1:88
	v_cmp_lt_u32_e32 vcc, 33, v0
	s_waitcnt vmcnt(3) lgkmcnt(0)
	v_mul_f32_e32 v3, v4, v9
	v_fmac_f32_e32 v3, v5, v8
	v_mul_f32_e32 v12, v6, v11
	v_add_f32_e32 v3, 0, v3
	v_fmac_f32_e32 v12, v7, v10
	v_add_f32_e32 v3, v3, v12
	ds_read2_b64 v[12:15], v2 offset0:89 offset1:90
	s_waitcnt vmcnt(2) lgkmcnt(0)
	v_mul_f32_e32 v20, v12, v17
	v_fmac_f32_e32 v20, v13, v16
	v_add_f32_e32 v3, v3, v20
	v_mul_f32_e32 v20, v14, v19
	v_fmac_f32_e32 v20, v15, v18
	v_add_f32_e32 v3, v3, v20
	ds_read2_b64 v[20:23], v2 offset0:91 offset1:92
	s_waitcnt vmcnt(1) lgkmcnt(0)
	v_mul_f32_e32 v28, v20, v25
	v_fmac_f32_e32 v28, v21, v24
	v_add_f32_e32 v3, v3, v28
	v_mul_f32_e32 v28, v22, v27
	v_fmac_f32_e32 v28, v23, v26
	v_add_f32_e32 v53, v3, v28
	ds_read2_b64 v[28:31], v2 offset0:93 offset1:94
	scratch_load_dwordx4 v[36:39], off, off offset:344
	scratch_load_dwordx4 v[40:43], off, off offset:360
	;; [unrolled: 1-line block ×4, first 2 shown]
	v_mul_f32_e32 v3, v5, v9
	v_fma_f32 v3, v4, v8, -v3
	v_mul_f32_e32 v4, v7, v11
	v_add_f32_e32 v3, 0, v3
	v_fma_f32 v4, v6, v10, -v4
	v_add_f32_e32 v3, v3, v4
	v_mul_f32_e32 v4, v13, v17
	v_fma_f32 v4, v12, v16, -v4
	v_add_f32_e32 v3, v3, v4
	v_mul_f32_e32 v4, v15, v19
	;; [unrolled: 3-line block ×4, first 2 shown]
	v_fma_f32 v4, v22, v26, -v4
	v_add_f32_e32 v52, v3, v4
	ds_read2_b64 v[4:7], v2 offset0:95 offset1:96
	ds_read2_b64 v[8:11], v2 offset0:97 offset1:98
	;; [unrolled: 1-line block ×4, first 2 shown]
	s_waitcnt vmcnt(4) lgkmcnt(4)
	v_mul_f32_e32 v55, v28, v33
	v_mul_f32_e32 v3, v29, v33
	v_fmac_f32_e32 v55, v29, v32
	v_mul_f32_e32 v57, v30, v35
	v_fma_f32 v54, v28, v32, -v3
	v_mul_f32_e32 v3, v31, v35
	v_fmac_f32_e32 v57, v31, v34
	v_fma_f32 v56, v30, v34, -v3
	v_pk_add_f32 v[2:3], v[52:53], v[54:55]
	s_waitcnt vmcnt(3) lgkmcnt(3)
	v_pk_mul_f32 v[20:21], v[4:5], v[36:37] op_sel:[1,1] op_sel_hi:[0,1]
	v_pk_fma_f32 v[22:23], v[4:5], v[36:37], v[20:21] neg_lo:[0,0,1] neg_hi:[0,0,1]
	v_pk_fma_f32 v[4:5], v[4:5], v[36:37], v[20:21] op_sel_hi:[1,0,1]
	v_pk_add_f32 v[2:3], v[2:3], v[56:57]
	v_mov_b32_e32 v4, v39
	v_mov_b32_e32 v23, v5
	v_pk_mul_f32 v[4:5], v[6:7], v[4:5] op_sel:[1,0] op_sel_hi:[0,0]
	v_pk_fma_f32 v[20:21], v[6:7], v[38:39], v[4:5] neg_lo:[0,0,1] neg_hi:[0,0,1]
	v_pk_fma_f32 v[4:5], v[6:7], v[38:39], v[4:5] op_sel_hi:[1,0,1]
	v_pk_add_f32 v[2:3], v[2:3], v[22:23]
	v_mov_b32_e32 v21, v5
	s_waitcnt vmcnt(2) lgkmcnt(2)
	v_pk_mul_f32 v[4:5], v[8:9], v[40:41] op_sel:[1,1] op_sel_hi:[0,1]
	v_pk_fma_f32 v[6:7], v[8:9], v[40:41], v[4:5] neg_lo:[0,0,1] neg_hi:[0,0,1]
	v_pk_fma_f32 v[4:5], v[8:9], v[40:41], v[4:5] op_sel_hi:[1,0,1]
	v_pk_add_f32 v[2:3], v[2:3], v[20:21]
	v_mov_b32_e32 v4, v43
	v_mov_b32_e32 v7, v5
	v_pk_mul_f32 v[4:5], v[10:11], v[4:5] op_sel:[1,0] op_sel_hi:[0,0]
	v_pk_add_f32 v[2:3], v[2:3], v[6:7]
	v_pk_fma_f32 v[6:7], v[10:11], v[42:43], v[4:5] neg_lo:[0,0,1] neg_hi:[0,0,1]
	v_pk_fma_f32 v[4:5], v[10:11], v[42:43], v[4:5] op_sel_hi:[1,0,1]
	s_nop 0
	v_mov_b32_e32 v7, v5
	s_waitcnt vmcnt(1) lgkmcnt(1)
	v_pk_mul_f32 v[4:5], v[12:13], v[44:45] op_sel:[1,1] op_sel_hi:[0,1]
	v_pk_add_f32 v[2:3], v[2:3], v[6:7]
	v_pk_fma_f32 v[6:7], v[12:13], v[44:45], v[4:5] neg_lo:[0,0,1] neg_hi:[0,0,1]
	v_pk_fma_f32 v[4:5], v[12:13], v[44:45], v[4:5] op_sel_hi:[1,0,1]
	s_nop 0
	v_mov_b32_e32 v4, v47
	v_mov_b32_e32 v7, v5
	v_pk_mul_f32 v[4:5], v[14:15], v[4:5] op_sel:[1,0] op_sel_hi:[0,0]
	v_pk_add_f32 v[2:3], v[2:3], v[6:7]
	v_pk_fma_f32 v[6:7], v[14:15], v[46:47], v[4:5] neg_lo:[0,0,1] neg_hi:[0,0,1]
	v_pk_fma_f32 v[4:5], v[14:15], v[46:47], v[4:5] op_sel_hi:[1,0,1]
	s_nop 0
	v_mov_b32_e32 v7, v5
	s_waitcnt vmcnt(0) lgkmcnt(0)
	v_pk_mul_f32 v[4:5], v[16:17], v[48:49] op_sel:[1,1] op_sel_hi:[0,1]
	v_pk_add_f32 v[2:3], v[2:3], v[6:7]
	v_pk_fma_f32 v[6:7], v[16:17], v[48:49], v[4:5] neg_lo:[0,0,1] neg_hi:[0,0,1]
	v_pk_fma_f32 v[4:5], v[16:17], v[48:49], v[4:5] op_sel_hi:[1,0,1]
	s_nop 0
	v_mov_b32_e32 v4, v51
	v_mov_b32_e32 v7, v5
	v_pk_mul_f32 v[4:5], v[18:19], v[4:5] op_sel:[1,0] op_sel_hi:[0,0]
	v_pk_add_f32 v[2:3], v[2:3], v[6:7]
	v_pk_fma_f32 v[6:7], v[18:19], v[50:51], v[4:5] neg_lo:[0,0,1] neg_hi:[0,0,1]
	v_pk_fma_f32 v[4:5], v[18:19], v[50:51], v[4:5] op_sel_hi:[1,0,1]
	s_nop 0
	v_mov_b32_e32 v7, v5
	scratch_load_dwordx2 v[4:5], off, off offset:272
	v_pk_add_f32 v[2:3], v[2:3], v[6:7]
	s_waitcnt vmcnt(0)
	v_pk_add_f32 v[2:3], v[4:5], v[2:3] neg_lo:[0,1] neg_hi:[0,1]
	scratch_store_dwordx2 off, v[2:3], off offset:272
	s_and_saveexec_b64 s[0:1], vcc
	s_cbranch_execz .LBB114_253
; %bb.252:
	scratch_load_dwordx2 v[2:3], off, off offset:264
	v_mov_b32_e32 v4, 0
	v_mov_b32_e32 v5, v4
	scratch_store_dwordx2 off, v[4:5], off offset:264
	s_waitcnt vmcnt(1)
	ds_write_b64 v1, v[2:3]
.LBB114_253:
	s_or_b64 exec, exec, s[0:1]
	v_mov_b32_e32 v2, 0
	s_waitcnt lgkmcnt(0)
	; wave barrier
	ds_read_b128 v[4:7], v2 offset:688
	ds_read_b128 v[8:11], v2 offset:704
	ds_read_b128 v[12:15], v2 offset:720
	ds_read_b128 v[16:19], v2 offset:736
	scratch_load_dwordx4 v[20:23], off, off offset:272
	scratch_load_dwordx4 v[40:43], off, off offset:336
	v_cmp_lt_u32_e32 vcc, 32, v0
	s_waitcnt vmcnt(1) lgkmcnt(3)
	v_mul_f32_e32 v3, v4, v21
	v_fmac_f32_e32 v3, v5, v20
	v_mul_f32_e32 v24, v6, v23
	v_add_f32_e32 v3, 0, v3
	v_fmac_f32_e32 v24, v7, v22
	v_add_f32_e32 v3, v3, v24
	scratch_load_dwordx4 v[24:27], off, off offset:288
	s_waitcnt vmcnt(0) lgkmcnt(2)
	v_mul_f32_e32 v28, v8, v25
	v_fmac_f32_e32 v28, v9, v24
	v_add_f32_e32 v3, v3, v28
	v_mul_f32_e32 v28, v10, v27
	v_fmac_f32_e32 v28, v11, v26
	v_add_f32_e32 v3, v3, v28
	scratch_load_dwordx4 v[28:31], off, off offset:304
	s_waitcnt vmcnt(0) lgkmcnt(1)
	v_mul_f32_e32 v32, v12, v29
	v_fmac_f32_e32 v32, v13, v28
	v_add_f32_e32 v3, v3, v32
	v_mul_f32_e32 v32, v14, v31
	v_fmac_f32_e32 v32, v15, v30
	v_add_f32_e32 v3, v3, v32
	scratch_load_dwordx4 v[32:35], off, off offset:320
	s_waitcnt vmcnt(0) lgkmcnt(0)
	v_mul_f32_e32 v36, v16, v33
	v_fmac_f32_e32 v36, v17, v32
	v_add_f32_e32 v57, v3, v36
	ds_read_b128 v[36:39], v2 offset:752
	scratch_load_dwordx4 v[44:47], off, off offset:352
	scratch_load_dwordx4 v[48:51], off, off offset:368
	;; [unrolled: 1-line block ×3, first 2 shown]
	scratch_load_dwordx2 v[62:63], off, off offset:400
	v_mul_f32_e32 v3, v5, v21
	v_fma_f32 v3, v4, v20, -v3
	v_mul_f32_e32 v4, v7, v23
	v_add_f32_e32 v3, 0, v3
	v_fma_f32 v4, v6, v22, -v4
	v_add_f32_e32 v3, v3, v4
	v_mul_f32_e32 v4, v9, v25
	v_fma_f32 v4, v8, v24, -v4
	v_add_f32_e32 v3, v3, v4
	v_mul_f32_e32 v4, v11, v27
	;; [unrolled: 3-line block ×5, first 2 shown]
	v_fma_f32 v4, v16, v32, -v4
	v_mul_f32_e32 v59, v18, v35
	v_add_f32_e32 v56, v3, v4
	v_mul_f32_e32 v3, v19, v35
	v_mov_b32_e32 v20, v43
	v_fmac_f32_e32 v59, v19, v34
	s_waitcnt lgkmcnt(0)
	v_mul_f32_e32 v61, v36, v41
	v_fma_f32 v58, v18, v34, -v3
	v_mul_f32_e32 v3, v37, v41
	ds_read_b128 v[4:7], v2 offset:768
	ds_read_b128 v[8:11], v2 offset:784
	;; [unrolled: 1-line block ×3, first 2 shown]
	ds_read_b64 v[16:17], v2 offset:816
	v_pk_mul_f32 v[20:21], v[38:39], v[20:21] op_sel:[1,0] op_sel_hi:[0,0]
	v_fmac_f32_e32 v61, v37, v40
	v_fma_f32 v60, v36, v40, -v3
	v_pk_add_f32 v[18:19], v[56:57], v[58:59]
	v_pk_fma_f32 v[22:23], v[38:39], v[42:43], v[20:21] neg_lo:[0,0,1] neg_hi:[0,0,1]
	v_pk_fma_f32 v[20:21], v[38:39], v[42:43], v[20:21] op_sel_hi:[1,0,1]
	v_pk_add_f32 v[18:19], v[18:19], v[60:61]
	v_mov_b32_e32 v23, v21
	v_pk_add_f32 v[18:19], v[18:19], v[22:23]
	s_waitcnt vmcnt(3) lgkmcnt(3)
	v_pk_mul_f32 v[20:21], v[4:5], v[44:45] op_sel:[1,1] op_sel_hi:[0,1]
	v_pk_fma_f32 v[22:23], v[4:5], v[44:45], v[20:21] neg_lo:[0,0,1] neg_hi:[0,0,1]
	v_pk_fma_f32 v[4:5], v[4:5], v[44:45], v[20:21] op_sel_hi:[1,0,1]
	s_nop 0
	v_mov_b32_e32 v23, v5
	v_pk_add_f32 v[4:5], v[18:19], v[22:23]
	v_mov_b32_e32 v18, v47
	v_pk_mul_f32 v[18:19], v[6:7], v[18:19] op_sel:[1,0] op_sel_hi:[0,0]
	v_pk_fma_f32 v[20:21], v[6:7], v[46:47], v[18:19] neg_lo:[0,0,1] neg_hi:[0,0,1]
	v_pk_fma_f32 v[6:7], v[6:7], v[46:47], v[18:19] op_sel_hi:[1,0,1]
	s_nop 0
	v_mov_b32_e32 v21, v7
	s_waitcnt vmcnt(2) lgkmcnt(2)
	v_pk_mul_f32 v[6:7], v[8:9], v[48:49] op_sel:[1,1] op_sel_hi:[0,1]
	v_pk_fma_f32 v[18:19], v[8:9], v[48:49], v[6:7] neg_lo:[0,0,1] neg_hi:[0,0,1]
	v_pk_fma_f32 v[6:7], v[8:9], v[48:49], v[6:7] op_sel_hi:[1,0,1]
	v_pk_add_f32 v[4:5], v[4:5], v[20:21]
	v_mov_b32_e32 v6, v51
	v_mov_b32_e32 v19, v7
	v_pk_mul_f32 v[6:7], v[10:11], v[6:7] op_sel:[1,0] op_sel_hi:[0,0]
	v_pk_fma_f32 v[8:9], v[10:11], v[50:51], v[6:7] neg_lo:[0,0,1] neg_hi:[0,0,1]
	v_pk_fma_f32 v[6:7], v[10:11], v[50:51], v[6:7] op_sel_hi:[1,0,1]
	v_pk_add_f32 v[4:5], v[4:5], v[18:19]
	v_mov_b32_e32 v9, v7
	s_waitcnt vmcnt(1) lgkmcnt(1)
	v_pk_mul_f32 v[6:7], v[12:13], v[52:53] op_sel:[1,1] op_sel_hi:[0,1]
	v_pk_add_f32 v[4:5], v[4:5], v[8:9]
	v_pk_fma_f32 v[8:9], v[12:13], v[52:53], v[6:7] neg_lo:[0,0,1] neg_hi:[0,0,1]
	v_pk_fma_f32 v[6:7], v[12:13], v[52:53], v[6:7] op_sel_hi:[1,0,1]
	s_nop 0
	v_mov_b32_e32 v6, v55
	v_mov_b32_e32 v9, v7
	v_pk_mul_f32 v[6:7], v[14:15], v[6:7] op_sel:[1,0] op_sel_hi:[0,0]
	v_pk_add_f32 v[4:5], v[4:5], v[8:9]
	v_pk_fma_f32 v[8:9], v[14:15], v[54:55], v[6:7] neg_lo:[0,0,1] neg_hi:[0,0,1]
	v_pk_fma_f32 v[6:7], v[14:15], v[54:55], v[6:7] op_sel_hi:[1,0,1]
	s_nop 0
	v_mov_b32_e32 v9, v7
	s_waitcnt vmcnt(0) lgkmcnt(0)
	v_pk_mul_f32 v[6:7], v[16:17], v[62:63] op_sel:[1,1] op_sel_hi:[0,1]
	v_pk_add_f32 v[4:5], v[4:5], v[8:9]
	v_pk_fma_f32 v[8:9], v[16:17], v[62:63], v[6:7] neg_lo:[0,0,1] neg_hi:[0,0,1]
	v_pk_fma_f32 v[6:7], v[16:17], v[62:63], v[6:7] op_sel_hi:[1,0,1]
	s_nop 0
	v_mov_b32_e32 v9, v7
	scratch_load_dwordx2 v[6:7], off, off offset:264
	v_pk_add_f32 v[4:5], v[4:5], v[8:9]
	s_waitcnt vmcnt(0)
	v_pk_add_f32 v[4:5], v[6:7], v[4:5] neg_lo:[0,1] neg_hi:[0,1]
	scratch_store_dwordx2 off, v[4:5], off offset:264
	s_and_saveexec_b64 s[0:1], vcc
	s_cbranch_execz .LBB114_255
; %bb.254:
	scratch_load_dwordx2 v[4:5], off, off offset:256
	v_mov_b32_e32 v3, v2
	scratch_store_dwordx2 off, v[2:3], off offset:256
	s_waitcnt vmcnt(1)
	ds_write_b64 v1, v[4:5]
.LBB114_255:
	s_or_b64 exec, exec, s[0:1]
	s_waitcnt lgkmcnt(0)
	; wave barrier
	scratch_load_dwordx4 v[8:11], off, off offset:264
	scratch_load_dwordx4 v[16:19], off, off offset:280
	;; [unrolled: 1-line block ×4, first 2 shown]
	ds_read2_b64 v[4:7], v2 offset0:85 offset1:86
	scratch_load_dwordx4 v[40:43], off, off offset:328
	v_cmp_lt_u32_e32 vcc, 31, v0
	s_waitcnt vmcnt(4) lgkmcnt(0)
	v_mul_f32_e32 v3, v4, v9
	v_fmac_f32_e32 v3, v5, v8
	v_mul_f32_e32 v12, v6, v11
	v_add_f32_e32 v3, 0, v3
	v_fmac_f32_e32 v12, v7, v10
	v_add_f32_e32 v3, v3, v12
	ds_read2_b64 v[12:15], v2 offset0:87 offset1:88
	s_waitcnt vmcnt(3) lgkmcnt(0)
	v_mul_f32_e32 v20, v12, v17
	v_fmac_f32_e32 v20, v13, v16
	v_add_f32_e32 v3, v3, v20
	v_mul_f32_e32 v20, v14, v19
	v_fmac_f32_e32 v20, v15, v18
	v_add_f32_e32 v3, v3, v20
	ds_read2_b64 v[20:23], v2 offset0:89 offset1:90
	s_waitcnt vmcnt(2) lgkmcnt(0)
	v_mul_f32_e32 v28, v20, v25
	v_fmac_f32_e32 v28, v21, v24
	v_add_f32_e32 v3, v3, v28
	v_mul_f32_e32 v28, v22, v27
	;; [unrolled: 8-line block ×3, first 2 shown]
	v_fmac_f32_e32 v36, v31, v34
	v_add_f32_e32 v61, v3, v36
	ds_read2_b64 v[36:39], v2 offset0:93 offset1:94
	scratch_load_dwordx4 v[44:47], off, off offset:344
	scratch_load_dwordx4 v[48:51], off, off offset:360
	;; [unrolled: 1-line block ×4, first 2 shown]
	v_mul_f32_e32 v3, v5, v9
	v_fma_f32 v3, v4, v8, -v3
	v_mul_f32_e32 v4, v7, v11
	v_add_f32_e32 v3, 0, v3
	v_fma_f32 v4, v6, v10, -v4
	v_add_f32_e32 v3, v3, v4
	v_mul_f32_e32 v4, v13, v17
	v_fma_f32 v4, v12, v16, -v4
	v_add_f32_e32 v3, v3, v4
	v_mul_f32_e32 v4, v15, v19
	;; [unrolled: 3-line block ×6, first 2 shown]
	v_fma_f32 v4, v30, v34, -v4
	v_add_f32_e32 v60, v3, v4
	ds_read2_b64 v[4:7], v2 offset0:95 offset1:96
	ds_read2_b64 v[8:11], v2 offset0:97 offset1:98
	;; [unrolled: 1-line block ×4, first 2 shown]
	s_waitcnt vmcnt(4) lgkmcnt(4)
	v_mul_f32_e32 v63, v36, v41
	v_mul_f32_e32 v3, v37, v41
	v_fmac_f32_e32 v63, v37, v40
	v_mul_f32_e32 v65, v38, v43
	v_fma_f32 v62, v36, v40, -v3
	v_mul_f32_e32 v3, v39, v43
	v_fmac_f32_e32 v65, v39, v42
	v_fma_f32 v64, v38, v42, -v3
	v_pk_add_f32 v[2:3], v[60:61], v[62:63]
	s_waitcnt vmcnt(3) lgkmcnt(3)
	v_pk_mul_f32 v[20:21], v[4:5], v[44:45] op_sel:[1,1] op_sel_hi:[0,1]
	v_pk_fma_f32 v[22:23], v[4:5], v[44:45], v[20:21] neg_lo:[0,0,1] neg_hi:[0,0,1]
	v_pk_fma_f32 v[4:5], v[4:5], v[44:45], v[20:21] op_sel_hi:[1,0,1]
	v_pk_add_f32 v[2:3], v[2:3], v[64:65]
	v_mov_b32_e32 v4, v47
	v_mov_b32_e32 v23, v5
	v_pk_mul_f32 v[4:5], v[6:7], v[4:5] op_sel:[1,0] op_sel_hi:[0,0]
	v_pk_fma_f32 v[20:21], v[6:7], v[46:47], v[4:5] neg_lo:[0,0,1] neg_hi:[0,0,1]
	v_pk_fma_f32 v[4:5], v[6:7], v[46:47], v[4:5] op_sel_hi:[1,0,1]
	v_pk_add_f32 v[2:3], v[2:3], v[22:23]
	v_mov_b32_e32 v21, v5
	s_waitcnt vmcnt(2) lgkmcnt(2)
	v_pk_mul_f32 v[4:5], v[8:9], v[48:49] op_sel:[1,1] op_sel_hi:[0,1]
	v_pk_fma_f32 v[6:7], v[8:9], v[48:49], v[4:5] neg_lo:[0,0,1] neg_hi:[0,0,1]
	v_pk_fma_f32 v[4:5], v[8:9], v[48:49], v[4:5] op_sel_hi:[1,0,1]
	v_pk_add_f32 v[2:3], v[2:3], v[20:21]
	v_mov_b32_e32 v4, v51
	v_mov_b32_e32 v7, v5
	v_pk_mul_f32 v[4:5], v[10:11], v[4:5] op_sel:[1,0] op_sel_hi:[0,0]
	v_pk_add_f32 v[2:3], v[2:3], v[6:7]
	v_pk_fma_f32 v[6:7], v[10:11], v[50:51], v[4:5] neg_lo:[0,0,1] neg_hi:[0,0,1]
	v_pk_fma_f32 v[4:5], v[10:11], v[50:51], v[4:5] op_sel_hi:[1,0,1]
	s_nop 0
	v_mov_b32_e32 v7, v5
	s_waitcnt vmcnt(1) lgkmcnt(1)
	v_pk_mul_f32 v[4:5], v[12:13], v[52:53] op_sel:[1,1] op_sel_hi:[0,1]
	v_pk_add_f32 v[2:3], v[2:3], v[6:7]
	v_pk_fma_f32 v[6:7], v[12:13], v[52:53], v[4:5] neg_lo:[0,0,1] neg_hi:[0,0,1]
	v_pk_fma_f32 v[4:5], v[12:13], v[52:53], v[4:5] op_sel_hi:[1,0,1]
	s_nop 0
	v_mov_b32_e32 v4, v55
	v_mov_b32_e32 v7, v5
	v_pk_mul_f32 v[4:5], v[14:15], v[4:5] op_sel:[1,0] op_sel_hi:[0,0]
	v_pk_add_f32 v[2:3], v[2:3], v[6:7]
	v_pk_fma_f32 v[6:7], v[14:15], v[54:55], v[4:5] neg_lo:[0,0,1] neg_hi:[0,0,1]
	v_pk_fma_f32 v[4:5], v[14:15], v[54:55], v[4:5] op_sel_hi:[1,0,1]
	s_nop 0
	v_mov_b32_e32 v7, v5
	s_waitcnt vmcnt(0) lgkmcnt(0)
	v_pk_mul_f32 v[4:5], v[16:17], v[56:57] op_sel:[1,1] op_sel_hi:[0,1]
	v_pk_add_f32 v[2:3], v[2:3], v[6:7]
	v_pk_fma_f32 v[6:7], v[16:17], v[56:57], v[4:5] neg_lo:[0,0,1] neg_hi:[0,0,1]
	v_pk_fma_f32 v[4:5], v[16:17], v[56:57], v[4:5] op_sel_hi:[1,0,1]
	s_nop 0
	v_mov_b32_e32 v4, v59
	v_mov_b32_e32 v7, v5
	v_pk_mul_f32 v[4:5], v[18:19], v[4:5] op_sel:[1,0] op_sel_hi:[0,0]
	v_pk_add_f32 v[2:3], v[2:3], v[6:7]
	v_pk_fma_f32 v[6:7], v[18:19], v[58:59], v[4:5] neg_lo:[0,0,1] neg_hi:[0,0,1]
	v_pk_fma_f32 v[4:5], v[18:19], v[58:59], v[4:5] op_sel_hi:[1,0,1]
	s_nop 0
	v_mov_b32_e32 v7, v5
	scratch_load_dwordx2 v[4:5], off, off offset:256
	v_pk_add_f32 v[2:3], v[2:3], v[6:7]
	s_waitcnt vmcnt(0)
	v_pk_add_f32 v[2:3], v[4:5], v[2:3] neg_lo:[0,1] neg_hi:[0,1]
	scratch_store_dwordx2 off, v[2:3], off offset:256
	s_and_saveexec_b64 s[0:1], vcc
	s_cbranch_execz .LBB114_257
; %bb.256:
	scratch_load_dwordx2 v[2:3], off, off offset:248
	v_mov_b32_e32 v4, 0
	v_mov_b32_e32 v5, v4
	scratch_store_dwordx2 off, v[4:5], off offset:248
	s_waitcnt vmcnt(1)
	ds_write_b64 v1, v[2:3]
.LBB114_257:
	s_or_b64 exec, exec, s[0:1]
	s_waitcnt lgkmcnt(0)
	; wave barrier
	scratch_load_dwordx4 v[4:7], off, off offset:256
	scratch_load_dwordx4 v[8:11], off, off offset:272
	;; [unrolled: 1-line block ×9, first 2 shown]
	scratch_load_dwordx2 v[76:77], off, off offset:400
	scratch_load_dwordx2 v[78:79], off, off offset:248
	v_mov_b32_e32 v2, 0
	ds_read_b128 v[40:43], v2 offset:672
	ds_read_b128 v[44:47], v2 offset:688
	;; [unrolled: 1-line block ×9, first 2 shown]
	ds_read_b64 v[80:81], v2 offset:816
	v_cmp_lt_u32_e32 vcc, 30, v0
	s_waitcnt vmcnt(10) lgkmcnt(9)
	v_mul_f32_e32 v87, v42, v7
	v_mul_f32_e32 v3, v40, v5
	v_mul_f32_e32 v5, v41, v5
	v_fmac_f32_e32 v87, v43, v6
	s_waitcnt vmcnt(9) lgkmcnt(8)
	v_mul_f32_e32 v88, v44, v9
	s_waitcnt vmcnt(5)
	v_mov_b32_e32 v86, v27
	v_mul_f32_e32 v89, v46, v11
	s_waitcnt lgkmcnt(7)
	v_mul_f32_e32 v91, v50, v15
	v_mul_f32_e32 v7, v43, v7
	;; [unrolled: 1-line block ×5, first 2 shown]
	v_fmac_f32_e32 v3, v41, v4
	v_fma_f32 v40, v40, v4, -v5
	s_waitcnt lgkmcnt(4)
	v_pk_mul_f32 v[4:5], v[62:63], v[86:87] op_sel:[1,0] op_sel_hi:[0,0]
	v_fmac_f32_e32 v88, v45, v8
	v_fma_f32 v41, v42, v6, -v7
	v_fma_f32 v8, v44, v8, -v9
	;; [unrolled: 1-line block ×4, first 2 shown]
	v_add_f32_e32 v3, 0, v3
	v_add_f32_e32 v15, 0, v40
	v_pk_fma_f32 v[6:7], v[62:63], v[26:27], v[4:5] neg_lo:[0,0,1] neg_hi:[0,0,1]
	v_pk_fma_f32 v[4:5], v[62:63], v[26:27], v[4:5] op_sel_hi:[1,0,1]
	v_add_f32_e32 v3, v3, v87
	v_add_f32_e32 v4, v15, v41
	v_mul_f32_e32 v90, v48, v13
	v_mul_f32_e32 v13, v49, v13
	v_fmac_f32_e32 v89, v47, v10
	v_add_f32_e32 v3, v3, v88
	v_add_f32_e32 v4, v4, v8
	v_fmac_f32_e32 v90, v49, v12
	v_fma_f32 v10, v48, v12, -v13
	v_add_f32_e32 v3, v3, v89
	v_add_f32_e32 v4, v4, v9
	v_mul_f32_e32 v92, v52, v17
	v_mul_f32_e32 v17, v53, v17
	v_fmac_f32_e32 v91, v51, v14
	v_add_f32_e32 v3, v3, v90
	v_add_f32_e32 v4, v4, v10
	v_mul_f32_e32 v93, v54, v19
	v_mul_f32_e32 v19, v55, v19
	v_fmac_f32_e32 v92, v53, v16
	v_fma_f32 v12, v52, v16, -v17
	v_add_f32_e32 v3, v3, v91
	v_add_f32_e32 v4, v4, v11
	v_mul_f32_e32 v94, v56, v21
	v_mul_f32_e32 v21, v57, v21
	v_fmac_f32_e32 v93, v55, v18
	v_fma_f32 v13, v54, v18, -v19
	;; [unrolled: 6-line block ×4, first 2 shown]
	v_mov_b32_e32 v7, v5
	v_add_f32_e32 v5, v3, v94
	v_add_f32_e32 v4, v4, v14
	v_fmac_f32_e32 v85, v61, v24
	v_fma_f32 v84, v60, v24, -v25
	v_pk_add_f32 v[4:5], v[4:5], v[82:83]
	s_nop 0
	v_pk_add_f32 v[4:5], v[4:5], v[84:85]
	s_nop 0
	v_pk_add_f32 v[4:5], v[4:5], v[6:7]
	s_waitcnt vmcnt(4) lgkmcnt(3)
	v_pk_mul_f32 v[6:7], v[64:65], v[28:29] op_sel:[1,1] op_sel_hi:[0,1]
	v_pk_fma_f32 v[8:9], v[64:65], v[28:29], v[6:7] neg_lo:[0,0,1] neg_hi:[0,0,1]
	v_pk_fma_f32 v[6:7], v[64:65], v[28:29], v[6:7] op_sel_hi:[1,0,1]
	s_nop 0
	v_mov_b32_e32 v6, v31
	v_mov_b32_e32 v9, v7
	v_pk_mul_f32 v[6:7], v[66:67], v[6:7] op_sel:[1,0] op_sel_hi:[0,0]
	v_pk_add_f32 v[4:5], v[4:5], v[8:9]
	v_pk_fma_f32 v[8:9], v[66:67], v[30:31], v[6:7] neg_lo:[0,0,1] neg_hi:[0,0,1]
	v_pk_fma_f32 v[6:7], v[66:67], v[30:31], v[6:7] op_sel_hi:[1,0,1]
	s_nop 0
	v_mov_b32_e32 v9, v7
	s_waitcnt vmcnt(3) lgkmcnt(2)
	v_pk_mul_f32 v[6:7], v[68:69], v[32:33] op_sel:[1,1] op_sel_hi:[0,1]
	v_pk_add_f32 v[4:5], v[4:5], v[8:9]
	v_pk_fma_f32 v[8:9], v[68:69], v[32:33], v[6:7] neg_lo:[0,0,1] neg_hi:[0,0,1]
	v_pk_fma_f32 v[6:7], v[68:69], v[32:33], v[6:7] op_sel_hi:[1,0,1]
	s_nop 0
	v_mov_b32_e32 v6, v35
	v_mov_b32_e32 v9, v7
	v_pk_mul_f32 v[6:7], v[70:71], v[6:7] op_sel:[1,0] op_sel_hi:[0,0]
	v_pk_add_f32 v[4:5], v[4:5], v[8:9]
	v_pk_fma_f32 v[8:9], v[70:71], v[34:35], v[6:7] neg_lo:[0,0,1] neg_hi:[0,0,1]
	v_pk_fma_f32 v[6:7], v[70:71], v[34:35], v[6:7] op_sel_hi:[1,0,1]
	s_nop 0
	v_mov_b32_e32 v9, v7
	s_waitcnt vmcnt(2) lgkmcnt(1)
	v_pk_mul_f32 v[6:7], v[72:73], v[36:37] op_sel:[1,1] op_sel_hi:[0,1]
	v_pk_add_f32 v[4:5], v[4:5], v[8:9]
	;; [unrolled: 14-line block ×3, first 2 shown]
	v_pk_fma_f32 v[8:9], v[80:81], v[76:77], v[6:7] neg_lo:[0,0,1] neg_hi:[0,0,1]
	v_pk_fma_f32 v[6:7], v[80:81], v[76:77], v[6:7] op_sel_hi:[1,0,1]
	s_nop 0
	v_mov_b32_e32 v9, v7
	v_pk_add_f32 v[4:5], v[4:5], v[8:9]
	s_waitcnt vmcnt(0)
	v_pk_add_f32 v[4:5], v[78:79], v[4:5] neg_lo:[0,1] neg_hi:[0,1]
	scratch_store_dwordx2 off, v[4:5], off offset:248
	s_and_saveexec_b64 s[0:1], vcc
	s_cbranch_execz .LBB114_259
; %bb.258:
	scratch_load_dwordx2 v[4:5], off, off offset:240
	v_mov_b32_e32 v3, v2
	scratch_store_dwordx2 off, v[2:3], off offset:240
	s_waitcnt vmcnt(1)
	ds_write_b64 v1, v[4:5]
.LBB114_259:
	s_or_b64 exec, exec, s[0:1]
	s_waitcnt lgkmcnt(0)
	; wave barrier
	scratch_load_dwordx4 v[4:7], off, off offset:248
	scratch_load_dwordx4 v[8:11], off, off offset:264
	;; [unrolled: 1-line block ×7, first 2 shown]
	ds_read2_b64 v[32:35], v2 offset0:83 offset1:84
	ds_read2_b64 v[36:39], v2 offset0:85 offset1:86
	;; [unrolled: 1-line block ×6, first 2 shown]
	scratch_load_dwordx4 v[56:59], off, off offset:360
	scratch_load_dwordx4 v[60:63], off, off offset:376
	;; [unrolled: 1-line block ×3, first 2 shown]
	ds_read2_b64 v[68:71], v2 offset0:95 offset1:96
	ds_read2_b64 v[72:75], v2 offset0:97 offset1:98
	ds_read2_b64 v[76:79], v2 offset0:99 offset1:100
	ds_read2_b64 v[80:83], v2 offset0:101 offset1:102
	scratch_load_dwordx2 v[2:3], off, off offset:240
	v_cmp_lt_u32_e32 vcc, 29, v0
	s_waitcnt vmcnt(10) lgkmcnt(9)
	v_mul_f32_e32 v90, v32, v5
	v_mul_f32_e32 v5, v33, v5
	;; [unrolled: 1-line block ×3, first 2 shown]
	s_waitcnt vmcnt(9) lgkmcnt(8)
	v_mul_f32_e32 v92, v36, v9
	s_waitcnt vmcnt(8) lgkmcnt(7)
	v_mul_f32_e32 v95, v42, v15
	v_mul_f32_e32 v7, v35, v7
	;; [unrolled: 1-line block ×4, first 2 shown]
	v_fmac_f32_e32 v90, v33, v4
	v_fma_f32 v4, v32, v4, -v5
	v_fmac_f32_e32 v91, v35, v6
	v_fmac_f32_e32 v95, v43, v14
	v_fma_f32 v5, v34, v6, -v7
	v_fma_f32 v6, v36, v8, -v9
	;; [unrolled: 1-line block ×3, first 2 shown]
	v_add_f32_e32 v14, 0, v90
	v_add_f32_e32 v4, 0, v4
	v_mul_f32_e32 v93, v38, v11
	v_mul_f32_e32 v11, v39, v11
	v_fmac_f32_e32 v92, v37, v8
	v_add_f32_e32 v14, v14, v91
	v_add_f32_e32 v4, v4, v5
	v_mul_f32_e32 v94, v40, v13
	v_mul_f32_e32 v13, v41, v13
	v_fmac_f32_e32 v93, v39, v10
	v_fma_f32 v7, v38, v10, -v11
	v_add_f32_e32 v5, v14, v92
	v_add_f32_e32 v4, v4, v6
	v_fmac_f32_e32 v94, v41, v12
	v_fma_f32 v8, v40, v12, -v13
	v_add_f32_e32 v5, v5, v93
	v_add_f32_e32 v4, v4, v7
	s_waitcnt vmcnt(7) lgkmcnt(6)
	v_mul_f32_e32 v96, v44, v17
	v_mul_f32_e32 v17, v45, v17
	v_add_f32_e32 v5, v5, v94
	v_add_f32_e32 v4, v4, v8
	v_mul_f32_e32 v97, v46, v19
	v_mul_f32_e32 v19, v47, v19
	v_fmac_f32_e32 v96, v45, v16
	v_fma_f32 v10, v44, v16, -v17
	v_add_f32_e32 v5, v5, v95
	v_add_f32_e32 v4, v4, v9
	s_waitcnt vmcnt(6) lgkmcnt(5)
	v_mul_f32_e32 v98, v48, v21
	v_mul_f32_e32 v21, v49, v21
	v_fmac_f32_e32 v97, v47, v18
	v_fma_f32 v11, v46, v18, -v19
	v_add_f32_e32 v5, v5, v96
	v_add_f32_e32 v4, v4, v10
	v_mul_f32_e32 v99, v50, v23
	v_mul_f32_e32 v23, v51, v23
	v_fmac_f32_e32 v98, v49, v20
	v_fma_f32 v12, v48, v20, -v21
	v_add_f32_e32 v5, v5, v97
	v_add_f32_e32 v4, v4, v11
	s_waitcnt vmcnt(5) lgkmcnt(4)
	v_mul_f32_e32 v85, v52, v25
	v_mul_f32_e32 v25, v53, v25
	v_fmac_f32_e32 v99, v51, v22
	v_fma_f32 v13, v50, v22, -v23
	v_add_f32_e32 v5, v5, v98
	v_add_f32_e32 v4, v4, v12
	v_mul_f32_e32 v87, v54, v27
	v_mul_f32_e32 v27, v55, v27
	s_waitcnt vmcnt(4) lgkmcnt(3)
	v_pk_mul_f32 v[88:89], v[68:69], v[28:29] op_sel:[1,1] op_sel_hi:[0,1]
	v_fmac_f32_e32 v85, v53, v24
	v_fma_f32 v84, v52, v24, -v25
	v_add_f32_e32 v5, v5, v99
	v_add_f32_e32 v4, v4, v13
	v_fmac_f32_e32 v87, v55, v26
	v_fma_f32 v86, v54, v26, -v27
	v_pk_add_f32 v[4:5], v[4:5], v[84:85]
	v_pk_fma_f32 v[6:7], v[68:69], v[28:29], v[88:89] neg_lo:[0,0,1] neg_hi:[0,0,1]
	v_pk_fma_f32 v[8:9], v[68:69], v[28:29], v[88:89] op_sel_hi:[1,0,1]
	v_pk_add_f32 v[4:5], v[4:5], v[86:87]
	v_mov_b32_e32 v7, v9
	v_pk_add_f32 v[4:5], v[4:5], v[6:7]
	v_mov_b32_e32 v6, v31
	v_pk_mul_f32 v[6:7], v[70:71], v[6:7] op_sel:[1,0] op_sel_hi:[0,0]
	v_pk_fma_f32 v[8:9], v[70:71], v[30:31], v[6:7] neg_lo:[0,0,1] neg_hi:[0,0,1]
	v_pk_fma_f32 v[6:7], v[70:71], v[30:31], v[6:7] op_sel_hi:[1,0,1]
	s_nop 0
	v_mov_b32_e32 v9, v7
	s_waitcnt vmcnt(3) lgkmcnt(2)
	v_pk_mul_f32 v[6:7], v[72:73], v[56:57] op_sel:[1,1] op_sel_hi:[0,1]
	v_pk_add_f32 v[4:5], v[4:5], v[8:9]
	v_pk_fma_f32 v[8:9], v[72:73], v[56:57], v[6:7] neg_lo:[0,0,1] neg_hi:[0,0,1]
	v_pk_fma_f32 v[6:7], v[72:73], v[56:57], v[6:7] op_sel_hi:[1,0,1]
	s_nop 0
	v_mov_b32_e32 v6, v59
	v_mov_b32_e32 v9, v7
	v_pk_mul_f32 v[6:7], v[74:75], v[6:7] op_sel:[1,0] op_sel_hi:[0,0]
	v_pk_add_f32 v[4:5], v[4:5], v[8:9]
	v_pk_fma_f32 v[8:9], v[74:75], v[58:59], v[6:7] neg_lo:[0,0,1] neg_hi:[0,0,1]
	v_pk_fma_f32 v[6:7], v[74:75], v[58:59], v[6:7] op_sel_hi:[1,0,1]
	s_nop 0
	v_mov_b32_e32 v9, v7
	s_waitcnt vmcnt(2) lgkmcnt(1)
	v_pk_mul_f32 v[6:7], v[76:77], v[60:61] op_sel:[1,1] op_sel_hi:[0,1]
	v_pk_add_f32 v[4:5], v[4:5], v[8:9]
	v_pk_fma_f32 v[8:9], v[76:77], v[60:61], v[6:7] neg_lo:[0,0,1] neg_hi:[0,0,1]
	v_pk_fma_f32 v[6:7], v[76:77], v[60:61], v[6:7] op_sel_hi:[1,0,1]
	s_nop 0
	v_mov_b32_e32 v6, v63
	v_mov_b32_e32 v9, v7
	v_pk_mul_f32 v[6:7], v[78:79], v[6:7] op_sel:[1,0] op_sel_hi:[0,0]
	v_pk_add_f32 v[4:5], v[4:5], v[8:9]
	;; [unrolled: 14-line block ×3, first 2 shown]
	v_pk_fma_f32 v[8:9], v[82:83], v[66:67], v[6:7] neg_lo:[0,0,1] neg_hi:[0,0,1]
	v_pk_fma_f32 v[6:7], v[82:83], v[66:67], v[6:7] op_sel_hi:[1,0,1]
	s_nop 0
	v_mov_b32_e32 v9, v7
	v_pk_add_f32 v[4:5], v[4:5], v[8:9]
	s_waitcnt vmcnt(0)
	v_pk_add_f32 v[2:3], v[2:3], v[4:5] neg_lo:[0,1] neg_hi:[0,1]
	scratch_store_dwordx2 off, v[2:3], off offset:240
	s_and_saveexec_b64 s[0:1], vcc
	s_cbranch_execz .LBB114_261
; %bb.260:
	scratch_load_dwordx2 v[2:3], off, off offset:232
	v_mov_b32_e32 v4, 0
	v_mov_b32_e32 v5, v4
	scratch_store_dwordx2 off, v[4:5], off offset:232
	s_waitcnt vmcnt(1)
	ds_write_b64 v1, v[2:3]
.LBB114_261:
	s_or_b64 exec, exec, s[0:1]
	s_waitcnt lgkmcnt(0)
	; wave barrier
	scratch_load_dwordx4 v[2:5], off, off offset:240
	scratch_load_dwordx4 v[6:9], off, off offset:256
	;; [unrolled: 1-line block ×10, first 2 shown]
	scratch_load_dwordx2 v[76:77], off, off offset:400
	scratch_load_dwordx2 v[78:79], off, off offset:232
	v_mov_b32_e32 v10, 0
	ds_read_b128 v[44:47], v10 offset:656
	ds_read_b128 v[48:51], v10 offset:672
	;; [unrolled: 1-line block ×8, first 2 shown]
	v_cmp_lt_u32_e32 vcc, 28, v0
	s_waitcnt vmcnt(11) lgkmcnt(7)
	v_mul_f32_e32 v11, v44, v3
	v_mul_f32_e32 v3, v45, v3
	;; [unrolled: 1-line block ×4, first 2 shown]
	v_fmac_f32_e32 v11, v45, v2
	v_fma_f32 v2, v44, v2, -v3
	s_waitcnt vmcnt(10) lgkmcnt(6)
	v_mul_f32_e32 v82, v48, v7
	v_mul_f32_e32 v7, v49, v7
	v_fma_f32 v3, v46, v4, -v5
	v_add_f32_e32 v2, 0, v2
	v_mul_f32_e32 v84, v50, v9
	v_mul_f32_e32 v9, v51, v9
	v_fmac_f32_e32 v80, v47, v4
	v_fma_f32 v4, v48, v6, -v7
	v_add_f32_e32 v11, 0, v11
	v_add_f32_e32 v2, v2, v3
	s_waitcnt vmcnt(9) lgkmcnt(5)
	v_mul_f32_e32 v85, v52, v13
	v_mul_f32_e32 v13, v53, v13
	v_fmac_f32_e32 v82, v49, v6
	v_fma_f32 v5, v50, v8, -v9
	v_add_f32_e32 v11, v11, v80
	v_add_f32_e32 v2, v2, v4
	v_mul_f32_e32 v86, v54, v15
	v_mul_f32_e32 v15, v55, v15
	v_fmac_f32_e32 v84, v51, v8
	v_fma_f32 v6, v52, v12, -v13
	v_add_f32_e32 v3, v11, v82
	v_add_f32_e32 v2, v2, v5
	s_waitcnt vmcnt(8) lgkmcnt(4)
	v_mul_f32_e32 v87, v56, v17
	v_mul_f32_e32 v17, v57, v17
	v_fmac_f32_e32 v85, v53, v12
	v_fma_f32 v7, v54, v14, -v15
	v_add_f32_e32 v3, v3, v84
	;; [unrolled: 13-line block ×4, first 2 shown]
	v_add_f32_e32 v2, v2, v12
	v_fmac_f32_e32 v90, v63, v22
	v_fma_f32 v14, v64, v24, -v25
	v_add_f32_e32 v3, v3, v89
	v_add_f32_e32 v2, v2, v13
	v_mul_f32_e32 v81, v66, v27
	v_fmac_f32_e32 v91, v65, v24
	v_add_f32_e32 v3, v3, v90
	v_add_f32_e32 v12, v2, v14
	v_mul_f32_e32 v2, v67, v27
	s_waitcnt vmcnt(5)
	v_mov_b32_e32 v16, v31
	s_waitcnt lgkmcnt(1)
	v_mul_f32_e32 v83, v68, v29
	v_fmac_f32_e32 v81, v67, v26
	v_add_f32_e32 v13, v3, v91
	v_fma_f32 v80, v66, v26, -v2
	v_mul_f32_e32 v2, v69, v29
	v_pk_mul_f32 v[16:17], v[70:71], v[16:17] op_sel:[1,0] op_sel_hi:[0,0]
	v_fmac_f32_e32 v83, v69, v28
	v_fma_f32 v82, v68, v28, -v2
	v_pk_add_f32 v[12:13], v[12:13], v[80:81]
	v_pk_fma_f32 v[18:19], v[70:71], v[30:31], v[16:17] neg_lo:[0,0,1] neg_hi:[0,0,1]
	v_pk_fma_f32 v[16:17], v[70:71], v[30:31], v[16:17] op_sel_hi:[1,0,1]
	v_pk_add_f32 v[12:13], v[12:13], v[82:83]
	v_mov_b32_e32 v19, v17
	s_waitcnt vmcnt(4) lgkmcnt(0)
	v_pk_mul_f32 v[16:17], v[72:73], v[32:33] op_sel:[1,1] op_sel_hi:[0,1]
	v_pk_add_f32 v[12:13], v[12:13], v[18:19]
	v_pk_fma_f32 v[18:19], v[72:73], v[32:33], v[16:17] neg_lo:[0,0,1] neg_hi:[0,0,1]
	v_pk_fma_f32 v[16:17], v[72:73], v[32:33], v[16:17] op_sel_hi:[1,0,1]
	ds_read_b128 v[2:5], v10 offset:784
	ds_read_b128 v[6:9], v10 offset:800
	ds_read_b64 v[14:15], v10 offset:816
	v_mov_b32_e32 v16, v35
	v_mov_b32_e32 v19, v17
	v_pk_mul_f32 v[16:17], v[74:75], v[16:17] op_sel:[1,0] op_sel_hi:[0,0]
	v_pk_add_f32 v[12:13], v[12:13], v[18:19]
	v_pk_fma_f32 v[18:19], v[74:75], v[34:35], v[16:17] neg_lo:[0,0,1] neg_hi:[0,0,1]
	v_pk_fma_f32 v[16:17], v[74:75], v[34:35], v[16:17] op_sel_hi:[1,0,1]
	s_nop 0
	v_mov_b32_e32 v19, v17
	s_waitcnt vmcnt(3) lgkmcnt(2)
	v_pk_mul_f32 v[16:17], v[2:3], v[36:37] op_sel:[1,1] op_sel_hi:[0,1]
	v_pk_add_f32 v[12:13], v[12:13], v[18:19]
	v_pk_fma_f32 v[18:19], v[2:3], v[36:37], v[16:17] neg_lo:[0,0,1] neg_hi:[0,0,1]
	v_pk_fma_f32 v[2:3], v[2:3], v[36:37], v[16:17] op_sel_hi:[1,0,1]
	s_nop 0
	v_mov_b32_e32 v19, v3
	v_pk_add_f32 v[2:3], v[12:13], v[18:19]
	v_mov_b32_e32 v12, v39
	v_pk_mul_f32 v[12:13], v[4:5], v[12:13] op_sel:[1,0] op_sel_hi:[0,0]
	v_pk_fma_f32 v[16:17], v[4:5], v[38:39], v[12:13] neg_lo:[0,0,1] neg_hi:[0,0,1]
	v_pk_fma_f32 v[4:5], v[4:5], v[38:39], v[12:13] op_sel_hi:[1,0,1]
	s_nop 0
	v_mov_b32_e32 v17, v5
	s_waitcnt vmcnt(2) lgkmcnt(1)
	v_pk_mul_f32 v[4:5], v[6:7], v[40:41] op_sel:[1,1] op_sel_hi:[0,1]
	v_pk_fma_f32 v[12:13], v[6:7], v[40:41], v[4:5] neg_lo:[0,0,1] neg_hi:[0,0,1]
	v_pk_fma_f32 v[4:5], v[6:7], v[40:41], v[4:5] op_sel_hi:[1,0,1]
	v_pk_add_f32 v[2:3], v[2:3], v[16:17]
	v_mov_b32_e32 v4, v43
	v_mov_b32_e32 v13, v5
	v_pk_mul_f32 v[4:5], v[8:9], v[4:5] op_sel:[1,0] op_sel_hi:[0,0]
	v_pk_fma_f32 v[6:7], v[8:9], v[42:43], v[4:5] neg_lo:[0,0,1] neg_hi:[0,0,1]
	v_pk_fma_f32 v[4:5], v[8:9], v[42:43], v[4:5] op_sel_hi:[1,0,1]
	v_pk_add_f32 v[2:3], v[2:3], v[12:13]
	v_mov_b32_e32 v7, v5
	s_waitcnt vmcnt(1) lgkmcnt(0)
	v_pk_mul_f32 v[4:5], v[14:15], v[76:77] op_sel:[1,1] op_sel_hi:[0,1]
	v_pk_add_f32 v[2:3], v[2:3], v[6:7]
	v_pk_fma_f32 v[6:7], v[14:15], v[76:77], v[4:5] neg_lo:[0,0,1] neg_hi:[0,0,1]
	v_pk_fma_f32 v[4:5], v[14:15], v[76:77], v[4:5] op_sel_hi:[1,0,1]
	s_nop 0
	v_mov_b32_e32 v7, v5
	v_pk_add_f32 v[2:3], v[2:3], v[6:7]
	s_waitcnt vmcnt(0)
	v_pk_add_f32 v[2:3], v[78:79], v[2:3] neg_lo:[0,1] neg_hi:[0,1]
	scratch_store_dwordx2 off, v[2:3], off offset:232
	s_and_saveexec_b64 s[0:1], vcc
	s_cbranch_execz .LBB114_263
; %bb.262:
	scratch_load_dwordx2 v[2:3], off, off offset:224
	v_mov_b32_e32 v11, v10
	scratch_store_dwordx2 off, v[10:11], off offset:224
	s_waitcnt vmcnt(1)
	ds_write_b64 v1, v[2:3]
.LBB114_263:
	s_or_b64 exec, exec, s[0:1]
	s_waitcnt lgkmcnt(0)
	; wave barrier
	scratch_load_dwordx4 v[6:9], off, off offset:232
	scratch_load_dwordx4 v[12:15], off, off offset:248
	;; [unrolled: 1-line block ×7, first 2 shown]
	ds_read2_b64 v[36:39], v10 offset0:81 offset1:82
	ds_read2_b64 v[40:43], v10 offset0:83 offset1:84
	;; [unrolled: 1-line block ×6, first 2 shown]
	scratch_load_dwordx4 v[60:63], off, off offset:344
	scratch_load_dwordx4 v[64:67], off, off offset:360
	;; [unrolled: 1-line block ×4, first 2 shown]
	ds_read2_b64 v[72:75], v10 offset0:93 offset1:94
	ds_read2_b64 v[76:79], v10 offset0:95 offset1:96
	scratch_load_dwordx2 v[80:81], off, off offset:224
	v_cmp_lt_u32_e32 vcc, 27, v0
	s_waitcnt vmcnt(11) lgkmcnt(7)
	v_mul_f32_e32 v11, v36, v7
	v_mul_f32_e32 v82, v38, v9
	;; [unrolled: 1-line block ×3, first 2 shown]
	v_fmac_f32_e32 v11, v37, v6
	s_waitcnt vmcnt(10) lgkmcnt(6)
	v_mul_f32_e32 v84, v40, v13
	v_mul_f32_e32 v9, v39, v9
	v_fmac_f32_e32 v82, v39, v8
	v_fma_f32 v6, v36, v6, -v7
	v_add_f32_e32 v11, 0, v11
	v_mul_f32_e32 v86, v42, v15
	v_fmac_f32_e32 v84, v41, v12
	v_fma_f32 v7, v38, v8, -v9
	v_add_f32_e32 v6, 0, v6
	v_add_f32_e32 v11, v11, v82
	s_waitcnt vmcnt(9) lgkmcnt(5)
	v_mul_f32_e32 v87, v44, v17
	v_mul_f32_e32 v13, v41, v13
	v_fmac_f32_e32 v86, v43, v14
	v_add_f32_e32 v6, v6, v7
	v_add_f32_e32 v7, v11, v84
	v_mul_f32_e32 v88, v46, v19
	v_mul_f32_e32 v15, v43, v15
	v_fmac_f32_e32 v87, v45, v16
	v_fma_f32 v8, v40, v12, -v13
	v_add_f32_e32 v7, v7, v86
	s_waitcnt vmcnt(8) lgkmcnt(4)
	v_mul_f32_e32 v89, v48, v21
	v_mul_f32_e32 v17, v45, v17
	v_fmac_f32_e32 v88, v47, v18
	v_fma_f32 v9, v42, v14, -v15
	v_add_f32_e32 v6, v6, v8
	v_add_f32_e32 v7, v7, v87
	v_mul_f32_e32 v90, v50, v23
	v_mul_f32_e32 v19, v47, v19
	v_fmac_f32_e32 v89, v49, v20
	v_fma_f32 v12, v44, v16, -v17
	v_add_f32_e32 v6, v6, v9
	v_add_f32_e32 v7, v7, v88
	s_waitcnt vmcnt(7) lgkmcnt(3)
	v_mul_f32_e32 v91, v52, v25
	v_mul_f32_e32 v21, v49, v21
	v_fmac_f32_e32 v90, v51, v22
	v_fma_f32 v13, v46, v18, -v19
	v_add_f32_e32 v6, v6, v12
	v_add_f32_e32 v7, v7, v89
	v_mul_f32_e32 v92, v54, v27
	v_mul_f32_e32 v23, v51, v23
	v_fmac_f32_e32 v91, v53, v24
	v_fma_f32 v14, v48, v20, -v21
	v_add_f32_e32 v6, v6, v13
	;; [unrolled: 13-line block ×3, first 2 shown]
	v_add_f32_e32 v7, v7, v92
	v_mul_f32_e32 v29, v57, v29
	v_fmac_f32_e32 v94, v59, v30
	v_fma_f32 v17, v54, v26, -v27
	v_add_f32_e32 v6, v6, v16
	v_add_f32_e32 v7, v7, v93
	v_fma_f32 v18, v56, v28, -v29
	v_add_f32_e32 v6, v6, v17
	v_add_f32_e32 v21, v7, v94
	v_mul_f32_e32 v7, v59, v31
	v_add_f32_e32 v6, v6, v18
	v_fma_f32 v7, v58, v30, -v7
	s_waitcnt vmcnt(5) lgkmcnt(1)
	v_mul_f32_e32 v83, v72, v33
	v_add_f32_e32 v20, v6, v7
	v_mul_f32_e32 v6, v73, v33
	v_fmac_f32_e32 v83, v73, v32
	v_fma_f32 v82, v72, v32, -v6
	v_mul_f32_e32 v6, v75, v35
	v_fma_f32 v84, v74, v34, -v6
	ds_read2_b64 v[6:9], v10 offset0:97 offset1:98
	ds_read2_b64 v[12:15], v10 offset0:99 offset1:100
	;; [unrolled: 1-line block ×3, first 2 shown]
	v_pk_add_f32 v[10:11], v[20:21], v[82:83]
	s_waitcnt vmcnt(4) lgkmcnt(3)
	v_pk_mul_f32 v[20:21], v[76:77], v[60:61] op_sel:[1,1] op_sel_hi:[0,1]
	v_mul_f32_e32 v85, v74, v35
	v_pk_fma_f32 v[22:23], v[76:77], v[60:61], v[20:21] neg_lo:[0,0,1] neg_hi:[0,0,1]
	v_pk_fma_f32 v[20:21], v[76:77], v[60:61], v[20:21] op_sel_hi:[1,0,1]
	v_fmac_f32_e32 v85, v75, v34
	v_mov_b32_e32 v20, v63
	v_pk_add_f32 v[10:11], v[10:11], v[84:85]
	v_mov_b32_e32 v23, v21
	v_pk_mul_f32 v[20:21], v[78:79], v[20:21] op_sel:[1,0] op_sel_hi:[0,0]
	v_pk_add_f32 v[10:11], v[10:11], v[22:23]
	v_pk_fma_f32 v[22:23], v[78:79], v[62:63], v[20:21] neg_lo:[0,0,1] neg_hi:[0,0,1]
	v_pk_fma_f32 v[20:21], v[78:79], v[62:63], v[20:21] op_sel_hi:[1,0,1]
	s_nop 0
	v_mov_b32_e32 v23, v21
	s_waitcnt vmcnt(3) lgkmcnt(2)
	v_pk_mul_f32 v[20:21], v[6:7], v[64:65] op_sel:[1,1] op_sel_hi:[0,1]
	v_pk_add_f32 v[10:11], v[10:11], v[22:23]
	v_pk_fma_f32 v[22:23], v[6:7], v[64:65], v[20:21] neg_lo:[0,0,1] neg_hi:[0,0,1]
	v_pk_fma_f32 v[6:7], v[6:7], v[64:65], v[20:21] op_sel_hi:[1,0,1]
	s_nop 0
	v_mov_b32_e32 v23, v7
	v_pk_add_f32 v[6:7], v[10:11], v[22:23]
	v_mov_b32_e32 v10, v67
	v_pk_mul_f32 v[10:11], v[8:9], v[10:11] op_sel:[1,0] op_sel_hi:[0,0]
	v_pk_fma_f32 v[20:21], v[8:9], v[66:67], v[10:11] neg_lo:[0,0,1] neg_hi:[0,0,1]
	v_pk_fma_f32 v[8:9], v[8:9], v[66:67], v[10:11] op_sel_hi:[1,0,1]
	s_nop 0
	v_mov_b32_e32 v21, v9
	s_waitcnt vmcnt(2) lgkmcnt(1)
	v_pk_mul_f32 v[8:9], v[12:13], v[68:69] op_sel:[1,1] op_sel_hi:[0,1]
	v_pk_fma_f32 v[10:11], v[12:13], v[68:69], v[8:9] neg_lo:[0,0,1] neg_hi:[0,0,1]
	v_pk_fma_f32 v[8:9], v[12:13], v[68:69], v[8:9] op_sel_hi:[1,0,1]
	v_pk_add_f32 v[6:7], v[6:7], v[20:21]
	v_mov_b32_e32 v8, v71
	v_mov_b32_e32 v11, v9
	v_pk_mul_f32 v[8:9], v[14:15], v[8:9] op_sel:[1,0] op_sel_hi:[0,0]
	v_pk_add_f32 v[6:7], v[6:7], v[10:11]
	v_pk_fma_f32 v[10:11], v[14:15], v[70:71], v[8:9] neg_lo:[0,0,1] neg_hi:[0,0,1]
	v_pk_fma_f32 v[8:9], v[14:15], v[70:71], v[8:9] op_sel_hi:[1,0,1]
	s_nop 0
	v_mov_b32_e32 v11, v9
	s_waitcnt vmcnt(1) lgkmcnt(0)
	v_pk_mul_f32 v[8:9], v[16:17], v[2:3] op_sel:[1,1] op_sel_hi:[0,1]
	v_pk_add_f32 v[6:7], v[6:7], v[10:11]
	v_pk_fma_f32 v[10:11], v[16:17], v[2:3], v[8:9] neg_lo:[0,0,1] neg_hi:[0,0,1]
	v_pk_fma_f32 v[2:3], v[16:17], v[2:3], v[8:9] op_sel_hi:[1,0,1]
	s_nop 0
	v_mov_b32_e32 v11, v3
	v_pk_add_f32 v[2:3], v[6:7], v[10:11]
	v_mov_b32_e32 v6, v5
	v_pk_mul_f32 v[6:7], v[18:19], v[6:7] op_sel:[1,0] op_sel_hi:[0,0]
	v_pk_fma_f32 v[8:9], v[18:19], v[4:5], v[6:7] neg_lo:[0,0,1] neg_hi:[0,0,1]
	v_pk_fma_f32 v[4:5], v[18:19], v[4:5], v[6:7] op_sel_hi:[1,0,1]
	s_nop 0
	v_mov_b32_e32 v9, v5
	v_pk_add_f32 v[2:3], v[2:3], v[8:9]
	s_waitcnt vmcnt(0)
	v_pk_add_f32 v[2:3], v[80:81], v[2:3] neg_lo:[0,1] neg_hi:[0,1]
	scratch_store_dwordx2 off, v[2:3], off offset:224
	s_and_saveexec_b64 s[0:1], vcc
	s_cbranch_execz .LBB114_265
; %bb.264:
	scratch_load_dwordx2 v[2:3], off, off offset:216
	v_mov_b32_e32 v4, 0
	v_mov_b32_e32 v5, v4
	scratch_store_dwordx2 off, v[4:5], off offset:216
	s_waitcnt vmcnt(1)
	ds_write_b64 v1, v[2:3]
.LBB114_265:
	s_or_b64 exec, exec, s[0:1]
	s_waitcnt lgkmcnt(0)
	; wave barrier
	scratch_load_dwordx4 v[6:9], off, off offset:224
	scratch_load_dwordx4 v[14:17], off, off offset:240
	;; [unrolled: 1-line block ×11, first 2 shown]
	scratch_load_dwordx2 v[22:23], off, off offset:400
	scratch_load_dwordx2 v[36:37], off, off offset:216
	v_mov_b32_e32 v38, 0
	ds_read_b128 v[52:55], v38 offset:640
	ds_read_b128 v[56:59], v38 offset:656
	;; [unrolled: 1-line block ×8, first 2 shown]
	v_cmp_lt_u32_e32 vcc, 26, v0
	s_waitcnt vmcnt(12) lgkmcnt(7)
	v_mul_f32_e32 v39, v52, v7
	v_mul_f32_e32 v84, v54, v9
	;; [unrolled: 1-line block ×3, first 2 shown]
	v_fmac_f32_e32 v39, v53, v6
	s_waitcnt vmcnt(8) lgkmcnt(3)
	v_mul_f32_e32 v93, v68, v19
	v_mul_f32_e32 v19, v69, v19
	;; [unrolled: 1-line block ×4, first 2 shown]
	v_fmac_f32_e32 v84, v55, v8
	v_fmac_f32_e32 v93, v69, v18
	v_fma_f32 v6, v52, v6, -v7
	v_fma_f32 v18, v68, v18, -v19
	v_add_f32_e32 v19, 0, v39
	v_mul_f32_e32 v88, v58, v17
	v_fmac_f32_e32 v86, v57, v14
	v_fma_f32 v7, v54, v8, -v9
	v_add_f32_e32 v6, 0, v6
	v_add_f32_e32 v19, v19, v84
	v_mul_f32_e32 v89, v60, v25
	v_fmac_f32_e32 v88, v59, v16
	v_add_f32_e32 v6, v6, v7
	v_add_f32_e32 v7, v19, v86
	v_mul_f32_e32 v90, v62, v27
	v_fmac_f32_e32 v89, v61, v24
	v_add_f32_e32 v7, v7, v88
	v_mul_f32_e32 v91, v64, v29
	v_mul_f32_e32 v15, v57, v15
	v_fmac_f32_e32 v90, v63, v26
	v_add_f32_e32 v7, v7, v89
	v_mul_f32_e32 v92, v66, v31
	v_mul_f32_e32 v17, v59, v17
	v_fmac_f32_e32 v91, v65, v28
	v_fma_f32 v8, v56, v14, -v15
	v_add_f32_e32 v7, v7, v90
	v_mul_f32_e32 v25, v61, v25
	v_fmac_f32_e32 v92, v67, v30
	v_fma_f32 v9, v58, v16, -v17
	v_add_f32_e32 v6, v6, v8
	v_add_f32_e32 v7, v7, v91
	v_mul_f32_e32 v94, v70, v21
	v_mul_f32_e32 v27, v63, v27
	v_fma_f32 v14, v60, v24, -v25
	v_add_f32_e32 v6, v6, v9
	v_add_f32_e32 v7, v7, v92
	s_waitcnt vmcnt(7) lgkmcnt(2)
	v_mul_f32_e32 v95, v72, v33
	v_mul_f32_e32 v29, v65, v29
	v_fmac_f32_e32 v94, v71, v20
	v_fma_f32 v15, v62, v26, -v27
	v_add_f32_e32 v6, v6, v14
	v_add_f32_e32 v7, v7, v93
	v_mul_f32_e32 v96, v74, v35
	v_mul_f32_e32 v31, v67, v31
	v_fmac_f32_e32 v95, v73, v32
	v_fma_f32 v16, v64, v28, -v29
	v_add_f32_e32 v6, v6, v15
	v_add_f32_e32 v7, v7, v94
	s_waitcnt vmcnt(6) lgkmcnt(1)
	v_mul_f32_e32 v97, v76, v41
	v_fmac_f32_e32 v96, v75, v34
	v_fma_f32 v17, v66, v30, -v31
	v_add_f32_e32 v6, v6, v16
	v_add_f32_e32 v7, v7, v95
	v_mul_f32_e32 v21, v71, v21
	v_fmac_f32_e32 v97, v77, v40
	v_add_f32_e32 v6, v6, v17
	v_add_f32_e32 v7, v7, v96
	;; [unrolled: 1-line block ×4, first 2 shown]
	v_fma_f32 v7, v70, v20, -v21
	v_add_f32_e32 v6, v6, v7
	v_mul_f32_e32 v7, v73, v33
	v_fma_f32 v7, v72, v32, -v7
	v_add_f32_e32 v6, v6, v7
	v_mul_f32_e32 v7, v75, v35
	;; [unrolled: 3-line block ×4, first 2 shown]
	v_mul_f32_e32 v85, v78, v43
	v_fma_f32 v84, v78, v42, -v6
	s_waitcnt vmcnt(5) lgkmcnt(0)
	v_mul_f32_e32 v6, v81, v45
	v_mov_b32_e32 v28, v47
	v_mul_f32_e32 v87, v80, v45
	v_fmac_f32_e32 v85, v79, v42
	v_fma_f32 v86, v80, v44, -v6
	ds_read_b128 v[6:9], v38 offset:768
	ds_read_b128 v[14:17], v38 offset:784
	;; [unrolled: 1-line block ×3, first 2 shown]
	ds_read_b64 v[26:27], v38 offset:816
	v_pk_mul_f32 v[28:29], v[82:83], v[28:29] op_sel:[1,0] op_sel_hi:[0,0]
	v_fmac_f32_e32 v87, v81, v44
	v_pk_add_f32 v[24:25], v[24:25], v[84:85]
	v_pk_fma_f32 v[30:31], v[82:83], v[46:47], v[28:29] neg_lo:[0,0,1] neg_hi:[0,0,1]
	v_pk_fma_f32 v[28:29], v[82:83], v[46:47], v[28:29] op_sel_hi:[1,0,1]
	v_pk_add_f32 v[24:25], v[24:25], v[86:87]
	v_mov_b32_e32 v31, v29
	s_waitcnt vmcnt(4) lgkmcnt(3)
	v_pk_mul_f32 v[28:29], v[6:7], v[48:49] op_sel:[1,1] op_sel_hi:[0,1]
	v_pk_add_f32 v[24:25], v[24:25], v[30:31]
	v_pk_fma_f32 v[30:31], v[6:7], v[48:49], v[28:29] neg_lo:[0,0,1] neg_hi:[0,0,1]
	v_pk_fma_f32 v[6:7], v[6:7], v[48:49], v[28:29] op_sel_hi:[1,0,1]
	s_nop 0
	v_mov_b32_e32 v31, v7
	v_pk_add_f32 v[6:7], v[24:25], v[30:31]
	v_mov_b32_e32 v24, v51
	v_pk_mul_f32 v[24:25], v[8:9], v[24:25] op_sel:[1,0] op_sel_hi:[0,0]
	v_pk_fma_f32 v[28:29], v[8:9], v[50:51], v[24:25] neg_lo:[0,0,1] neg_hi:[0,0,1]
	v_pk_fma_f32 v[8:9], v[8:9], v[50:51], v[24:25] op_sel_hi:[1,0,1]
	s_nop 0
	v_mov_b32_e32 v29, v9
	s_waitcnt vmcnt(3) lgkmcnt(2)
	v_pk_mul_f32 v[8:9], v[14:15], v[10:11] op_sel:[1,1] op_sel_hi:[0,1]
	v_pk_fma_f32 v[24:25], v[14:15], v[10:11], v[8:9] neg_lo:[0,0,1] neg_hi:[0,0,1]
	v_pk_fma_f32 v[8:9], v[14:15], v[10:11], v[8:9] op_sel_hi:[1,0,1]
	v_pk_add_f32 v[6:7], v[6:7], v[28:29]
	v_mov_b32_e32 v8, v13
	v_mov_b32_e32 v25, v9
	v_pk_mul_f32 v[8:9], v[16:17], v[8:9] op_sel:[1,0] op_sel_hi:[0,0]
	v_pk_fma_f32 v[10:11], v[16:17], v[12:13], v[8:9] neg_lo:[0,0,1] neg_hi:[0,0,1]
	v_pk_fma_f32 v[8:9], v[16:17], v[12:13], v[8:9] op_sel_hi:[1,0,1]
	v_pk_add_f32 v[6:7], v[6:7], v[24:25]
	v_mov_b32_e32 v11, v9
	s_waitcnt vmcnt(2) lgkmcnt(1)
	v_pk_mul_f32 v[8:9], v[18:19], v[2:3] op_sel:[1,1] op_sel_hi:[0,1]
	v_pk_add_f32 v[6:7], v[6:7], v[10:11]
	v_pk_fma_f32 v[10:11], v[18:19], v[2:3], v[8:9] neg_lo:[0,0,1] neg_hi:[0,0,1]
	v_pk_fma_f32 v[2:3], v[18:19], v[2:3], v[8:9] op_sel_hi:[1,0,1]
	s_nop 0
	v_mov_b32_e32 v11, v3
	v_pk_add_f32 v[2:3], v[6:7], v[10:11]
	v_mov_b32_e32 v6, v5
	v_pk_mul_f32 v[6:7], v[20:21], v[6:7] op_sel:[1,0] op_sel_hi:[0,0]
	v_pk_fma_f32 v[8:9], v[20:21], v[4:5], v[6:7] neg_lo:[0,0,1] neg_hi:[0,0,1]
	v_pk_fma_f32 v[4:5], v[20:21], v[4:5], v[6:7] op_sel_hi:[1,0,1]
	s_nop 0
	v_mov_b32_e32 v9, v5
	s_waitcnt vmcnt(1) lgkmcnt(0)
	v_pk_mul_f32 v[4:5], v[26:27], v[22:23] op_sel:[1,1] op_sel_hi:[0,1]
	v_pk_fma_f32 v[6:7], v[26:27], v[22:23], v[4:5] neg_lo:[0,0,1] neg_hi:[0,0,1]
	v_pk_fma_f32 v[4:5], v[26:27], v[22:23], v[4:5] op_sel_hi:[1,0,1]
	v_pk_add_f32 v[2:3], v[2:3], v[8:9]
	v_mov_b32_e32 v7, v5
	v_pk_add_f32 v[2:3], v[2:3], v[6:7]
	s_waitcnt vmcnt(0)
	v_pk_add_f32 v[2:3], v[36:37], v[2:3] neg_lo:[0,1] neg_hi:[0,1]
	scratch_store_dwordx2 off, v[2:3], off offset:216
	s_and_saveexec_b64 s[0:1], vcc
	s_cbranch_execz .LBB114_267
; %bb.266:
	scratch_load_dwordx2 v[2:3], off, off offset:208
	v_mov_b32_e32 v39, v38
	scratch_store_dwordx2 off, v[38:39], off offset:208
	s_waitcnt vmcnt(1)
	ds_write_b64 v1, v[2:3]
.LBB114_267:
	s_or_b64 exec, exec, s[0:1]
	s_waitcnt lgkmcnt(0)
	; wave barrier
	scratch_load_dwordx4 v[2:5], off, off offset:216
	scratch_load_dwordx4 v[14:17], off, off offset:232
	;; [unrolled: 1-line block ×8, first 2 shown]
	ds_read2_b64 v[48:51], v38 offset0:79 offset1:80
	ds_read2_b64 v[52:55], v38 offset0:81 offset1:82
	;; [unrolled: 1-line block ×8, first 2 shown]
	scratch_load_dwordx4 v[80:83], off, off offset:344
	scratch_load_dwordx4 v[26:29], off, off offset:360
	;; [unrolled: 1-line block ×4, first 2 shown]
	scratch_load_dwordx2 v[84:85], off, off offset:208
	v_cmp_lt_u32_e32 vcc, 25, v0
	s_waitcnt vmcnt(12) lgkmcnt(7)
	v_mul_f32_e32 v39, v48, v3
	v_mul_f32_e32 v86, v50, v5
	;; [unrolled: 1-line block ×3, first 2 shown]
	v_fmac_f32_e32 v39, v49, v2
	s_waitcnt vmcnt(8) lgkmcnt(3)
	v_mul_f32_e32 v95, v64, v19
	v_mul_f32_e32 v19, v65, v19
	;; [unrolled: 1-line block ×4, first 2 shown]
	v_fmac_f32_e32 v86, v51, v4
	v_fmac_f32_e32 v95, v65, v18
	v_fma_f32 v2, v48, v2, -v3
	v_fma_f32 v18, v64, v18, -v19
	v_add_f32_e32 v19, 0, v39
	v_mul_f32_e32 v90, v54, v17
	v_fmac_f32_e32 v88, v53, v14
	v_fma_f32 v3, v50, v4, -v5
	v_add_f32_e32 v2, 0, v2
	v_add_f32_e32 v19, v19, v86
	v_mul_f32_e32 v91, v56, v31
	v_fmac_f32_e32 v90, v55, v16
	v_add_f32_e32 v2, v2, v3
	v_add_f32_e32 v3, v19, v88
	v_mul_f32_e32 v92, v58, v33
	v_fmac_f32_e32 v91, v57, v30
	v_add_f32_e32 v3, v3, v90
	v_mul_f32_e32 v93, v60, v41
	v_fmac_f32_e32 v92, v59, v32
	;; [unrolled: 3-line block ×4, first 2 shown]
	v_add_f32_e32 v3, v3, v93
	v_mul_f32_e32 v96, v66, v21
	v_mul_f32_e32 v17, v55, v17
	v_fma_f32 v4, v52, v14, -v15
	v_add_f32_e32 v3, v3, v94
	s_waitcnt vmcnt(7) lgkmcnt(2)
	v_mul_f32_e32 v97, v68, v23
	v_mul_f32_e32 v31, v57, v31
	v_fmac_f32_e32 v96, v67, v20
	v_fma_f32 v5, v54, v16, -v17
	v_add_f32_e32 v2, v2, v4
	v_add_f32_e32 v3, v3, v95
	v_mul_f32_e32 v98, v70, v25
	v_mul_f32_e32 v33, v59, v33
	v_fmac_f32_e32 v97, v69, v22
	v_fma_f32 v14, v56, v30, -v31
	v_add_f32_e32 v2, v2, v5
	v_add_f32_e32 v3, v3, v96
	s_waitcnt vmcnt(6) lgkmcnt(1)
	v_mul_f32_e32 v99, v72, v35
	v_mul_f32_e32 v41, v61, v41
	v_fmac_f32_e32 v98, v71, v24
	v_fma_f32 v15, v58, v32, -v33
	v_add_f32_e32 v2, v2, v14
	v_add_f32_e32 v3, v3, v97
	v_mul_f32_e32 v100, v74, v37
	v_mul_f32_e32 v43, v63, v43
	v_fmac_f32_e32 v99, v73, v34
	v_fma_f32 v16, v60, v40, -v41
	v_add_f32_e32 v2, v2, v15
	v_add_f32_e32 v3, v3, v98
	v_fmac_f32_e32 v100, v75, v36
	v_fma_f32 v17, v62, v42, -v43
	v_add_f32_e32 v2, v2, v16
	v_add_f32_e32 v3, v3, v99
	;; [unrolled: 1-line block ×4, first 2 shown]
	v_mul_f32_e32 v3, v67, v21
	v_add_f32_e32 v2, v2, v18
	v_fma_f32 v3, v66, v20, -v3
	v_add_f32_e32 v2, v2, v3
	v_mul_f32_e32 v3, v69, v23
	v_fma_f32 v3, v68, v22, -v3
	v_add_f32_e32 v2, v2, v3
	v_mul_f32_e32 v3, v71, v25
	;; [unrolled: 3-line block ×4, first 2 shown]
	v_fma_f32 v3, v74, v36, -v3
	v_add_f32_e32 v30, v2, v3
	s_waitcnt vmcnt(5) lgkmcnt(0)
	v_mul_f32_e32 v2, v77, v45
	v_fma_f32 v86, v76, v44, -v2
	v_mul_f32_e32 v2, v79, v47
	v_fma_f32 v88, v78, v46, -v2
	ds_read2_b64 v[2:5], v38 offset0:95 offset1:96
	ds_read2_b64 v[14:17], v38 offset0:97 offset1:98
	;; [unrolled: 1-line block ×4, first 2 shown]
	v_mul_f32_e32 v87, v76, v45
	v_mul_f32_e32 v89, v78, v47
	v_fmac_f32_e32 v87, v77, v44
	s_waitcnt vmcnt(4) lgkmcnt(3)
	v_pk_mul_f32 v[32:33], v[2:3], v[80:81] op_sel:[1,1] op_sel_hi:[0,1]
	v_fmac_f32_e32 v89, v79, v46
	v_pk_add_f32 v[30:31], v[30:31], v[86:87]
	v_pk_fma_f32 v[34:35], v[2:3], v[80:81], v[32:33] neg_lo:[0,0,1] neg_hi:[0,0,1]
	v_pk_fma_f32 v[2:3], v[2:3], v[80:81], v[32:33] op_sel_hi:[1,0,1]
	v_pk_add_f32 v[30:31], v[30:31], v[88:89]
	v_mov_b32_e32 v35, v3
	v_pk_add_f32 v[2:3], v[30:31], v[34:35]
	v_mov_b32_e32 v30, v83
	v_pk_mul_f32 v[30:31], v[4:5], v[30:31] op_sel:[1,0] op_sel_hi:[0,0]
	v_pk_fma_f32 v[32:33], v[4:5], v[82:83], v[30:31] neg_lo:[0,0,1] neg_hi:[0,0,1]
	v_pk_fma_f32 v[4:5], v[4:5], v[82:83], v[30:31] op_sel_hi:[1,0,1]
	s_nop 0
	v_mov_b32_e32 v33, v5
	s_waitcnt vmcnt(3) lgkmcnt(2)
	v_pk_mul_f32 v[4:5], v[14:15], v[26:27] op_sel:[1,1] op_sel_hi:[0,1]
	v_pk_fma_f32 v[30:31], v[14:15], v[26:27], v[4:5] neg_lo:[0,0,1] neg_hi:[0,0,1]
	v_pk_fma_f32 v[4:5], v[14:15], v[26:27], v[4:5] op_sel_hi:[1,0,1]
	v_pk_add_f32 v[2:3], v[2:3], v[32:33]
	v_mov_b32_e32 v4, v29
	v_mov_b32_e32 v31, v5
	v_pk_mul_f32 v[4:5], v[16:17], v[4:5] op_sel:[1,0] op_sel_hi:[0,0]
	v_pk_fma_f32 v[14:15], v[16:17], v[28:29], v[4:5] neg_lo:[0,0,1] neg_hi:[0,0,1]
	v_pk_fma_f32 v[4:5], v[16:17], v[28:29], v[4:5] op_sel_hi:[1,0,1]
	v_pk_add_f32 v[2:3], v[2:3], v[30:31]
	v_mov_b32_e32 v15, v5
	s_waitcnt vmcnt(2) lgkmcnt(1)
	v_pk_mul_f32 v[4:5], v[18:19], v[10:11] op_sel:[1,1] op_sel_hi:[0,1]
	v_pk_add_f32 v[2:3], v[2:3], v[14:15]
	v_pk_fma_f32 v[14:15], v[18:19], v[10:11], v[4:5] neg_lo:[0,0,1] neg_hi:[0,0,1]
	v_pk_fma_f32 v[4:5], v[18:19], v[10:11], v[4:5] op_sel_hi:[1,0,1]
	s_nop 0
	v_mov_b32_e32 v4, v13
	v_mov_b32_e32 v15, v5
	v_pk_mul_f32 v[4:5], v[20:21], v[4:5] op_sel:[1,0] op_sel_hi:[0,0]
	v_pk_fma_f32 v[10:11], v[20:21], v[12:13], v[4:5] neg_lo:[0,0,1] neg_hi:[0,0,1]
	v_pk_fma_f32 v[4:5], v[20:21], v[12:13], v[4:5] op_sel_hi:[1,0,1]
	v_pk_add_f32 v[2:3], v[2:3], v[14:15]
	v_mov_b32_e32 v11, v5
	s_waitcnt vmcnt(1) lgkmcnt(0)
	v_pk_mul_f32 v[4:5], v[22:23], v[6:7] op_sel:[1,1] op_sel_hi:[0,1]
	v_pk_add_f32 v[2:3], v[2:3], v[10:11]
	v_pk_fma_f32 v[10:11], v[22:23], v[6:7], v[4:5] neg_lo:[0,0,1] neg_hi:[0,0,1]
	v_pk_fma_f32 v[4:5], v[22:23], v[6:7], v[4:5] op_sel_hi:[1,0,1]
	s_nop 0
	v_mov_b32_e32 v4, v9
	v_mov_b32_e32 v11, v5
	v_pk_mul_f32 v[4:5], v[24:25], v[4:5] op_sel:[1,0] op_sel_hi:[0,0]
	v_pk_fma_f32 v[6:7], v[24:25], v[8:9], v[4:5] neg_lo:[0,0,1] neg_hi:[0,0,1]
	v_pk_fma_f32 v[4:5], v[24:25], v[8:9], v[4:5] op_sel_hi:[1,0,1]
	v_pk_add_f32 v[2:3], v[2:3], v[10:11]
	v_mov_b32_e32 v7, v5
	v_pk_add_f32 v[2:3], v[2:3], v[6:7]
	s_waitcnt vmcnt(0)
	v_pk_add_f32 v[2:3], v[84:85], v[2:3] neg_lo:[0,1] neg_hi:[0,1]
	scratch_store_dwordx2 off, v[2:3], off offset:208
	s_and_saveexec_b64 s[0:1], vcc
	s_cbranch_execz .LBB114_269
; %bb.268:
	scratch_load_dwordx2 v[2:3], off, off offset:200
	v_mov_b32_e32 v4, 0
	v_mov_b32_e32 v5, v4
	scratch_store_dwordx2 off, v[4:5], off offset:200
	s_waitcnt vmcnt(1)
	ds_write_b64 v1, v[2:3]
.LBB114_269:
	s_or_b64 exec, exec, s[0:1]
	s_waitcnt lgkmcnt(0)
	; wave barrier
	scratch_load_dwordx4 v[10:13], off, off offset:208
	scratch_load_dwordx4 v[26:29], off, off offset:224
	;; [unrolled: 1-line block ×12, first 2 shown]
	scratch_load_dwordx2 v[50:51], off, off offset:400
	scratch_load_dwordx2 v[56:57], off, off offset:200
	v_mov_b32_e32 v58, 0
	ds_read_b128 v[52:55], v58 offset:624
	ds_read_b128 v[60:63], v58 offset:640
	;; [unrolled: 1-line block ×10, first 2 shown]
	v_cmp_lt_u32_e32 vcc, 24, v0
	s_waitcnt vmcnt(13) lgkmcnt(9)
	v_mul_f32_e32 v59, v52, v11
	v_mul_f32_e32 v96, v54, v13
	v_fmac_f32_e32 v59, v53, v10
	s_waitcnt vmcnt(10) lgkmcnt(6)
	v_mul_f32_e32 v103, v68, v7
	v_mul_f32_e32 v7, v69, v7
	;; [unrolled: 1-line block ×3, first 2 shown]
	v_fmac_f32_e32 v96, v55, v12
	v_fmac_f32_e32 v103, v69, v6
	v_fma_f32 v6, v68, v6, -v7
	v_add_f32_e32 v7, 0, v59
	v_mul_f32_e32 v100, v62, v29
	v_fmac_f32_e32 v98, v61, v26
	v_add_f32_e32 v7, v7, v96
	v_mul_f32_e32 v101, v64, v39
	v_fmac_f32_e32 v100, v63, v28
	;; [unrolled: 3-line block ×3, first 2 shown]
	v_add_f32_e32 v7, v7, v100
	v_fmac_f32_e32 v102, v67, v40
	v_add_f32_e32 v7, v7, v101
	v_mul_f32_e32 v104, v70, v9
	v_add_f32_e32 v7, v7, v102
	s_waitcnt vmcnt(9) lgkmcnt(5)
	v_mul_f32_e32 v105, v72, v15
	v_fmac_f32_e32 v104, v71, v8
	v_add_f32_e32 v7, v7, v103
	v_mul_f32_e32 v106, v74, v17
	v_mul_f32_e32 v11, v53, v11
	v_fmac_f32_e32 v105, v73, v14
	v_add_f32_e32 v7, v7, v104
	s_waitcnt vmcnt(8) lgkmcnt(4)
	v_mul_f32_e32 v107, v76, v23
	v_mul_f32_e32 v13, v55, v13
	v_fmac_f32_e32 v106, v75, v16
	v_fma_f32 v10, v52, v10, -v11
	v_add_f32_e32 v7, v7, v105
	v_mul_f32_e32 v108, v78, v25
	v_mul_f32_e32 v27, v61, v27
	v_fmac_f32_e32 v107, v77, v22
	v_fma_f32 v11, v54, v12, -v13
	v_add_f32_e32 v10, 0, v10
	v_add_f32_e32 v7, v7, v106
	s_waitcnt vmcnt(7) lgkmcnt(3)
	v_mul_f32_e32 v109, v80, v31
	v_mul_f32_e32 v29, v63, v29
	v_fmac_f32_e32 v108, v79, v24
	v_fma_f32 v12, v60, v26, -v27
	v_add_f32_e32 v10, v10, v11
	v_add_f32_e32 v7, v7, v107
	v_mul_f32_e32 v110, v82, v33
	v_mul_f32_e32 v39, v65, v39
	v_fmac_f32_e32 v109, v81, v30
	v_fma_f32 v13, v62, v28, -v29
	v_add_f32_e32 v10, v10, v12
	v_add_f32_e32 v7, v7, v108
	s_waitcnt vmcnt(6) lgkmcnt(2)
	v_mul_f32_e32 v111, v84, v43
	v_mul_f32_e32 v41, v67, v41
	v_fmac_f32_e32 v110, v83, v32
	v_fma_f32 v26, v64, v38, -v39
	v_add_f32_e32 v10, v10, v13
	v_add_f32_e32 v7, v7, v109
	v_fmac_f32_e32 v111, v85, v42
	v_fma_f32 v27, v66, v40, -v41
	v_add_f32_e32 v10, v10, v26
	v_add_f32_e32 v7, v7, v110
	;; [unrolled: 1-line block ×4, first 2 shown]
	v_mul_f32_e32 v7, v71, v9
	v_add_f32_e32 v6, v10, v6
	v_fma_f32 v7, v70, v8, -v7
	v_add_f32_e32 v6, v6, v7
	v_mul_f32_e32 v7, v73, v15
	v_fma_f32 v7, v72, v14, -v7
	v_add_f32_e32 v6, v6, v7
	v_mul_f32_e32 v7, v75, v17
	;; [unrolled: 3-line block ×7, first 2 shown]
	v_fma_f32 v7, v84, v42, -v7
	v_mul_f32_e32 v97, v86, v45
	v_add_f32_e32 v26, v6, v7
	v_mul_f32_e32 v6, v87, v45
	s_waitcnt vmcnt(5)
	v_mov_b32_e32 v22, v49
	s_waitcnt lgkmcnt(1)
	v_mul_f32_e32 v99, v88, v47
	v_fmac_f32_e32 v97, v87, v44
	v_fma_f32 v96, v86, v44, -v6
	v_mul_f32_e32 v6, v89, v47
	v_pk_mul_f32 v[22:23], v[90:91], v[22:23] op_sel:[1,0] op_sel_hi:[0,0]
	v_fmac_f32_e32 v99, v89, v46
	v_fma_f32 v98, v88, v46, -v6
	v_pk_add_f32 v[16:17], v[26:27], v[96:97]
	v_pk_fma_f32 v[24:25], v[90:91], v[48:49], v[22:23] neg_lo:[0,0,1] neg_hi:[0,0,1]
	v_pk_fma_f32 v[22:23], v[90:91], v[48:49], v[22:23] op_sel_hi:[1,0,1]
	v_pk_add_f32 v[16:17], v[16:17], v[98:99]
	v_mov_b32_e32 v25, v23
	s_waitcnt vmcnt(4) lgkmcnt(0)
	v_pk_mul_f32 v[22:23], v[92:93], v[34:35] op_sel:[1,1] op_sel_hi:[0,1]
	v_pk_add_f32 v[16:17], v[16:17], v[24:25]
	v_pk_fma_f32 v[24:25], v[92:93], v[34:35], v[22:23] neg_lo:[0,0,1] neg_hi:[0,0,1]
	v_pk_fma_f32 v[22:23], v[92:93], v[34:35], v[22:23] op_sel_hi:[1,0,1]
	ds_read_b128 v[6:9], v58 offset:784
	ds_read_b128 v[10:13], v58 offset:800
	ds_read_b64 v[14:15], v58 offset:816
	v_mov_b32_e32 v22, v37
	v_mov_b32_e32 v25, v23
	v_pk_mul_f32 v[22:23], v[94:95], v[22:23] op_sel:[1,0] op_sel_hi:[0,0]
	v_pk_add_f32 v[16:17], v[16:17], v[24:25]
	v_pk_fma_f32 v[24:25], v[94:95], v[36:37], v[22:23] neg_lo:[0,0,1] neg_hi:[0,0,1]
	v_pk_fma_f32 v[22:23], v[94:95], v[36:37], v[22:23] op_sel_hi:[1,0,1]
	s_nop 0
	v_mov_b32_e32 v25, v23
	s_waitcnt vmcnt(3) lgkmcnt(2)
	v_pk_mul_f32 v[22:23], v[6:7], v[18:19] op_sel:[1,1] op_sel_hi:[0,1]
	v_pk_add_f32 v[16:17], v[16:17], v[24:25]
	v_pk_fma_f32 v[24:25], v[6:7], v[18:19], v[22:23] neg_lo:[0,0,1] neg_hi:[0,0,1]
	v_pk_fma_f32 v[6:7], v[6:7], v[18:19], v[22:23] op_sel_hi:[1,0,1]
	s_nop 0
	v_mov_b32_e32 v25, v7
	v_pk_add_f32 v[6:7], v[16:17], v[24:25]
	v_mov_b32_e32 v16, v21
	v_pk_mul_f32 v[16:17], v[8:9], v[16:17] op_sel:[1,0] op_sel_hi:[0,0]
	v_pk_fma_f32 v[18:19], v[8:9], v[20:21], v[16:17] neg_lo:[0,0,1] neg_hi:[0,0,1]
	v_pk_fma_f32 v[8:9], v[8:9], v[20:21], v[16:17] op_sel_hi:[1,0,1]
	s_nop 0
	v_mov_b32_e32 v19, v9
	s_waitcnt vmcnt(2) lgkmcnt(1)
	v_pk_mul_f32 v[8:9], v[10:11], v[2:3] op_sel:[1,1] op_sel_hi:[0,1]
	v_pk_fma_f32 v[16:17], v[10:11], v[2:3], v[8:9] neg_lo:[0,0,1] neg_hi:[0,0,1]
	v_pk_fma_f32 v[2:3], v[10:11], v[2:3], v[8:9] op_sel_hi:[1,0,1]
	v_pk_add_f32 v[6:7], v[6:7], v[18:19]
	v_mov_b32_e32 v17, v3
	v_pk_add_f32 v[2:3], v[6:7], v[16:17]
	v_mov_b32_e32 v6, v5
	v_pk_mul_f32 v[6:7], v[12:13], v[6:7] op_sel:[1,0] op_sel_hi:[0,0]
	v_pk_fma_f32 v[8:9], v[12:13], v[4:5], v[6:7] neg_lo:[0,0,1] neg_hi:[0,0,1]
	v_pk_fma_f32 v[4:5], v[12:13], v[4:5], v[6:7] op_sel_hi:[1,0,1]
	s_nop 0
	v_mov_b32_e32 v9, v5
	s_waitcnt vmcnt(1) lgkmcnt(0)
	v_pk_mul_f32 v[4:5], v[14:15], v[50:51] op_sel:[1,1] op_sel_hi:[0,1]
	v_pk_fma_f32 v[6:7], v[14:15], v[50:51], v[4:5] neg_lo:[0,0,1] neg_hi:[0,0,1]
	v_pk_fma_f32 v[4:5], v[14:15], v[50:51], v[4:5] op_sel_hi:[1,0,1]
	v_pk_add_f32 v[2:3], v[2:3], v[8:9]
	v_mov_b32_e32 v7, v5
	v_pk_add_f32 v[2:3], v[2:3], v[6:7]
	s_waitcnt vmcnt(0)
	v_pk_add_f32 v[2:3], v[56:57], v[2:3] neg_lo:[0,1] neg_hi:[0,1]
	scratch_store_dwordx2 off, v[2:3], off offset:200
	s_and_saveexec_b64 s[0:1], vcc
	s_cbranch_execz .LBB114_271
; %bb.270:
	scratch_load_dwordx2 v[2:3], off, off offset:192
	v_mov_b32_e32 v59, v58
	scratch_store_dwordx2 off, v[58:59], off offset:192
	s_waitcnt vmcnt(1)
	ds_write_b64 v1, v[2:3]
.LBB114_271:
	s_or_b64 exec, exec, s[0:1]
	s_waitcnt lgkmcnt(0)
	; wave barrier
	scratch_load_dwordx4 v[2:5], off, off offset:200
	scratch_load_dwordx4 v[18:21], off, off offset:216
	;; [unrolled: 1-line block ×9, first 2 shown]
	ds_read2_b64 v[60:63], v58 offset0:77 offset1:78
	ds_read2_b64 v[64:67], v58 offset0:79 offset1:80
	ds_read2_b64 v[68:71], v58 offset0:81 offset1:82
	ds_read2_b64 v[72:75], v58 offset0:83 offset1:84
	ds_read2_b64 v[76:79], v58 offset0:85 offset1:86
	ds_read2_b64 v[80:83], v58 offset0:87 offset1:88
	ds_read2_b64 v[84:87], v58 offset0:89 offset1:90
	ds_read2_b64 v[54:57], v58 offset0:91 offset1:92
	scratch_load_dwordx4 v[50:53], off, off offset:344
	scratch_load_dwordx4 v[34:37], off, off offset:360
	;; [unrolled: 1-line block ×4, first 2 shown]
	ds_read2_b64 v[88:91], v58 offset0:93 offset1:94
	ds_read2_b64 v[92:95], v58 offset0:95 offset1:96
	scratch_load_dwordx2 v[96:97], off, off offset:192
	v_cmp_lt_u32_e32 vcc, 23, v0
	s_waitcnt vmcnt(13) lgkmcnt(9)
	v_mul_f32_e32 v59, v60, v3
	v_mul_f32_e32 v98, v62, v5
	;; [unrolled: 1-line block ×3, first 2 shown]
	s_waitcnt vmcnt(10) lgkmcnt(6)
	v_mul_f32_e32 v105, v72, v7
	v_mul_f32_e32 v7, v73, v7
	v_fmac_f32_e32 v59, v61, v2
	v_mul_f32_e32 v100, v64, v19
	v_mul_f32_e32 v5, v63, v5
	v_fmac_f32_e32 v98, v63, v4
	v_fmac_f32_e32 v105, v73, v6
	v_fma_f32 v2, v60, v2, -v3
	v_fma_f32 v6, v72, v6, -v7
	v_add_f32_e32 v7, 0, v59
	v_mul_f32_e32 v102, v66, v21
	v_fmac_f32_e32 v100, v65, v18
	v_fma_f32 v3, v62, v4, -v5
	v_add_f32_e32 v2, 0, v2
	v_add_f32_e32 v7, v7, v98
	v_mul_f32_e32 v103, v68, v39
	v_fmac_f32_e32 v102, v67, v20
	v_add_f32_e32 v2, v2, v3
	v_add_f32_e32 v3, v7, v100
	v_mul_f32_e32 v104, v70, v41
	v_fmac_f32_e32 v103, v69, v38
	v_add_f32_e32 v3, v3, v102
	v_fmac_f32_e32 v104, v71, v40
	v_add_f32_e32 v3, v3, v103
	v_mul_f32_e32 v106, v74, v9
	v_add_f32_e32 v3, v3, v104
	s_waitcnt vmcnt(9) lgkmcnt(5)
	v_mul_f32_e32 v107, v76, v15
	v_fmac_f32_e32 v106, v75, v8
	v_add_f32_e32 v3, v3, v105
	v_mul_f32_e32 v108, v78, v17
	v_fmac_f32_e32 v107, v77, v14
	v_add_f32_e32 v3, v3, v106
	s_waitcnt vmcnt(8) lgkmcnt(4)
	v_mul_f32_e32 v109, v80, v23
	v_fmac_f32_e32 v108, v79, v16
	v_add_f32_e32 v3, v3, v107
	v_mul_f32_e32 v110, v82, v25
	v_fmac_f32_e32 v109, v81, v22
	v_add_f32_e32 v3, v3, v108
	s_waitcnt vmcnt(7) lgkmcnt(3)
	v_mul_f32_e32 v111, v84, v31
	v_mul_f32_e32 v19, v65, v19
	v_fmac_f32_e32 v110, v83, v24
	v_add_f32_e32 v3, v3, v109
	v_mul_f32_e32 v112, v86, v33
	v_mul_f32_e32 v21, v67, v21
	v_fmac_f32_e32 v111, v85, v30
	v_fma_f32 v4, v64, v18, -v19
	v_add_f32_e32 v3, v3, v110
	s_waitcnt vmcnt(6) lgkmcnt(2)
	v_mul_f32_e32 v113, v54, v43
	v_mul_f32_e32 v39, v69, v39
	v_fmac_f32_e32 v112, v87, v32
	v_fma_f32 v5, v66, v20, -v21
	v_add_f32_e32 v2, v2, v4
	v_add_f32_e32 v3, v3, v111
	v_mul_f32_e32 v114, v56, v45
	v_mul_f32_e32 v41, v71, v41
	v_fmac_f32_e32 v113, v55, v42
	v_fma_f32 v18, v68, v38, -v39
	v_add_f32_e32 v2, v2, v5
	v_add_f32_e32 v3, v3, v112
	v_fmac_f32_e32 v114, v57, v44
	v_fma_f32 v19, v70, v40, -v41
	v_add_f32_e32 v2, v2, v18
	v_add_f32_e32 v3, v3, v113
	;; [unrolled: 1-line block ×4, first 2 shown]
	v_mul_f32_e32 v3, v75, v9
	v_add_f32_e32 v2, v2, v6
	v_fma_f32 v3, v74, v8, -v3
	v_add_f32_e32 v2, v2, v3
	v_mul_f32_e32 v3, v77, v15
	v_fma_f32 v3, v76, v14, -v3
	v_add_f32_e32 v2, v2, v3
	v_mul_f32_e32 v3, v79, v17
	;; [unrolled: 3-line block ×8, first 2 shown]
	v_fma_f32 v3, v56, v44, -v3
	s_waitcnt vmcnt(5) lgkmcnt(1)
	v_mul_f32_e32 v99, v88, v47
	v_add_f32_e32 v18, v2, v3
	v_mul_f32_e32 v2, v89, v47
	s_waitcnt vmcnt(4) lgkmcnt(0)
	v_pk_mul_f32 v[20:21], v[92:93], v[50:51] op_sel:[1,1] op_sel_hi:[0,1]
	v_mul_f32_e32 v101, v90, v49
	v_fmac_f32_e32 v99, v89, v46
	v_fma_f32 v98, v88, v46, -v2
	v_mul_f32_e32 v2, v91, v49
	v_pk_fma_f32 v[22:23], v[92:93], v[50:51], v[20:21] neg_lo:[0,0,1] neg_hi:[0,0,1]
	v_pk_fma_f32 v[20:21], v[92:93], v[50:51], v[20:21] op_sel_hi:[1,0,1]
	v_fmac_f32_e32 v101, v91, v48
	v_fma_f32 v100, v90, v48, -v2
	ds_read2_b64 v[2:5], v58 offset0:97 offset1:98
	ds_read2_b64 v[6:9], v58 offset0:99 offset1:100
	;; [unrolled: 1-line block ×3, first 2 shown]
	v_pk_add_f32 v[18:19], v[18:19], v[98:99]
	v_mov_b32_e32 v20, v53
	v_pk_add_f32 v[18:19], v[18:19], v[100:101]
	v_mov_b32_e32 v23, v21
	v_pk_mul_f32 v[20:21], v[94:95], v[20:21] op_sel:[1,0] op_sel_hi:[0,0]
	v_pk_add_f32 v[18:19], v[18:19], v[22:23]
	v_pk_fma_f32 v[22:23], v[94:95], v[52:53], v[20:21] neg_lo:[0,0,1] neg_hi:[0,0,1]
	v_pk_fma_f32 v[20:21], v[94:95], v[52:53], v[20:21] op_sel_hi:[1,0,1]
	s_nop 0
	v_mov_b32_e32 v23, v21
	s_waitcnt vmcnt(3) lgkmcnt(2)
	v_pk_mul_f32 v[20:21], v[2:3], v[34:35] op_sel:[1,1] op_sel_hi:[0,1]
	v_pk_add_f32 v[18:19], v[18:19], v[22:23]
	v_pk_fma_f32 v[22:23], v[2:3], v[34:35], v[20:21] neg_lo:[0,0,1] neg_hi:[0,0,1]
	v_pk_fma_f32 v[2:3], v[2:3], v[34:35], v[20:21] op_sel_hi:[1,0,1]
	s_nop 0
	v_mov_b32_e32 v23, v3
	v_pk_add_f32 v[2:3], v[18:19], v[22:23]
	v_mov_b32_e32 v18, v37
	v_pk_mul_f32 v[18:19], v[4:5], v[18:19] op_sel:[1,0] op_sel_hi:[0,0]
	v_pk_fma_f32 v[20:21], v[4:5], v[36:37], v[18:19] neg_lo:[0,0,1] neg_hi:[0,0,1]
	v_pk_fma_f32 v[4:5], v[4:5], v[36:37], v[18:19] op_sel_hi:[1,0,1]
	s_nop 0
	v_mov_b32_e32 v21, v5
	s_waitcnt vmcnt(2) lgkmcnt(1)
	v_pk_mul_f32 v[4:5], v[6:7], v[26:27] op_sel:[1,1] op_sel_hi:[0,1]
	v_pk_fma_f32 v[18:19], v[6:7], v[26:27], v[4:5] neg_lo:[0,0,1] neg_hi:[0,0,1]
	v_pk_fma_f32 v[4:5], v[6:7], v[26:27], v[4:5] op_sel_hi:[1,0,1]
	v_pk_add_f32 v[2:3], v[2:3], v[20:21]
	v_mov_b32_e32 v4, v29
	v_mov_b32_e32 v19, v5
	v_pk_mul_f32 v[4:5], v[8:9], v[4:5] op_sel:[1,0] op_sel_hi:[0,0]
	v_pk_fma_f32 v[6:7], v[8:9], v[28:29], v[4:5] neg_lo:[0,0,1] neg_hi:[0,0,1]
	v_pk_fma_f32 v[4:5], v[8:9], v[28:29], v[4:5] op_sel_hi:[1,0,1]
	v_pk_add_f32 v[2:3], v[2:3], v[18:19]
	v_mov_b32_e32 v7, v5
	s_waitcnt vmcnt(1) lgkmcnt(0)
	v_pk_mul_f32 v[4:5], v[14:15], v[10:11] op_sel:[1,1] op_sel_hi:[0,1]
	v_pk_add_f32 v[2:3], v[2:3], v[6:7]
	v_pk_fma_f32 v[6:7], v[14:15], v[10:11], v[4:5] neg_lo:[0,0,1] neg_hi:[0,0,1]
	v_pk_fma_f32 v[4:5], v[14:15], v[10:11], v[4:5] op_sel_hi:[1,0,1]
	s_nop 0
	v_mov_b32_e32 v4, v13
	v_mov_b32_e32 v7, v5
	v_pk_mul_f32 v[4:5], v[16:17], v[4:5] op_sel:[1,0] op_sel_hi:[0,0]
	v_pk_add_f32 v[2:3], v[2:3], v[6:7]
	v_pk_fma_f32 v[6:7], v[16:17], v[12:13], v[4:5] neg_lo:[0,0,1] neg_hi:[0,0,1]
	v_pk_fma_f32 v[4:5], v[16:17], v[12:13], v[4:5] op_sel_hi:[1,0,1]
	s_nop 0
	v_mov_b32_e32 v7, v5
	v_pk_add_f32 v[2:3], v[2:3], v[6:7]
	s_waitcnt vmcnt(0)
	v_pk_add_f32 v[2:3], v[96:97], v[2:3] neg_lo:[0,1] neg_hi:[0,1]
	scratch_store_dwordx2 off, v[2:3], off offset:192
	s_and_saveexec_b64 s[0:1], vcc
	s_cbranch_execz .LBB114_273
; %bb.272:
	scratch_load_dwordx2 v[2:3], off, off offset:184
	v_mov_b32_e32 v4, 0
	v_mov_b32_e32 v5, v4
	scratch_store_dwordx2 off, v[4:5], off offset:184
	s_waitcnt vmcnt(1)
	ds_write_b64 v1, v[2:3]
.LBB114_273:
	s_or_b64 exec, exec, s[0:1]
	s_waitcnt lgkmcnt(0)
	; wave barrier
	scratch_load_dwordx4 v[18:21], off, off offset:192
	scratch_load_dwordx4 v[30:33], off, off offset:208
	;; [unrolled: 1-line block ×13, first 2 shown]
	scratch_load_dwordx2 v[54:55], off, off offset:400
	scratch_load_dwordx2 v[80:81], off, off offset:184
	v_mov_b32_e32 v82, 0
	ds_read_b128 v[56:59], v82 offset:608
	ds_read_b128 v[60:63], v82 offset:624
	;; [unrolled: 1-line block ×10, first 2 shown]
	v_cmp_lt_u32_e32 vcc, 22, v0
	s_waitcnt vmcnt(14) lgkmcnt(9)
	v_mul_f32_e32 v83, v56, v19
	v_mul_f32_e32 v100, v58, v21
	s_waitcnt vmcnt(12) lgkmcnt(7)
	v_mul_f32_e32 v105, v64, v3
	v_mul_f32_e32 v3, v65, v3
	v_fmac_f32_e32 v83, v57, v18
	v_mul_f32_e32 v102, v60, v31
	v_fmac_f32_e32 v100, v59, v20
	v_fmac_f32_e32 v105, v65, v2
	v_fma_f32 v2, v64, v2, -v3
	v_add_f32_e32 v3, 0, v83
	v_mul_f32_e32 v104, v62, v33
	v_fmac_f32_e32 v102, v61, v30
	v_add_f32_e32 v3, v3, v100
	v_fmac_f32_e32 v104, v63, v32
	v_add_f32_e32 v3, v3, v102
	v_mul_f32_e32 v106, v66, v5
	v_add_f32_e32 v3, v3, v104
	s_waitcnt vmcnt(11) lgkmcnt(6)
	v_mul_f32_e32 v107, v68, v7
	v_fmac_f32_e32 v106, v67, v4
	v_add_f32_e32 v3, v3, v105
	v_mul_f32_e32 v108, v70, v9
	v_fmac_f32_e32 v107, v69, v6
	v_add_f32_e32 v3, v3, v106
	s_waitcnt vmcnt(10) lgkmcnt(5)
	v_mul_f32_e32 v109, v72, v15
	v_fmac_f32_e32 v108, v71, v8
	v_add_f32_e32 v3, v3, v107
	v_mul_f32_e32 v110, v74, v17
	v_fmac_f32_e32 v109, v73, v14
	;; [unrolled: 7-line block ×3, first 2 shown]
	v_add_f32_e32 v3, v3, v110
	s_waitcnt vmcnt(8) lgkmcnt(3)
	v_mul_f32_e32 v113, v84, v35
	v_mul_f32_e32 v19, v57, v19
	v_fmac_f32_e32 v112, v79, v24
	v_add_f32_e32 v3, v3, v111
	v_mul_f32_e32 v114, v86, v37
	v_mul_f32_e32 v21, v59, v21
	v_fmac_f32_e32 v113, v85, v34
	v_fma_f32 v18, v56, v18, -v19
	v_add_f32_e32 v3, v3, v112
	s_waitcnt vmcnt(7) lgkmcnt(2)
	v_mul_f32_e32 v115, v88, v39
	v_mul_f32_e32 v31, v61, v31
	v_fmac_f32_e32 v114, v87, v36
	v_fma_f32 v19, v58, v20, -v21
	v_add_f32_e32 v18, 0, v18
	v_add_f32_e32 v3, v3, v113
	v_mul_f32_e32 v116, v90, v41
	v_mul_f32_e32 v33, v63, v33
	v_fmac_f32_e32 v115, v89, v38
	v_fma_f32 v20, v60, v30, -v31
	v_add_f32_e32 v18, v18, v19
	v_add_f32_e32 v3, v3, v114
	s_waitcnt vmcnt(6) lgkmcnt(1)
	v_mul_f32_e32 v117, v92, v51
	v_fmac_f32_e32 v116, v91, v40
	v_fma_f32 v21, v62, v32, -v33
	v_add_f32_e32 v18, v18, v20
	v_add_f32_e32 v3, v3, v115
	v_mul_f32_e32 v5, v67, v5
	v_fmac_f32_e32 v117, v93, v50
	v_add_f32_e32 v18, v18, v21
	v_add_f32_e32 v3, v3, v116
	;; [unrolled: 1-line block ×4, first 2 shown]
	v_fma_f32 v3, v66, v4, -v5
	v_add_f32_e32 v2, v2, v3
	v_mul_f32_e32 v3, v69, v7
	v_fma_f32 v3, v68, v6, -v3
	v_add_f32_e32 v2, v2, v3
	v_mul_f32_e32 v3, v71, v9
	;; [unrolled: 3-line block ×12, first 2 shown]
	v_mul_f32_e32 v101, v94, v53
	v_fma_f32 v100, v94, v52, -v2
	s_waitcnt vmcnt(5) lgkmcnt(0)
	v_mul_f32_e32 v2, v97, v47
	v_mov_b32_e32 v22, v49
	v_mul_f32_e32 v103, v96, v47
	v_fmac_f32_e32 v101, v95, v52
	v_fma_f32 v102, v96, v46, -v2
	ds_read_b128 v[2:5], v82 offset:768
	ds_read_b128 v[6:9], v82 offset:784
	ds_read_b128 v[14:17], v82 offset:800
	ds_read_b64 v[20:21], v82 offset:816
	v_pk_mul_f32 v[22:23], v[98:99], v[22:23] op_sel:[1,0] op_sel_hi:[0,0]
	v_fmac_f32_e32 v103, v97, v46
	v_pk_add_f32 v[18:19], v[18:19], v[100:101]
	v_pk_fma_f32 v[24:25], v[98:99], v[48:49], v[22:23] neg_lo:[0,0,1] neg_hi:[0,0,1]
	v_pk_fma_f32 v[22:23], v[98:99], v[48:49], v[22:23] op_sel_hi:[1,0,1]
	v_pk_add_f32 v[18:19], v[18:19], v[102:103]
	v_mov_b32_e32 v25, v23
	s_waitcnt vmcnt(4) lgkmcnt(3)
	v_pk_mul_f32 v[22:23], v[2:3], v[42:43] op_sel:[1,1] op_sel_hi:[0,1]
	v_pk_add_f32 v[18:19], v[18:19], v[24:25]
	v_pk_fma_f32 v[24:25], v[2:3], v[42:43], v[22:23] neg_lo:[0,0,1] neg_hi:[0,0,1]
	v_pk_fma_f32 v[2:3], v[2:3], v[42:43], v[22:23] op_sel_hi:[1,0,1]
	s_nop 0
	v_mov_b32_e32 v25, v3
	v_pk_add_f32 v[2:3], v[18:19], v[24:25]
	v_mov_b32_e32 v18, v45
	v_pk_mul_f32 v[18:19], v[4:5], v[18:19] op_sel:[1,0] op_sel_hi:[0,0]
	v_pk_fma_f32 v[22:23], v[4:5], v[44:45], v[18:19] neg_lo:[0,0,1] neg_hi:[0,0,1]
	v_pk_fma_f32 v[4:5], v[4:5], v[44:45], v[18:19] op_sel_hi:[1,0,1]
	s_nop 0
	v_mov_b32_e32 v23, v5
	s_waitcnt vmcnt(3) lgkmcnt(2)
	v_pk_mul_f32 v[4:5], v[6:7], v[26:27] op_sel:[1,1] op_sel_hi:[0,1]
	v_pk_fma_f32 v[18:19], v[6:7], v[26:27], v[4:5] neg_lo:[0,0,1] neg_hi:[0,0,1]
	v_pk_fma_f32 v[4:5], v[6:7], v[26:27], v[4:5] op_sel_hi:[1,0,1]
	v_pk_add_f32 v[2:3], v[2:3], v[22:23]
	v_mov_b32_e32 v4, v29
	v_mov_b32_e32 v19, v5
	v_pk_mul_f32 v[4:5], v[8:9], v[4:5] op_sel:[1,0] op_sel_hi:[0,0]
	v_pk_fma_f32 v[6:7], v[8:9], v[28:29], v[4:5] neg_lo:[0,0,1] neg_hi:[0,0,1]
	v_pk_fma_f32 v[4:5], v[8:9], v[28:29], v[4:5] op_sel_hi:[1,0,1]
	v_pk_add_f32 v[2:3], v[2:3], v[18:19]
	v_mov_b32_e32 v7, v5
	s_waitcnt vmcnt(2) lgkmcnt(1)
	v_pk_mul_f32 v[4:5], v[14:15], v[10:11] op_sel:[1,1] op_sel_hi:[0,1]
	v_pk_add_f32 v[2:3], v[2:3], v[6:7]
	v_pk_fma_f32 v[6:7], v[14:15], v[10:11], v[4:5] neg_lo:[0,0,1] neg_hi:[0,0,1]
	v_pk_fma_f32 v[4:5], v[14:15], v[10:11], v[4:5] op_sel_hi:[1,0,1]
	s_nop 0
	v_mov_b32_e32 v4, v13
	v_mov_b32_e32 v7, v5
	v_pk_mul_f32 v[4:5], v[16:17], v[4:5] op_sel:[1,0] op_sel_hi:[0,0]
	v_pk_add_f32 v[2:3], v[2:3], v[6:7]
	v_pk_fma_f32 v[6:7], v[16:17], v[12:13], v[4:5] neg_lo:[0,0,1] neg_hi:[0,0,1]
	v_pk_fma_f32 v[4:5], v[16:17], v[12:13], v[4:5] op_sel_hi:[1,0,1]
	s_nop 0
	v_mov_b32_e32 v7, v5
	s_waitcnt vmcnt(1) lgkmcnt(0)
	v_pk_mul_f32 v[4:5], v[20:21], v[54:55] op_sel:[1,1] op_sel_hi:[0,1]
	v_pk_add_f32 v[2:3], v[2:3], v[6:7]
	v_pk_fma_f32 v[6:7], v[20:21], v[54:55], v[4:5] neg_lo:[0,0,1] neg_hi:[0,0,1]
	v_pk_fma_f32 v[4:5], v[20:21], v[54:55], v[4:5] op_sel_hi:[1,0,1]
	s_nop 0
	v_mov_b32_e32 v7, v5
	v_pk_add_f32 v[2:3], v[2:3], v[6:7]
	s_waitcnt vmcnt(0)
	v_pk_add_f32 v[2:3], v[80:81], v[2:3] neg_lo:[0,1] neg_hi:[0,1]
	scratch_store_dwordx2 off, v[2:3], off offset:184
	s_and_saveexec_b64 s[0:1], vcc
	s_cbranch_execz .LBB114_275
; %bb.274:
	scratch_load_dwordx2 v[2:3], off, off offset:176
	v_mov_b32_e32 v83, v82
	scratch_store_dwordx2 off, v[82:83], off offset:176
	s_waitcnt vmcnt(1)
	ds_write_b64 v1, v[2:3]
.LBB114_275:
	s_or_b64 exec, exec, s[0:1]
	s_waitcnt lgkmcnt(0)
	; wave barrier
	scratch_load_dwordx4 v[10:13], off, off offset:184
	scratch_load_dwordx4 v[26:29], off, off offset:200
	;; [unrolled: 1-line block ×10, first 2 shown]
	ds_read2_b64 v[84:87], v82 offset0:75 offset1:76
	ds_read2_b64 v[88:91], v82 offset0:77 offset1:78
	ds_read2_b64 v[92:95], v82 offset0:79 offset1:80
	ds_read2_b64 v[96:99], v82 offset0:81 offset1:82
	ds_read2_b64 v[78:81], v82 offset0:83 offset1:84
	ds_read2_b64 v[74:77], v82 offset0:85 offset1:86
	ds_read2_b64 v[70:73], v82 offset0:87 offset1:88
	ds_read2_b64 v[66:69], v82 offset0:89 offset1:90
	ds_read2_b64 v[62:65], v82 offset0:91 offset1:92
	ds_read2_b64 v[58:61], v82 offset0:93 offset1:94
	scratch_load_dwordx4 v[54:57], off, off offset:344
	scratch_load_dwordx4 v[46:49], off, off offset:360
	;; [unrolled: 1-line block ×4, first 2 shown]
	scratch_load_dwordx2 v[100:101], off, off offset:176
	v_cmp_lt_u32_e32 vcc, 21, v0
	s_waitcnt vmcnt(14) lgkmcnt(9)
	v_mul_f32_e32 v83, v84, v11
	v_mul_f32_e32 v102, v86, v13
	s_waitcnt vmcnt(12) lgkmcnt(7)
	v_mul_f32_e32 v107, v92, v3
	v_mul_f32_e32 v3, v93, v3
	v_fmac_f32_e32 v83, v85, v10
	v_mul_f32_e32 v104, v88, v27
	v_fmac_f32_e32 v102, v87, v12
	v_fmac_f32_e32 v107, v93, v2
	v_fma_f32 v2, v92, v2, -v3
	v_add_f32_e32 v3, 0, v83
	v_mul_f32_e32 v106, v90, v29
	v_fmac_f32_e32 v104, v89, v26
	v_add_f32_e32 v3, v3, v102
	v_fmac_f32_e32 v106, v91, v28
	v_add_f32_e32 v3, v3, v104
	v_mul_f32_e32 v108, v94, v5
	v_add_f32_e32 v3, v3, v106
	s_waitcnt vmcnt(11) lgkmcnt(6)
	v_mul_f32_e32 v109, v96, v7
	v_fmac_f32_e32 v108, v95, v4
	v_add_f32_e32 v3, v3, v107
	v_mul_f32_e32 v110, v98, v9
	v_fmac_f32_e32 v109, v97, v6
	v_add_f32_e32 v3, v3, v108
	s_waitcnt vmcnt(10) lgkmcnt(5)
	v_mul_f32_e32 v111, v78, v15
	v_fmac_f32_e32 v110, v99, v8
	v_add_f32_e32 v3, v3, v109
	v_mul_f32_e32 v112, v80, v17
	v_fmac_f32_e32 v111, v79, v14
	;; [unrolled: 7-line block ×4, first 2 shown]
	v_add_f32_e32 v3, v3, v114
	s_waitcnt vmcnt(7) lgkmcnt(2)
	v_mul_f32_e32 v117, v66, v39
	v_mul_f32_e32 v11, v85, v11
	v_fmac_f32_e32 v116, v73, v32
	v_add_f32_e32 v3, v3, v115
	v_mul_f32_e32 v118, v68, v41
	v_mul_f32_e32 v13, v87, v13
	v_fmac_f32_e32 v117, v67, v38
	v_fma_f32 v10, v84, v10, -v11
	v_add_f32_e32 v3, v3, v116
	s_waitcnt vmcnt(6) lgkmcnt(1)
	v_mul_f32_e32 v119, v62, v43
	v_mul_f32_e32 v27, v89, v27
	v_fmac_f32_e32 v118, v69, v40
	v_fma_f32 v11, v86, v12, -v13
	v_add_f32_e32 v10, 0, v10
	v_add_f32_e32 v3, v3, v117
	v_mul_f32_e32 v120, v64, v45
	v_mul_f32_e32 v29, v91, v29
	v_fmac_f32_e32 v119, v63, v42
	v_fma_f32 v12, v88, v26, -v27
	v_add_f32_e32 v10, v10, v11
	v_add_f32_e32 v3, v3, v118
	v_fmac_f32_e32 v120, v65, v44
	v_fma_f32 v13, v90, v28, -v29
	v_add_f32_e32 v10, v10, v12
	v_add_f32_e32 v3, v3, v119
	;; [unrolled: 1-line block ×4, first 2 shown]
	v_mul_f32_e32 v3, v95, v5
	v_add_f32_e32 v2, v10, v2
	v_fma_f32 v3, v94, v4, -v3
	v_add_f32_e32 v2, v2, v3
	v_mul_f32_e32 v3, v97, v7
	v_fma_f32 v3, v96, v6, -v3
	v_add_f32_e32 v2, v2, v3
	v_mul_f32_e32 v3, v99, v9
	v_fma_f32 v3, v98, v8, -v3
	v_add_f32_e32 v2, v2, v3
	v_mul_f32_e32 v3, v79, v15
	v_fma_f32 v3, v78, v14, -v3
	v_add_f32_e32 v2, v2, v3
	v_mul_f32_e32 v3, v81, v17
	v_fma_f32 v3, v80, v16, -v3
	v_add_f32_e32 v2, v2, v3
	v_mul_f32_e32 v3, v75, v23
	v_fma_f32 v3, v74, v22, -v3
	v_add_f32_e32 v2, v2, v3
	v_mul_f32_e32 v3, v77, v25
	v_fma_f32 v3, v76, v24, -v3
	v_add_f32_e32 v2, v2, v3
	v_mul_f32_e32 v3, v71, v31
	v_fma_f32 v3, v70, v30, -v3
	v_add_f32_e32 v2, v2, v3
	v_mul_f32_e32 v3, v73, v33
	v_fma_f32 v3, v72, v32, -v3
	v_add_f32_e32 v2, v2, v3
	v_mul_f32_e32 v3, v67, v39
	v_fma_f32 v3, v66, v38, -v3
	v_add_f32_e32 v2, v2, v3
	v_mul_f32_e32 v3, v69, v41
	v_fma_f32 v3, v68, v40, -v3
	v_add_f32_e32 v2, v2, v3
	v_mul_f32_e32 v3, v63, v43
	v_fma_f32 v3, v62, v42, -v3
	v_add_f32_e32 v2, v2, v3
	v_mul_f32_e32 v3, v65, v45
	v_fma_f32 v3, v64, v44, -v3
	v_add_f32_e32 v26, v2, v3
	s_waitcnt vmcnt(5) lgkmcnt(0)
	v_mul_f32_e32 v2, v59, v51
	v_fma_f32 v102, v58, v50, -v2
	v_mul_f32_e32 v2, v61, v53
	v_fma_f32 v104, v60, v52, -v2
	ds_read2_b64 v[2:5], v82 offset0:95 offset1:96
	ds_read2_b64 v[6:9], v82 offset0:97 offset1:98
	;; [unrolled: 1-line block ×4, first 2 shown]
	v_mul_f32_e32 v103, v58, v51
	v_mul_f32_e32 v105, v60, v53
	v_fmac_f32_e32 v103, v59, v50
	s_waitcnt vmcnt(4) lgkmcnt(3)
	v_pk_mul_f32 v[24:25], v[2:3], v[54:55] op_sel:[1,1] op_sel_hi:[0,1]
	v_fmac_f32_e32 v105, v61, v52
	v_pk_add_f32 v[22:23], v[26:27], v[102:103]
	v_pk_fma_f32 v[26:27], v[2:3], v[54:55], v[24:25] neg_lo:[0,0,1] neg_hi:[0,0,1]
	v_pk_fma_f32 v[2:3], v[2:3], v[54:55], v[24:25] op_sel_hi:[1,0,1]
	v_pk_add_f32 v[22:23], v[22:23], v[104:105]
	v_mov_b32_e32 v27, v3
	v_pk_add_f32 v[2:3], v[22:23], v[26:27]
	v_mov_b32_e32 v22, v57
	v_pk_mul_f32 v[22:23], v[4:5], v[22:23] op_sel:[1,0] op_sel_hi:[0,0]
	v_pk_fma_f32 v[24:25], v[4:5], v[56:57], v[22:23] neg_lo:[0,0,1] neg_hi:[0,0,1]
	v_pk_fma_f32 v[4:5], v[4:5], v[56:57], v[22:23] op_sel_hi:[1,0,1]
	s_nop 0
	v_mov_b32_e32 v25, v5
	s_waitcnt vmcnt(3) lgkmcnt(2)
	v_pk_mul_f32 v[4:5], v[6:7], v[46:47] op_sel:[1,1] op_sel_hi:[0,1]
	v_pk_fma_f32 v[22:23], v[6:7], v[46:47], v[4:5] neg_lo:[0,0,1] neg_hi:[0,0,1]
	v_pk_fma_f32 v[4:5], v[6:7], v[46:47], v[4:5] op_sel_hi:[1,0,1]
	v_pk_add_f32 v[2:3], v[2:3], v[24:25]
	v_mov_b32_e32 v4, v49
	v_mov_b32_e32 v23, v5
	v_pk_mul_f32 v[4:5], v[8:9], v[4:5] op_sel:[1,0] op_sel_hi:[0,0]
	v_pk_fma_f32 v[6:7], v[8:9], v[48:49], v[4:5] neg_lo:[0,0,1] neg_hi:[0,0,1]
	v_pk_fma_f32 v[4:5], v[8:9], v[48:49], v[4:5] op_sel_hi:[1,0,1]
	v_pk_add_f32 v[2:3], v[2:3], v[22:23]
	v_mov_b32_e32 v7, v5
	s_waitcnt vmcnt(2) lgkmcnt(1)
	v_pk_mul_f32 v[4:5], v[10:11], v[34:35] op_sel:[1,1] op_sel_hi:[0,1]
	v_pk_add_f32 v[2:3], v[2:3], v[6:7]
	v_pk_fma_f32 v[6:7], v[10:11], v[34:35], v[4:5] neg_lo:[0,0,1] neg_hi:[0,0,1]
	v_pk_fma_f32 v[4:5], v[10:11], v[34:35], v[4:5] op_sel_hi:[1,0,1]
	s_nop 0
	v_mov_b32_e32 v4, v37
	v_mov_b32_e32 v7, v5
	v_pk_mul_f32 v[4:5], v[12:13], v[4:5] op_sel:[1,0] op_sel_hi:[0,0]
	v_pk_add_f32 v[2:3], v[2:3], v[6:7]
	v_pk_fma_f32 v[6:7], v[12:13], v[36:37], v[4:5] neg_lo:[0,0,1] neg_hi:[0,0,1]
	v_pk_fma_f32 v[4:5], v[12:13], v[36:37], v[4:5] op_sel_hi:[1,0,1]
	s_nop 0
	v_mov_b32_e32 v7, v5
	s_waitcnt vmcnt(1) lgkmcnt(0)
	v_pk_mul_f32 v[4:5], v[14:15], v[18:19] op_sel:[1,1] op_sel_hi:[0,1]
	v_pk_add_f32 v[2:3], v[2:3], v[6:7]
	v_pk_fma_f32 v[6:7], v[14:15], v[18:19], v[4:5] neg_lo:[0,0,1] neg_hi:[0,0,1]
	v_pk_fma_f32 v[4:5], v[14:15], v[18:19], v[4:5] op_sel_hi:[1,0,1]
	s_nop 0
	v_mov_b32_e32 v4, v21
	v_mov_b32_e32 v7, v5
	v_pk_mul_f32 v[4:5], v[16:17], v[4:5] op_sel:[1,0] op_sel_hi:[0,0]
	v_pk_add_f32 v[2:3], v[2:3], v[6:7]
	v_pk_fma_f32 v[6:7], v[16:17], v[20:21], v[4:5] neg_lo:[0,0,1] neg_hi:[0,0,1]
	v_pk_fma_f32 v[4:5], v[16:17], v[20:21], v[4:5] op_sel_hi:[1,0,1]
	s_nop 0
	v_mov_b32_e32 v7, v5
	v_pk_add_f32 v[2:3], v[2:3], v[6:7]
	s_waitcnt vmcnt(0)
	v_pk_add_f32 v[2:3], v[100:101], v[2:3] neg_lo:[0,1] neg_hi:[0,1]
	scratch_store_dwordx2 off, v[2:3], off offset:176
	s_and_saveexec_b64 s[0:1], vcc
	s_cbranch_execz .LBB114_277
; %bb.276:
	scratch_load_dwordx2 v[2:3], off, off offset:168
	v_mov_b32_e32 v4, 0
	v_mov_b32_e32 v5, v4
	scratch_store_dwordx2 off, v[4:5], off offset:168
	s_waitcnt vmcnt(1)
	ds_write_b64 v1, v[2:3]
.LBB114_277:
	s_or_b64 exec, exec, s[0:1]
	s_waitcnt lgkmcnt(0)
	; wave barrier
	scratch_load_dwordx4 v[26:29], off, off offset:176
	scratch_load_dwordx4 v[2:5], off, off offset:192
	;; [unrolled: 1-line block ×14, first 2 shown]
	scratch_load_dwordx2 v[58:59], off, off offset:400
	scratch_load_dwordx2 v[100:101], off, off offset:168
	v_mov_b32_e32 v102, 0
	ds_read_b128 v[60:63], v102 offset:592
	ds_read_b128 v[64:67], v102 offset:608
	;; [unrolled: 1-line block ×12, first 2 shown]
	v_cmp_lt_u32_e32 vcc, 20, v0
	s_waitcnt vmcnt(15) lgkmcnt(11)
	v_mul_f32_e32 v103, v60, v27
	v_mul_f32_e32 v112, v62, v29
	s_waitcnt vmcnt(14) lgkmcnt(10)
	v_mul_f32_e32 v114, v64, v3
	v_mul_f32_e32 v3, v65, v3
	v_fmac_f32_e32 v103, v61, v26
	v_fmac_f32_e32 v112, v63, v28
	;; [unrolled: 1-line block ×3, first 2 shown]
	v_fma_f32 v2, v64, v2, -v3
	v_add_f32_e32 v3, 0, v103
	v_mul_f32_e32 v116, v66, v5
	v_add_f32_e32 v3, v3, v112
	s_waitcnt vmcnt(13) lgkmcnt(9)
	v_mul_f32_e32 v117, v68, v7
	v_fmac_f32_e32 v116, v67, v4
	v_add_f32_e32 v3, v3, v114
	v_mul_f32_e32 v118, v70, v9
	v_fmac_f32_e32 v117, v69, v6
	v_add_f32_e32 v3, v3, v116
	s_waitcnt vmcnt(12) lgkmcnt(8)
	v_mul_f32_e32 v119, v72, v11
	v_fmac_f32_e32 v118, v71, v8
	v_add_f32_e32 v3, v3, v117
	v_mul_f32_e32 v120, v74, v13
	v_fmac_f32_e32 v119, v73, v10
	;; [unrolled: 7-line block ×6, first 2 shown]
	v_add_f32_e32 v3, v3, v126
	s_waitcnt vmcnt(7) lgkmcnt(3)
	v_mul_f32_e32 v129, v92, v43
	v_fmac_f32_e32 v128, v91, v40
	v_add_f32_e32 v3, v3, v127
	v_mul_f32_e32 v130, v94, v45
	v_mul_f32_e32 v27, v61, v27
	v_fmac_f32_e32 v129, v93, v42
	v_add_f32_e32 v3, v3, v128
	s_waitcnt vmcnt(6) lgkmcnt(2)
	v_mul_f32_e32 v131, v96, v51
	v_mul_f32_e32 v29, v63, v29
	v_fmac_f32_e32 v130, v95, v44
	v_fma_f32 v26, v60, v26, -v27
	v_add_f32_e32 v3, v3, v129
	v_fmac_f32_e32 v131, v97, v50
	v_fma_f32 v27, v62, v28, -v29
	v_add_f32_e32 v26, 0, v26
	v_add_f32_e32 v3, v3, v130
	;; [unrolled: 1-line block ×4, first 2 shown]
	v_mul_f32_e32 v3, v67, v5
	v_add_f32_e32 v2, v26, v2
	v_fma_f32 v3, v66, v4, -v3
	v_add_f32_e32 v2, v2, v3
	v_mul_f32_e32 v3, v69, v7
	v_fma_f32 v3, v68, v6, -v3
	v_add_f32_e32 v2, v2, v3
	v_mul_f32_e32 v3, v71, v9
	;; [unrolled: 3-line block ×15, first 2 shown]
	v_fma_f32 v3, v96, v50, -v3
	v_mul_f32_e32 v113, v98, v53
	v_add_f32_e32 v26, v2, v3
	v_mul_f32_e32 v2, v99, v53
	s_waitcnt vmcnt(5)
	v_mov_b32_e32 v14, v57
	s_waitcnt lgkmcnt(1)
	v_mul_f32_e32 v115, v104, v55
	v_fmac_f32_e32 v113, v99, v52
	v_fma_f32 v112, v98, v52, -v2
	v_mul_f32_e32 v2, v105, v55
	v_pk_mul_f32 v[14:15], v[106:107], v[14:15] op_sel:[1,0] op_sel_hi:[0,0]
	v_fmac_f32_e32 v115, v105, v54
	v_fma_f32 v114, v104, v54, -v2
	v_pk_add_f32 v[12:13], v[26:27], v[112:113]
	v_pk_fma_f32 v[16:17], v[106:107], v[56:57], v[14:15] neg_lo:[0,0,1] neg_hi:[0,0,1]
	v_pk_fma_f32 v[14:15], v[106:107], v[56:57], v[14:15] op_sel_hi:[1,0,1]
	v_pk_add_f32 v[12:13], v[12:13], v[114:115]
	v_mov_b32_e32 v17, v15
	s_waitcnt vmcnt(4) lgkmcnt(0)
	v_pk_mul_f32 v[14:15], v[108:109], v[46:47] op_sel:[1,1] op_sel_hi:[0,1]
	v_pk_add_f32 v[12:13], v[12:13], v[16:17]
	v_pk_fma_f32 v[16:17], v[108:109], v[46:47], v[14:15] neg_lo:[0,0,1] neg_hi:[0,0,1]
	v_pk_fma_f32 v[14:15], v[108:109], v[46:47], v[14:15] op_sel_hi:[1,0,1]
	ds_read_b128 v[2:5], v102 offset:784
	ds_read_b128 v[6:9], v102 offset:800
	ds_read_b64 v[10:11], v102 offset:816
	v_mov_b32_e32 v14, v49
	v_mov_b32_e32 v17, v15
	v_pk_mul_f32 v[14:15], v[110:111], v[14:15] op_sel:[1,0] op_sel_hi:[0,0]
	v_pk_add_f32 v[12:13], v[12:13], v[16:17]
	v_pk_fma_f32 v[16:17], v[110:111], v[48:49], v[14:15] neg_lo:[0,0,1] neg_hi:[0,0,1]
	v_pk_fma_f32 v[14:15], v[110:111], v[48:49], v[14:15] op_sel_hi:[1,0,1]
	s_nop 0
	v_mov_b32_e32 v17, v15
	s_waitcnt vmcnt(3) lgkmcnt(2)
	v_pk_mul_f32 v[14:15], v[2:3], v[34:35] op_sel:[1,1] op_sel_hi:[0,1]
	v_pk_add_f32 v[12:13], v[12:13], v[16:17]
	v_pk_fma_f32 v[16:17], v[2:3], v[34:35], v[14:15] neg_lo:[0,0,1] neg_hi:[0,0,1]
	v_pk_fma_f32 v[2:3], v[2:3], v[34:35], v[14:15] op_sel_hi:[1,0,1]
	s_nop 0
	v_mov_b32_e32 v17, v3
	v_pk_add_f32 v[2:3], v[12:13], v[16:17]
	v_mov_b32_e32 v12, v37
	v_pk_mul_f32 v[12:13], v[4:5], v[12:13] op_sel:[1,0] op_sel_hi:[0,0]
	v_pk_fma_f32 v[14:15], v[4:5], v[36:37], v[12:13] neg_lo:[0,0,1] neg_hi:[0,0,1]
	v_pk_fma_f32 v[4:5], v[4:5], v[36:37], v[12:13] op_sel_hi:[1,0,1]
	s_nop 0
	v_mov_b32_e32 v15, v5
	s_waitcnt vmcnt(2) lgkmcnt(1)
	v_pk_mul_f32 v[4:5], v[6:7], v[18:19] op_sel:[1,1] op_sel_hi:[0,1]
	v_pk_fma_f32 v[12:13], v[6:7], v[18:19], v[4:5] neg_lo:[0,0,1] neg_hi:[0,0,1]
	v_pk_fma_f32 v[4:5], v[6:7], v[18:19], v[4:5] op_sel_hi:[1,0,1]
	v_pk_add_f32 v[2:3], v[2:3], v[14:15]
	v_mov_b32_e32 v4, v21
	v_mov_b32_e32 v13, v5
	v_pk_mul_f32 v[4:5], v[8:9], v[4:5] op_sel:[1,0] op_sel_hi:[0,0]
	v_pk_fma_f32 v[6:7], v[8:9], v[20:21], v[4:5] neg_lo:[0,0,1] neg_hi:[0,0,1]
	v_pk_fma_f32 v[4:5], v[8:9], v[20:21], v[4:5] op_sel_hi:[1,0,1]
	v_pk_add_f32 v[2:3], v[2:3], v[12:13]
	v_mov_b32_e32 v7, v5
	s_waitcnt vmcnt(1) lgkmcnt(0)
	v_pk_mul_f32 v[4:5], v[10:11], v[58:59] op_sel:[1,1] op_sel_hi:[0,1]
	v_pk_add_f32 v[2:3], v[2:3], v[6:7]
	v_pk_fma_f32 v[6:7], v[10:11], v[58:59], v[4:5] neg_lo:[0,0,1] neg_hi:[0,0,1]
	v_pk_fma_f32 v[4:5], v[10:11], v[58:59], v[4:5] op_sel_hi:[1,0,1]
	s_nop 0
	v_mov_b32_e32 v7, v5
	v_pk_add_f32 v[2:3], v[2:3], v[6:7]
	s_waitcnt vmcnt(0)
	v_pk_add_f32 v[2:3], v[100:101], v[2:3] neg_lo:[0,1] neg_hi:[0,1]
	scratch_store_dwordx2 off, v[2:3], off offset:168
	s_and_saveexec_b64 s[0:1], vcc
	s_cbranch_execz .LBB114_279
; %bb.278:
	scratch_load_dwordx2 v[2:3], off, off offset:160
	v_mov_b32_e32 v103, v102
	scratch_store_dwordx2 off, v[102:103], off offset:160
	s_waitcnt vmcnt(1)
	ds_write_b64 v1, v[2:3]
.LBB114_279:
	s_or_b64 exec, exec, s[0:1]
	s_waitcnt lgkmcnt(0)
	; wave barrier
	scratch_load_dwordx4 v[18:21], off, off offset:168
	scratch_load_dwordx4 v[2:5], off, off offset:184
	;; [unrolled: 1-line block ×11, first 2 shown]
	ds_read2_b64 v[104:107], v102 offset0:73 offset1:74
	ds_read2_b64 v[98:101], v102 offset0:75 offset1:76
	;; [unrolled: 1-line block ×10, first 2 shown]
	scratch_load_dwordx4 v[58:61], off, off offset:344
	scratch_load_dwordx4 v[50:53], off, off offset:360
	scratch_load_dwordx4 v[38:41], off, off offset:376
	scratch_load_dwordx4 v[26:29], off, off offset:392
	ds_read2_b64 v[78:81], v102 offset0:93 offset1:94
	ds_read2_b64 v[108:111], v102 offset0:95 offset1:96
	scratch_load_dwordx2 v[112:113], off, off offset:160
	v_cmp_lt_u32_e32 vcc, 19, v0
	s_waitcnt vmcnt(15) lgkmcnt(11)
	v_mul_f32_e32 v103, v104, v19
	v_mul_f32_e32 v114, v106, v21
	s_waitcnt vmcnt(14) lgkmcnt(10)
	v_mul_f32_e32 v116, v98, v3
	v_mul_f32_e32 v3, v99, v3
	v_fmac_f32_e32 v103, v105, v18
	v_fmac_f32_e32 v114, v107, v20
	;; [unrolled: 1-line block ×3, first 2 shown]
	v_fma_f32 v2, v98, v2, -v3
	v_add_f32_e32 v3, 0, v103
	v_mul_f32_e32 v118, v100, v5
	v_add_f32_e32 v3, v3, v114
	s_waitcnt vmcnt(13) lgkmcnt(9)
	v_mul_f32_e32 v119, v94, v7
	v_fmac_f32_e32 v118, v101, v4
	v_add_f32_e32 v3, v3, v116
	v_mul_f32_e32 v120, v96, v9
	v_fmac_f32_e32 v119, v95, v6
	v_add_f32_e32 v3, v3, v118
	s_waitcnt vmcnt(12) lgkmcnt(8)
	v_mul_f32_e32 v121, v90, v11
	v_fmac_f32_e32 v120, v97, v8
	v_add_f32_e32 v3, v3, v119
	v_mul_f32_e32 v122, v92, v13
	v_fmac_f32_e32 v121, v91, v10
	;; [unrolled: 7-line block ×7, first 2 shown]
	v_add_f32_e32 v3, v3, v130
	s_waitcnt vmcnt(6) lgkmcnt(2)
	v_mul_f32_e32 v135, v62, v47
	v_mul_f32_e32 v19, v105, v19
	v_fmac_f32_e32 v134, v69, v44
	v_add_f32_e32 v3, v3, v131
	v_mul_f32_e32 v136, v64, v49
	v_mul_f32_e32 v21, v107, v21
	v_fmac_f32_e32 v135, v63, v46
	v_fma_f32 v18, v104, v18, -v19
	v_add_f32_e32 v3, v3, v134
	v_fmac_f32_e32 v136, v65, v48
	v_fma_f32 v19, v106, v20, -v21
	v_add_f32_e32 v18, 0, v18
	v_add_f32_e32 v3, v3, v135
	;; [unrolled: 1-line block ×4, first 2 shown]
	v_mul_f32_e32 v3, v101, v5
	v_add_f32_e32 v2, v18, v2
	v_fma_f32 v3, v100, v4, -v3
	v_add_f32_e32 v2, v2, v3
	v_mul_f32_e32 v3, v95, v7
	v_fma_f32 v3, v94, v6, -v3
	v_add_f32_e32 v2, v2, v3
	v_mul_f32_e32 v3, v97, v9
	;; [unrolled: 3-line block ×16, first 2 shown]
	v_fma_f32 v3, v64, v48, -v3
	s_waitcnt vmcnt(5) lgkmcnt(1)
	v_mul_f32_e32 v115, v78, v55
	v_add_f32_e32 v18, v2, v3
	v_mul_f32_e32 v2, v79, v55
	v_fmac_f32_e32 v115, v79, v54
	v_fma_f32 v114, v78, v54, -v2
	s_waitcnt vmcnt(4) lgkmcnt(0)
	v_pk_mul_f32 v[16:17], v[108:109], v[58:59] op_sel:[1,1] op_sel_hi:[0,1]
	v_mul_f32_e32 v117, v80, v57
	v_mul_f32_e32 v2, v81, v57
	v_pk_add_f32 v[14:15], v[18:19], v[114:115]
	v_pk_fma_f32 v[18:19], v[108:109], v[58:59], v[16:17] neg_lo:[0,0,1] neg_hi:[0,0,1]
	v_pk_fma_f32 v[16:17], v[108:109], v[58:59], v[16:17] op_sel_hi:[1,0,1]
	v_fmac_f32_e32 v117, v81, v56
	v_fma_f32 v116, v80, v56, -v2
	ds_read2_b64 v[2:5], v102 offset0:97 offset1:98
	ds_read2_b64 v[6:9], v102 offset0:99 offset1:100
	ds_read2_b64 v[10:13], v102 offset0:101 offset1:102
	v_mov_b32_e32 v16, v61
	v_pk_add_f32 v[14:15], v[14:15], v[116:117]
	v_mov_b32_e32 v19, v17
	v_pk_mul_f32 v[16:17], v[110:111], v[16:17] op_sel:[1,0] op_sel_hi:[0,0]
	v_pk_add_f32 v[14:15], v[14:15], v[18:19]
	v_pk_fma_f32 v[18:19], v[110:111], v[60:61], v[16:17] neg_lo:[0,0,1] neg_hi:[0,0,1]
	v_pk_fma_f32 v[16:17], v[110:111], v[60:61], v[16:17] op_sel_hi:[1,0,1]
	s_nop 0
	v_mov_b32_e32 v19, v17
	s_waitcnt vmcnt(3) lgkmcnt(2)
	v_pk_mul_f32 v[16:17], v[2:3], v[50:51] op_sel:[1,1] op_sel_hi:[0,1]
	v_pk_add_f32 v[14:15], v[14:15], v[18:19]
	v_pk_fma_f32 v[18:19], v[2:3], v[50:51], v[16:17] neg_lo:[0,0,1] neg_hi:[0,0,1]
	v_pk_fma_f32 v[2:3], v[2:3], v[50:51], v[16:17] op_sel_hi:[1,0,1]
	s_nop 0
	v_mov_b32_e32 v19, v3
	v_pk_add_f32 v[2:3], v[14:15], v[18:19]
	v_mov_b32_e32 v14, v53
	v_pk_mul_f32 v[14:15], v[4:5], v[14:15] op_sel:[1,0] op_sel_hi:[0,0]
	v_pk_fma_f32 v[16:17], v[4:5], v[52:53], v[14:15] neg_lo:[0,0,1] neg_hi:[0,0,1]
	v_pk_fma_f32 v[4:5], v[4:5], v[52:53], v[14:15] op_sel_hi:[1,0,1]
	s_nop 0
	v_mov_b32_e32 v17, v5
	s_waitcnt vmcnt(2) lgkmcnt(1)
	v_pk_mul_f32 v[4:5], v[6:7], v[38:39] op_sel:[1,1] op_sel_hi:[0,1]
	v_pk_fma_f32 v[14:15], v[6:7], v[38:39], v[4:5] neg_lo:[0,0,1] neg_hi:[0,0,1]
	v_pk_fma_f32 v[4:5], v[6:7], v[38:39], v[4:5] op_sel_hi:[1,0,1]
	v_pk_add_f32 v[2:3], v[2:3], v[16:17]
	v_mov_b32_e32 v4, v41
	v_mov_b32_e32 v15, v5
	v_pk_mul_f32 v[4:5], v[8:9], v[4:5] op_sel:[1,0] op_sel_hi:[0,0]
	v_pk_fma_f32 v[6:7], v[8:9], v[40:41], v[4:5] neg_lo:[0,0,1] neg_hi:[0,0,1]
	v_pk_fma_f32 v[4:5], v[8:9], v[40:41], v[4:5] op_sel_hi:[1,0,1]
	v_pk_add_f32 v[2:3], v[2:3], v[14:15]
	v_mov_b32_e32 v7, v5
	s_waitcnt vmcnt(1) lgkmcnt(0)
	v_pk_mul_f32 v[4:5], v[10:11], v[26:27] op_sel:[1,1] op_sel_hi:[0,1]
	v_pk_add_f32 v[2:3], v[2:3], v[6:7]
	v_pk_fma_f32 v[6:7], v[10:11], v[26:27], v[4:5] neg_lo:[0,0,1] neg_hi:[0,0,1]
	v_pk_fma_f32 v[4:5], v[10:11], v[26:27], v[4:5] op_sel_hi:[1,0,1]
	s_nop 0
	v_mov_b32_e32 v4, v29
	v_mov_b32_e32 v7, v5
	v_pk_mul_f32 v[4:5], v[12:13], v[4:5] op_sel:[1,0] op_sel_hi:[0,0]
	v_pk_add_f32 v[2:3], v[2:3], v[6:7]
	v_pk_fma_f32 v[6:7], v[12:13], v[28:29], v[4:5] neg_lo:[0,0,1] neg_hi:[0,0,1]
	v_pk_fma_f32 v[4:5], v[12:13], v[28:29], v[4:5] op_sel_hi:[1,0,1]
	s_nop 0
	v_mov_b32_e32 v7, v5
	v_pk_add_f32 v[2:3], v[2:3], v[6:7]
	s_waitcnt vmcnt(0)
	v_pk_add_f32 v[2:3], v[112:113], v[2:3] neg_lo:[0,1] neg_hi:[0,1]
	scratch_store_dwordx2 off, v[2:3], off offset:160
	s_and_saveexec_b64 s[0:1], vcc
	s_cbranch_execz .LBB114_281
; %bb.280:
	scratch_load_dwordx2 v[2:3], off, off offset:152
	v_mov_b32_e32 v4, 0
	v_mov_b32_e32 v5, v4
	scratch_store_dwordx2 off, v[4:5], off offset:152
	s_waitcnt vmcnt(1)
	ds_write_b64 v1, v[2:3]
.LBB114_281:
	s_or_b64 exec, exec, s[0:1]
	s_waitcnt lgkmcnt(0)
	; wave barrier
	scratch_load_dwordx4 v[2:5], off, off offset:160
	scratch_load_dwordx4 v[6:9], off, off offset:176
	;; [unrolled: 1-line block ×15, first 2 shown]
	scratch_load_dwordx2 v[62:63], off, off offset:400
	scratch_load_dwordx2 v[112:113], off, off offset:152
	v_mov_b32_e32 v114, 0
	ds_read_b128 v[64:67], v114 offset:576
	ds_read_b128 v[68:71], v114 offset:592
	;; [unrolled: 1-line block ×12, first 2 shown]
	v_cmp_lt_u32_e32 vcc, 18, v0
	s_waitcnt vmcnt(16) lgkmcnt(11)
	v_mul_f32_e32 v115, v64, v3
	v_mul_f32_e32 v116, v66, v5
	;; [unrolled: 1-line block ×3, first 2 shown]
	v_fmac_f32_e32 v115, v65, v2
	s_waitcnt vmcnt(15) lgkmcnt(10)
	v_mul_f32_e32 v118, v68, v7
	v_fmac_f32_e32 v116, v67, v4
	v_fma_f32 v2, v64, v2, -v3
	v_add_f32_e32 v3, 0, v115
	v_mul_f32_e32 v120, v70, v9
	v_fmac_f32_e32 v118, v69, v6
	v_add_f32_e32 v3, v3, v116
	s_waitcnt vmcnt(14) lgkmcnt(9)
	v_mul_f32_e32 v121, v72, v11
	v_fmac_f32_e32 v120, v71, v8
	v_add_f32_e32 v3, v3, v118
	v_mul_f32_e32 v122, v74, v13
	v_fmac_f32_e32 v121, v73, v10
	v_add_f32_e32 v3, v3, v120
	s_waitcnt vmcnt(13) lgkmcnt(8)
	v_mul_f32_e32 v123, v76, v15
	v_fmac_f32_e32 v122, v75, v12
	;; [unrolled: 7-line block ×9, first 2 shown]
	v_add_f32_e32 v3, v3, v137
	v_mul_f32_e32 v5, v67, v5
	v_fmac_f32_e32 v139, v105, v58
	v_add_f32_e32 v3, v3, v138
	v_add_f32_e32 v2, 0, v2
	v_add_f32_e32 v65, v3, v139
	v_fma_f32 v3, v66, v4, -v5
	v_add_f32_e32 v2, v2, v3
	v_mul_f32_e32 v3, v69, v7
	v_fma_f32 v3, v68, v6, -v3
	v_add_f32_e32 v2, v2, v3
	v_mul_f32_e32 v3, v71, v9
	v_fma_f32 v3, v70, v8, -v3
	v_add_f32_e32 v2, v2, v3
	v_mul_f32_e32 v3, v73, v11
	v_fma_f32 v3, v72, v10, -v3
	v_add_f32_e32 v2, v2, v3
	v_mul_f32_e32 v3, v75, v13
	v_fma_f32 v3, v74, v12, -v3
	v_add_f32_e32 v2, v2, v3
	v_mul_f32_e32 v3, v77, v15
	v_fma_f32 v3, v76, v14, -v3
	v_add_f32_e32 v2, v2, v3
	v_mul_f32_e32 v3, v79, v17
	v_fma_f32 v3, v78, v16, -v3
	v_add_f32_e32 v2, v2, v3
	v_mul_f32_e32 v3, v81, v19
	v_fma_f32 v3, v80, v18, -v3
	v_add_f32_e32 v2, v2, v3
	v_mul_f32_e32 v3, v83, v21
	v_fma_f32 v3, v82, v20, -v3
	v_add_f32_e32 v2, v2, v3
	v_mul_f32_e32 v3, v85, v23
	v_fma_f32 v3, v84, v22, -v3
	v_add_f32_e32 v2, v2, v3
	v_mul_f32_e32 v3, v87, v25
	v_fma_f32 v3, v86, v24, -v3
	v_add_f32_e32 v2, v2, v3
	v_mul_f32_e32 v3, v89, v31
	v_fma_f32 v3, v88, v30, -v3
	v_add_f32_e32 v2, v2, v3
	v_mul_f32_e32 v3, v91, v33
	v_fma_f32 v3, v90, v32, -v3
	v_add_f32_e32 v2, v2, v3
	v_mul_f32_e32 v3, v93, v35
	v_fma_f32 v3, v92, v34, -v3
	v_add_f32_e32 v2, v2, v3
	v_mul_f32_e32 v3, v95, v37
	v_fma_f32 v3, v94, v36, -v3
	v_add_f32_e32 v2, v2, v3
	v_mul_f32_e32 v3, v97, v43
	v_fma_f32 v3, v96, v42, -v3
	v_add_f32_e32 v2, v2, v3
	v_mul_f32_e32 v3, v99, v45
	v_fma_f32 v3, v98, v44, -v3
	v_add_f32_e32 v2, v2, v3
	v_mul_f32_e32 v3, v101, v47
	v_fma_f32 v3, v100, v46, -v3
	v_add_f32_e32 v2, v2, v3
	v_mul_f32_e32 v3, v103, v49
	v_fma_f32 v3, v102, v48, -v3
	v_add_f32_e32 v2, v2, v3
	v_mul_f32_e32 v3, v105, v59
	v_fma_f32 v3, v104, v58, -v3
	v_add_f32_e32 v64, v2, v3
	v_mul_f32_e32 v2, v107, v61
	v_mul_f32_e32 v117, v106, v61
	v_fma_f32 v116, v106, v60, -v2
	s_waitcnt vmcnt(5) lgkmcnt(0)
	v_mul_f32_e32 v2, v109, v55
	v_mov_b32_e32 v18, v57
	v_mul_f32_e32 v119, v108, v55
	v_fmac_f32_e32 v117, v107, v60
	v_fma_f32 v118, v108, v54, -v2
	ds_read_b128 v[2:5], v114 offset:768
	ds_read_b128 v[6:9], v114 offset:784
	;; [unrolled: 1-line block ×3, first 2 shown]
	ds_read_b64 v[14:15], v114 offset:816
	v_pk_mul_f32 v[18:19], v[110:111], v[18:19] op_sel:[1,0] op_sel_hi:[0,0]
	v_fmac_f32_e32 v119, v109, v54
	v_pk_add_f32 v[16:17], v[64:65], v[116:117]
	v_pk_fma_f32 v[20:21], v[110:111], v[56:57], v[18:19] neg_lo:[0,0,1] neg_hi:[0,0,1]
	v_pk_fma_f32 v[18:19], v[110:111], v[56:57], v[18:19] op_sel_hi:[1,0,1]
	v_pk_add_f32 v[16:17], v[16:17], v[118:119]
	v_mov_b32_e32 v21, v19
	s_waitcnt vmcnt(4) lgkmcnt(3)
	v_pk_mul_f32 v[18:19], v[2:3], v[50:51] op_sel:[1,1] op_sel_hi:[0,1]
	v_pk_add_f32 v[16:17], v[16:17], v[20:21]
	v_pk_fma_f32 v[20:21], v[2:3], v[50:51], v[18:19] neg_lo:[0,0,1] neg_hi:[0,0,1]
	v_pk_fma_f32 v[2:3], v[2:3], v[50:51], v[18:19] op_sel_hi:[1,0,1]
	s_nop 0
	v_mov_b32_e32 v21, v3
	v_pk_add_f32 v[2:3], v[16:17], v[20:21]
	v_mov_b32_e32 v16, v53
	v_pk_mul_f32 v[16:17], v[4:5], v[16:17] op_sel:[1,0] op_sel_hi:[0,0]
	v_pk_fma_f32 v[18:19], v[4:5], v[52:53], v[16:17] neg_lo:[0,0,1] neg_hi:[0,0,1]
	v_pk_fma_f32 v[4:5], v[4:5], v[52:53], v[16:17] op_sel_hi:[1,0,1]
	s_nop 0
	v_mov_b32_e32 v19, v5
	s_waitcnt vmcnt(3) lgkmcnt(2)
	v_pk_mul_f32 v[4:5], v[6:7], v[38:39] op_sel:[1,1] op_sel_hi:[0,1]
	v_pk_fma_f32 v[16:17], v[6:7], v[38:39], v[4:5] neg_lo:[0,0,1] neg_hi:[0,0,1]
	v_pk_fma_f32 v[4:5], v[6:7], v[38:39], v[4:5] op_sel_hi:[1,0,1]
	v_pk_add_f32 v[2:3], v[2:3], v[18:19]
	v_mov_b32_e32 v4, v41
	v_mov_b32_e32 v17, v5
	v_pk_mul_f32 v[4:5], v[8:9], v[4:5] op_sel:[1,0] op_sel_hi:[0,0]
	v_pk_fma_f32 v[6:7], v[8:9], v[40:41], v[4:5] neg_lo:[0,0,1] neg_hi:[0,0,1]
	v_pk_fma_f32 v[4:5], v[8:9], v[40:41], v[4:5] op_sel_hi:[1,0,1]
	v_pk_add_f32 v[2:3], v[2:3], v[16:17]
	v_mov_b32_e32 v7, v5
	s_waitcnt vmcnt(2) lgkmcnt(1)
	v_pk_mul_f32 v[4:5], v[10:11], v[26:27] op_sel:[1,1] op_sel_hi:[0,1]
	v_pk_add_f32 v[2:3], v[2:3], v[6:7]
	v_pk_fma_f32 v[6:7], v[10:11], v[26:27], v[4:5] neg_lo:[0,0,1] neg_hi:[0,0,1]
	v_pk_fma_f32 v[4:5], v[10:11], v[26:27], v[4:5] op_sel_hi:[1,0,1]
	s_nop 0
	v_mov_b32_e32 v4, v29
	v_mov_b32_e32 v7, v5
	v_pk_mul_f32 v[4:5], v[12:13], v[4:5] op_sel:[1,0] op_sel_hi:[0,0]
	v_pk_add_f32 v[2:3], v[2:3], v[6:7]
	v_pk_fma_f32 v[6:7], v[12:13], v[28:29], v[4:5] neg_lo:[0,0,1] neg_hi:[0,0,1]
	v_pk_fma_f32 v[4:5], v[12:13], v[28:29], v[4:5] op_sel_hi:[1,0,1]
	s_nop 0
	v_mov_b32_e32 v7, v5
	s_waitcnt vmcnt(1) lgkmcnt(0)
	v_pk_mul_f32 v[4:5], v[14:15], v[62:63] op_sel:[1,1] op_sel_hi:[0,1]
	v_pk_add_f32 v[2:3], v[2:3], v[6:7]
	v_pk_fma_f32 v[6:7], v[14:15], v[62:63], v[4:5] neg_lo:[0,0,1] neg_hi:[0,0,1]
	v_pk_fma_f32 v[4:5], v[14:15], v[62:63], v[4:5] op_sel_hi:[1,0,1]
	s_nop 0
	v_mov_b32_e32 v7, v5
	v_pk_add_f32 v[2:3], v[2:3], v[6:7]
	s_waitcnt vmcnt(0)
	v_pk_add_f32 v[2:3], v[112:113], v[2:3] neg_lo:[0,1] neg_hi:[0,1]
	scratch_store_dwordx2 off, v[2:3], off offset:152
	s_and_saveexec_b64 s[0:1], vcc
	s_cbranch_execz .LBB114_283
; %bb.282:
	scratch_load_dwordx2 v[2:3], off, off offset:144
	v_mov_b32_e32 v115, v114
	scratch_store_dwordx2 off, v[114:115], off offset:144
	s_waitcnt vmcnt(1)
	ds_write_b64 v1, v[2:3]
.LBB114_283:
	s_or_b64 exec, exec, s[0:1]
	s_waitcnt lgkmcnt(0)
	; wave barrier
	scratch_load_dwordx4 v[2:5], off, off offset:152
	scratch_load_dwordx4 v[6:9], off, off offset:168
	;; [unrolled: 1-line block ×12, first 2 shown]
	ds_read2_b64 v[110:113], v114 offset0:71 offset1:72
	ds_read2_b64 v[106:109], v114 offset0:73 offset1:74
	;; [unrolled: 1-line block ×12, first 2 shown]
	scratch_load_dwordx4 v[62:65], off, off offset:344
	scratch_load_dwordx4 v[54:57], off, off offset:360
	;; [unrolled: 1-line block ×4, first 2 shown]
	scratch_load_dwordx2 v[116:117], off, off offset:144
	v_cmp_lt_u32_e32 vcc, 17, v0
	s_waitcnt vmcnt(16) lgkmcnt(11)
	v_mul_f32_e32 v115, v110, v3
	v_mul_f32_e32 v118, v112, v5
	;; [unrolled: 1-line block ×3, first 2 shown]
	v_fmac_f32_e32 v115, v111, v2
	s_waitcnt vmcnt(15) lgkmcnt(10)
	v_mul_f32_e32 v120, v106, v7
	v_fmac_f32_e32 v118, v113, v4
	v_fma_f32 v2, v110, v2, -v3
	v_add_f32_e32 v3, 0, v115
	v_mul_f32_e32 v122, v108, v9
	v_fmac_f32_e32 v120, v107, v6
	v_add_f32_e32 v3, v3, v118
	s_waitcnt vmcnt(14) lgkmcnt(9)
	v_mul_f32_e32 v123, v102, v11
	v_fmac_f32_e32 v122, v109, v8
	v_add_f32_e32 v3, v3, v120
	v_mul_f32_e32 v124, v104, v13
	v_fmac_f32_e32 v123, v103, v10
	v_add_f32_e32 v3, v3, v122
	s_waitcnt vmcnt(13) lgkmcnt(8)
	v_mul_f32_e32 v125, v98, v15
	v_fmac_f32_e32 v124, v105, v12
	;; [unrolled: 7-line block ×9, first 2 shown]
	v_add_f32_e32 v3, v3, v139
	v_mul_f32_e32 v142, v72, v53
	v_fmac_f32_e32 v141, v71, v50
	v_add_f32_e32 v3, v3, v140
	v_fmac_f32_e32 v142, v73, v52
	v_add_f32_e32 v3, v3, v141
	v_add_f32_e32 v111, v3, v142
	v_mul_f32_e32 v3, v113, v5
	v_add_f32_e32 v2, 0, v2
	v_fma_f32 v3, v112, v4, -v3
	v_add_f32_e32 v2, v2, v3
	v_mul_f32_e32 v3, v107, v7
	v_fma_f32 v3, v106, v6, -v3
	v_add_f32_e32 v2, v2, v3
	v_mul_f32_e32 v3, v109, v9
	;; [unrolled: 3-line block ×20, first 2 shown]
	v_fma_f32 v3, v72, v52, -v3
	v_add_f32_e32 v110, v2, v3
	s_waitcnt vmcnt(5) lgkmcnt(0)
	v_mul_f32_e32 v2, v67, v59
	v_fma_f32 v118, v66, v58, -v2
	v_mul_f32_e32 v2, v69, v61
	v_fma_f32 v120, v68, v60, -v2
	ds_read2_b64 v[2:5], v114 offset0:95 offset1:96
	ds_read2_b64 v[6:9], v114 offset0:97 offset1:98
	;; [unrolled: 1-line block ×4, first 2 shown]
	v_mul_f32_e32 v119, v66, v59
	v_mul_f32_e32 v121, v68, v61
	v_fmac_f32_e32 v119, v67, v58
	s_waitcnt vmcnt(4) lgkmcnt(3)
	v_pk_mul_f32 v[20:21], v[2:3], v[62:63] op_sel:[1,1] op_sel_hi:[0,1]
	v_fmac_f32_e32 v121, v69, v60
	v_pk_add_f32 v[18:19], v[110:111], v[118:119]
	v_pk_fma_f32 v[22:23], v[2:3], v[62:63], v[20:21] neg_lo:[0,0,1] neg_hi:[0,0,1]
	v_pk_fma_f32 v[2:3], v[2:3], v[62:63], v[20:21] op_sel_hi:[1,0,1]
	v_pk_add_f32 v[18:19], v[18:19], v[120:121]
	v_mov_b32_e32 v23, v3
	v_pk_add_f32 v[2:3], v[18:19], v[22:23]
	v_mov_b32_e32 v18, v65
	v_pk_mul_f32 v[18:19], v[4:5], v[18:19] op_sel:[1,0] op_sel_hi:[0,0]
	v_pk_fma_f32 v[20:21], v[4:5], v[64:65], v[18:19] neg_lo:[0,0,1] neg_hi:[0,0,1]
	v_pk_fma_f32 v[4:5], v[4:5], v[64:65], v[18:19] op_sel_hi:[1,0,1]
	s_nop 0
	v_mov_b32_e32 v21, v5
	s_waitcnt vmcnt(3) lgkmcnt(2)
	v_pk_mul_f32 v[4:5], v[6:7], v[54:55] op_sel:[1,1] op_sel_hi:[0,1]
	v_pk_fma_f32 v[18:19], v[6:7], v[54:55], v[4:5] neg_lo:[0,0,1] neg_hi:[0,0,1]
	v_pk_fma_f32 v[4:5], v[6:7], v[54:55], v[4:5] op_sel_hi:[1,0,1]
	v_pk_add_f32 v[2:3], v[2:3], v[20:21]
	v_mov_b32_e32 v4, v57
	v_mov_b32_e32 v19, v5
	v_pk_mul_f32 v[4:5], v[8:9], v[4:5] op_sel:[1,0] op_sel_hi:[0,0]
	v_pk_fma_f32 v[6:7], v[8:9], v[56:57], v[4:5] neg_lo:[0,0,1] neg_hi:[0,0,1]
	v_pk_fma_f32 v[4:5], v[8:9], v[56:57], v[4:5] op_sel_hi:[1,0,1]
	v_pk_add_f32 v[2:3], v[2:3], v[18:19]
	v_mov_b32_e32 v7, v5
	s_waitcnt vmcnt(2) lgkmcnt(1)
	v_pk_mul_f32 v[4:5], v[10:11], v[42:43] op_sel:[1,1] op_sel_hi:[0,1]
	v_pk_add_f32 v[2:3], v[2:3], v[6:7]
	v_pk_fma_f32 v[6:7], v[10:11], v[42:43], v[4:5] neg_lo:[0,0,1] neg_hi:[0,0,1]
	v_pk_fma_f32 v[4:5], v[10:11], v[42:43], v[4:5] op_sel_hi:[1,0,1]
	s_nop 0
	v_mov_b32_e32 v4, v45
	v_mov_b32_e32 v7, v5
	v_pk_mul_f32 v[4:5], v[12:13], v[4:5] op_sel:[1,0] op_sel_hi:[0,0]
	v_pk_add_f32 v[2:3], v[2:3], v[6:7]
	v_pk_fma_f32 v[6:7], v[12:13], v[44:45], v[4:5] neg_lo:[0,0,1] neg_hi:[0,0,1]
	v_pk_fma_f32 v[4:5], v[12:13], v[44:45], v[4:5] op_sel_hi:[1,0,1]
	s_nop 0
	v_mov_b32_e32 v7, v5
	s_waitcnt vmcnt(1) lgkmcnt(0)
	v_pk_mul_f32 v[4:5], v[14:15], v[34:35] op_sel:[1,1] op_sel_hi:[0,1]
	v_pk_add_f32 v[2:3], v[2:3], v[6:7]
	v_pk_fma_f32 v[6:7], v[14:15], v[34:35], v[4:5] neg_lo:[0,0,1] neg_hi:[0,0,1]
	v_pk_fma_f32 v[4:5], v[14:15], v[34:35], v[4:5] op_sel_hi:[1,0,1]
	s_nop 0
	v_mov_b32_e32 v4, v37
	v_mov_b32_e32 v7, v5
	v_pk_mul_f32 v[4:5], v[16:17], v[4:5] op_sel:[1,0] op_sel_hi:[0,0]
	v_pk_add_f32 v[2:3], v[2:3], v[6:7]
	v_pk_fma_f32 v[6:7], v[16:17], v[36:37], v[4:5] neg_lo:[0,0,1] neg_hi:[0,0,1]
	v_pk_fma_f32 v[4:5], v[16:17], v[36:37], v[4:5] op_sel_hi:[1,0,1]
	s_nop 0
	v_mov_b32_e32 v7, v5
	v_pk_add_f32 v[2:3], v[2:3], v[6:7]
	s_waitcnt vmcnt(0)
	v_pk_add_f32 v[2:3], v[116:117], v[2:3] neg_lo:[0,1] neg_hi:[0,1]
	scratch_store_dwordx2 off, v[2:3], off offset:144
	s_and_saveexec_b64 s[0:1], vcc
	s_cbranch_execz .LBB114_285
; %bb.284:
	scratch_load_dwordx2 v[2:3], off, off offset:136
	v_mov_b32_e32 v4, 0
	v_mov_b32_e32 v5, v4
	scratch_store_dwordx2 off, v[4:5], off offset:136
	s_waitcnt vmcnt(1)
	ds_write_b64 v1, v[2:3]
.LBB114_285:
	s_or_b64 exec, exec, s[0:1]
	s_waitcnt lgkmcnt(0)
	; wave barrier
	scratch_load_dwordx4 v[2:5], off, off offset:144
	scratch_load_dwordx4 v[6:9], off, off offset:160
	;; [unrolled: 1-line block ×13, first 2 shown]
	v_mov_b32_e32 v106, 0
	scratch_load_dwordx2 v[124:125], off, off offset:136
	ds_read_b128 v[54:57], v106 offset:560
	ds_read_b128 v[58:61], v106 offset:576
	ds_read_b128 v[62:65], v106 offset:592
	ds_read_b128 v[66:69], v106 offset:608
	ds_read_b128 v[70:73], v106 offset:624
	ds_read_b128 v[74:77], v106 offset:640
	ds_read_b128 v[78:81], v106 offset:656
	ds_read_b128 v[82:85], v106 offset:672
	ds_read_b128 v[86:89], v106 offset:688
	ds_read_b128 v[90:93], v106 offset:704
	ds_read_b128 v[94:97], v106 offset:720
	ds_read_b128 v[98:101], v106 offset:736
	ds_read_b128 v[102:105], v106 offset:752
	ds_read_b128 v[108:111], v106 offset:768
	v_cmp_lt_u32_e32 vcc, 16, v0
	s_waitcnt vmcnt(13) lgkmcnt(13)
	v_mul_f32_e32 v107, v54, v3
	v_mul_f32_e32 v112, v56, v5
	v_fmac_f32_e32 v107, v55, v2
	s_waitcnt vmcnt(12) lgkmcnt(12)
	v_mul_f32_e32 v113, v58, v7
	v_fmac_f32_e32 v112, v57, v4
	v_add_f32_e32 v107, 0, v107
	v_mul_f32_e32 v114, v60, v9
	v_fmac_f32_e32 v113, v59, v6
	v_add_f32_e32 v107, v107, v112
	s_waitcnt vmcnt(11) lgkmcnt(11)
	v_mul_f32_e32 v115, v62, v11
	v_fmac_f32_e32 v114, v61, v8
	v_add_f32_e32 v107, v107, v113
	v_mul_f32_e32 v116, v64, v13
	v_fmac_f32_e32 v115, v63, v10
	v_add_f32_e32 v107, v107, v114
	;; [unrolled: 7-line block ×8, first 2 shown]
	s_waitcnt vmcnt(4) lgkmcnt(4)
	v_mul_f32_e32 v135, v90, v39
	v_fmac_f32_e32 v134, v89, v36
	v_add_f32_e32 v107, v107, v131
	v_fmac_f32_e32 v135, v91, v38
	v_add_f32_e32 v107, v107, v134
	v_add_f32_e32 v107, v107, v135
	scratch_load_dwordx4 v[112:115], off, off offset:352
	scratch_load_dwordx4 v[116:119], off, off offset:368
	;; [unrolled: 1-line block ×3, first 2 shown]
	scratch_load_dwordx2 v[134:135], off, off offset:400
	v_mul_f32_e32 v3, v55, v3
	v_fma_f32 v2, v54, v2, -v3
	v_mul_f32_e32 v3, v57, v5
	v_add_f32_e32 v2, 0, v2
	v_fma_f32 v3, v56, v4, -v3
	v_add_f32_e32 v2, v2, v3
	v_mul_f32_e32 v3, v59, v7
	v_fma_f32 v3, v58, v6, -v3
	v_add_f32_e32 v2, v2, v3
	v_mul_f32_e32 v3, v61, v9
	;; [unrolled: 3-line block ×18, first 2 shown]
	v_fma_f32 v3, v92, v40, -v3
	v_add_f32_e32 v2, v2, v3
	s_waitcnt vmcnt(7) lgkmcnt(3)
	v_mul_f32_e32 v3, v95, v43
	v_fma_f32 v3, v94, v42, -v3
	v_mul_f32_e32 v136, v92, v41
	v_add_f32_e32 v2, v2, v3
	v_mul_f32_e32 v3, v97, v45
	v_mul_f32_e32 v137, v94, v43
	v_fmac_f32_e32 v136, v93, v40
	v_fma_f32 v3, v96, v44, -v3
	v_mul_f32_e32 v138, v96, v45
	v_fmac_f32_e32 v137, v95, v42
	v_add_f32_e32 v107, v107, v136
	v_add_f32_e32 v2, v2, v3
	s_waitcnt vmcnt(6) lgkmcnt(2)
	v_mul_f32_e32 v3, v99, v47
	v_mul_f32_e32 v139, v98, v47
	v_fmac_f32_e32 v138, v97, v44
	v_add_f32_e32 v107, v107, v137
	v_fma_f32 v3, v98, v46, -v3
	v_mul_f32_e32 v127, v100, v49
	v_fmac_f32_e32 v139, v99, v46
	v_add_f32_e32 v107, v107, v138
	v_add_f32_e32 v130, v2, v3
	v_mul_f32_e32 v2, v101, v49
	s_waitcnt vmcnt(5)
	v_mov_b32_e32 v14, v53
	s_waitcnt lgkmcnt(1)
	v_mul_f32_e32 v129, v102, v51
	v_fmac_f32_e32 v127, v101, v48
	v_add_f32_e32 v131, v107, v139
	v_fma_f32 v126, v100, v48, -v2
	v_mul_f32_e32 v2, v103, v51
	v_pk_mul_f32 v[14:15], v[104:105], v[14:15] op_sel:[1,0] op_sel_hi:[0,0]
	v_fmac_f32_e32 v129, v103, v50
	v_fma_f32 v128, v102, v50, -v2
	v_pk_add_f32 v[12:13], v[130:131], v[126:127]
	v_pk_fma_f32 v[16:17], v[104:105], v[52:53], v[14:15] neg_lo:[0,0,1] neg_hi:[0,0,1]
	v_pk_fma_f32 v[14:15], v[104:105], v[52:53], v[14:15] op_sel_hi:[1,0,1]
	v_pk_add_f32 v[12:13], v[12:13], v[128:129]
	v_mov_b32_e32 v17, v15
	s_waitcnt vmcnt(3) lgkmcnt(0)
	v_pk_mul_f32 v[14:15], v[108:109], v[112:113] op_sel:[1,1] op_sel_hi:[0,1]
	v_pk_add_f32 v[12:13], v[12:13], v[16:17]
	v_pk_fma_f32 v[16:17], v[108:109], v[112:113], v[14:15] neg_lo:[0,0,1] neg_hi:[0,0,1]
	v_pk_fma_f32 v[14:15], v[108:109], v[112:113], v[14:15] op_sel_hi:[1,0,1]
	ds_read_b128 v[2:5], v106 offset:784
	ds_read_b128 v[6:9], v106 offset:800
	ds_read_b64 v[10:11], v106 offset:816
	v_mov_b32_e32 v14, v115
	v_mov_b32_e32 v17, v15
	v_pk_mul_f32 v[14:15], v[110:111], v[14:15] op_sel:[1,0] op_sel_hi:[0,0]
	v_pk_add_f32 v[12:13], v[12:13], v[16:17]
	v_pk_fma_f32 v[16:17], v[110:111], v[114:115], v[14:15] neg_lo:[0,0,1] neg_hi:[0,0,1]
	v_pk_fma_f32 v[14:15], v[110:111], v[114:115], v[14:15] op_sel_hi:[1,0,1]
	s_nop 0
	v_mov_b32_e32 v17, v15
	s_waitcnt vmcnt(2) lgkmcnt(2)
	v_pk_mul_f32 v[14:15], v[2:3], v[116:117] op_sel:[1,1] op_sel_hi:[0,1]
	v_pk_add_f32 v[12:13], v[12:13], v[16:17]
	v_pk_fma_f32 v[16:17], v[2:3], v[116:117], v[14:15] neg_lo:[0,0,1] neg_hi:[0,0,1]
	v_pk_fma_f32 v[2:3], v[2:3], v[116:117], v[14:15] op_sel_hi:[1,0,1]
	s_nop 0
	v_mov_b32_e32 v17, v3
	v_pk_add_f32 v[2:3], v[12:13], v[16:17]
	v_mov_b32_e32 v12, v119
	v_pk_mul_f32 v[12:13], v[4:5], v[12:13] op_sel:[1,0] op_sel_hi:[0,0]
	v_pk_fma_f32 v[14:15], v[4:5], v[118:119], v[12:13] neg_lo:[0,0,1] neg_hi:[0,0,1]
	v_pk_fma_f32 v[4:5], v[4:5], v[118:119], v[12:13] op_sel_hi:[1,0,1]
	s_nop 0
	v_mov_b32_e32 v15, v5
	s_waitcnt vmcnt(1) lgkmcnt(1)
	v_pk_mul_f32 v[4:5], v[6:7], v[120:121] op_sel:[1,1] op_sel_hi:[0,1]
	v_pk_fma_f32 v[12:13], v[6:7], v[120:121], v[4:5] neg_lo:[0,0,1] neg_hi:[0,0,1]
	v_pk_fma_f32 v[4:5], v[6:7], v[120:121], v[4:5] op_sel_hi:[1,0,1]
	v_pk_add_f32 v[2:3], v[2:3], v[14:15]
	v_mov_b32_e32 v4, v123
	v_mov_b32_e32 v13, v5
	v_pk_mul_f32 v[4:5], v[8:9], v[4:5] op_sel:[1,0] op_sel_hi:[0,0]
	v_pk_fma_f32 v[6:7], v[8:9], v[122:123], v[4:5] neg_lo:[0,0,1] neg_hi:[0,0,1]
	v_pk_fma_f32 v[4:5], v[8:9], v[122:123], v[4:5] op_sel_hi:[1,0,1]
	v_pk_add_f32 v[2:3], v[2:3], v[12:13]
	v_mov_b32_e32 v7, v5
	s_waitcnt vmcnt(0) lgkmcnt(0)
	v_pk_mul_f32 v[4:5], v[10:11], v[134:135] op_sel:[1,1] op_sel_hi:[0,1]
	v_pk_add_f32 v[2:3], v[2:3], v[6:7]
	v_pk_fma_f32 v[6:7], v[10:11], v[134:135], v[4:5] neg_lo:[0,0,1] neg_hi:[0,0,1]
	v_pk_fma_f32 v[4:5], v[10:11], v[134:135], v[4:5] op_sel_hi:[1,0,1]
	s_nop 0
	v_mov_b32_e32 v7, v5
	v_pk_add_f32 v[2:3], v[2:3], v[6:7]
	s_nop 0
	v_pk_add_f32 v[2:3], v[124:125], v[2:3] neg_lo:[0,1] neg_hi:[0,1]
	scratch_store_dwordx2 off, v[2:3], off offset:136
	s_and_saveexec_b64 s[0:1], vcc
	s_cbranch_execz .LBB114_287
; %bb.286:
	scratch_load_dwordx2 v[2:3], off, off offset:128
	v_mov_b32_e32 v107, v106
	scratch_store_dwordx2 off, v[106:107], off offset:128
	s_waitcnt vmcnt(1)
	ds_write_b64 v1, v[2:3]
.LBB114_287:
	s_or_b64 exec, exec, s[0:1]
	s_waitcnt lgkmcnt(0)
	; wave barrier
	scratch_load_dwordx4 v[2:5], off, off offset:136
	scratch_load_dwordx4 v[6:9], off, off offset:152
	;; [unrolled: 1-line block ×13, first 2 shown]
	ds_read2_b64 v[102:105], v106 offset0:69 offset1:70
	ds_read2_b64 v[98:101], v106 offset0:71 offset1:72
	ds_read2_b64 v[94:97], v106 offset0:73 offset1:74
	ds_read2_b64 v[90:93], v106 offset0:75 offset1:76
	ds_read2_b64 v[86:89], v106 offset0:77 offset1:78
	ds_read2_b64 v[82:85], v106 offset0:79 offset1:80
	ds_read2_b64 v[78:81], v106 offset0:81 offset1:82
	ds_read2_b64 v[74:77], v106 offset0:83 offset1:84
	ds_read2_b64 v[70:73], v106 offset0:85 offset1:86
	ds_read2_b64 v[66:69], v106 offset0:87 offset1:88
	ds_read2_b64 v[62:65], v106 offset0:89 offset1:90
	ds_read2_b64 v[58:61], v106 offset0:91 offset1:92
	ds_read2_b64 v[54:57], v106 offset0:93 offset1:94
	ds_read2_b64 v[108:111], v106 offset0:95 offset1:96
	scratch_load_dwordx2 v[128:129], off, off offset:128
	v_cmp_lt_u32_e32 vcc, 15, v0
	s_waitcnt vmcnt(13) lgkmcnt(13)
	v_mul_f32_e32 v107, v102, v3
	v_mul_f32_e32 v112, v104, v5
	v_fmac_f32_e32 v107, v103, v2
	s_waitcnt vmcnt(12) lgkmcnt(12)
	v_mul_f32_e32 v113, v98, v7
	v_fmac_f32_e32 v112, v105, v4
	v_add_f32_e32 v107, 0, v107
	v_mul_f32_e32 v114, v100, v9
	v_fmac_f32_e32 v113, v99, v6
	v_add_f32_e32 v107, v107, v112
	s_waitcnt vmcnt(11) lgkmcnt(11)
	v_mul_f32_e32 v115, v94, v11
	v_fmac_f32_e32 v114, v101, v8
	v_add_f32_e32 v107, v107, v113
	v_mul_f32_e32 v116, v96, v13
	v_fmac_f32_e32 v115, v95, v10
	v_add_f32_e32 v107, v107, v114
	;; [unrolled: 7-line block ×7, first 2 shown]
	s_waitcnt vmcnt(5) lgkmcnt(5)
	v_mul_f32_e32 v127, v70, v35
	v_fmac_f32_e32 v126, v77, v32
	v_add_f32_e32 v107, v107, v125
	v_fmac_f32_e32 v127, v71, v34
	v_add_f32_e32 v107, v107, v126
	v_add_f32_e32 v107, v107, v127
	scratch_load_dwordx4 v[112:115], off, off offset:344
	scratch_load_dwordx4 v[116:119], off, off offset:360
	;; [unrolled: 1-line block ×4, first 2 shown]
	v_mul_f32_e32 v3, v103, v3
	v_fma_f32 v2, v102, v2, -v3
	v_mul_f32_e32 v3, v105, v5
	v_add_f32_e32 v2, 0, v2
	v_fma_f32 v3, v104, v4, -v3
	v_add_f32_e32 v2, v2, v3
	v_mul_f32_e32 v3, v99, v7
	v_fma_f32 v3, v98, v6, -v3
	v_add_f32_e32 v2, v2, v3
	v_mul_f32_e32 v3, v101, v9
	v_fma_f32 v3, v100, v8, -v3
	v_add_f32_e32 v2, v2, v3
	v_mul_f32_e32 v3, v95, v11
	v_fma_f32 v3, v94, v10, -v3
	v_add_f32_e32 v2, v2, v3
	v_mul_f32_e32 v3, v97, v13
	v_fma_f32 v3, v96, v12, -v3
	v_add_f32_e32 v2, v2, v3
	v_mul_f32_e32 v3, v91, v15
	v_fma_f32 v3, v90, v14, -v3
	v_add_f32_e32 v2, v2, v3
	v_mul_f32_e32 v3, v93, v17
	v_fma_f32 v3, v92, v16, -v3
	v_add_f32_e32 v2, v2, v3
	v_mul_f32_e32 v3, v87, v19
	v_fma_f32 v3, v86, v18, -v3
	v_add_f32_e32 v2, v2, v3
	v_mul_f32_e32 v3, v89, v21
	v_fma_f32 v3, v88, v20, -v3
	v_add_f32_e32 v2, v2, v3
	v_mul_f32_e32 v3, v83, v23
	v_fma_f32 v3, v82, v22, -v3
	v_add_f32_e32 v2, v2, v3
	v_mul_f32_e32 v3, v85, v25
	v_fma_f32 v3, v84, v24, -v3
	v_add_f32_e32 v2, v2, v3
	v_mul_f32_e32 v3, v79, v27
	v_fma_f32 v3, v78, v26, -v3
	v_add_f32_e32 v2, v2, v3
	v_mul_f32_e32 v3, v81, v29
	v_fma_f32 v3, v80, v28, -v3
	v_add_f32_e32 v2, v2, v3
	v_mul_f32_e32 v3, v75, v31
	v_fma_f32 v3, v74, v30, -v3
	v_add_f32_e32 v2, v2, v3
	v_mul_f32_e32 v3, v77, v33
	v_fma_f32 v3, v76, v32, -v3
	v_add_f32_e32 v2, v2, v3
	v_mul_f32_e32 v3, v71, v35
	v_fma_f32 v3, v70, v34, -v3
	v_add_f32_e32 v2, v2, v3
	v_mul_f32_e32 v3, v73, v37
	v_fma_f32 v3, v72, v36, -v3
	v_add_f32_e32 v2, v2, v3
	s_waitcnt vmcnt(8) lgkmcnt(4)
	v_mul_f32_e32 v3, v67, v39
	v_fma_f32 v3, v66, v38, -v3
	v_add_f32_e32 v2, v2, v3
	v_mul_f32_e32 v3, v69, v41
	v_fma_f32 v3, v68, v40, -v3
	v_add_f32_e32 v2, v2, v3
	s_waitcnt vmcnt(7) lgkmcnt(3)
	v_mul_f32_e32 v3, v63, v43
	v_mul_f32_e32 v130, v72, v37
	v_fma_f32 v3, v62, v42, -v3
	v_mul_f32_e32 v134, v66, v39
	v_fmac_f32_e32 v130, v73, v36
	v_add_f32_e32 v2, v2, v3
	v_mul_f32_e32 v3, v65, v45
	v_mul_f32_e32 v136, v68, v41
	v_fmac_f32_e32 v134, v67, v38
	v_add_f32_e32 v107, v107, v130
	v_fma_f32 v3, v64, v44, -v3
	v_mul_f32_e32 v137, v62, v43
	v_fmac_f32_e32 v136, v69, v40
	v_add_f32_e32 v107, v107, v134
	v_add_f32_e32 v2, v2, v3
	s_waitcnt vmcnt(6) lgkmcnt(2)
	v_mul_f32_e32 v3, v59, v47
	v_mul_f32_e32 v138, v64, v45
	v_fmac_f32_e32 v137, v63, v42
	v_add_f32_e32 v107, v107, v136
	v_fma_f32 v3, v58, v46, -v3
	v_mul_f32_e32 v139, v58, v47
	v_fmac_f32_e32 v138, v65, v44
	v_add_f32_e32 v107, v107, v137
	v_add_f32_e32 v2, v2, v3
	v_mul_f32_e32 v3, v61, v49
	v_mul_f32_e32 v140, v60, v49
	v_fmac_f32_e32 v139, v59, v46
	v_add_f32_e32 v107, v107, v138
	v_fma_f32 v3, v60, v48, -v3
	s_waitcnt vmcnt(5) lgkmcnt(1)
	v_mul_f32_e32 v131, v54, v51
	v_fmac_f32_e32 v140, v61, v48
	v_add_f32_e32 v107, v107, v139
	v_add_f32_e32 v136, v2, v3
	v_mul_f32_e32 v2, v55, v51
	s_waitcnt vmcnt(3) lgkmcnt(0)
	v_pk_mul_f32 v[16:17], v[108:109], v[112:113] op_sel:[1,1] op_sel_hi:[0,1]
	v_mul_f32_e32 v135, v56, v53
	v_fmac_f32_e32 v131, v55, v50
	v_add_f32_e32 v137, v107, v140
	v_fma_f32 v130, v54, v50, -v2
	v_mul_f32_e32 v2, v57, v53
	v_pk_fma_f32 v[18:19], v[108:109], v[112:113], v[16:17] neg_lo:[0,0,1] neg_hi:[0,0,1]
	v_pk_fma_f32 v[16:17], v[108:109], v[112:113], v[16:17] op_sel_hi:[1,0,1]
	v_fmac_f32_e32 v135, v57, v52
	v_fma_f32 v134, v56, v52, -v2
	ds_read2_b64 v[2:5], v106 offset0:97 offset1:98
	ds_read2_b64 v[6:9], v106 offset0:99 offset1:100
	;; [unrolled: 1-line block ×3, first 2 shown]
	v_pk_add_f32 v[14:15], v[136:137], v[130:131]
	v_mov_b32_e32 v16, v115
	v_pk_add_f32 v[14:15], v[14:15], v[134:135]
	v_mov_b32_e32 v19, v17
	v_pk_mul_f32 v[16:17], v[110:111], v[16:17] op_sel:[1,0] op_sel_hi:[0,0]
	v_pk_add_f32 v[14:15], v[14:15], v[18:19]
	v_pk_fma_f32 v[18:19], v[110:111], v[114:115], v[16:17] neg_lo:[0,0,1] neg_hi:[0,0,1]
	v_pk_fma_f32 v[16:17], v[110:111], v[114:115], v[16:17] op_sel_hi:[1,0,1]
	s_nop 0
	v_mov_b32_e32 v19, v17
	s_waitcnt vmcnt(2) lgkmcnt(2)
	v_pk_mul_f32 v[16:17], v[2:3], v[116:117] op_sel:[1,1] op_sel_hi:[0,1]
	v_pk_add_f32 v[14:15], v[14:15], v[18:19]
	v_pk_fma_f32 v[18:19], v[2:3], v[116:117], v[16:17] neg_lo:[0,0,1] neg_hi:[0,0,1]
	v_pk_fma_f32 v[2:3], v[2:3], v[116:117], v[16:17] op_sel_hi:[1,0,1]
	s_nop 0
	v_mov_b32_e32 v19, v3
	v_pk_add_f32 v[2:3], v[14:15], v[18:19]
	v_mov_b32_e32 v14, v119
	v_pk_mul_f32 v[14:15], v[4:5], v[14:15] op_sel:[1,0] op_sel_hi:[0,0]
	v_pk_fma_f32 v[16:17], v[4:5], v[118:119], v[14:15] neg_lo:[0,0,1] neg_hi:[0,0,1]
	v_pk_fma_f32 v[4:5], v[4:5], v[118:119], v[14:15] op_sel_hi:[1,0,1]
	s_nop 0
	v_mov_b32_e32 v17, v5
	s_waitcnt vmcnt(1) lgkmcnt(1)
	v_pk_mul_f32 v[4:5], v[6:7], v[120:121] op_sel:[1,1] op_sel_hi:[0,1]
	v_pk_fma_f32 v[14:15], v[6:7], v[120:121], v[4:5] neg_lo:[0,0,1] neg_hi:[0,0,1]
	v_pk_fma_f32 v[4:5], v[6:7], v[120:121], v[4:5] op_sel_hi:[1,0,1]
	v_pk_add_f32 v[2:3], v[2:3], v[16:17]
	v_mov_b32_e32 v4, v123
	v_mov_b32_e32 v15, v5
	v_pk_mul_f32 v[4:5], v[8:9], v[4:5] op_sel:[1,0] op_sel_hi:[0,0]
	v_pk_fma_f32 v[6:7], v[8:9], v[122:123], v[4:5] neg_lo:[0,0,1] neg_hi:[0,0,1]
	v_pk_fma_f32 v[4:5], v[8:9], v[122:123], v[4:5] op_sel_hi:[1,0,1]
	v_pk_add_f32 v[2:3], v[2:3], v[14:15]
	v_mov_b32_e32 v7, v5
	s_waitcnt vmcnt(0) lgkmcnt(0)
	v_pk_mul_f32 v[4:5], v[10:11], v[124:125] op_sel:[1,1] op_sel_hi:[0,1]
	v_pk_add_f32 v[2:3], v[2:3], v[6:7]
	v_pk_fma_f32 v[6:7], v[10:11], v[124:125], v[4:5] neg_lo:[0,0,1] neg_hi:[0,0,1]
	v_pk_fma_f32 v[4:5], v[10:11], v[124:125], v[4:5] op_sel_hi:[1,0,1]
	s_nop 0
	v_mov_b32_e32 v4, v127
	v_mov_b32_e32 v7, v5
	v_pk_mul_f32 v[4:5], v[12:13], v[4:5] op_sel:[1,0] op_sel_hi:[0,0]
	v_pk_add_f32 v[2:3], v[2:3], v[6:7]
	v_pk_fma_f32 v[6:7], v[12:13], v[126:127], v[4:5] neg_lo:[0,0,1] neg_hi:[0,0,1]
	v_pk_fma_f32 v[4:5], v[12:13], v[126:127], v[4:5] op_sel_hi:[1,0,1]
	s_nop 0
	v_mov_b32_e32 v7, v5
	v_pk_add_f32 v[2:3], v[2:3], v[6:7]
	s_nop 0
	v_pk_add_f32 v[2:3], v[128:129], v[2:3] neg_lo:[0,1] neg_hi:[0,1]
	scratch_store_dwordx2 off, v[2:3], off offset:128
	s_and_saveexec_b64 s[0:1], vcc
	s_cbranch_execz .LBB114_289
; %bb.288:
	scratch_load_dwordx2 v[2:3], off, off offset:120
	v_mov_b32_e32 v4, 0
	v_mov_b32_e32 v5, v4
	scratch_store_dwordx2 off, v[4:5], off offset:120
	s_waitcnt vmcnt(1)
	ds_write_b64 v1, v[2:3]
.LBB114_289:
	s_or_b64 exec, exec, s[0:1]
	s_waitcnt lgkmcnt(0)
	; wave barrier
	scratch_load_dwordx4 v[2:5], off, off offset:128
	scratch_load_dwordx4 v[6:9], off, off offset:144
	scratch_load_dwordx4 v[10:13], off, off offset:160
	scratch_load_dwordx4 v[14:17], off, off offset:176
	scratch_load_dwordx4 v[18:21], off, off offset:192
	scratch_load_dwordx4 v[22:25], off, off offset:208
	scratch_load_dwordx4 v[26:29], off, off offset:224
	scratch_load_dwordx4 v[30:33], off, off offset:240
	scratch_load_dwordx4 v[34:37], off, off offset:256
	scratch_load_dwordx4 v[38:41], off, off offset:272
	scratch_load_dwordx4 v[42:45], off, off offset:288
	scratch_load_dwordx4 v[46:49], off, off offset:304
	scratch_load_dwordx4 v[50:53], off, off offset:320
	v_mov_b32_e32 v114, 0
	scratch_load_dwordx4 v[54:57], off, off offset:336
	scratch_load_dwordx2 v[128:129], off, off offset:120
	ds_read_b128 v[58:61], v114 offset:544
	ds_read_b128 v[62:65], v114 offset:560
	;; [unrolled: 1-line block ×14, first 2 shown]
	v_cmp_lt_u32_e32 vcc, 14, v0
	s_waitcnt vmcnt(14) lgkmcnt(13)
	v_mul_f32_e32 v115, v58, v3
	v_mul_f32_e32 v116, v60, v5
	v_fmac_f32_e32 v115, v59, v2
	s_waitcnt vmcnt(13) lgkmcnt(12)
	v_mul_f32_e32 v117, v62, v7
	v_fmac_f32_e32 v116, v61, v4
	v_add_f32_e32 v115, 0, v115
	v_mul_f32_e32 v118, v64, v9
	v_fmac_f32_e32 v117, v63, v6
	v_add_f32_e32 v115, v115, v116
	s_waitcnt vmcnt(12) lgkmcnt(11)
	v_mul_f32_e32 v119, v66, v11
	v_fmac_f32_e32 v118, v65, v8
	v_add_f32_e32 v115, v115, v117
	v_mul_f32_e32 v120, v68, v13
	v_fmac_f32_e32 v119, v67, v10
	v_add_f32_e32 v115, v115, v118
	;; [unrolled: 7-line block ×6, first 2 shown]
	s_waitcnt vmcnt(7) lgkmcnt(6)
	v_mul_f32_e32 v131, v86, v31
	v_fmac_f32_e32 v130, v85, v28
	v_add_f32_e32 v115, v115, v127
	scratch_load_dwordx4 v[116:119], off, off offset:352
	v_mul_f32_e32 v134, v88, v33
	v_fmac_f32_e32 v131, v87, v30
	v_add_f32_e32 v115, v115, v130
	s_waitcnt vmcnt(7) lgkmcnt(5)
	v_mul_f32_e32 v135, v90, v35
	v_fmac_f32_e32 v134, v89, v32
	v_add_f32_e32 v115, v115, v131
	v_mul_f32_e32 v136, v92, v37
	v_fmac_f32_e32 v135, v91, v34
	v_add_f32_e32 v115, v115, v134
	s_waitcnt vmcnt(6) lgkmcnt(4)
	v_mul_f32_e32 v137, v94, v39
	v_fmac_f32_e32 v136, v93, v36
	v_add_f32_e32 v115, v115, v135
	;; [unrolled: 7-line block ×3, first 2 shown]
	v_fmac_f32_e32 v139, v99, v42
	v_add_f32_e32 v115, v115, v138
	v_add_f32_e32 v115, v115, v139
	scratch_load_dwordx4 v[120:123], off, off offset:368
	scratch_load_dwordx4 v[124:127], off, off offset:384
	scratch_load_dwordx2 v[138:139], off, off offset:400
	v_mul_f32_e32 v3, v59, v3
	v_fma_f32 v2, v58, v2, -v3
	v_mul_f32_e32 v3, v61, v5
	v_add_f32_e32 v2, 0, v2
	v_fma_f32 v3, v60, v4, -v3
	v_add_f32_e32 v2, v2, v3
	v_mul_f32_e32 v3, v63, v7
	v_fma_f32 v3, v62, v6, -v3
	v_add_f32_e32 v2, v2, v3
	v_mul_f32_e32 v3, v65, v9
	;; [unrolled: 3-line block ×20, first 2 shown]
	v_fma_f32 v3, v100, v44, -v3
	v_add_f32_e32 v2, v2, v3
	s_waitcnt vmcnt(7) lgkmcnt(2)
	v_mul_f32_e32 v3, v103, v47
	v_fma_f32 v3, v102, v46, -v3
	v_add_f32_e32 v2, v2, v3
	v_mul_f32_e32 v3, v105, v49
	v_mul_f32_e32 v140, v100, v45
	v_fma_f32 v3, v104, v48, -v3
	v_mul_f32_e32 v141, v102, v47
	v_fmac_f32_e32 v140, v101, v44
	v_add_f32_e32 v2, v2, v3
	s_waitcnt vmcnt(6) lgkmcnt(1)
	v_mul_f32_e32 v3, v107, v51
	v_mul_f32_e32 v142, v104, v49
	v_fmac_f32_e32 v141, v103, v46
	v_add_f32_e32 v115, v115, v140
	v_fma_f32 v3, v106, v50, -v3
	v_mul_f32_e32 v143, v106, v51
	v_fmac_f32_e32 v142, v105, v48
	v_add_f32_e32 v115, v115, v141
	v_add_f32_e32 v130, v2, v3
	v_mul_f32_e32 v2, v109, v53
	v_fmac_f32_e32 v143, v107, v50
	v_add_f32_e32 v115, v115, v142
	v_mul_f32_e32 v135, v108, v53
	v_fma_f32 v134, v108, v52, -v2
	s_waitcnt vmcnt(5) lgkmcnt(0)
	v_mul_f32_e32 v2, v111, v55
	v_mov_b32_e32 v18, v57
	v_add_f32_e32 v131, v115, v143
	v_fmac_f32_e32 v135, v109, v52
	v_mul_f32_e32 v137, v110, v55
	v_fma_f32 v136, v110, v54, -v2
	ds_read_b128 v[2:5], v114 offset:768
	ds_read_b128 v[6:9], v114 offset:784
	;; [unrolled: 1-line block ×3, first 2 shown]
	ds_read_b64 v[14:15], v114 offset:816
	v_pk_mul_f32 v[18:19], v[112:113], v[18:19] op_sel:[1,0] op_sel_hi:[0,0]
	v_fmac_f32_e32 v137, v111, v54
	v_pk_add_f32 v[16:17], v[130:131], v[134:135]
	v_pk_fma_f32 v[20:21], v[112:113], v[56:57], v[18:19] neg_lo:[0,0,1] neg_hi:[0,0,1]
	v_pk_fma_f32 v[18:19], v[112:113], v[56:57], v[18:19] op_sel_hi:[1,0,1]
	v_pk_add_f32 v[16:17], v[16:17], v[136:137]
	v_mov_b32_e32 v21, v19
	s_waitcnt vmcnt(3) lgkmcnt(3)
	v_pk_mul_f32 v[18:19], v[2:3], v[116:117] op_sel:[1,1] op_sel_hi:[0,1]
	v_pk_add_f32 v[16:17], v[16:17], v[20:21]
	v_pk_fma_f32 v[20:21], v[2:3], v[116:117], v[18:19] neg_lo:[0,0,1] neg_hi:[0,0,1]
	v_pk_fma_f32 v[2:3], v[2:3], v[116:117], v[18:19] op_sel_hi:[1,0,1]
	s_nop 0
	v_mov_b32_e32 v21, v3
	v_pk_add_f32 v[2:3], v[16:17], v[20:21]
	v_mov_b32_e32 v16, v119
	v_pk_mul_f32 v[16:17], v[4:5], v[16:17] op_sel:[1,0] op_sel_hi:[0,0]
	v_pk_fma_f32 v[18:19], v[4:5], v[118:119], v[16:17] neg_lo:[0,0,1] neg_hi:[0,0,1]
	v_pk_fma_f32 v[4:5], v[4:5], v[118:119], v[16:17] op_sel_hi:[1,0,1]
	s_nop 0
	v_mov_b32_e32 v19, v5
	s_waitcnt vmcnt(2) lgkmcnt(2)
	v_pk_mul_f32 v[4:5], v[6:7], v[120:121] op_sel:[1,1] op_sel_hi:[0,1]
	v_pk_fma_f32 v[16:17], v[6:7], v[120:121], v[4:5] neg_lo:[0,0,1] neg_hi:[0,0,1]
	v_pk_fma_f32 v[4:5], v[6:7], v[120:121], v[4:5] op_sel_hi:[1,0,1]
	v_pk_add_f32 v[2:3], v[2:3], v[18:19]
	v_mov_b32_e32 v4, v123
	v_mov_b32_e32 v17, v5
	v_pk_mul_f32 v[4:5], v[8:9], v[4:5] op_sel:[1,0] op_sel_hi:[0,0]
	v_pk_fma_f32 v[6:7], v[8:9], v[122:123], v[4:5] neg_lo:[0,0,1] neg_hi:[0,0,1]
	v_pk_fma_f32 v[4:5], v[8:9], v[122:123], v[4:5] op_sel_hi:[1,0,1]
	v_pk_add_f32 v[2:3], v[2:3], v[16:17]
	v_mov_b32_e32 v7, v5
	s_waitcnt vmcnt(1) lgkmcnt(1)
	v_pk_mul_f32 v[4:5], v[10:11], v[124:125] op_sel:[1,1] op_sel_hi:[0,1]
	v_pk_add_f32 v[2:3], v[2:3], v[6:7]
	v_pk_fma_f32 v[6:7], v[10:11], v[124:125], v[4:5] neg_lo:[0,0,1] neg_hi:[0,0,1]
	v_pk_fma_f32 v[4:5], v[10:11], v[124:125], v[4:5] op_sel_hi:[1,0,1]
	s_nop 0
	v_mov_b32_e32 v4, v127
	v_mov_b32_e32 v7, v5
	v_pk_mul_f32 v[4:5], v[12:13], v[4:5] op_sel:[1,0] op_sel_hi:[0,0]
	v_pk_add_f32 v[2:3], v[2:3], v[6:7]
	v_pk_fma_f32 v[6:7], v[12:13], v[126:127], v[4:5] neg_lo:[0,0,1] neg_hi:[0,0,1]
	v_pk_fma_f32 v[4:5], v[12:13], v[126:127], v[4:5] op_sel_hi:[1,0,1]
	s_nop 0
	v_mov_b32_e32 v7, v5
	s_waitcnt vmcnt(0) lgkmcnt(0)
	v_pk_mul_f32 v[4:5], v[14:15], v[138:139] op_sel:[1,1] op_sel_hi:[0,1]
	v_pk_add_f32 v[2:3], v[2:3], v[6:7]
	v_pk_fma_f32 v[6:7], v[14:15], v[138:139], v[4:5] neg_lo:[0,0,1] neg_hi:[0,0,1]
	v_pk_fma_f32 v[4:5], v[14:15], v[138:139], v[4:5] op_sel_hi:[1,0,1]
	s_nop 0
	v_mov_b32_e32 v7, v5
	v_pk_add_f32 v[2:3], v[2:3], v[6:7]
	s_nop 0
	v_pk_add_f32 v[2:3], v[128:129], v[2:3] neg_lo:[0,1] neg_hi:[0,1]
	scratch_store_dwordx2 off, v[2:3], off offset:120
	s_and_saveexec_b64 s[0:1], vcc
	s_cbranch_execz .LBB114_291
; %bb.290:
	scratch_load_dwordx2 v[2:3], off, off offset:112
	v_mov_b32_e32 v115, v114
	scratch_store_dwordx2 off, v[114:115], off offset:112
	s_waitcnt vmcnt(1)
	ds_write_b64 v1, v[2:3]
.LBB114_291:
	s_or_b64 exec, exec, s[0:1]
	s_waitcnt lgkmcnt(0)
	; wave barrier
	scratch_load_dwordx4 v[2:5], off, off offset:120
	scratch_load_dwordx4 v[6:9], off, off offset:136
	scratch_load_dwordx4 v[10:13], off, off offset:152
	scratch_load_dwordx4 v[14:17], off, off offset:168
	scratch_load_dwordx4 v[18:21], off, off offset:184
	scratch_load_dwordx4 v[22:25], off, off offset:200
	scratch_load_dwordx4 v[26:29], off, off offset:216
	scratch_load_dwordx4 v[30:33], off, off offset:232
	scratch_load_dwordx4 v[34:37], off, off offset:248
	scratch_load_dwordx4 v[38:41], off, off offset:264
	scratch_load_dwordx4 v[42:45], off, off offset:280
	scratch_load_dwordx4 v[46:49], off, off offset:296
	scratch_load_dwordx4 v[50:53], off, off offset:312
	ds_read2_b64 v[110:113], v114 offset0:67 offset1:68
	ds_read2_b64 v[106:109], v114 offset0:69 offset1:70
	ds_read2_b64 v[102:105], v114 offset0:71 offset1:72
	ds_read2_b64 v[98:101], v114 offset0:73 offset1:74
	ds_read2_b64 v[94:97], v114 offset0:75 offset1:76
	ds_read2_b64 v[90:93], v114 offset0:77 offset1:78
	ds_read2_b64 v[86:89], v114 offset0:79 offset1:80
	ds_read2_b64 v[82:85], v114 offset0:81 offset1:82
	ds_read2_b64 v[78:81], v114 offset0:83 offset1:84
	ds_read2_b64 v[74:77], v114 offset0:85 offset1:86
	ds_read2_b64 v[70:73], v114 offset0:87 offset1:88
	ds_read2_b64 v[62:65], v114 offset0:89 offset1:90
	ds_read2_b64 v[54:57], v114 offset0:91 offset1:92
	ds_read2_b64 v[58:61], v114 offset0:93 offset1:94
	scratch_load_dwordx4 v[66:69], off, off offset:328
	scratch_load_dwordx2 v[134:135], off, off offset:112
	v_cmp_lt_u32_e32 vcc, 13, v0
	s_waitcnt vmcnt(14) lgkmcnt(13)
	v_mul_f32_e32 v115, v110, v3
	v_mul_f32_e32 v116, v112, v5
	v_fmac_f32_e32 v115, v111, v2
	s_waitcnt vmcnt(13) lgkmcnt(12)
	v_mul_f32_e32 v117, v106, v7
	v_fmac_f32_e32 v116, v113, v4
	v_add_f32_e32 v115, 0, v115
	v_mul_f32_e32 v118, v108, v9
	v_fmac_f32_e32 v117, v107, v6
	v_add_f32_e32 v115, v115, v116
	s_waitcnt vmcnt(12) lgkmcnt(11)
	v_mul_f32_e32 v119, v102, v11
	v_fmac_f32_e32 v118, v109, v8
	v_add_f32_e32 v115, v115, v117
	v_mul_f32_e32 v120, v104, v13
	v_fmac_f32_e32 v119, v103, v10
	v_add_f32_e32 v115, v115, v118
	;; [unrolled: 7-line block ×4, first 2 shown]
	s_waitcnt vmcnt(9) lgkmcnt(8)
	v_mul_f32_e32 v125, v90, v23
	v_fmac_f32_e32 v124, v97, v20
	v_add_f32_e32 v115, v115, v123
	scratch_load_dwordx4 v[116:119], off, off offset:344
	v_mul_f32_e32 v126, v92, v25
	v_fmac_f32_e32 v125, v91, v22
	v_add_f32_e32 v115, v115, v124
	s_waitcnt vmcnt(9) lgkmcnt(7)
	v_mul_f32_e32 v127, v86, v27
	v_fmac_f32_e32 v126, v93, v24
	v_add_f32_e32 v115, v115, v125
	v_mul_f32_e32 v128, v88, v29
	v_fmac_f32_e32 v127, v87, v26
	v_add_f32_e32 v115, v115, v126
	s_waitcnt vmcnt(8) lgkmcnt(6)
	v_mul_f32_e32 v129, v82, v31
	v_fmac_f32_e32 v128, v89, v28
	v_add_f32_e32 v115, v115, v127
	;; [unrolled: 7-line block ×3, first 2 shown]
	v_fmac_f32_e32 v131, v79, v34
	v_add_f32_e32 v115, v115, v130
	v_add_f32_e32 v115, v115, v131
	scratch_load_dwordx4 v[120:123], off, off offset:360
	scratch_load_dwordx4 v[124:127], off, off offset:376
	;; [unrolled: 1-line block ×3, first 2 shown]
	v_mul_f32_e32 v3, v111, v3
	v_fma_f32 v2, v110, v2, -v3
	v_mul_f32_e32 v3, v113, v5
	v_add_f32_e32 v2, 0, v2
	v_fma_f32 v3, v112, v4, -v3
	v_add_f32_e32 v2, v2, v3
	v_mul_f32_e32 v3, v107, v7
	v_fma_f32 v3, v106, v6, -v3
	v_add_f32_e32 v2, v2, v3
	v_mul_f32_e32 v3, v109, v9
	;; [unrolled: 3-line block ×16, first 2 shown]
	v_fma_f32 v3, v80, v36, -v3
	v_add_f32_e32 v2, v2, v3
	s_waitcnt vmcnt(9) lgkmcnt(4)
	v_mul_f32_e32 v3, v75, v39
	v_fma_f32 v3, v74, v38, -v3
	v_add_f32_e32 v2, v2, v3
	v_mul_f32_e32 v3, v77, v41
	v_fma_f32 v3, v76, v40, -v3
	v_add_f32_e32 v2, v2, v3
	s_waitcnt vmcnt(8) lgkmcnt(3)
	v_mul_f32_e32 v3, v71, v43
	v_fma_f32 v3, v70, v42, -v3
	v_add_f32_e32 v2, v2, v3
	v_mul_f32_e32 v3, v73, v45
	v_fma_f32 v3, v72, v44, -v3
	v_add_f32_e32 v2, v2, v3
	s_waitcnt vmcnt(7) lgkmcnt(2)
	v_mul_f32_e32 v3, v63, v47
	v_fma_f32 v3, v62, v46, -v3
	v_mul_f32_e32 v136, v80, v37
	v_add_f32_e32 v2, v2, v3
	v_mul_f32_e32 v3, v65, v49
	v_mul_f32_e32 v137, v74, v39
	v_fmac_f32_e32 v136, v81, v36
	v_fma_f32 v3, v64, v48, -v3
	v_mul_f32_e32 v138, v76, v41
	v_fmac_f32_e32 v137, v75, v38
	v_add_f32_e32 v115, v115, v136
	v_add_f32_e32 v2, v2, v3
	s_waitcnt vmcnt(6) lgkmcnt(1)
	v_mul_f32_e32 v3, v55, v51
	v_mul_f32_e32 v139, v70, v43
	v_fmac_f32_e32 v138, v77, v40
	v_add_f32_e32 v115, v115, v137
	v_fma_f32 v3, v54, v50, -v3
	v_mul_f32_e32 v140, v72, v45
	v_fmac_f32_e32 v139, v71, v42
	v_add_f32_e32 v115, v115, v138
	v_add_f32_e32 v2, v2, v3
	v_mul_f32_e32 v3, v57, v53
	v_mul_f32_e32 v141, v62, v47
	v_fmac_f32_e32 v140, v73, v44
	v_add_f32_e32 v115, v115, v139
	v_fma_f32 v3, v56, v52, -v3
	v_mul_f32_e32 v142, v64, v49
	v_fmac_f32_e32 v141, v63, v46
	v_add_f32_e32 v115, v115, v140
	v_add_f32_e32 v136, v2, v3
	s_waitcnt vmcnt(5) lgkmcnt(0)
	v_mul_f32_e32 v2, v59, v67
	v_mul_f32_e32 v143, v54, v51
	v_fmac_f32_e32 v142, v65, v48
	v_add_f32_e32 v115, v115, v141
	v_fma_f32 v138, v58, v66, -v2
	v_mul_f32_e32 v2, v61, v69
	v_mul_f32_e32 v144, v56, v53
	v_fmac_f32_e32 v143, v55, v50
	v_add_f32_e32 v115, v115, v142
	v_fma_f32 v140, v60, v68, -v2
	ds_read2_b64 v[2:5], v114 offset0:95 offset1:96
	ds_read2_b64 v[6:9], v114 offset0:97 offset1:98
	;; [unrolled: 1-line block ×4, first 2 shown]
	v_add_f32_e32 v115, v115, v143
	v_fmac_f32_e32 v144, v57, v52
	v_mul_f32_e32 v139, v58, v67
	v_add_f32_e32 v137, v115, v144
	v_fmac_f32_e32 v139, v59, v66
	v_mul_f32_e32 v141, v60, v69
	s_waitcnt vmcnt(3) lgkmcnt(3)
	v_pk_mul_f32 v[20:21], v[2:3], v[116:117] op_sel:[1,1] op_sel_hi:[0,1]
	v_fmac_f32_e32 v141, v61, v68
	v_pk_add_f32 v[18:19], v[136:137], v[138:139]
	v_pk_fma_f32 v[22:23], v[2:3], v[116:117], v[20:21] neg_lo:[0,0,1] neg_hi:[0,0,1]
	v_pk_fma_f32 v[2:3], v[2:3], v[116:117], v[20:21] op_sel_hi:[1,0,1]
	v_pk_add_f32 v[18:19], v[18:19], v[140:141]
	v_mov_b32_e32 v23, v3
	v_pk_add_f32 v[2:3], v[18:19], v[22:23]
	v_mov_b32_e32 v18, v119
	v_pk_mul_f32 v[18:19], v[4:5], v[18:19] op_sel:[1,0] op_sel_hi:[0,0]
	v_pk_fma_f32 v[20:21], v[4:5], v[118:119], v[18:19] neg_lo:[0,0,1] neg_hi:[0,0,1]
	v_pk_fma_f32 v[4:5], v[4:5], v[118:119], v[18:19] op_sel_hi:[1,0,1]
	s_nop 0
	v_mov_b32_e32 v21, v5
	s_waitcnt vmcnt(2) lgkmcnt(2)
	v_pk_mul_f32 v[4:5], v[6:7], v[120:121] op_sel:[1,1] op_sel_hi:[0,1]
	v_pk_fma_f32 v[18:19], v[6:7], v[120:121], v[4:5] neg_lo:[0,0,1] neg_hi:[0,0,1]
	v_pk_fma_f32 v[4:5], v[6:7], v[120:121], v[4:5] op_sel_hi:[1,0,1]
	v_pk_add_f32 v[2:3], v[2:3], v[20:21]
	v_mov_b32_e32 v4, v123
	v_mov_b32_e32 v19, v5
	v_pk_mul_f32 v[4:5], v[8:9], v[4:5] op_sel:[1,0] op_sel_hi:[0,0]
	v_pk_fma_f32 v[6:7], v[8:9], v[122:123], v[4:5] neg_lo:[0,0,1] neg_hi:[0,0,1]
	v_pk_fma_f32 v[4:5], v[8:9], v[122:123], v[4:5] op_sel_hi:[1,0,1]
	v_pk_add_f32 v[2:3], v[2:3], v[18:19]
	v_mov_b32_e32 v7, v5
	s_waitcnt vmcnt(1) lgkmcnt(1)
	v_pk_mul_f32 v[4:5], v[10:11], v[124:125] op_sel:[1,1] op_sel_hi:[0,1]
	v_pk_add_f32 v[2:3], v[2:3], v[6:7]
	v_pk_fma_f32 v[6:7], v[10:11], v[124:125], v[4:5] neg_lo:[0,0,1] neg_hi:[0,0,1]
	v_pk_fma_f32 v[4:5], v[10:11], v[124:125], v[4:5] op_sel_hi:[1,0,1]
	s_nop 0
	v_mov_b32_e32 v4, v127
	v_mov_b32_e32 v7, v5
	v_pk_mul_f32 v[4:5], v[12:13], v[4:5] op_sel:[1,0] op_sel_hi:[0,0]
	v_pk_add_f32 v[2:3], v[2:3], v[6:7]
	v_pk_fma_f32 v[6:7], v[12:13], v[126:127], v[4:5] neg_lo:[0,0,1] neg_hi:[0,0,1]
	v_pk_fma_f32 v[4:5], v[12:13], v[126:127], v[4:5] op_sel_hi:[1,0,1]
	s_nop 0
	v_mov_b32_e32 v7, v5
	s_waitcnt vmcnt(0) lgkmcnt(0)
	v_pk_mul_f32 v[4:5], v[14:15], v[128:129] op_sel:[1,1] op_sel_hi:[0,1]
	v_pk_add_f32 v[2:3], v[2:3], v[6:7]
	v_pk_fma_f32 v[6:7], v[14:15], v[128:129], v[4:5] neg_lo:[0,0,1] neg_hi:[0,0,1]
	v_pk_fma_f32 v[4:5], v[14:15], v[128:129], v[4:5] op_sel_hi:[1,0,1]
	s_nop 0
	v_mov_b32_e32 v4, v131
	v_mov_b32_e32 v7, v5
	v_pk_mul_f32 v[4:5], v[16:17], v[4:5] op_sel:[1,0] op_sel_hi:[0,0]
	v_pk_add_f32 v[2:3], v[2:3], v[6:7]
	v_pk_fma_f32 v[6:7], v[16:17], v[130:131], v[4:5] neg_lo:[0,0,1] neg_hi:[0,0,1]
	v_pk_fma_f32 v[4:5], v[16:17], v[130:131], v[4:5] op_sel_hi:[1,0,1]
	s_nop 0
	v_mov_b32_e32 v7, v5
	v_pk_add_f32 v[2:3], v[2:3], v[6:7]
	s_nop 0
	v_pk_add_f32 v[2:3], v[134:135], v[2:3] neg_lo:[0,1] neg_hi:[0,1]
	scratch_store_dwordx2 off, v[2:3], off offset:112
	s_and_saveexec_b64 s[0:1], vcc
	s_cbranch_execz .LBB114_293
; %bb.292:
	scratch_load_dwordx2 v[2:3], off, off offset:104
	v_mov_b32_e32 v4, 0
	v_mov_b32_e32 v5, v4
	scratch_store_dwordx2 off, v[4:5], off offset:104
	s_waitcnt vmcnt(1)
	ds_write_b64 v1, v[2:3]
.LBB114_293:
	s_or_b64 exec, exec, s[0:1]
	s_waitcnt lgkmcnt(0)
	; wave barrier
	scratch_load_dwordx4 v[2:5], off, off offset:112
	scratch_load_dwordx4 v[6:9], off, off offset:128
	;; [unrolled: 1-line block ×15, first 2 shown]
	scratch_load_dwordx2 v[134:135], off, off offset:104
	v_mov_b32_e32 v118, 0
	ds_read_b128 v[62:65], v118 offset:528
	ds_read_b128 v[66:69], v118 offset:544
	;; [unrolled: 1-line block ×14, first 2 shown]
	v_cmp_lt_u32_e32 vcc, 12, v0
	s_waitcnt vmcnt(15) lgkmcnt(13)
	v_mul_f32_e32 v119, v62, v3
	v_mul_f32_e32 v120, v64, v5
	v_fmac_f32_e32 v119, v63, v2
	s_waitcnt vmcnt(14) lgkmcnt(12)
	v_mul_f32_e32 v121, v66, v7
	v_fmac_f32_e32 v120, v65, v4
	v_add_f32_e32 v119, 0, v119
	v_mul_f32_e32 v122, v68, v9
	v_fmac_f32_e32 v121, v67, v6
	v_add_f32_e32 v119, v119, v120
	s_waitcnt vmcnt(13) lgkmcnt(11)
	v_mul_f32_e32 v123, v70, v11
	v_fmac_f32_e32 v122, v69, v8
	v_add_f32_e32 v119, v119, v121
	v_mul_f32_e32 v124, v72, v13
	v_fmac_f32_e32 v123, v71, v10
	v_add_f32_e32 v119, v119, v122
	;; [unrolled: 7-line block ×11, first 2 shown]
	s_waitcnt vmcnt(3) lgkmcnt(1)
	v_mul_f32_e32 v147, v110, v51
	v_fmac_f32_e32 v146, v109, v48
	v_add_f32_e32 v119, v119, v145
	v_add_f32_e32 v119, v119, v146
	v_fmac_f32_e32 v147, v111, v50
	v_mul_f32_e32 v120, v112, v53
	v_add_f32_e32 v119, v119, v147
	v_fmac_f32_e32 v120, v113, v52
	s_waitcnt vmcnt(2) lgkmcnt(0)
	v_mul_f32_e32 v124, v114, v55
	v_add_f32_e32 v119, v119, v120
	v_fmac_f32_e32 v124, v115, v54
	ds_read_b128 v[120:123], v118 offset:752
	v_add_f32_e32 v137, v119, v124
	ds_read_b128 v[124:127], v118 offset:768
	scratch_load_dwordx4 v[128:131], off, off offset:352
	scratch_load_dwordx4 v[234:237], off, off offset:368
	;; [unrolled: 1-line block ×3, first 2 shown]
	scratch_load_dwordx2 v[142:143], off, off offset:400
	v_mul_f32_e32 v3, v63, v3
	v_fma_f32 v2, v62, v2, -v3
	v_mul_f32_e32 v3, v65, v5
	v_add_f32_e32 v2, 0, v2
	v_fma_f32 v3, v64, v4, -v3
	v_add_f32_e32 v2, v2, v3
	v_mul_f32_e32 v3, v67, v7
	v_fma_f32 v3, v66, v6, -v3
	v_add_f32_e32 v2, v2, v3
	v_mul_f32_e32 v3, v69, v9
	;; [unrolled: 3-line block ×25, first 2 shown]
	v_fma_f32 v3, v114, v54, -v3
	v_mul_f32_e32 v139, v116, v57
	v_add_f32_e32 v136, v2, v3
	v_mul_f32_e32 v2, v117, v57
	s_waitcnt vmcnt(5)
	v_mov_b32_e32 v14, v61
	v_fmac_f32_e32 v139, v117, v56
	s_waitcnt lgkmcnt(1)
	v_mul_f32_e32 v141, v120, v59
	v_fma_f32 v138, v116, v56, -v2
	v_mul_f32_e32 v2, v121, v59
	v_pk_mul_f32 v[14:15], v[122:123], v[14:15] op_sel:[1,0] op_sel_hi:[0,0]
	v_fmac_f32_e32 v141, v121, v58
	v_fma_f32 v140, v120, v58, -v2
	v_pk_add_f32 v[12:13], v[136:137], v[138:139]
	v_pk_fma_f32 v[16:17], v[122:123], v[60:61], v[14:15] neg_lo:[0,0,1] neg_hi:[0,0,1]
	v_pk_fma_f32 v[14:15], v[122:123], v[60:61], v[14:15] op_sel_hi:[1,0,1]
	v_pk_add_f32 v[12:13], v[12:13], v[140:141]
	v_mov_b32_e32 v17, v15
	s_waitcnt vmcnt(3) lgkmcnt(0)
	v_pk_mul_f32 v[14:15], v[124:125], v[128:129] op_sel:[1,1] op_sel_hi:[0,1]
	v_pk_add_f32 v[12:13], v[12:13], v[16:17]
	v_pk_fma_f32 v[16:17], v[124:125], v[128:129], v[14:15] neg_lo:[0,0,1] neg_hi:[0,0,1]
	v_pk_fma_f32 v[14:15], v[124:125], v[128:129], v[14:15] op_sel_hi:[1,0,1]
	ds_read_b128 v[2:5], v118 offset:784
	ds_read_b128 v[6:9], v118 offset:800
	ds_read_b64 v[10:11], v118 offset:816
	v_mov_b32_e32 v14, v131
	v_mov_b32_e32 v17, v15
	v_pk_mul_f32 v[14:15], v[126:127], v[14:15] op_sel:[1,0] op_sel_hi:[0,0]
	v_pk_add_f32 v[12:13], v[12:13], v[16:17]
	v_pk_fma_f32 v[16:17], v[126:127], v[130:131], v[14:15] neg_lo:[0,0,1] neg_hi:[0,0,1]
	v_pk_fma_f32 v[14:15], v[126:127], v[130:131], v[14:15] op_sel_hi:[1,0,1]
	s_nop 0
	v_mov_b32_e32 v17, v15
	s_waitcnt vmcnt(2) lgkmcnt(2)
	v_pk_mul_f32 v[14:15], v[2:3], v[234:235] op_sel:[1,1] op_sel_hi:[0,1]
	v_pk_add_f32 v[12:13], v[12:13], v[16:17]
	v_pk_fma_f32 v[16:17], v[2:3], v[234:235], v[14:15] neg_lo:[0,0,1] neg_hi:[0,0,1]
	v_pk_fma_f32 v[2:3], v[2:3], v[234:235], v[14:15] op_sel_hi:[1,0,1]
	s_nop 0
	v_mov_b32_e32 v17, v3
	v_pk_add_f32 v[2:3], v[12:13], v[16:17]
	v_mov_b32_e32 v12, v237
	v_pk_mul_f32 v[12:13], v[4:5], v[12:13] op_sel:[1,0] op_sel_hi:[0,0]
	v_pk_fma_f32 v[14:15], v[4:5], v[236:237], v[12:13] neg_lo:[0,0,1] neg_hi:[0,0,1]
	v_pk_fma_f32 v[4:5], v[4:5], v[236:237], v[12:13] op_sel_hi:[1,0,1]
	s_nop 0
	v_mov_b32_e32 v15, v5
	s_waitcnt vmcnt(1) lgkmcnt(1)
	v_pk_mul_f32 v[4:5], v[6:7], v[238:239] op_sel:[1,1] op_sel_hi:[0,1]
	v_pk_fma_f32 v[12:13], v[6:7], v[238:239], v[4:5] neg_lo:[0,0,1] neg_hi:[0,0,1]
	v_pk_fma_f32 v[4:5], v[6:7], v[238:239], v[4:5] op_sel_hi:[1,0,1]
	v_pk_add_f32 v[2:3], v[2:3], v[14:15]
	v_mov_b32_e32 v4, v241
	v_mov_b32_e32 v13, v5
	v_pk_mul_f32 v[4:5], v[8:9], v[4:5] op_sel:[1,0] op_sel_hi:[0,0]
	v_pk_fma_f32 v[6:7], v[8:9], v[240:241], v[4:5] neg_lo:[0,0,1] neg_hi:[0,0,1]
	v_pk_fma_f32 v[4:5], v[8:9], v[240:241], v[4:5] op_sel_hi:[1,0,1]
	v_pk_add_f32 v[2:3], v[2:3], v[12:13]
	v_mov_b32_e32 v7, v5
	s_waitcnt vmcnt(0) lgkmcnt(0)
	v_pk_mul_f32 v[4:5], v[10:11], v[142:143] op_sel:[1,1] op_sel_hi:[0,1]
	v_pk_add_f32 v[2:3], v[2:3], v[6:7]
	v_pk_fma_f32 v[6:7], v[10:11], v[142:143], v[4:5] neg_lo:[0,0,1] neg_hi:[0,0,1]
	v_pk_fma_f32 v[4:5], v[10:11], v[142:143], v[4:5] op_sel_hi:[1,0,1]
	s_nop 0
	v_mov_b32_e32 v7, v5
	v_pk_add_f32 v[2:3], v[2:3], v[6:7]
	s_nop 0
	v_pk_add_f32 v[2:3], v[134:135], v[2:3] neg_lo:[0,1] neg_hi:[0,1]
	scratch_store_dwordx2 off, v[2:3], off offset:104
	s_and_saveexec_b64 s[0:1], vcc
	s_cbranch_execz .LBB114_295
; %bb.294:
	scratch_load_dwordx2 v[2:3], off, off offset:96
	v_mov_b32_e32 v119, v118
	scratch_store_dwordx2 off, v[118:119], off offset:96
	s_waitcnt vmcnt(1)
	ds_write_b64 v1, v[2:3]
.LBB114_295:
	s_or_b64 exec, exec, s[0:1]
	s_waitcnt lgkmcnt(0)
	; wave barrier
	scratch_load_dwordx4 v[2:5], off, off offset:104
	scratch_load_dwordx4 v[6:9], off, off offset:120
	;; [unrolled: 1-line block ×13, first 2 shown]
	ds_read2_b64 v[114:117], v118 offset0:65 offset1:66
	ds_read2_b64 v[110:113], v118 offset0:67 offset1:68
	;; [unrolled: 1-line block ×14, first 2 shown]
	scratch_load_dwordx4 v[62:65], off, off offset:312
	scratch_load_dwordx4 v[70:73], off, off offset:328
	scratch_load_dwordx2 v[134:135], off, off offset:96
	v_cmp_lt_u32_e32 vcc, 11, v0
	s_waitcnt vmcnt(15) lgkmcnt(13)
	v_mul_f32_e32 v119, v114, v3
	v_mul_f32_e32 v120, v116, v5
	v_fmac_f32_e32 v119, v115, v2
	s_waitcnt vmcnt(14) lgkmcnt(12)
	v_mul_f32_e32 v121, v110, v7
	v_fmac_f32_e32 v120, v117, v4
	v_add_f32_e32 v119, 0, v119
	v_mul_f32_e32 v122, v112, v9
	v_fmac_f32_e32 v121, v111, v6
	v_add_f32_e32 v119, v119, v120
	s_waitcnt vmcnt(13) lgkmcnt(11)
	v_mul_f32_e32 v123, v106, v11
	v_fmac_f32_e32 v122, v113, v8
	v_add_f32_e32 v119, v119, v121
	v_mul_f32_e32 v124, v108, v13
	v_fmac_f32_e32 v123, v107, v10
	v_add_f32_e32 v119, v119, v122
	;; [unrolled: 7-line block ×11, first 2 shown]
	s_waitcnt vmcnt(3) lgkmcnt(1)
	v_mul_f32_e32 v147, v54, v51
	v_fmac_f32_e32 v146, v69, v48
	v_add_f32_e32 v119, v119, v145
	v_fmac_f32_e32 v147, v55, v50
	v_add_f32_e32 v119, v119, v146
	v_mul_f32_e32 v120, v56, v53
	v_add_f32_e32 v119, v119, v147
	v_fmac_f32_e32 v120, v57, v52
	v_add_f32_e32 v119, v119, v120
	s_waitcnt vmcnt(2) lgkmcnt(0)
	v_mul_f32_e32 v120, v58, v63
	v_fmac_f32_e32 v120, v59, v62
	v_mul_f32_e32 v124, v60, v65
	v_add_f32_e32 v119, v119, v120
	v_fmac_f32_e32 v124, v61, v64
	ds_read2_b64 v[120:123], v118 offset0:93 offset1:94
	v_add_f32_e32 v137, v119, v124
	ds_read2_b64 v[124:127], v118 offset0:95 offset1:96
	scratch_load_dwordx4 v[128:131], off, off offset:344
	scratch_load_dwordx4 v[234:237], off, off offset:360
	;; [unrolled: 1-line block ×4, first 2 shown]
	v_mul_f32_e32 v3, v115, v3
	v_fma_f32 v2, v114, v2, -v3
	v_mul_f32_e32 v3, v117, v5
	v_add_f32_e32 v2, 0, v2
	v_fma_f32 v3, v116, v4, -v3
	v_add_f32_e32 v2, v2, v3
	v_mul_f32_e32 v3, v111, v7
	v_fma_f32 v3, v110, v6, -v3
	v_add_f32_e32 v2, v2, v3
	v_mul_f32_e32 v3, v113, v9
	;; [unrolled: 3-line block ×26, first 2 shown]
	v_fma_f32 v3, v60, v64, -v3
	s_waitcnt vmcnt(5) lgkmcnt(1)
	v_mul_f32_e32 v139, v120, v71
	v_add_f32_e32 v136, v2, v3
	v_mul_f32_e32 v2, v121, v71
	s_waitcnt vmcnt(3) lgkmcnt(0)
	v_pk_mul_f32 v[16:17], v[124:125], v[128:129] op_sel:[1,1] op_sel_hi:[0,1]
	v_fmac_f32_e32 v139, v121, v70
	v_mul_f32_e32 v141, v122, v73
	v_fma_f32 v138, v120, v70, -v2
	v_mul_f32_e32 v2, v123, v73
	v_pk_fma_f32 v[18:19], v[124:125], v[128:129], v[16:17] neg_lo:[0,0,1] neg_hi:[0,0,1]
	v_pk_fma_f32 v[16:17], v[124:125], v[128:129], v[16:17] op_sel_hi:[1,0,1]
	v_fmac_f32_e32 v141, v123, v72
	v_fma_f32 v140, v122, v72, -v2
	ds_read2_b64 v[2:5], v118 offset0:97 offset1:98
	ds_read2_b64 v[6:9], v118 offset0:99 offset1:100
	;; [unrolled: 1-line block ×3, first 2 shown]
	v_pk_add_f32 v[14:15], v[136:137], v[138:139]
	v_mov_b32_e32 v16, v131
	v_pk_add_f32 v[14:15], v[14:15], v[140:141]
	v_mov_b32_e32 v19, v17
	v_pk_mul_f32 v[16:17], v[126:127], v[16:17] op_sel:[1,0] op_sel_hi:[0,0]
	v_pk_add_f32 v[14:15], v[14:15], v[18:19]
	v_pk_fma_f32 v[18:19], v[126:127], v[130:131], v[16:17] neg_lo:[0,0,1] neg_hi:[0,0,1]
	v_pk_fma_f32 v[16:17], v[126:127], v[130:131], v[16:17] op_sel_hi:[1,0,1]
	s_nop 0
	v_mov_b32_e32 v19, v17
	s_waitcnt vmcnt(2) lgkmcnt(2)
	v_pk_mul_f32 v[16:17], v[2:3], v[234:235] op_sel:[1,1] op_sel_hi:[0,1]
	v_pk_add_f32 v[14:15], v[14:15], v[18:19]
	v_pk_fma_f32 v[18:19], v[2:3], v[234:235], v[16:17] neg_lo:[0,0,1] neg_hi:[0,0,1]
	v_pk_fma_f32 v[2:3], v[2:3], v[234:235], v[16:17] op_sel_hi:[1,0,1]
	s_nop 0
	v_mov_b32_e32 v19, v3
	v_pk_add_f32 v[2:3], v[14:15], v[18:19]
	v_mov_b32_e32 v14, v237
	v_pk_mul_f32 v[14:15], v[4:5], v[14:15] op_sel:[1,0] op_sel_hi:[0,0]
	v_pk_fma_f32 v[16:17], v[4:5], v[236:237], v[14:15] neg_lo:[0,0,1] neg_hi:[0,0,1]
	v_pk_fma_f32 v[4:5], v[4:5], v[236:237], v[14:15] op_sel_hi:[1,0,1]
	s_nop 0
	v_mov_b32_e32 v17, v5
	s_waitcnt vmcnt(1) lgkmcnt(1)
	v_pk_mul_f32 v[4:5], v[6:7], v[238:239] op_sel:[1,1] op_sel_hi:[0,1]
	v_pk_fma_f32 v[14:15], v[6:7], v[238:239], v[4:5] neg_lo:[0,0,1] neg_hi:[0,0,1]
	v_pk_fma_f32 v[4:5], v[6:7], v[238:239], v[4:5] op_sel_hi:[1,0,1]
	v_pk_add_f32 v[2:3], v[2:3], v[16:17]
	v_mov_b32_e32 v4, v241
	v_mov_b32_e32 v15, v5
	v_pk_mul_f32 v[4:5], v[8:9], v[4:5] op_sel:[1,0] op_sel_hi:[0,0]
	v_pk_fma_f32 v[6:7], v[8:9], v[240:241], v[4:5] neg_lo:[0,0,1] neg_hi:[0,0,1]
	v_pk_fma_f32 v[4:5], v[8:9], v[240:241], v[4:5] op_sel_hi:[1,0,1]
	v_pk_add_f32 v[2:3], v[2:3], v[14:15]
	v_mov_b32_e32 v7, v5
	s_waitcnt vmcnt(0) lgkmcnt(0)
	v_pk_mul_f32 v[4:5], v[10:11], v[242:243] op_sel:[1,1] op_sel_hi:[0,1]
	v_pk_add_f32 v[2:3], v[2:3], v[6:7]
	v_pk_fma_f32 v[6:7], v[10:11], v[242:243], v[4:5] neg_lo:[0,0,1] neg_hi:[0,0,1]
	v_pk_fma_f32 v[4:5], v[10:11], v[242:243], v[4:5] op_sel_hi:[1,0,1]
	s_nop 0
	v_mov_b32_e32 v4, v245
	v_mov_b32_e32 v7, v5
	v_pk_mul_f32 v[4:5], v[12:13], v[4:5] op_sel:[1,0] op_sel_hi:[0,0]
	v_pk_add_f32 v[2:3], v[2:3], v[6:7]
	v_pk_fma_f32 v[6:7], v[12:13], v[244:245], v[4:5] neg_lo:[0,0,1] neg_hi:[0,0,1]
	v_pk_fma_f32 v[4:5], v[12:13], v[244:245], v[4:5] op_sel_hi:[1,0,1]
	s_nop 0
	v_mov_b32_e32 v7, v5
	v_pk_add_f32 v[2:3], v[2:3], v[6:7]
	s_nop 0
	v_pk_add_f32 v[2:3], v[134:135], v[2:3] neg_lo:[0,1] neg_hi:[0,1]
	scratch_store_dwordx2 off, v[2:3], off offset:96
	s_and_saveexec_b64 s[0:1], vcc
	s_cbranch_execz .LBB114_297
; %bb.296:
	scratch_load_dwordx2 v[2:3], off, off offset:88
	v_mov_b32_e32 v4, 0
	v_mov_b32_e32 v5, v4
	scratch_store_dwordx2 off, v[4:5], off offset:88
	s_waitcnt vmcnt(1)
	ds_write_b64 v1, v[2:3]
.LBB114_297:
	s_or_b64 exec, exec, s[0:1]
	s_waitcnt lgkmcnt(0)
	; wave barrier
	scratch_load_dwordx4 v[2:5], off, off offset:96
	scratch_load_dwordx4 v[6:9], off, off offset:112
	scratch_load_dwordx4 v[10:13], off, off offset:128
	scratch_load_dwordx4 v[14:17], off, off offset:144
	scratch_load_dwordx4 v[18:21], off, off offset:160
	scratch_load_dwordx4 v[22:25], off, off offset:176
	scratch_load_dwordx4 v[26:29], off, off offset:192
	scratch_load_dwordx4 v[30:33], off, off offset:208
	scratch_load_dwordx4 v[34:37], off, off offset:224
	scratch_load_dwordx4 v[38:41], off, off offset:240
	scratch_load_dwordx4 v[42:45], off, off offset:256
	scratch_load_dwordx4 v[46:49], off, off offset:272
	scratch_load_dwordx4 v[50:53], off, off offset:288
	scratch_load_dwordx4 v[54:57], off, off offset:304
	scratch_load_dwordx4 v[62:65], off, off offset:320
	scratch_load_dwordx4 v[58:61], off, off offset:336
	scratch_load_dwordx2 v[134:135], off, off offset:88
	v_mov_b32_e32 v122, 0
	ds_read_b128 v[66:69], v122 offset:512
	ds_read_b128 v[70:73], v122 offset:528
	;; [unrolled: 1-line block ×14, first 2 shown]
	scratch_load_dwordx4 v[234:237], off, off offset:352
	v_cmp_lt_u32_e32 vcc, 10, v0
	s_waitcnt vmcnt(17) lgkmcnt(13)
	v_mul_f32_e32 v123, v66, v3
	v_mul_f32_e32 v124, v68, v5
	v_fmac_f32_e32 v123, v67, v2
	s_waitcnt vmcnt(16) lgkmcnt(12)
	v_mul_f32_e32 v125, v70, v7
	v_fmac_f32_e32 v124, v69, v4
	v_add_f32_e32 v123, 0, v123
	v_mul_f32_e32 v126, v72, v9
	v_fmac_f32_e32 v125, v71, v6
	v_add_f32_e32 v123, v123, v124
	s_waitcnt vmcnt(15) lgkmcnt(11)
	v_mul_f32_e32 v127, v74, v11
	v_fmac_f32_e32 v126, v73, v8
	v_add_f32_e32 v123, v123, v125
	v_mul_f32_e32 v128, v76, v13
	v_fmac_f32_e32 v127, v75, v10
	v_add_f32_e32 v123, v123, v126
	;; [unrolled: 7-line block ×11, first 2 shown]
	v_fmac_f32_e32 v150, v113, v48
	v_add_f32_e32 v123, v123, v149
	s_waitcnt vmcnt(5) lgkmcnt(1)
	v_mul_f32_e32 v124, v114, v51
	v_add_f32_e32 v123, v123, v150
	v_fmac_f32_e32 v124, v115, v50
	v_add_f32_e32 v123, v123, v124
	v_mul_f32_e32 v124, v116, v53
	v_fmac_f32_e32 v124, v117, v52
	v_add_f32_e32 v123, v123, v124
	s_waitcnt vmcnt(4) lgkmcnt(0)
	v_mul_f32_e32 v124, v118, v55
	v_fmac_f32_e32 v124, v119, v54
	v_mul_f32_e32 v128, v120, v57
	v_add_f32_e32 v123, v123, v124
	v_fmac_f32_e32 v128, v121, v56
	ds_read_b128 v[124:127], v122 offset:736
	v_add_f32_e32 v123, v123, v128
	ds_read_b128 v[128:131], v122 offset:752
	scratch_load_dwordx4 v[238:241], off, off offset:368
	scratch_load_dwordx4 v[242:245], off, off offset:384
	scratch_load_dwordx2 v[142:143], off, off offset:400
	v_mul_f32_e32 v3, v67, v3
	v_fma_f32 v2, v66, v2, -v3
	v_mul_f32_e32 v3, v69, v5
	v_add_f32_e32 v2, 0, v2
	v_fma_f32 v3, v68, v4, -v3
	v_add_f32_e32 v2, v2, v3
	v_mul_f32_e32 v3, v71, v7
	v_fma_f32 v3, v70, v6, -v3
	v_add_f32_e32 v2, v2, v3
	v_mul_f32_e32 v3, v73, v9
	;; [unrolled: 3-line block ×26, first 2 shown]
	v_fma_f32 v3, v120, v56, -v3
	s_waitcnt vmcnt(6) lgkmcnt(1)
	v_mul_f32_e32 v136, v124, v63
	v_add_f32_e32 v2, v2, v3
	v_mul_f32_e32 v3, v125, v63
	v_fmac_f32_e32 v136, v125, v62
	v_fma_f32 v3, v124, v62, -v3
	v_add_f32_e32 v137, v123, v136
	v_add_f32_e32 v136, v2, v3
	v_mul_f32_e32 v2, v127, v65
	v_mul_f32_e32 v139, v126, v65
	v_fma_f32 v138, v126, v64, -v2
	s_waitcnt vmcnt(5) lgkmcnt(0)
	v_mul_f32_e32 v2, v129, v59
	v_mov_b32_e32 v18, v61
	v_fmac_f32_e32 v139, v127, v64
	v_mul_f32_e32 v141, v128, v59
	v_fma_f32 v140, v128, v58, -v2
	ds_read_b128 v[2:5], v122 offset:768
	ds_read_b128 v[6:9], v122 offset:784
	;; [unrolled: 1-line block ×3, first 2 shown]
	ds_read_b64 v[14:15], v122 offset:816
	v_pk_mul_f32 v[18:19], v[130:131], v[18:19] op_sel:[1,0] op_sel_hi:[0,0]
	v_fmac_f32_e32 v141, v129, v58
	v_pk_add_f32 v[16:17], v[136:137], v[138:139]
	v_pk_fma_f32 v[20:21], v[130:131], v[60:61], v[18:19] neg_lo:[0,0,1] neg_hi:[0,0,1]
	v_pk_fma_f32 v[18:19], v[130:131], v[60:61], v[18:19] op_sel_hi:[1,0,1]
	v_pk_add_f32 v[16:17], v[16:17], v[140:141]
	v_mov_b32_e32 v21, v19
	s_waitcnt vmcnt(3) lgkmcnt(3)
	v_pk_mul_f32 v[18:19], v[2:3], v[234:235] op_sel:[1,1] op_sel_hi:[0,1]
	v_pk_add_f32 v[16:17], v[16:17], v[20:21]
	v_pk_fma_f32 v[20:21], v[2:3], v[234:235], v[18:19] neg_lo:[0,0,1] neg_hi:[0,0,1]
	v_pk_fma_f32 v[2:3], v[2:3], v[234:235], v[18:19] op_sel_hi:[1,0,1]
	s_nop 0
	v_mov_b32_e32 v21, v3
	v_pk_add_f32 v[2:3], v[16:17], v[20:21]
	v_mov_b32_e32 v16, v237
	v_pk_mul_f32 v[16:17], v[4:5], v[16:17] op_sel:[1,0] op_sel_hi:[0,0]
	v_pk_fma_f32 v[18:19], v[4:5], v[236:237], v[16:17] neg_lo:[0,0,1] neg_hi:[0,0,1]
	v_pk_fma_f32 v[4:5], v[4:5], v[236:237], v[16:17] op_sel_hi:[1,0,1]
	s_nop 0
	v_mov_b32_e32 v19, v5
	s_waitcnt vmcnt(2) lgkmcnt(2)
	v_pk_mul_f32 v[4:5], v[6:7], v[238:239] op_sel:[1,1] op_sel_hi:[0,1]
	v_pk_fma_f32 v[16:17], v[6:7], v[238:239], v[4:5] neg_lo:[0,0,1] neg_hi:[0,0,1]
	v_pk_fma_f32 v[4:5], v[6:7], v[238:239], v[4:5] op_sel_hi:[1,0,1]
	v_pk_add_f32 v[2:3], v[2:3], v[18:19]
	v_mov_b32_e32 v4, v241
	v_mov_b32_e32 v17, v5
	v_pk_mul_f32 v[4:5], v[8:9], v[4:5] op_sel:[1,0] op_sel_hi:[0,0]
	v_pk_fma_f32 v[6:7], v[8:9], v[240:241], v[4:5] neg_lo:[0,0,1] neg_hi:[0,0,1]
	v_pk_fma_f32 v[4:5], v[8:9], v[240:241], v[4:5] op_sel_hi:[1,0,1]
	v_pk_add_f32 v[2:3], v[2:3], v[16:17]
	v_mov_b32_e32 v7, v5
	s_waitcnt vmcnt(1) lgkmcnt(1)
	v_pk_mul_f32 v[4:5], v[10:11], v[242:243] op_sel:[1,1] op_sel_hi:[0,1]
	v_pk_add_f32 v[2:3], v[2:3], v[6:7]
	v_pk_fma_f32 v[6:7], v[10:11], v[242:243], v[4:5] neg_lo:[0,0,1] neg_hi:[0,0,1]
	v_pk_fma_f32 v[4:5], v[10:11], v[242:243], v[4:5] op_sel_hi:[1,0,1]
	s_nop 0
	v_mov_b32_e32 v4, v245
	v_mov_b32_e32 v7, v5
	v_pk_mul_f32 v[4:5], v[12:13], v[4:5] op_sel:[1,0] op_sel_hi:[0,0]
	v_pk_add_f32 v[2:3], v[2:3], v[6:7]
	v_pk_fma_f32 v[6:7], v[12:13], v[244:245], v[4:5] neg_lo:[0,0,1] neg_hi:[0,0,1]
	v_pk_fma_f32 v[4:5], v[12:13], v[244:245], v[4:5] op_sel_hi:[1,0,1]
	s_nop 0
	v_mov_b32_e32 v7, v5
	s_waitcnt vmcnt(0) lgkmcnt(0)
	v_pk_mul_f32 v[4:5], v[14:15], v[142:143] op_sel:[1,1] op_sel_hi:[0,1]
	v_pk_add_f32 v[2:3], v[2:3], v[6:7]
	v_pk_fma_f32 v[6:7], v[14:15], v[142:143], v[4:5] neg_lo:[0,0,1] neg_hi:[0,0,1]
	v_pk_fma_f32 v[4:5], v[14:15], v[142:143], v[4:5] op_sel_hi:[1,0,1]
	s_nop 0
	v_mov_b32_e32 v7, v5
	v_pk_add_f32 v[2:3], v[2:3], v[6:7]
	s_nop 0
	v_pk_add_f32 v[2:3], v[134:135], v[2:3] neg_lo:[0,1] neg_hi:[0,1]
	scratch_store_dwordx2 off, v[2:3], off offset:88
	s_and_saveexec_b64 s[0:1], vcc
	s_cbranch_execz .LBB114_299
; %bb.298:
	scratch_load_dwordx2 v[2:3], off, off offset:80
	v_mov_b32_e32 v123, v122
	scratch_store_dwordx2 off, v[122:123], off offset:80
	s_waitcnt vmcnt(1)
	ds_write_b64 v1, v[2:3]
.LBB114_299:
	s_or_b64 exec, exec, s[0:1]
	s_waitcnt lgkmcnt(0)
	; wave barrier
	scratch_load_dwordx4 v[2:5], off, off offset:88
	scratch_load_dwordx4 v[6:9], off, off offset:104
	;; [unrolled: 1-line block ×13, first 2 shown]
	ds_read2_b64 v[118:121], v122 offset0:63 offset1:64
	ds_read2_b64 v[114:117], v122 offset0:65 offset1:66
	;; [unrolled: 1-line block ×14, first 2 shown]
	scratch_load_dwordx4 v[62:65], off, off offset:296
	scratch_load_dwordx4 v[70:73], off, off offset:312
	;; [unrolled: 1-line block ×3, first 2 shown]
	scratch_load_dwordx2 v[134:135], off, off offset:80
	scratch_load_dwordx4 v[234:237], off, off offset:344
	v_cmp_lt_u32_e32 vcc, 9, v0
	s_waitcnt vmcnt(17) lgkmcnt(13)
	v_mul_f32_e32 v123, v118, v3
	v_mul_f32_e32 v124, v120, v5
	v_fmac_f32_e32 v123, v119, v2
	s_waitcnt vmcnt(16) lgkmcnt(12)
	v_mul_f32_e32 v125, v114, v7
	v_fmac_f32_e32 v124, v121, v4
	v_add_f32_e32 v123, 0, v123
	v_mul_f32_e32 v126, v116, v9
	v_fmac_f32_e32 v125, v115, v6
	v_add_f32_e32 v123, v123, v124
	s_waitcnt vmcnt(15) lgkmcnt(11)
	v_mul_f32_e32 v127, v110, v11
	v_fmac_f32_e32 v126, v117, v8
	v_add_f32_e32 v123, v123, v125
	v_mul_f32_e32 v128, v112, v13
	v_fmac_f32_e32 v127, v111, v10
	v_add_f32_e32 v123, v123, v126
	;; [unrolled: 7-line block ×11, first 2 shown]
	s_waitcnt vmcnt(5) lgkmcnt(1)
	v_mul_f32_e32 v151, v54, v51
	v_fmac_f32_e32 v150, v69, v48
	v_add_f32_e32 v123, v123, v149
	v_add_f32_e32 v123, v123, v150
	v_fmac_f32_e32 v151, v55, v50
	v_mul_f32_e32 v124, v56, v53
	v_add_f32_e32 v123, v123, v151
	v_fmac_f32_e32 v124, v57, v52
	v_add_f32_e32 v123, v123, v124
	s_waitcnt vmcnt(4) lgkmcnt(0)
	v_mul_f32_e32 v124, v58, v63
	v_fmac_f32_e32 v124, v59, v62
	v_mul_f32_e32 v128, v60, v65
	v_add_f32_e32 v123, v123, v124
	v_fmac_f32_e32 v128, v61, v64
	ds_read2_b64 v[124:127], v122 offset0:91 offset1:92
	v_add_f32_e32 v123, v123, v128
	ds_read2_b64 v[128:131], v122 offset0:93 offset1:94
	scratch_load_dwordx4 v[238:241], off, off offset:360
	scratch_load_dwordx4 v[242:245], off, off offset:376
	;; [unrolled: 1-line block ×3, first 2 shown]
	v_mul_f32_e32 v3, v119, v3
	v_fma_f32 v2, v118, v2, -v3
	v_mul_f32_e32 v3, v121, v5
	v_add_f32_e32 v2, 0, v2
	v_fma_f32 v3, v120, v4, -v3
	v_add_f32_e32 v2, v2, v3
	v_mul_f32_e32 v3, v115, v7
	v_fma_f32 v3, v114, v6, -v3
	v_add_f32_e32 v2, v2, v3
	v_mul_f32_e32 v3, v117, v9
	;; [unrolled: 3-line block ×26, first 2 shown]
	v_fma_f32 v3, v60, v64, -v3
	s_waitcnt vmcnt(6) lgkmcnt(1)
	v_mul_f32_e32 v136, v124, v71
	v_add_f32_e32 v2, v2, v3
	v_mul_f32_e32 v3, v125, v71
	v_fmac_f32_e32 v136, v125, v70
	v_fma_f32 v3, v124, v70, -v3
	v_add_f32_e32 v123, v123, v136
	v_mul_f32_e32 v136, v126, v73
	v_add_f32_e32 v2, v2, v3
	v_mul_f32_e32 v3, v127, v73
	v_fmac_f32_e32 v136, v127, v72
	v_fma_f32 v3, v126, v72, -v3
	v_add_f32_e32 v137, v123, v136
	v_add_f32_e32 v136, v2, v3
	s_waitcnt vmcnt(5) lgkmcnt(0)
	v_mul_f32_e32 v2, v129, v79
	v_fma_f32 v138, v128, v78, -v2
	v_mul_f32_e32 v2, v131, v81
	v_fma_f32 v140, v130, v80, -v2
	ds_read2_b64 v[2:5], v122 offset0:95 offset1:96
	ds_read2_b64 v[6:9], v122 offset0:97 offset1:98
	;; [unrolled: 1-line block ×4, first 2 shown]
	v_mul_f32_e32 v139, v128, v79
	v_fmac_f32_e32 v139, v129, v78
	v_mul_f32_e32 v141, v130, v81
	s_waitcnt vmcnt(3) lgkmcnt(3)
	v_pk_mul_f32 v[20:21], v[2:3], v[234:235] op_sel:[1,1] op_sel_hi:[0,1]
	v_fmac_f32_e32 v141, v131, v80
	v_pk_add_f32 v[18:19], v[136:137], v[138:139]
	v_pk_fma_f32 v[22:23], v[2:3], v[234:235], v[20:21] neg_lo:[0,0,1] neg_hi:[0,0,1]
	v_pk_fma_f32 v[2:3], v[2:3], v[234:235], v[20:21] op_sel_hi:[1,0,1]
	v_pk_add_f32 v[18:19], v[18:19], v[140:141]
	v_mov_b32_e32 v23, v3
	v_pk_add_f32 v[2:3], v[18:19], v[22:23]
	v_mov_b32_e32 v18, v237
	v_pk_mul_f32 v[18:19], v[4:5], v[18:19] op_sel:[1,0] op_sel_hi:[0,0]
	v_pk_fma_f32 v[20:21], v[4:5], v[236:237], v[18:19] neg_lo:[0,0,1] neg_hi:[0,0,1]
	v_pk_fma_f32 v[4:5], v[4:5], v[236:237], v[18:19] op_sel_hi:[1,0,1]
	s_nop 0
	v_mov_b32_e32 v21, v5
	s_waitcnt vmcnt(2) lgkmcnt(2)
	v_pk_mul_f32 v[4:5], v[6:7], v[238:239] op_sel:[1,1] op_sel_hi:[0,1]
	v_pk_fma_f32 v[18:19], v[6:7], v[238:239], v[4:5] neg_lo:[0,0,1] neg_hi:[0,0,1]
	v_pk_fma_f32 v[4:5], v[6:7], v[238:239], v[4:5] op_sel_hi:[1,0,1]
	v_pk_add_f32 v[2:3], v[2:3], v[20:21]
	v_mov_b32_e32 v4, v241
	v_mov_b32_e32 v19, v5
	v_pk_mul_f32 v[4:5], v[8:9], v[4:5] op_sel:[1,0] op_sel_hi:[0,0]
	v_pk_fma_f32 v[6:7], v[8:9], v[240:241], v[4:5] neg_lo:[0,0,1] neg_hi:[0,0,1]
	v_pk_fma_f32 v[4:5], v[8:9], v[240:241], v[4:5] op_sel_hi:[1,0,1]
	v_pk_add_f32 v[2:3], v[2:3], v[18:19]
	v_mov_b32_e32 v7, v5
	s_waitcnt vmcnt(1) lgkmcnt(1)
	v_pk_mul_f32 v[4:5], v[10:11], v[242:243] op_sel:[1,1] op_sel_hi:[0,1]
	v_pk_add_f32 v[2:3], v[2:3], v[6:7]
	v_pk_fma_f32 v[6:7], v[10:11], v[242:243], v[4:5] neg_lo:[0,0,1] neg_hi:[0,0,1]
	v_pk_fma_f32 v[4:5], v[10:11], v[242:243], v[4:5] op_sel_hi:[1,0,1]
	s_nop 0
	v_mov_b32_e32 v4, v245
	v_mov_b32_e32 v7, v5
	v_pk_mul_f32 v[4:5], v[12:13], v[4:5] op_sel:[1,0] op_sel_hi:[0,0]
	v_pk_add_f32 v[2:3], v[2:3], v[6:7]
	v_pk_fma_f32 v[6:7], v[12:13], v[244:245], v[4:5] neg_lo:[0,0,1] neg_hi:[0,0,1]
	v_pk_fma_f32 v[4:5], v[12:13], v[244:245], v[4:5] op_sel_hi:[1,0,1]
	s_nop 0
	v_mov_b32_e32 v7, v5
	s_waitcnt vmcnt(0) lgkmcnt(0)
	v_pk_mul_f32 v[4:5], v[14:15], v[246:247] op_sel:[1,1] op_sel_hi:[0,1]
	v_pk_add_f32 v[2:3], v[2:3], v[6:7]
	v_pk_fma_f32 v[6:7], v[14:15], v[246:247], v[4:5] neg_lo:[0,0,1] neg_hi:[0,0,1]
	v_pk_fma_f32 v[4:5], v[14:15], v[246:247], v[4:5] op_sel_hi:[1,0,1]
	s_nop 0
	v_mov_b32_e32 v4, v249
	v_mov_b32_e32 v7, v5
	v_pk_mul_f32 v[4:5], v[16:17], v[4:5] op_sel:[1,0] op_sel_hi:[0,0]
	v_pk_add_f32 v[2:3], v[2:3], v[6:7]
	v_pk_fma_f32 v[6:7], v[16:17], v[248:249], v[4:5] neg_lo:[0,0,1] neg_hi:[0,0,1]
	v_pk_fma_f32 v[4:5], v[16:17], v[248:249], v[4:5] op_sel_hi:[1,0,1]
	s_nop 0
	v_mov_b32_e32 v7, v5
	v_pk_add_f32 v[2:3], v[2:3], v[6:7]
	s_nop 0
	v_pk_add_f32 v[2:3], v[134:135], v[2:3] neg_lo:[0,1] neg_hi:[0,1]
	scratch_store_dwordx2 off, v[2:3], off offset:80
	s_and_saveexec_b64 s[0:1], vcc
	s_cbranch_execz .LBB114_301
; %bb.300:
	scratch_load_dwordx2 v[2:3], off, off offset:72
	v_mov_b32_e32 v4, 0
	v_mov_b32_e32 v5, v4
	scratch_store_dwordx2 off, v[4:5], off offset:72
	s_waitcnt vmcnt(1)
	ds_write_b64 v1, v[2:3]
.LBB114_301:
	s_or_b64 exec, exec, s[0:1]
	v_mov_b32_e32 v102, 0
	s_waitcnt lgkmcnt(0)
	; wave barrier
	ds_read_b128 v[14:17], v102 offset:496
	ds_read_b128 v[10:13], v102 offset:512
	ds_read_b128 v[6:9], v102 offset:528
	ds_read_b128 v[2:5], v102 offset:544
	scratch_load_dwordx4 v[18:21], off, off offset:80
	scratch_load_dwordx4 v[38:41], off, off offset:144
	;; [unrolled: 1-line block ×11, first 2 shown]
	v_cmp_lt_u32_e32 vcc, 8, v0
	scratch_load_dwordx4 v[46:49], off, off offset:160
	scratch_load_dwordx4 v[54:57], off, off offset:176
	;; [unrolled: 1-line block ×3, first 2 shown]
	ds_read_b128 v[234:237], v102 offset:752
	s_waitcnt vmcnt(13) lgkmcnt(4)
	v_mul_f32_e32 v22, v14, v19
	v_fmac_f32_e32 v22, v15, v18
	v_mul_f32_e32 v23, v16, v21
	v_add_f32_e32 v22, 0, v22
	v_fmac_f32_e32 v23, v17, v20
	v_add_f32_e32 v26, v22, v23
	scratch_load_dwordx4 v[22:25], off, off offset:96
	v_mul_f32_e32 v15, v15, v19
	v_fma_f32 v14, v14, v18, -v15
	v_mul_f32_e32 v15, v17, v21
	v_add_f32_e32 v14, 0, v14
	v_fma_f32 v15, v16, v20, -v15
	v_add_f32_e32 v14, v14, v15
	s_waitcnt vmcnt(4)
	v_mov_b32_e32 v18, v241
	s_waitcnt lgkmcnt(0)
	v_mul_f32_e32 v139, v234, v239
	v_pk_mul_f32 v[18:19], v[236:237], v[18:19] op_sel:[1,0] op_sel_hi:[0,0]
	v_fmac_f32_e32 v139, v235, v238
	v_pk_fma_f32 v[20:21], v[236:237], v[240:241], v[18:19] neg_lo:[0,0,1] neg_hi:[0,0,1]
	v_pk_fma_f32 v[18:19], v[236:237], v[240:241], v[18:19] op_sel_hi:[1,0,1]
	s_waitcnt vmcnt(0)
	v_mul_f32_e32 v27, v10, v23
	v_fmac_f32_e32 v27, v11, v22
	v_add_f32_e32 v26, v26, v27
	v_mul_f32_e32 v27, v12, v25
	v_fmac_f32_e32 v27, v13, v24
	v_add_f32_e32 v30, v26, v27
	scratch_load_dwordx4 v[26:29], off, off offset:112
	v_mul_f32_e32 v11, v11, v23
	v_fma_f32 v10, v10, v22, -v11
	v_mul_f32_e32 v11, v13, v25
	v_add_f32_e32 v10, v14, v10
	v_fma_f32 v11, v12, v24, -v11
	v_add_f32_e32 v10, v10, v11
	v_mov_b32_e32 v21, v19
	s_waitcnt vmcnt(0)
	v_mul_f32_e32 v31, v6, v27
	v_fmac_f32_e32 v31, v7, v26
	v_add_f32_e32 v30, v30, v31
	v_mul_f32_e32 v31, v8, v29
	v_fmac_f32_e32 v31, v9, v28
	v_add_f32_e32 v34, v30, v31
	scratch_load_dwordx4 v[30:33], off, off offset:128
	v_mul_f32_e32 v7, v7, v27
	v_fma_f32 v6, v6, v26, -v7
	v_mul_f32_e32 v7, v9, v29
	v_add_f32_e32 v6, v10, v6
	v_fma_f32 v7, v8, v28, -v7
	v_add_f32_e32 v6, v6, v7
	s_waitcnt vmcnt(0)
	v_mul_f32_e32 v35, v2, v31
	v_fmac_f32_e32 v35, v3, v30
	v_add_f32_e32 v34, v34, v35
	v_mul_f32_e32 v35, v4, v33
	v_fmac_f32_e32 v35, v5, v32
	v_add_f32_e32 v42, v34, v35
	ds_read_b128 v[34:37], v102 offset:560
	v_mul_f32_e32 v3, v3, v31
	v_fma_f32 v2, v2, v30, -v3
	v_mul_f32_e32 v3, v5, v33
	v_add_f32_e32 v2, v6, v2
	s_waitcnt lgkmcnt(0)
	v_mul_f32_e32 v43, v34, v39
	v_fmac_f32_e32 v43, v35, v38
	v_add_f32_e32 v42, v42, v43
	v_mul_f32_e32 v43, v36, v41
	v_fmac_f32_e32 v43, v37, v40
	v_add_f32_e32 v50, v42, v43
	ds_read_b128 v[42:45], v102 offset:576
	v_fma_f32 v3, v4, v32, -v3
	v_add_f32_e32 v2, v2, v3
	v_mul_f32_e32 v3, v35, v39
	v_fma_f32 v3, v34, v38, -v3
	s_waitcnt lgkmcnt(0)
	v_mul_f32_e32 v51, v42, v47
	v_fmac_f32_e32 v51, v43, v46
	v_add_f32_e32 v50, v50, v51
	v_mul_f32_e32 v51, v44, v49
	v_fmac_f32_e32 v51, v45, v48
	v_add_f32_e32 v58, v50, v51
	ds_read_b128 v[50:53], v102 offset:592
	v_add_f32_e32 v2, v2, v3
	v_mul_f32_e32 v3, v37, v41
	v_fma_f32 v3, v36, v40, -v3
	v_add_f32_e32 v2, v2, v3
	s_waitcnt lgkmcnt(0)
	v_mul_f32_e32 v59, v50, v55
	v_fmac_f32_e32 v59, v51, v54
	v_add_f32_e32 v58, v58, v59
	v_mul_f32_e32 v59, v52, v57
	v_fmac_f32_e32 v59, v53, v56
	v_add_f32_e32 v66, v58, v59
	ds_read_b128 v[58:61], v102 offset:608
	v_mul_f32_e32 v3, v43, v47
	v_fma_f32 v3, v42, v46, -v3
	v_add_f32_e32 v2, v2, v3
	v_mul_f32_e32 v3, v45, v49
	s_waitcnt lgkmcnt(0)
	v_mul_f32_e32 v67, v58, v63
	v_fmac_f32_e32 v67, v59, v62
	v_add_f32_e32 v66, v66, v67
	v_mul_f32_e32 v67, v60, v65
	v_fmac_f32_e32 v67, v61, v64
	v_add_f32_e32 v74, v66, v67
	ds_read_b128 v[66:69], v102 offset:624
	v_fma_f32 v3, v44, v48, -v3
	v_add_f32_e32 v2, v2, v3
	v_mul_f32_e32 v3, v51, v55
	v_fma_f32 v3, v50, v54, -v3
	s_waitcnt lgkmcnt(0)
	v_mul_f32_e32 v75, v66, v71
	v_fmac_f32_e32 v75, v67, v70
	v_add_f32_e32 v74, v74, v75
	v_mul_f32_e32 v75, v68, v73
	v_fmac_f32_e32 v75, v69, v72
	v_add_f32_e32 v82, v74, v75
	ds_read_b128 v[74:77], v102 offset:640
	v_add_f32_e32 v2, v2, v3
	v_mul_f32_e32 v3, v53, v57
	v_fma_f32 v3, v52, v56, -v3
	v_add_f32_e32 v2, v2, v3
	s_waitcnt lgkmcnt(0)
	v_mul_f32_e32 v83, v74, v79
	v_fmac_f32_e32 v83, v75, v78
	v_add_f32_e32 v82, v82, v83
	v_mul_f32_e32 v83, v76, v81
	v_fmac_f32_e32 v83, v77, v80
	v_add_f32_e32 v90, v82, v83
	ds_read_b128 v[82:85], v102 offset:656
	v_mul_f32_e32 v3, v59, v63
	v_fma_f32 v3, v58, v62, -v3
	v_add_f32_e32 v2, v2, v3
	v_mul_f32_e32 v3, v61, v65
	s_waitcnt lgkmcnt(0)
	v_mul_f32_e32 v91, v82, v87
	v_fmac_f32_e32 v91, v83, v86
	v_add_f32_e32 v90, v90, v91
	v_mul_f32_e32 v91, v84, v89
	v_fmac_f32_e32 v91, v85, v88
	v_add_f32_e32 v98, v90, v91
	ds_read_b128 v[90:93], v102 offset:672
	v_fma_f32 v3, v60, v64, -v3
	v_add_f32_e32 v2, v2, v3
	v_mul_f32_e32 v3, v67, v71
	v_fma_f32 v3, v66, v70, -v3
	s_waitcnt lgkmcnt(0)
	v_mul_f32_e32 v99, v90, v95
	v_fmac_f32_e32 v99, v91, v94
	v_add_f32_e32 v98, v98, v99
	v_mul_f32_e32 v99, v92, v97
	v_fmac_f32_e32 v99, v93, v96
	v_add_f32_e32 v103, v98, v99
	ds_read_b128 v[98:101], v102 offset:688
	v_add_f32_e32 v2, v2, v3
	v_mul_f32_e32 v3, v69, v73
	v_fma_f32 v3, v68, v72, -v3
	v_add_f32_e32 v2, v2, v3
	s_waitcnt lgkmcnt(0)
	v_mul_f32_e32 v108, v98, v105
	v_fmac_f32_e32 v108, v99, v104
	v_add_f32_e32 v103, v103, v108
	v_mul_f32_e32 v108, v100, v107
	v_fmac_f32_e32 v108, v101, v106
	v_add_f32_e32 v103, v103, v108
	ds_read_b128 v[108:111], v102 offset:704
	v_mul_f32_e32 v3, v75, v79
	v_fma_f32 v3, v74, v78, -v3
	v_add_f32_e32 v2, v2, v3
	v_mul_f32_e32 v3, v77, v81
	s_waitcnt lgkmcnt(0)
	v_mul_f32_e32 v116, v108, v113
	v_fmac_f32_e32 v116, v109, v112
	v_add_f32_e32 v103, v103, v116
	v_mul_f32_e32 v116, v110, v115
	v_fmac_f32_e32 v116, v111, v114
	v_add_f32_e32 v103, v103, v116
	ds_read_b128 v[116:119], v102 offset:720
	v_fma_f32 v3, v76, v80, -v3
	v_add_f32_e32 v2, v2, v3
	v_mul_f32_e32 v3, v83, v87
	v_fma_f32 v3, v82, v86, -v3
	s_waitcnt lgkmcnt(0)
	v_mul_f32_e32 v124, v116, v121
	v_fmac_f32_e32 v124, v117, v120
	v_add_f32_e32 v103, v103, v124
	v_mul_f32_e32 v124, v118, v123
	v_fmac_f32_e32 v124, v119, v122
	v_add_f32_e32 v103, v103, v124
	ds_read_b128 v[124:127], v102 offset:736
	scratch_load_dwordx4 v[242:245], off, off offset:352
	scratch_load_dwordx4 v[246:249], off, off offset:368
	scratch_load_dwordx4 v[250:253], off, off offset:384
	scratch_load_dwordx2 v[140:141], off, off offset:400
	v_add_f32_e32 v2, v2, v3
	v_mul_f32_e32 v3, v85, v89
	v_fma_f32 v3, v84, v88, -v3
	v_add_f32_e32 v2, v2, v3
	v_mul_f32_e32 v3, v91, v95
	v_fma_f32 v3, v90, v94, -v3
	;; [unrolled: 3-line block ×9, first 2 shown]
	s_waitcnt lgkmcnt(0)
	v_mul_f32_e32 v134, v124, v129
	v_add_f32_e32 v2, v2, v3
	v_mul_f32_e32 v3, v125, v129
	v_fmac_f32_e32 v134, v125, v128
	v_fma_f32 v3, v124, v128, -v3
	v_add_f32_e32 v135, v103, v134
	v_add_f32_e32 v134, v2, v3
	v_mul_f32_e32 v2, v127, v131
	v_mul_f32_e32 v137, v126, v131
	v_fma_f32 v136, v126, v130, -v2
	v_mul_f32_e32 v2, v235, v239
	v_fmac_f32_e32 v137, v127, v130
	v_fma_f32 v138, v234, v238, -v2
	ds_read_b128 v[2:5], v102 offset:768
	ds_read_b128 v[6:9], v102 offset:784
	;; [unrolled: 1-line block ×3, first 2 shown]
	ds_read_b64 v[14:15], v102 offset:816
	v_pk_add_f32 v[16:17], v[134:135], v[136:137]
	s_waitcnt vmcnt(3) lgkmcnt(3)
	v_pk_mul_f32 v[18:19], v[2:3], v[242:243] op_sel:[1,1] op_sel_hi:[0,1]
	v_pk_add_f32 v[16:17], v[16:17], v[138:139]
	s_nop 0
	v_pk_add_f32 v[16:17], v[16:17], v[20:21]
	v_pk_fma_f32 v[20:21], v[2:3], v[242:243], v[18:19] neg_lo:[0,0,1] neg_hi:[0,0,1]
	v_pk_fma_f32 v[2:3], v[2:3], v[242:243], v[18:19] op_sel_hi:[1,0,1]
	s_nop 0
	v_mov_b32_e32 v21, v3
	v_pk_add_f32 v[2:3], v[16:17], v[20:21]
	v_mov_b32_e32 v16, v245
	v_pk_mul_f32 v[16:17], v[4:5], v[16:17] op_sel:[1,0] op_sel_hi:[0,0]
	v_pk_fma_f32 v[18:19], v[4:5], v[244:245], v[16:17] neg_lo:[0,0,1] neg_hi:[0,0,1]
	v_pk_fma_f32 v[4:5], v[4:5], v[244:245], v[16:17] op_sel_hi:[1,0,1]
	s_nop 0
	v_mov_b32_e32 v19, v5
	s_waitcnt vmcnt(2) lgkmcnt(2)
	v_pk_mul_f32 v[4:5], v[6:7], v[246:247] op_sel:[1,1] op_sel_hi:[0,1]
	v_pk_fma_f32 v[16:17], v[6:7], v[246:247], v[4:5] neg_lo:[0,0,1] neg_hi:[0,0,1]
	v_pk_fma_f32 v[4:5], v[6:7], v[246:247], v[4:5] op_sel_hi:[1,0,1]
	v_pk_add_f32 v[2:3], v[2:3], v[18:19]
	v_mov_b32_e32 v4, v249
	v_mov_b32_e32 v17, v5
	v_pk_mul_f32 v[4:5], v[8:9], v[4:5] op_sel:[1,0] op_sel_hi:[0,0]
	v_pk_fma_f32 v[6:7], v[8:9], v[248:249], v[4:5] neg_lo:[0,0,1] neg_hi:[0,0,1]
	v_pk_fma_f32 v[4:5], v[8:9], v[248:249], v[4:5] op_sel_hi:[1,0,1]
	v_pk_add_f32 v[2:3], v[2:3], v[16:17]
	v_mov_b32_e32 v7, v5
	s_waitcnt vmcnt(1) lgkmcnt(1)
	v_pk_mul_f32 v[4:5], v[10:11], v[250:251] op_sel:[1,1] op_sel_hi:[0,1]
	v_pk_add_f32 v[2:3], v[2:3], v[6:7]
	v_pk_fma_f32 v[6:7], v[10:11], v[250:251], v[4:5] neg_lo:[0,0,1] neg_hi:[0,0,1]
	v_pk_fma_f32 v[4:5], v[10:11], v[250:251], v[4:5] op_sel_hi:[1,0,1]
	s_nop 0
	v_mov_b32_e32 v4, v253
	v_mov_b32_e32 v7, v5
	v_pk_mul_f32 v[4:5], v[12:13], v[4:5] op_sel:[1,0] op_sel_hi:[0,0]
	v_pk_add_f32 v[2:3], v[2:3], v[6:7]
	v_pk_fma_f32 v[6:7], v[12:13], v[252:253], v[4:5] neg_lo:[0,0,1] neg_hi:[0,0,1]
	v_pk_fma_f32 v[4:5], v[12:13], v[252:253], v[4:5] op_sel_hi:[1,0,1]
	s_nop 0
	v_mov_b32_e32 v7, v5
	s_waitcnt vmcnt(0) lgkmcnt(0)
	v_pk_mul_f32 v[4:5], v[14:15], v[140:141] op_sel:[1,1] op_sel_hi:[0,1]
	v_pk_add_f32 v[2:3], v[2:3], v[6:7]
	v_pk_fma_f32 v[6:7], v[14:15], v[140:141], v[4:5] neg_lo:[0,0,1] neg_hi:[0,0,1]
	v_pk_fma_f32 v[4:5], v[14:15], v[140:141], v[4:5] op_sel_hi:[1,0,1]
	s_nop 0
	v_mov_b32_e32 v7, v5
	scratch_load_dwordx2 v[4:5], off, off offset:72
	v_pk_add_f32 v[2:3], v[2:3], v[6:7]
	s_waitcnt vmcnt(0)
	v_pk_add_f32 v[2:3], v[4:5], v[2:3] neg_lo:[0,1] neg_hi:[0,1]
	scratch_store_dwordx2 off, v[2:3], off offset:72
	s_and_saveexec_b64 s[0:1], vcc
	s_cbranch_execz .LBB114_303
; %bb.302:
	scratch_load_dwordx2 v[2:3], off, off offset:64
	v_mov_b32_e32 v103, v102
	scratch_store_dwordx2 off, v[102:103], off offset:64
	s_waitcnt vmcnt(1)
	ds_write_b64 v1, v[2:3]
.LBB114_303:
	s_or_b64 exec, exec, s[0:1]
	s_waitcnt lgkmcnt(0)
	; wave barrier
	scratch_load_dwordx4 v[6:9], off, off offset:72
	scratch_load_dwordx4 v[14:17], off, off offset:88
	;; [unrolled: 1-line block ×10, first 2 shown]
	ds_read2_b64 v[2:5], v102 offset0:61 offset1:62
	ds_read2_b64 v[234:237], v102 offset0:93 offset1:94
	scratch_load_dwordx4 v[86:89], off, off offset:232
	scratch_load_dwordx4 v[94:97], off, off offset:248
	;; [unrolled: 1-line block ×7, first 2 shown]
	v_cmp_lt_u32_e32 vcc, 7, v0
	s_waitcnt vmcnt(16) lgkmcnt(1)
	v_mul_f32_e32 v10, v2, v7
	v_fmac_f32_e32 v10, v3, v6
	v_mul_f32_e32 v11, v4, v9
	v_add_f32_e32 v10, 0, v10
	v_fmac_f32_e32 v11, v5, v8
	v_add_f32_e32 v18, v10, v11
	ds_read2_b64 v[10:13], v102 offset0:63 offset1:64
	v_mul_f32_e32 v3, v3, v7
	v_fma_f32 v2, v2, v6, -v3
	v_mul_f32_e32 v3, v5, v9
	v_add_f32_e32 v2, 0, v2
	s_waitcnt vmcnt(15) lgkmcnt(0)
	v_mul_f32_e32 v19, v10, v15
	v_fmac_f32_e32 v19, v11, v14
	v_add_f32_e32 v18, v18, v19
	v_mul_f32_e32 v19, v12, v17
	v_fmac_f32_e32 v19, v13, v16
	v_add_f32_e32 v26, v18, v19
	ds_read2_b64 v[18:21], v102 offset0:65 offset1:66
	v_fma_f32 v3, v4, v8, -v3
	v_add_f32_e32 v2, v2, v3
	v_mul_f32_e32 v3, v11, v15
	v_fma_f32 v3, v10, v14, -v3
	s_waitcnt vmcnt(14) lgkmcnt(0)
	v_mul_f32_e32 v27, v18, v23
	v_fmac_f32_e32 v27, v19, v22
	v_add_f32_e32 v26, v26, v27
	v_mul_f32_e32 v27, v20, v25
	v_fmac_f32_e32 v27, v21, v24
	v_add_f32_e32 v34, v26, v27
	ds_read2_b64 v[26:29], v102 offset0:67 offset1:68
	v_add_f32_e32 v2, v2, v3
	v_mul_f32_e32 v3, v13, v17
	v_fma_f32 v3, v12, v16, -v3
	v_add_f32_e32 v2, v2, v3
	s_waitcnt vmcnt(13) lgkmcnt(0)
	v_mul_f32_e32 v35, v26, v31
	v_fmac_f32_e32 v35, v27, v30
	v_add_f32_e32 v34, v34, v35
	v_mul_f32_e32 v35, v28, v33
	v_fmac_f32_e32 v35, v29, v32
	v_add_f32_e32 v42, v34, v35
	ds_read2_b64 v[34:37], v102 offset0:69 offset1:70
	v_mul_f32_e32 v3, v19, v23
	v_fma_f32 v3, v18, v22, -v3
	v_add_f32_e32 v2, v2, v3
	v_mul_f32_e32 v3, v21, v25
	s_waitcnt vmcnt(12) lgkmcnt(0)
	v_mul_f32_e32 v43, v34, v39
	v_fmac_f32_e32 v43, v35, v38
	v_add_f32_e32 v42, v42, v43
	v_mul_f32_e32 v43, v36, v41
	v_fmac_f32_e32 v43, v37, v40
	v_add_f32_e32 v50, v42, v43
	ds_read2_b64 v[42:45], v102 offset0:71 offset1:72
	v_fma_f32 v3, v20, v24, -v3
	v_add_f32_e32 v2, v2, v3
	v_mul_f32_e32 v3, v27, v31
	v_fma_f32 v3, v26, v30, -v3
	s_waitcnt vmcnt(11) lgkmcnt(0)
	v_mul_f32_e32 v51, v42, v47
	v_fmac_f32_e32 v51, v43, v46
	v_add_f32_e32 v50, v50, v51
	v_mul_f32_e32 v51, v44, v49
	v_fmac_f32_e32 v51, v45, v48
	v_add_f32_e32 v58, v50, v51
	ds_read2_b64 v[50:53], v102 offset0:73 offset1:74
	v_add_f32_e32 v2, v2, v3
	v_mul_f32_e32 v3, v29, v33
	v_fma_f32 v3, v28, v32, -v3
	v_add_f32_e32 v2, v2, v3
	s_waitcnt vmcnt(10) lgkmcnt(0)
	v_mul_f32_e32 v59, v50, v55
	v_fmac_f32_e32 v59, v51, v54
	v_add_f32_e32 v58, v58, v59
	v_mul_f32_e32 v59, v52, v57
	v_fmac_f32_e32 v59, v53, v56
	v_add_f32_e32 v66, v58, v59
	ds_read2_b64 v[58:61], v102 offset0:75 offset1:76
	v_mul_f32_e32 v3, v35, v39
	v_fma_f32 v3, v34, v38, -v3
	v_add_f32_e32 v2, v2, v3
	v_mul_f32_e32 v3, v37, v41
	;; [unrolled: 36-line block ×4, first 2 shown]
	s_waitcnt vmcnt(3) lgkmcnt(0)
	v_mul_f32_e32 v116, v108, v113
	v_fmac_f32_e32 v116, v109, v112
	v_add_f32_e32 v103, v103, v116
	v_mul_f32_e32 v116, v110, v115
	v_fmac_f32_e32 v116, v111, v114
	v_add_f32_e32 v103, v103, v116
	ds_read2_b64 v[116:119], v102 offset0:89 offset1:90
	v_fma_f32 v3, v68, v72, -v3
	v_add_f32_e32 v2, v2, v3
	v_mul_f32_e32 v3, v75, v79
	v_fma_f32 v3, v74, v78, -v3
	s_waitcnt vmcnt(2) lgkmcnt(0)
	v_mul_f32_e32 v124, v116, v121
	v_fmac_f32_e32 v124, v117, v120
	v_add_f32_e32 v103, v103, v124
	v_mul_f32_e32 v124, v118, v123
	v_fmac_f32_e32 v124, v119, v122
	v_add_f32_e32 v103, v103, v124
	ds_read2_b64 v[124:127], v102 offset0:91 offset1:92
	v_add_f32_e32 v2, v2, v3
	v_mul_f32_e32 v3, v77, v81
	v_fma_f32 v3, v76, v80, -v3
	v_add_f32_e32 v2, v2, v3
	s_waitcnt vmcnt(1) lgkmcnt(0)
	v_mul_f32_e32 v134, v124, v129
	v_fmac_f32_e32 v134, v125, v128
	v_add_f32_e32 v103, v103, v134
	v_mul_f32_e32 v134, v126, v131
	v_fmac_f32_e32 v134, v127, v130
	v_add_f32_e32 v139, v103, v134
	scratch_load_dwordx4 v[242:245], off, off offset:344
	scratch_load_dwordx4 v[246:249], off, off offset:360
	;; [unrolled: 1-line block ×4, first 2 shown]
	v_mul_f32_e32 v3, v83, v87
	v_fma_f32 v3, v82, v86, -v3
	v_add_f32_e32 v2, v2, v3
	v_mul_f32_e32 v3, v85, v89
	v_fma_f32 v3, v84, v88, -v3
	v_add_f32_e32 v2, v2, v3
	v_mul_f32_e32 v3, v91, v95
	v_fma_f32 v3, v90, v94, -v3
	v_add_f32_e32 v2, v2, v3
	v_mul_f32_e32 v3, v93, v97
	v_fma_f32 v3, v92, v96, -v3
	v_add_f32_e32 v2, v2, v3
	v_mul_f32_e32 v3, v99, v105
	v_fma_f32 v3, v98, v104, -v3
	v_add_f32_e32 v2, v2, v3
	v_mul_f32_e32 v3, v101, v107
	v_fma_f32 v3, v100, v106, -v3
	v_add_f32_e32 v2, v2, v3
	v_mul_f32_e32 v3, v109, v113
	v_fma_f32 v3, v108, v112, -v3
	v_add_f32_e32 v2, v2, v3
	v_mul_f32_e32 v3, v111, v115
	v_fma_f32 v3, v110, v114, -v3
	v_add_f32_e32 v2, v2, v3
	v_mul_f32_e32 v3, v117, v121
	v_fma_f32 v3, v116, v120, -v3
	v_add_f32_e32 v2, v2, v3
	v_mul_f32_e32 v3, v119, v123
	v_fma_f32 v3, v118, v122, -v3
	v_add_f32_e32 v2, v2, v3
	v_mul_f32_e32 v3, v125, v129
	v_fma_f32 v3, v124, v128, -v3
	v_add_f32_e32 v2, v2, v3
	v_mul_f32_e32 v3, v127, v131
	v_fma_f32 v3, v126, v130, -v3
	v_add_f32_e32 v138, v2, v3
	s_waitcnt vmcnt(4)
	v_mul_f32_e32 v2, v235, v239
	v_fma_f32 v140, v234, v238, -v2
	v_mul_f32_e32 v2, v237, v241
	v_fma_f32 v142, v236, v240, -v2
	ds_read2_b64 v[2:5], v102 offset0:95 offset1:96
	ds_read2_b64 v[6:9], v102 offset0:97 offset1:98
	;; [unrolled: 1-line block ×4, first 2 shown]
	v_mul_f32_e32 v141, v234, v239
	v_fmac_f32_e32 v141, v235, v238
	v_mul_f32_e32 v143, v236, v241
	v_fmac_f32_e32 v143, v237, v240
	v_pk_add_f32 v[18:19], v[138:139], v[140:141]
	s_waitcnt vmcnt(3) lgkmcnt(3)
	v_pk_mul_f32 v[20:21], v[2:3], v[242:243] op_sel:[1,1] op_sel_hi:[0,1]
	v_pk_fma_f32 v[22:23], v[2:3], v[242:243], v[20:21] neg_lo:[0,0,1] neg_hi:[0,0,1]
	v_pk_fma_f32 v[2:3], v[2:3], v[242:243], v[20:21] op_sel_hi:[1,0,1]
	v_pk_add_f32 v[18:19], v[18:19], v[142:143]
	v_mov_b32_e32 v23, v3
	v_pk_add_f32 v[2:3], v[18:19], v[22:23]
	v_mov_b32_e32 v18, v245
	v_pk_mul_f32 v[18:19], v[4:5], v[18:19] op_sel:[1,0] op_sel_hi:[0,0]
	v_pk_fma_f32 v[20:21], v[4:5], v[244:245], v[18:19] neg_lo:[0,0,1] neg_hi:[0,0,1]
	v_pk_fma_f32 v[4:5], v[4:5], v[244:245], v[18:19] op_sel_hi:[1,0,1]
	s_nop 0
	v_mov_b32_e32 v21, v5
	s_waitcnt vmcnt(2) lgkmcnt(2)
	v_pk_mul_f32 v[4:5], v[6:7], v[246:247] op_sel:[1,1] op_sel_hi:[0,1]
	v_pk_fma_f32 v[18:19], v[6:7], v[246:247], v[4:5] neg_lo:[0,0,1] neg_hi:[0,0,1]
	v_pk_fma_f32 v[4:5], v[6:7], v[246:247], v[4:5] op_sel_hi:[1,0,1]
	v_pk_add_f32 v[2:3], v[2:3], v[20:21]
	v_mov_b32_e32 v4, v249
	v_mov_b32_e32 v19, v5
	v_pk_mul_f32 v[4:5], v[8:9], v[4:5] op_sel:[1,0] op_sel_hi:[0,0]
	v_pk_fma_f32 v[6:7], v[8:9], v[248:249], v[4:5] neg_lo:[0,0,1] neg_hi:[0,0,1]
	v_pk_fma_f32 v[4:5], v[8:9], v[248:249], v[4:5] op_sel_hi:[1,0,1]
	v_pk_add_f32 v[2:3], v[2:3], v[18:19]
	v_mov_b32_e32 v7, v5
	s_waitcnt vmcnt(1) lgkmcnt(1)
	v_pk_mul_f32 v[4:5], v[10:11], v[250:251] op_sel:[1,1] op_sel_hi:[0,1]
	v_pk_add_f32 v[2:3], v[2:3], v[6:7]
	v_pk_fma_f32 v[6:7], v[10:11], v[250:251], v[4:5] neg_lo:[0,0,1] neg_hi:[0,0,1]
	v_pk_fma_f32 v[4:5], v[10:11], v[250:251], v[4:5] op_sel_hi:[1,0,1]
	s_nop 0
	v_mov_b32_e32 v4, v253
	v_mov_b32_e32 v7, v5
	v_pk_mul_f32 v[4:5], v[12:13], v[4:5] op_sel:[1,0] op_sel_hi:[0,0]
	v_pk_add_f32 v[2:3], v[2:3], v[6:7]
	v_pk_fma_f32 v[6:7], v[12:13], v[252:253], v[4:5] neg_lo:[0,0,1] neg_hi:[0,0,1]
	v_pk_fma_f32 v[4:5], v[12:13], v[252:253], v[4:5] op_sel_hi:[1,0,1]
	s_nop 0
	v_mov_b32_e32 v7, v5
	s_waitcnt vmcnt(0) lgkmcnt(0)
	v_pk_mul_f32 v[4:5], v[14:15], v[134:135] op_sel:[1,1] op_sel_hi:[0,1]
	v_pk_add_f32 v[2:3], v[2:3], v[6:7]
	v_pk_fma_f32 v[6:7], v[14:15], v[134:135], v[4:5] neg_lo:[0,0,1] neg_hi:[0,0,1]
	v_pk_fma_f32 v[4:5], v[14:15], v[134:135], v[4:5] op_sel_hi:[1,0,1]
	s_nop 0
	v_mov_b32_e32 v4, v137
	v_mov_b32_e32 v7, v5
	v_pk_mul_f32 v[4:5], v[16:17], v[4:5] op_sel:[1,0] op_sel_hi:[0,0]
	v_pk_add_f32 v[2:3], v[2:3], v[6:7]
	v_pk_fma_f32 v[6:7], v[16:17], v[136:137], v[4:5] neg_lo:[0,0,1] neg_hi:[0,0,1]
	v_pk_fma_f32 v[4:5], v[16:17], v[136:137], v[4:5] op_sel_hi:[1,0,1]
	s_nop 0
	v_mov_b32_e32 v7, v5
	scratch_load_dwordx2 v[4:5], off, off offset:64
	v_pk_add_f32 v[2:3], v[2:3], v[6:7]
	s_waitcnt vmcnt(0)
	v_pk_add_f32 v[2:3], v[4:5], v[2:3] neg_lo:[0,1] neg_hi:[0,1]
	scratch_store_dwordx2 off, v[2:3], off offset:64
	s_and_saveexec_b64 s[0:1], vcc
	s_cbranch_execz .LBB114_305
; %bb.304:
	scratch_load_dwordx2 v[2:3], off, off offset:56
	v_mov_b32_e32 v4, 0
	v_mov_b32_e32 v5, v4
	scratch_store_dwordx2 off, v[4:5], off offset:56
	s_waitcnt vmcnt(1)
	ds_write_b64 v1, v[2:3]
.LBB114_305:
	s_or_b64 exec, exec, s[0:1]
	v_mov_b32_e32 v102, 0
	s_waitcnt lgkmcnt(0)
	; wave barrier
	ds_read_b128 v[14:17], v102 offset:480
	ds_read_b128 v[10:13], v102 offset:496
	;; [unrolled: 1-line block ×4, first 2 shown]
	scratch_load_dwordx4 v[18:21], off, off offset:64
	scratch_load_dwordx4 v[38:41], off, off offset:128
	;; [unrolled: 1-line block ×12, first 2 shown]
	v_cmp_lt_u32_e32 vcc, 6, v0
	scratch_load_dwordx4 v[46:49], off, off offset:144
	scratch_load_dwordx4 v[54:57], off, off offset:160
	;; [unrolled: 1-line block ×3, first 2 shown]
	ds_read_b128 v[238:241], v102 offset:752
	s_waitcnt vmcnt(14) lgkmcnt(4)
	v_mul_f32_e32 v22, v14, v19
	v_fmac_f32_e32 v22, v15, v18
	v_mul_f32_e32 v23, v16, v21
	v_add_f32_e32 v22, 0, v22
	v_fmac_f32_e32 v23, v17, v20
	v_add_f32_e32 v26, v22, v23
	scratch_load_dwordx4 v[22:25], off, off offset:80
	v_mul_f32_e32 v15, v15, v19
	v_fma_f32 v14, v14, v18, -v15
	v_mul_f32_e32 v15, v17, v21
	v_add_f32_e32 v14, 0, v14
	v_fma_f32 v15, v16, v20, -v15
	v_add_f32_e32 v14, v14, v15
	s_waitcnt vmcnt(4)
	v_mov_b32_e32 v18, v245
	s_waitcnt lgkmcnt(0)
	v_mul_f32_e32 v147, v238, v243
	v_pk_mul_f32 v[18:19], v[240:241], v[18:19] op_sel:[1,0] op_sel_hi:[0,0]
	v_fmac_f32_e32 v147, v239, v242
	v_pk_fma_f32 v[20:21], v[240:241], v[244:245], v[18:19] neg_lo:[0,0,1] neg_hi:[0,0,1]
	v_pk_fma_f32 v[18:19], v[240:241], v[244:245], v[18:19] op_sel_hi:[1,0,1]
	s_waitcnt vmcnt(0)
	v_mul_f32_e32 v27, v10, v23
	v_fmac_f32_e32 v27, v11, v22
	v_add_f32_e32 v26, v26, v27
	v_mul_f32_e32 v27, v12, v25
	v_fmac_f32_e32 v27, v13, v24
	v_add_f32_e32 v30, v26, v27
	scratch_load_dwordx4 v[26:29], off, off offset:96
	v_mul_f32_e32 v11, v11, v23
	v_fma_f32 v10, v10, v22, -v11
	v_mul_f32_e32 v11, v13, v25
	v_add_f32_e32 v10, v14, v10
	v_fma_f32 v11, v12, v24, -v11
	v_add_f32_e32 v10, v10, v11
	v_mov_b32_e32 v21, v19
	s_waitcnt vmcnt(0)
	v_mul_f32_e32 v31, v6, v27
	v_fmac_f32_e32 v31, v7, v26
	v_add_f32_e32 v30, v30, v31
	v_mul_f32_e32 v31, v8, v29
	v_fmac_f32_e32 v31, v9, v28
	v_add_f32_e32 v34, v30, v31
	scratch_load_dwordx4 v[30:33], off, off offset:112
	v_mul_f32_e32 v7, v7, v27
	v_fma_f32 v6, v6, v26, -v7
	v_mul_f32_e32 v7, v9, v29
	v_add_f32_e32 v6, v10, v6
	v_fma_f32 v7, v8, v28, -v7
	v_add_f32_e32 v6, v6, v7
	s_waitcnt vmcnt(0)
	v_mul_f32_e32 v35, v2, v31
	v_fmac_f32_e32 v35, v3, v30
	v_add_f32_e32 v34, v34, v35
	v_mul_f32_e32 v35, v4, v33
	v_fmac_f32_e32 v35, v5, v32
	v_add_f32_e32 v42, v34, v35
	ds_read_b128 v[34:37], v102 offset:544
	v_mul_f32_e32 v3, v3, v31
	v_fma_f32 v2, v2, v30, -v3
	v_mul_f32_e32 v3, v5, v33
	v_add_f32_e32 v2, v6, v2
	s_waitcnt lgkmcnt(0)
	v_mul_f32_e32 v43, v34, v39
	v_fmac_f32_e32 v43, v35, v38
	v_add_f32_e32 v42, v42, v43
	v_mul_f32_e32 v43, v36, v41
	v_fmac_f32_e32 v43, v37, v40
	v_add_f32_e32 v50, v42, v43
	ds_read_b128 v[42:45], v102 offset:560
	v_fma_f32 v3, v4, v32, -v3
	v_add_f32_e32 v2, v2, v3
	v_mul_f32_e32 v3, v35, v39
	v_fma_f32 v3, v34, v38, -v3
	s_waitcnt lgkmcnt(0)
	v_mul_f32_e32 v51, v42, v47
	v_fmac_f32_e32 v51, v43, v46
	v_add_f32_e32 v50, v50, v51
	v_mul_f32_e32 v51, v44, v49
	v_fmac_f32_e32 v51, v45, v48
	v_add_f32_e32 v58, v50, v51
	ds_read_b128 v[50:53], v102 offset:576
	v_add_f32_e32 v2, v2, v3
	v_mul_f32_e32 v3, v37, v41
	v_fma_f32 v3, v36, v40, -v3
	v_add_f32_e32 v2, v2, v3
	s_waitcnt lgkmcnt(0)
	v_mul_f32_e32 v59, v50, v55
	v_fmac_f32_e32 v59, v51, v54
	v_add_f32_e32 v58, v58, v59
	v_mul_f32_e32 v59, v52, v57
	v_fmac_f32_e32 v59, v53, v56
	v_add_f32_e32 v66, v58, v59
	ds_read_b128 v[58:61], v102 offset:592
	v_mul_f32_e32 v3, v43, v47
	v_fma_f32 v3, v42, v46, -v3
	v_add_f32_e32 v2, v2, v3
	v_mul_f32_e32 v3, v45, v49
	s_waitcnt lgkmcnt(0)
	v_mul_f32_e32 v67, v58, v63
	v_fmac_f32_e32 v67, v59, v62
	v_add_f32_e32 v66, v66, v67
	v_mul_f32_e32 v67, v60, v65
	v_fmac_f32_e32 v67, v61, v64
	v_add_f32_e32 v74, v66, v67
	ds_read_b128 v[66:69], v102 offset:608
	v_fma_f32 v3, v44, v48, -v3
	v_add_f32_e32 v2, v2, v3
	v_mul_f32_e32 v3, v51, v55
	v_fma_f32 v3, v50, v54, -v3
	s_waitcnt lgkmcnt(0)
	v_mul_f32_e32 v75, v66, v71
	v_fmac_f32_e32 v75, v67, v70
	v_add_f32_e32 v74, v74, v75
	v_mul_f32_e32 v75, v68, v73
	v_fmac_f32_e32 v75, v69, v72
	v_add_f32_e32 v82, v74, v75
	ds_read_b128 v[74:77], v102 offset:624
	v_add_f32_e32 v2, v2, v3
	v_mul_f32_e32 v3, v53, v57
	v_fma_f32 v3, v52, v56, -v3
	v_add_f32_e32 v2, v2, v3
	s_waitcnt lgkmcnt(0)
	v_mul_f32_e32 v83, v74, v79
	v_fmac_f32_e32 v83, v75, v78
	v_add_f32_e32 v82, v82, v83
	v_mul_f32_e32 v83, v76, v81
	v_fmac_f32_e32 v83, v77, v80
	v_add_f32_e32 v90, v82, v83
	ds_read_b128 v[82:85], v102 offset:640
	v_mul_f32_e32 v3, v59, v63
	v_fma_f32 v3, v58, v62, -v3
	v_add_f32_e32 v2, v2, v3
	v_mul_f32_e32 v3, v61, v65
	;; [unrolled: 36-line block ×4, first 2 shown]
	s_waitcnt lgkmcnt(0)
	v_mul_f32_e32 v138, v134, v235
	v_fmac_f32_e32 v138, v135, v234
	v_add_f32_e32 v143, v103, v138
	scratch_load_dwordx4 v[246:249], off, off offset:352
	scratch_load_dwordx4 v[250:253], off, off offset:368
	;; [unrolled: 1-line block ×3, first 2 shown]
	scratch_load_dwordx2 v[148:149], off, off offset:400
	v_fma_f32 v3, v92, v96, -v3
	v_add_f32_e32 v2, v2, v3
	v_mul_f32_e32 v3, v99, v105
	v_fma_f32 v3, v98, v104, -v3
	v_add_f32_e32 v2, v2, v3
	v_mul_f32_e32 v3, v101, v107
	;; [unrolled: 3-line block ×10, first 2 shown]
	v_mul_f32_e32 v145, v136, v237
	v_fma_f32 v144, v136, v236, -v2
	v_mul_f32_e32 v2, v239, v243
	v_fmac_f32_e32 v145, v137, v236
	v_fma_f32 v146, v238, v242, -v2
	ds_read_b128 v[2:5], v102 offset:768
	ds_read_b128 v[6:9], v102 offset:784
	;; [unrolled: 1-line block ×3, first 2 shown]
	ds_read_b64 v[14:15], v102 offset:816
	v_pk_add_f32 v[16:17], v[142:143], v[144:145]
	s_waitcnt vmcnt(3) lgkmcnt(3)
	v_pk_mul_f32 v[18:19], v[2:3], v[246:247] op_sel:[1,1] op_sel_hi:[0,1]
	v_pk_add_f32 v[16:17], v[16:17], v[146:147]
	s_nop 0
	v_pk_add_f32 v[16:17], v[16:17], v[20:21]
	v_pk_fma_f32 v[20:21], v[2:3], v[246:247], v[18:19] neg_lo:[0,0,1] neg_hi:[0,0,1]
	v_pk_fma_f32 v[2:3], v[2:3], v[246:247], v[18:19] op_sel_hi:[1,0,1]
	s_nop 0
	v_mov_b32_e32 v21, v3
	v_pk_add_f32 v[2:3], v[16:17], v[20:21]
	v_mov_b32_e32 v16, v249
	v_pk_mul_f32 v[16:17], v[4:5], v[16:17] op_sel:[1,0] op_sel_hi:[0,0]
	v_pk_fma_f32 v[18:19], v[4:5], v[248:249], v[16:17] neg_lo:[0,0,1] neg_hi:[0,0,1]
	v_pk_fma_f32 v[4:5], v[4:5], v[248:249], v[16:17] op_sel_hi:[1,0,1]
	s_nop 0
	v_mov_b32_e32 v19, v5
	s_waitcnt vmcnt(2) lgkmcnt(2)
	v_pk_mul_f32 v[4:5], v[6:7], v[250:251] op_sel:[1,1] op_sel_hi:[0,1]
	v_pk_fma_f32 v[16:17], v[6:7], v[250:251], v[4:5] neg_lo:[0,0,1] neg_hi:[0,0,1]
	v_pk_fma_f32 v[4:5], v[6:7], v[250:251], v[4:5] op_sel_hi:[1,0,1]
	v_pk_add_f32 v[2:3], v[2:3], v[18:19]
	v_mov_b32_e32 v4, v253
	v_mov_b32_e32 v17, v5
	v_pk_mul_f32 v[4:5], v[8:9], v[4:5] op_sel:[1,0] op_sel_hi:[0,0]
	v_pk_fma_f32 v[6:7], v[8:9], v[252:253], v[4:5] neg_lo:[0,0,1] neg_hi:[0,0,1]
	v_pk_fma_f32 v[4:5], v[8:9], v[252:253], v[4:5] op_sel_hi:[1,0,1]
	v_pk_add_f32 v[2:3], v[2:3], v[16:17]
	v_mov_b32_e32 v7, v5
	s_waitcnt vmcnt(1) lgkmcnt(1)
	v_pk_mul_f32 v[4:5], v[10:11], v[138:139] op_sel:[1,1] op_sel_hi:[0,1]
	v_pk_add_f32 v[2:3], v[2:3], v[6:7]
	v_pk_fma_f32 v[6:7], v[10:11], v[138:139], v[4:5] neg_lo:[0,0,1] neg_hi:[0,0,1]
	v_pk_fma_f32 v[4:5], v[10:11], v[138:139], v[4:5] op_sel_hi:[1,0,1]
	s_nop 0
	v_mov_b32_e32 v4, v141
	v_mov_b32_e32 v7, v5
	v_pk_mul_f32 v[4:5], v[12:13], v[4:5] op_sel:[1,0] op_sel_hi:[0,0]
	v_pk_add_f32 v[2:3], v[2:3], v[6:7]
	v_pk_fma_f32 v[6:7], v[12:13], v[140:141], v[4:5] neg_lo:[0,0,1] neg_hi:[0,0,1]
	v_pk_fma_f32 v[4:5], v[12:13], v[140:141], v[4:5] op_sel_hi:[1,0,1]
	s_nop 0
	v_mov_b32_e32 v7, v5
	s_waitcnt vmcnt(0) lgkmcnt(0)
	v_pk_mul_f32 v[4:5], v[14:15], v[148:149] op_sel:[1,1] op_sel_hi:[0,1]
	v_pk_add_f32 v[2:3], v[2:3], v[6:7]
	v_pk_fma_f32 v[6:7], v[14:15], v[148:149], v[4:5] neg_lo:[0,0,1] neg_hi:[0,0,1]
	v_pk_fma_f32 v[4:5], v[14:15], v[148:149], v[4:5] op_sel_hi:[1,0,1]
	s_nop 0
	v_mov_b32_e32 v7, v5
	scratch_load_dwordx2 v[4:5], off, off offset:56
	v_pk_add_f32 v[2:3], v[2:3], v[6:7]
	s_waitcnt vmcnt(0)
	v_pk_add_f32 v[2:3], v[4:5], v[2:3] neg_lo:[0,1] neg_hi:[0,1]
	scratch_store_dwordx2 off, v[2:3], off offset:56
	s_and_saveexec_b64 s[0:1], vcc
	s_cbranch_execz .LBB114_307
; %bb.306:
	scratch_load_dwordx2 v[2:3], off, off offset:48
	v_mov_b32_e32 v103, v102
	scratch_store_dwordx2 off, v[102:103], off offset:48
	s_waitcnt vmcnt(1)
	ds_write_b64 v1, v[2:3]
.LBB114_307:
	s_or_b64 exec, exec, s[0:1]
	s_waitcnt lgkmcnt(0)
	; wave barrier
	scratch_load_dwordx4 v[6:9], off, off offset:56
	scratch_load_dwordx4 v[14:17], off, off offset:72
	scratch_load_dwordx4 v[22:25], off, off offset:88
	scratch_load_dwordx4 v[30:33], off, off offset:104
	scratch_load_dwordx4 v[38:41], off, off offset:120
	scratch_load_dwordx4 v[46:49], off, off offset:136
	scratch_load_dwordx4 v[54:57], off, off offset:152
	scratch_load_dwordx4 v[62:65], off, off offset:168
	scratch_load_dwordx4 v[70:73], off, off offset:184
	scratch_load_dwordx4 v[78:81], off, off offset:200
	ds_read2_b64 v[2:5], v102 offset0:59 offset1:60
	ds_read2_b64 v[234:237], v102 offset0:93 offset1:94
	scratch_load_dwordx4 v[86:89], off, off offset:216
	scratch_load_dwordx4 v[94:97], off, off offset:232
	;; [unrolled: 1-line block ×8, first 2 shown]
	v_cmp_lt_u32_e32 vcc, 5, v0
	s_waitcnt vmcnt(17) lgkmcnt(1)
	v_mul_f32_e32 v10, v2, v7
	v_fmac_f32_e32 v10, v3, v6
	v_mul_f32_e32 v11, v4, v9
	v_add_f32_e32 v10, 0, v10
	v_fmac_f32_e32 v11, v5, v8
	v_add_f32_e32 v18, v10, v11
	ds_read2_b64 v[10:13], v102 offset0:61 offset1:62
	v_mul_f32_e32 v3, v3, v7
	v_fma_f32 v2, v2, v6, -v3
	v_mul_f32_e32 v3, v5, v9
	v_add_f32_e32 v2, 0, v2
	s_waitcnt vmcnt(16) lgkmcnt(0)
	v_mul_f32_e32 v19, v10, v15
	v_fmac_f32_e32 v19, v11, v14
	v_add_f32_e32 v18, v18, v19
	v_mul_f32_e32 v19, v12, v17
	v_fmac_f32_e32 v19, v13, v16
	v_add_f32_e32 v26, v18, v19
	ds_read2_b64 v[18:21], v102 offset0:63 offset1:64
	v_fma_f32 v3, v4, v8, -v3
	v_add_f32_e32 v2, v2, v3
	v_mul_f32_e32 v3, v11, v15
	v_fma_f32 v3, v10, v14, -v3
	s_waitcnt vmcnt(15) lgkmcnt(0)
	v_mul_f32_e32 v27, v18, v23
	v_fmac_f32_e32 v27, v19, v22
	v_add_f32_e32 v26, v26, v27
	v_mul_f32_e32 v27, v20, v25
	v_fmac_f32_e32 v27, v21, v24
	v_add_f32_e32 v34, v26, v27
	ds_read2_b64 v[26:29], v102 offset0:65 offset1:66
	v_add_f32_e32 v2, v2, v3
	v_mul_f32_e32 v3, v13, v17
	v_fma_f32 v3, v12, v16, -v3
	v_add_f32_e32 v2, v2, v3
	s_waitcnt vmcnt(14) lgkmcnt(0)
	v_mul_f32_e32 v35, v26, v31
	v_fmac_f32_e32 v35, v27, v30
	v_add_f32_e32 v34, v34, v35
	v_mul_f32_e32 v35, v28, v33
	v_fmac_f32_e32 v35, v29, v32
	v_add_f32_e32 v42, v34, v35
	ds_read2_b64 v[34:37], v102 offset0:67 offset1:68
	v_mul_f32_e32 v3, v19, v23
	v_fma_f32 v3, v18, v22, -v3
	v_add_f32_e32 v2, v2, v3
	v_mul_f32_e32 v3, v21, v25
	s_waitcnt vmcnt(13) lgkmcnt(0)
	v_mul_f32_e32 v43, v34, v39
	v_fmac_f32_e32 v43, v35, v38
	v_add_f32_e32 v42, v42, v43
	v_mul_f32_e32 v43, v36, v41
	v_fmac_f32_e32 v43, v37, v40
	v_add_f32_e32 v50, v42, v43
	ds_read2_b64 v[42:45], v102 offset0:69 offset1:70
	v_fma_f32 v3, v20, v24, -v3
	v_add_f32_e32 v2, v2, v3
	v_mul_f32_e32 v3, v27, v31
	v_fma_f32 v3, v26, v30, -v3
	s_waitcnt vmcnt(12) lgkmcnt(0)
	v_mul_f32_e32 v51, v42, v47
	v_fmac_f32_e32 v51, v43, v46
	v_add_f32_e32 v50, v50, v51
	v_mul_f32_e32 v51, v44, v49
	v_fmac_f32_e32 v51, v45, v48
	v_add_f32_e32 v58, v50, v51
	ds_read2_b64 v[50:53], v102 offset0:71 offset1:72
	v_add_f32_e32 v2, v2, v3
	v_mul_f32_e32 v3, v29, v33
	v_fma_f32 v3, v28, v32, -v3
	v_add_f32_e32 v2, v2, v3
	s_waitcnt vmcnt(11) lgkmcnt(0)
	v_mul_f32_e32 v59, v50, v55
	v_fmac_f32_e32 v59, v51, v54
	v_add_f32_e32 v58, v58, v59
	v_mul_f32_e32 v59, v52, v57
	v_fmac_f32_e32 v59, v53, v56
	v_add_f32_e32 v66, v58, v59
	ds_read2_b64 v[58:61], v102 offset0:73 offset1:74
	v_mul_f32_e32 v3, v35, v39
	v_fma_f32 v3, v34, v38, -v3
	v_add_f32_e32 v2, v2, v3
	v_mul_f32_e32 v3, v37, v41
	;; [unrolled: 36-line block ×5, first 2 shown]
	s_waitcnt vmcnt(1) lgkmcnt(0)
	v_mul_f32_e32 v142, v134, v139
	v_fmac_f32_e32 v142, v135, v138
	v_add_f32_e32 v103, v103, v142
	v_mul_f32_e32 v142, v136, v141
	v_fmac_f32_e32 v142, v137, v140
	v_add_f32_e32 v147, v103, v142
	scratch_load_dwordx4 v[242:245], off, off offset:344
	scratch_load_dwordx4 v[246:249], off, off offset:360
	;; [unrolled: 1-line block ×4, first 2 shown]
	v_fma_f32 v3, v84, v88, -v3
	v_add_f32_e32 v2, v2, v3
	v_mul_f32_e32 v3, v91, v95
	v_fma_f32 v3, v90, v94, -v3
	v_add_f32_e32 v2, v2, v3
	v_mul_f32_e32 v3, v93, v97
	v_fma_f32 v3, v92, v96, -v3
	v_add_f32_e32 v2, v2, v3
	v_mul_f32_e32 v3, v99, v105
	v_fma_f32 v3, v98, v104, -v3
	v_add_f32_e32 v2, v2, v3
	v_mul_f32_e32 v3, v101, v107
	v_fma_f32 v3, v100, v106, -v3
	v_add_f32_e32 v2, v2, v3
	v_mul_f32_e32 v3, v109, v113
	v_fma_f32 v3, v108, v112, -v3
	v_add_f32_e32 v2, v2, v3
	v_mul_f32_e32 v3, v111, v115
	v_fma_f32 v3, v110, v114, -v3
	v_add_f32_e32 v2, v2, v3
	v_mul_f32_e32 v3, v117, v121
	v_fma_f32 v3, v116, v120, -v3
	v_add_f32_e32 v2, v2, v3
	v_mul_f32_e32 v3, v119, v123
	v_fma_f32 v3, v118, v122, -v3
	v_add_f32_e32 v2, v2, v3
	v_mul_f32_e32 v3, v125, v129
	v_fma_f32 v3, v124, v128, -v3
	v_add_f32_e32 v2, v2, v3
	v_mul_f32_e32 v3, v127, v131
	v_fma_f32 v3, v126, v130, -v3
	v_add_f32_e32 v2, v2, v3
	v_mul_f32_e32 v3, v135, v139
	v_fma_f32 v3, v134, v138, -v3
	v_add_f32_e32 v2, v2, v3
	v_mul_f32_e32 v3, v137, v141
	v_fma_f32 v3, v136, v140, -v3
	v_add_f32_e32 v146, v2, v3
	s_waitcnt vmcnt(4)
	v_mul_f32_e32 v2, v235, v239
	v_fma_f32 v148, v234, v238, -v2
	v_mul_f32_e32 v2, v237, v241
	v_fma_f32 v150, v236, v240, -v2
	ds_read2_b64 v[2:5], v102 offset0:95 offset1:96
	ds_read2_b64 v[6:9], v102 offset0:97 offset1:98
	;; [unrolled: 1-line block ×4, first 2 shown]
	v_mul_f32_e32 v149, v234, v239
	v_fmac_f32_e32 v149, v235, v238
	v_mul_f32_e32 v151, v236, v241
	v_fmac_f32_e32 v151, v237, v240
	v_pk_add_f32 v[18:19], v[146:147], v[148:149]
	s_waitcnt vmcnt(3) lgkmcnt(3)
	v_pk_mul_f32 v[20:21], v[2:3], v[242:243] op_sel:[1,1] op_sel_hi:[0,1]
	v_pk_fma_f32 v[22:23], v[2:3], v[242:243], v[20:21] neg_lo:[0,0,1] neg_hi:[0,0,1]
	v_pk_fma_f32 v[2:3], v[2:3], v[242:243], v[20:21] op_sel_hi:[1,0,1]
	v_pk_add_f32 v[18:19], v[18:19], v[150:151]
	v_mov_b32_e32 v23, v3
	v_pk_add_f32 v[2:3], v[18:19], v[22:23]
	v_mov_b32_e32 v18, v245
	v_pk_mul_f32 v[18:19], v[4:5], v[18:19] op_sel:[1,0] op_sel_hi:[0,0]
	v_pk_fma_f32 v[20:21], v[4:5], v[244:245], v[18:19] neg_lo:[0,0,1] neg_hi:[0,0,1]
	v_pk_fma_f32 v[4:5], v[4:5], v[244:245], v[18:19] op_sel_hi:[1,0,1]
	s_nop 0
	v_mov_b32_e32 v21, v5
	s_waitcnt vmcnt(2) lgkmcnt(2)
	v_pk_mul_f32 v[4:5], v[6:7], v[246:247] op_sel:[1,1] op_sel_hi:[0,1]
	v_pk_fma_f32 v[18:19], v[6:7], v[246:247], v[4:5] neg_lo:[0,0,1] neg_hi:[0,0,1]
	v_pk_fma_f32 v[4:5], v[6:7], v[246:247], v[4:5] op_sel_hi:[1,0,1]
	v_pk_add_f32 v[2:3], v[2:3], v[20:21]
	v_mov_b32_e32 v4, v249
	v_mov_b32_e32 v19, v5
	v_pk_mul_f32 v[4:5], v[8:9], v[4:5] op_sel:[1,0] op_sel_hi:[0,0]
	v_pk_fma_f32 v[6:7], v[8:9], v[248:249], v[4:5] neg_lo:[0,0,1] neg_hi:[0,0,1]
	v_pk_fma_f32 v[4:5], v[8:9], v[248:249], v[4:5] op_sel_hi:[1,0,1]
	v_pk_add_f32 v[2:3], v[2:3], v[18:19]
	v_mov_b32_e32 v7, v5
	s_waitcnt vmcnt(1) lgkmcnt(1)
	v_pk_mul_f32 v[4:5], v[10:11], v[250:251] op_sel:[1,1] op_sel_hi:[0,1]
	v_pk_add_f32 v[2:3], v[2:3], v[6:7]
	v_pk_fma_f32 v[6:7], v[10:11], v[250:251], v[4:5] neg_lo:[0,0,1] neg_hi:[0,0,1]
	v_pk_fma_f32 v[4:5], v[10:11], v[250:251], v[4:5] op_sel_hi:[1,0,1]
	s_nop 0
	v_mov_b32_e32 v4, v253
	v_mov_b32_e32 v7, v5
	v_pk_mul_f32 v[4:5], v[12:13], v[4:5] op_sel:[1,0] op_sel_hi:[0,0]
	v_pk_add_f32 v[2:3], v[2:3], v[6:7]
	v_pk_fma_f32 v[6:7], v[12:13], v[252:253], v[4:5] neg_lo:[0,0,1] neg_hi:[0,0,1]
	v_pk_fma_f32 v[4:5], v[12:13], v[252:253], v[4:5] op_sel_hi:[1,0,1]
	s_nop 0
	v_mov_b32_e32 v7, v5
	s_waitcnt vmcnt(0) lgkmcnt(0)
	v_pk_mul_f32 v[4:5], v[14:15], v[142:143] op_sel:[1,1] op_sel_hi:[0,1]
	v_pk_add_f32 v[2:3], v[2:3], v[6:7]
	v_pk_fma_f32 v[6:7], v[14:15], v[142:143], v[4:5] neg_lo:[0,0,1] neg_hi:[0,0,1]
	v_pk_fma_f32 v[4:5], v[14:15], v[142:143], v[4:5] op_sel_hi:[1,0,1]
	s_nop 0
	v_mov_b32_e32 v4, v145
	v_mov_b32_e32 v7, v5
	v_pk_mul_f32 v[4:5], v[16:17], v[4:5] op_sel:[1,0] op_sel_hi:[0,0]
	v_pk_add_f32 v[2:3], v[2:3], v[6:7]
	v_pk_fma_f32 v[6:7], v[16:17], v[144:145], v[4:5] neg_lo:[0,0,1] neg_hi:[0,0,1]
	v_pk_fma_f32 v[4:5], v[16:17], v[144:145], v[4:5] op_sel_hi:[1,0,1]
	s_nop 0
	v_mov_b32_e32 v7, v5
	scratch_load_dwordx2 v[4:5], off, off offset:48
	v_pk_add_f32 v[2:3], v[2:3], v[6:7]
	s_waitcnt vmcnt(0)
	v_pk_add_f32 v[2:3], v[4:5], v[2:3] neg_lo:[0,1] neg_hi:[0,1]
	scratch_store_dwordx2 off, v[2:3], off offset:48
	s_and_saveexec_b64 s[0:1], vcc
	s_cbranch_execz .LBB114_309
; %bb.308:
	scratch_load_dwordx2 v[2:3], off, off offset:40
	v_mov_b32_e32 v4, 0
	v_mov_b32_e32 v5, v4
	scratch_store_dwordx2 off, v[4:5], off offset:40
	s_waitcnt vmcnt(1)
	ds_write_b64 v1, v[2:3]
.LBB114_309:
	s_or_b64 exec, exec, s[0:1]
	v_mov_b32_e32 v110, 0
	s_waitcnt lgkmcnt(0)
	; wave barrier
	ds_read_b128 v[14:17], v110 offset:464
	ds_read_b128 v[10:13], v110 offset:480
	;; [unrolled: 1-line block ×4, first 2 shown]
	scratch_load_dwordx4 v[18:21], off, off offset:48
	scratch_load_dwordx4 v[38:41], off, off offset:112
	;; [unrolled: 1-line block ×13, first 2 shown]
	v_cmp_lt_u32_e32 vcc, 4, v0
	scratch_load_dwordx4 v[46:49], off, off offset:128
	scratch_load_dwordx4 v[54:57], off, off offset:144
	;; [unrolled: 1-line block ×3, first 2 shown]
	ds_read_b128 v[238:241], v110 offset:752
	s_waitcnt vmcnt(15) lgkmcnt(4)
	v_mul_f32_e32 v22, v14, v19
	v_fmac_f32_e32 v22, v15, v18
	v_mul_f32_e32 v23, v16, v21
	v_add_f32_e32 v22, 0, v22
	v_fmac_f32_e32 v23, v17, v20
	v_add_f32_e32 v26, v22, v23
	scratch_load_dwordx4 v[22:25], off, off offset:64
	v_mul_f32_e32 v15, v15, v19
	v_fma_f32 v14, v14, v18, -v15
	v_mul_f32_e32 v15, v17, v21
	v_add_f32_e32 v14, 0, v14
	v_fma_f32 v15, v16, v20, -v15
	v_add_f32_e32 v14, v14, v15
	s_waitcnt vmcnt(4)
	v_mov_b32_e32 v18, v245
	s_waitcnt lgkmcnt(0)
	v_mul_f32_e32 v155, v238, v243
	v_pk_mul_f32 v[18:19], v[240:241], v[18:19] op_sel:[1,0] op_sel_hi:[0,0]
	v_fmac_f32_e32 v155, v239, v242
	v_pk_fma_f32 v[20:21], v[240:241], v[244:245], v[18:19] neg_lo:[0,0,1] neg_hi:[0,0,1]
	v_pk_fma_f32 v[18:19], v[240:241], v[244:245], v[18:19] op_sel_hi:[1,0,1]
	s_waitcnt vmcnt(0)
	v_mul_f32_e32 v27, v10, v23
	v_fmac_f32_e32 v27, v11, v22
	v_add_f32_e32 v26, v26, v27
	v_mul_f32_e32 v27, v12, v25
	v_fmac_f32_e32 v27, v13, v24
	v_add_f32_e32 v30, v26, v27
	scratch_load_dwordx4 v[26:29], off, off offset:80
	v_mul_f32_e32 v11, v11, v23
	v_fma_f32 v10, v10, v22, -v11
	v_mul_f32_e32 v11, v13, v25
	v_add_f32_e32 v10, v14, v10
	v_fma_f32 v11, v12, v24, -v11
	v_add_f32_e32 v10, v10, v11
	v_mov_b32_e32 v21, v19
	s_waitcnt vmcnt(0)
	v_mul_f32_e32 v31, v6, v27
	v_fmac_f32_e32 v31, v7, v26
	v_add_f32_e32 v30, v30, v31
	v_mul_f32_e32 v31, v8, v29
	v_fmac_f32_e32 v31, v9, v28
	v_add_f32_e32 v34, v30, v31
	scratch_load_dwordx4 v[30:33], off, off offset:96
	v_mul_f32_e32 v7, v7, v27
	v_fma_f32 v6, v6, v26, -v7
	v_mul_f32_e32 v7, v9, v29
	v_add_f32_e32 v6, v10, v6
	v_fma_f32 v7, v8, v28, -v7
	v_add_f32_e32 v6, v6, v7
	s_waitcnt vmcnt(0)
	v_mul_f32_e32 v35, v2, v31
	v_fmac_f32_e32 v35, v3, v30
	v_add_f32_e32 v34, v34, v35
	v_mul_f32_e32 v35, v4, v33
	v_fmac_f32_e32 v35, v5, v32
	v_add_f32_e32 v42, v34, v35
	ds_read_b128 v[34:37], v110 offset:528
	v_mul_f32_e32 v3, v3, v31
	v_fma_f32 v2, v2, v30, -v3
	v_mul_f32_e32 v3, v5, v33
	v_add_f32_e32 v2, v6, v2
	s_waitcnt lgkmcnt(0)
	v_mul_f32_e32 v43, v34, v39
	v_fmac_f32_e32 v43, v35, v38
	v_add_f32_e32 v42, v42, v43
	v_mul_f32_e32 v43, v36, v41
	v_fmac_f32_e32 v43, v37, v40
	v_add_f32_e32 v50, v42, v43
	ds_read_b128 v[42:45], v110 offset:544
	v_fma_f32 v3, v4, v32, -v3
	v_add_f32_e32 v2, v2, v3
	v_mul_f32_e32 v3, v35, v39
	v_fma_f32 v3, v34, v38, -v3
	s_waitcnt lgkmcnt(0)
	v_mul_f32_e32 v51, v42, v47
	v_fmac_f32_e32 v51, v43, v46
	v_add_f32_e32 v50, v50, v51
	v_mul_f32_e32 v51, v44, v49
	v_fmac_f32_e32 v51, v45, v48
	v_add_f32_e32 v58, v50, v51
	ds_read_b128 v[50:53], v110 offset:560
	v_add_f32_e32 v2, v2, v3
	v_mul_f32_e32 v3, v37, v41
	v_fma_f32 v3, v36, v40, -v3
	v_add_f32_e32 v2, v2, v3
	s_waitcnt lgkmcnt(0)
	v_mul_f32_e32 v59, v50, v55
	v_fmac_f32_e32 v59, v51, v54
	v_add_f32_e32 v58, v58, v59
	v_mul_f32_e32 v59, v52, v57
	v_fmac_f32_e32 v59, v53, v56
	v_add_f32_e32 v66, v58, v59
	ds_read_b128 v[58:61], v110 offset:576
	v_mul_f32_e32 v3, v43, v47
	v_fma_f32 v3, v42, v46, -v3
	v_add_f32_e32 v2, v2, v3
	v_mul_f32_e32 v3, v45, v49
	s_waitcnt lgkmcnt(0)
	v_mul_f32_e32 v67, v58, v63
	v_fmac_f32_e32 v67, v59, v62
	v_add_f32_e32 v66, v66, v67
	v_mul_f32_e32 v67, v60, v65
	v_fmac_f32_e32 v67, v61, v64
	v_add_f32_e32 v74, v66, v67
	ds_read_b128 v[66:69], v110 offset:592
	v_fma_f32 v3, v44, v48, -v3
	v_add_f32_e32 v2, v2, v3
	v_mul_f32_e32 v3, v51, v55
	v_fma_f32 v3, v50, v54, -v3
	s_waitcnt lgkmcnt(0)
	v_mul_f32_e32 v75, v66, v71
	v_fmac_f32_e32 v75, v67, v70
	v_add_f32_e32 v74, v74, v75
	v_mul_f32_e32 v75, v68, v73
	v_fmac_f32_e32 v75, v69, v72
	v_add_f32_e32 v82, v74, v75
	ds_read_b128 v[74:77], v110 offset:608
	v_add_f32_e32 v2, v2, v3
	v_mul_f32_e32 v3, v53, v57
	v_fma_f32 v3, v52, v56, -v3
	v_add_f32_e32 v2, v2, v3
	s_waitcnt lgkmcnt(0)
	v_mul_f32_e32 v83, v74, v79
	v_fmac_f32_e32 v83, v75, v78
	v_add_f32_e32 v82, v82, v83
	v_mul_f32_e32 v83, v76, v81
	v_fmac_f32_e32 v83, v77, v80
	v_add_f32_e32 v90, v82, v83
	ds_read_b128 v[82:85], v110 offset:624
	v_mul_f32_e32 v3, v59, v63
	v_fma_f32 v3, v58, v62, -v3
	v_add_f32_e32 v2, v2, v3
	v_mul_f32_e32 v3, v61, v65
	;; [unrolled: 36-line block ×4, first 2 shown]
	s_waitcnt lgkmcnt(0)
	v_mul_f32_e32 v142, v134, v139
	v_fmac_f32_e32 v142, v135, v138
	v_add_f32_e32 v111, v111, v142
	v_mul_f32_e32 v142, v136, v141
	v_fmac_f32_e32 v142, v137, v140
	v_add_f32_e32 v111, v111, v142
	ds_read_b128 v[142:145], v110 offset:736
	v_fma_f32 v3, v92, v96, -v3
	v_add_f32_e32 v2, v2, v3
	v_mul_f32_e32 v3, v99, v103
	v_fma_f32 v3, v98, v102, -v3
	s_waitcnt lgkmcnt(0)
	v_mul_f32_e32 v146, v142, v235
	v_fmac_f32_e32 v146, v143, v234
	v_add_f32_e32 v151, v111, v146
	scratch_load_dwordx4 v[246:249], off, off offset:352
	scratch_load_dwordx4 v[250:253], off, off offset:368
	;; [unrolled: 1-line block ×3, first 2 shown]
	scratch_load_dwordx2 v[156:157], off, off offset:400
	v_add_f32_e32 v2, v2, v3
	v_mul_f32_e32 v3, v101, v105
	v_fma_f32 v3, v100, v104, -v3
	v_add_f32_e32 v2, v2, v3
	v_mul_f32_e32 v3, v107, v113
	v_fma_f32 v3, v106, v112, -v3
	;; [unrolled: 3-line block ×10, first 2 shown]
	v_add_f32_e32 v150, v2, v3
	v_mul_f32_e32 v2, v145, v237
	v_mul_f32_e32 v153, v144, v237
	v_fma_f32 v152, v144, v236, -v2
	v_mul_f32_e32 v2, v239, v243
	v_fmac_f32_e32 v153, v145, v236
	v_fma_f32 v154, v238, v242, -v2
	ds_read_b128 v[2:5], v110 offset:768
	ds_read_b128 v[6:9], v110 offset:784
	;; [unrolled: 1-line block ×3, first 2 shown]
	ds_read_b64 v[14:15], v110 offset:816
	v_pk_add_f32 v[16:17], v[150:151], v[152:153]
	s_waitcnt vmcnt(3) lgkmcnt(3)
	v_pk_mul_f32 v[18:19], v[2:3], v[246:247] op_sel:[1,1] op_sel_hi:[0,1]
	v_pk_add_f32 v[16:17], v[16:17], v[154:155]
	s_nop 0
	v_pk_add_f32 v[16:17], v[16:17], v[20:21]
	v_pk_fma_f32 v[20:21], v[2:3], v[246:247], v[18:19] neg_lo:[0,0,1] neg_hi:[0,0,1]
	v_pk_fma_f32 v[2:3], v[2:3], v[246:247], v[18:19] op_sel_hi:[1,0,1]
	s_nop 0
	v_mov_b32_e32 v21, v3
	v_pk_add_f32 v[2:3], v[16:17], v[20:21]
	v_mov_b32_e32 v16, v249
	v_pk_mul_f32 v[16:17], v[4:5], v[16:17] op_sel:[1,0] op_sel_hi:[0,0]
	v_pk_fma_f32 v[18:19], v[4:5], v[248:249], v[16:17] neg_lo:[0,0,1] neg_hi:[0,0,1]
	v_pk_fma_f32 v[4:5], v[4:5], v[248:249], v[16:17] op_sel_hi:[1,0,1]
	s_nop 0
	v_mov_b32_e32 v19, v5
	s_waitcnt vmcnt(2) lgkmcnt(2)
	v_pk_mul_f32 v[4:5], v[6:7], v[250:251] op_sel:[1,1] op_sel_hi:[0,1]
	v_pk_fma_f32 v[16:17], v[6:7], v[250:251], v[4:5] neg_lo:[0,0,1] neg_hi:[0,0,1]
	v_pk_fma_f32 v[4:5], v[6:7], v[250:251], v[4:5] op_sel_hi:[1,0,1]
	v_pk_add_f32 v[2:3], v[2:3], v[18:19]
	v_mov_b32_e32 v4, v253
	v_mov_b32_e32 v17, v5
	v_pk_mul_f32 v[4:5], v[8:9], v[4:5] op_sel:[1,0] op_sel_hi:[0,0]
	v_pk_fma_f32 v[6:7], v[8:9], v[252:253], v[4:5] neg_lo:[0,0,1] neg_hi:[0,0,1]
	v_pk_fma_f32 v[4:5], v[8:9], v[252:253], v[4:5] op_sel_hi:[1,0,1]
	v_pk_add_f32 v[2:3], v[2:3], v[16:17]
	v_mov_b32_e32 v7, v5
	s_waitcnt vmcnt(1) lgkmcnt(1)
	v_pk_mul_f32 v[4:5], v[10:11], v[146:147] op_sel:[1,1] op_sel_hi:[0,1]
	v_pk_add_f32 v[2:3], v[2:3], v[6:7]
	v_pk_fma_f32 v[6:7], v[10:11], v[146:147], v[4:5] neg_lo:[0,0,1] neg_hi:[0,0,1]
	v_pk_fma_f32 v[4:5], v[10:11], v[146:147], v[4:5] op_sel_hi:[1,0,1]
	s_nop 0
	v_mov_b32_e32 v4, v149
	v_mov_b32_e32 v7, v5
	v_pk_mul_f32 v[4:5], v[12:13], v[4:5] op_sel:[1,0] op_sel_hi:[0,0]
	v_pk_add_f32 v[2:3], v[2:3], v[6:7]
	v_pk_fma_f32 v[6:7], v[12:13], v[148:149], v[4:5] neg_lo:[0,0,1] neg_hi:[0,0,1]
	v_pk_fma_f32 v[4:5], v[12:13], v[148:149], v[4:5] op_sel_hi:[1,0,1]
	s_nop 0
	v_mov_b32_e32 v7, v5
	s_waitcnt vmcnt(0) lgkmcnt(0)
	v_pk_mul_f32 v[4:5], v[14:15], v[156:157] op_sel:[1,1] op_sel_hi:[0,1]
	v_pk_add_f32 v[2:3], v[2:3], v[6:7]
	v_pk_fma_f32 v[6:7], v[14:15], v[156:157], v[4:5] neg_lo:[0,0,1] neg_hi:[0,0,1]
	v_pk_fma_f32 v[4:5], v[14:15], v[156:157], v[4:5] op_sel_hi:[1,0,1]
	s_nop 0
	v_mov_b32_e32 v7, v5
	scratch_load_dwordx2 v[4:5], off, off offset:40
	v_pk_add_f32 v[2:3], v[2:3], v[6:7]
	s_waitcnt vmcnt(0)
	v_pk_add_f32 v[2:3], v[4:5], v[2:3] neg_lo:[0,1] neg_hi:[0,1]
	scratch_store_dwordx2 off, v[2:3], off offset:40
	s_and_saveexec_b64 s[0:1], vcc
	s_cbranch_execz .LBB114_311
; %bb.310:
	scratch_load_dwordx2 v[2:3], off, off offset:32
	v_mov_b32_e32 v111, v110
	scratch_store_dwordx2 off, v[110:111], off offset:32
	s_waitcnt vmcnt(1)
	ds_write_b64 v1, v[2:3]
.LBB114_311:
	s_or_b64 exec, exec, s[0:1]
	s_waitcnt lgkmcnt(0)
	; wave barrier
	scratch_load_dwordx4 v[6:9], off, off offset:40
	scratch_load_dwordx4 v[14:17], off, off offset:56
	;; [unrolled: 1-line block ×10, first 2 shown]
	ds_read2_b64 v[2:5], v110 offset0:57 offset1:58
	ds_read2_b64 v[234:237], v110 offset0:93 offset1:94
	scratch_load_dwordx4 v[86:89], off, off offset:200
	scratch_load_dwordx4 v[94:97], off, off offset:216
	scratch_load_dwordx4 v[102:105], off, off offset:232
	scratch_load_dwordx4 v[112:115], off, off offset:248
	scratch_load_dwordx4 v[120:123], off, off offset:264
	scratch_load_dwordx4 v[128:131], off, off offset:280
	scratch_load_dwordx4 v[138:141], off, off offset:296
	scratch_load_dwordx4 v[146:149], off, off offset:312
	scratch_load_dwordx4 v[238:241], off, off offset:328
	v_cmp_lt_u32_e32 vcc, 3, v0
	s_waitcnt vmcnt(18) lgkmcnt(1)
	v_mul_f32_e32 v10, v2, v7
	v_fmac_f32_e32 v10, v3, v6
	v_mul_f32_e32 v11, v4, v9
	v_add_f32_e32 v10, 0, v10
	v_fmac_f32_e32 v11, v5, v8
	v_add_f32_e32 v18, v10, v11
	ds_read2_b64 v[10:13], v110 offset0:59 offset1:60
	v_mul_f32_e32 v3, v3, v7
	v_fma_f32 v2, v2, v6, -v3
	v_mul_f32_e32 v3, v5, v9
	v_add_f32_e32 v2, 0, v2
	s_waitcnt vmcnt(17) lgkmcnt(0)
	v_mul_f32_e32 v19, v10, v15
	v_fmac_f32_e32 v19, v11, v14
	v_add_f32_e32 v18, v18, v19
	v_mul_f32_e32 v19, v12, v17
	v_fmac_f32_e32 v19, v13, v16
	v_add_f32_e32 v26, v18, v19
	ds_read2_b64 v[18:21], v110 offset0:61 offset1:62
	v_fma_f32 v3, v4, v8, -v3
	v_add_f32_e32 v2, v2, v3
	v_mul_f32_e32 v3, v11, v15
	v_fma_f32 v3, v10, v14, -v3
	s_waitcnt vmcnt(16) lgkmcnt(0)
	v_mul_f32_e32 v27, v18, v23
	v_fmac_f32_e32 v27, v19, v22
	v_add_f32_e32 v26, v26, v27
	v_mul_f32_e32 v27, v20, v25
	v_fmac_f32_e32 v27, v21, v24
	v_add_f32_e32 v34, v26, v27
	ds_read2_b64 v[26:29], v110 offset0:63 offset1:64
	v_add_f32_e32 v2, v2, v3
	v_mul_f32_e32 v3, v13, v17
	v_fma_f32 v3, v12, v16, -v3
	v_add_f32_e32 v2, v2, v3
	s_waitcnt vmcnt(15) lgkmcnt(0)
	v_mul_f32_e32 v35, v26, v31
	v_fmac_f32_e32 v35, v27, v30
	v_add_f32_e32 v34, v34, v35
	v_mul_f32_e32 v35, v28, v33
	v_fmac_f32_e32 v35, v29, v32
	v_add_f32_e32 v42, v34, v35
	ds_read2_b64 v[34:37], v110 offset0:65 offset1:66
	v_mul_f32_e32 v3, v19, v23
	v_fma_f32 v3, v18, v22, -v3
	v_add_f32_e32 v2, v2, v3
	v_mul_f32_e32 v3, v21, v25
	s_waitcnt vmcnt(14) lgkmcnt(0)
	v_mul_f32_e32 v43, v34, v39
	v_fmac_f32_e32 v43, v35, v38
	v_add_f32_e32 v42, v42, v43
	v_mul_f32_e32 v43, v36, v41
	v_fmac_f32_e32 v43, v37, v40
	v_add_f32_e32 v50, v42, v43
	ds_read2_b64 v[42:45], v110 offset0:67 offset1:68
	v_fma_f32 v3, v20, v24, -v3
	v_add_f32_e32 v2, v2, v3
	v_mul_f32_e32 v3, v27, v31
	v_fma_f32 v3, v26, v30, -v3
	s_waitcnt vmcnt(13) lgkmcnt(0)
	v_mul_f32_e32 v51, v42, v47
	v_fmac_f32_e32 v51, v43, v46
	v_add_f32_e32 v50, v50, v51
	v_mul_f32_e32 v51, v44, v49
	v_fmac_f32_e32 v51, v45, v48
	v_add_f32_e32 v58, v50, v51
	ds_read2_b64 v[50:53], v110 offset0:69 offset1:70
	v_add_f32_e32 v2, v2, v3
	v_mul_f32_e32 v3, v29, v33
	v_fma_f32 v3, v28, v32, -v3
	v_add_f32_e32 v2, v2, v3
	s_waitcnt vmcnt(12) lgkmcnt(0)
	v_mul_f32_e32 v59, v50, v55
	v_fmac_f32_e32 v59, v51, v54
	v_add_f32_e32 v58, v58, v59
	v_mul_f32_e32 v59, v52, v57
	v_fmac_f32_e32 v59, v53, v56
	v_add_f32_e32 v66, v58, v59
	ds_read2_b64 v[58:61], v110 offset0:71 offset1:72
	v_mul_f32_e32 v3, v35, v39
	v_fma_f32 v3, v34, v38, -v3
	v_add_f32_e32 v2, v2, v3
	v_mul_f32_e32 v3, v37, v41
	;; [unrolled: 36-line block ×5, first 2 shown]
	s_waitcnt vmcnt(2) lgkmcnt(0)
	v_mul_f32_e32 v142, v134, v139
	v_fmac_f32_e32 v142, v135, v138
	v_add_f32_e32 v111, v111, v142
	v_mul_f32_e32 v142, v136, v141
	v_fmac_f32_e32 v142, v137, v140
	v_add_f32_e32 v111, v111, v142
	ds_read2_b64 v[142:145], v110 offset0:91 offset1:92
	v_fma_f32 v3, v84, v88, -v3
	v_add_f32_e32 v2, v2, v3
	v_mul_f32_e32 v3, v91, v95
	v_fma_f32 v3, v90, v94, -v3
	s_waitcnt vmcnt(1) lgkmcnt(0)
	v_mul_f32_e32 v150, v142, v147
	v_fmac_f32_e32 v150, v143, v146
	v_add_f32_e32 v111, v111, v150
	v_mul_f32_e32 v150, v144, v149
	v_fmac_f32_e32 v150, v145, v148
	v_add_f32_e32 v155, v111, v150
	scratch_load_dwordx4 v[242:245], off, off offset:344
	scratch_load_dwordx4 v[246:249], off, off offset:360
	;; [unrolled: 1-line block ×4, first 2 shown]
	v_add_f32_e32 v2, v2, v3
	v_mul_f32_e32 v3, v93, v97
	v_fma_f32 v3, v92, v96, -v3
	v_add_f32_e32 v2, v2, v3
	v_mul_f32_e32 v3, v99, v103
	v_fma_f32 v3, v98, v102, -v3
	;; [unrolled: 3-line block ×13, first 2 shown]
	v_add_f32_e32 v154, v2, v3
	s_waitcnt vmcnt(4)
	v_mul_f32_e32 v2, v235, v239
	v_fma_f32 v156, v234, v238, -v2
	v_mul_f32_e32 v2, v237, v241
	v_fma_f32 v158, v236, v240, -v2
	ds_read2_b64 v[2:5], v110 offset0:95 offset1:96
	ds_read2_b64 v[6:9], v110 offset0:97 offset1:98
	;; [unrolled: 1-line block ×4, first 2 shown]
	v_mul_f32_e32 v157, v234, v239
	v_fmac_f32_e32 v157, v235, v238
	v_mul_f32_e32 v159, v236, v241
	v_fmac_f32_e32 v159, v237, v240
	v_pk_add_f32 v[18:19], v[154:155], v[156:157]
	s_waitcnt vmcnt(3) lgkmcnt(3)
	v_pk_mul_f32 v[20:21], v[2:3], v[242:243] op_sel:[1,1] op_sel_hi:[0,1]
	v_pk_fma_f32 v[22:23], v[2:3], v[242:243], v[20:21] neg_lo:[0,0,1] neg_hi:[0,0,1]
	v_pk_fma_f32 v[2:3], v[2:3], v[242:243], v[20:21] op_sel_hi:[1,0,1]
	v_pk_add_f32 v[18:19], v[18:19], v[158:159]
	v_mov_b32_e32 v23, v3
	v_pk_add_f32 v[2:3], v[18:19], v[22:23]
	v_mov_b32_e32 v18, v245
	v_pk_mul_f32 v[18:19], v[4:5], v[18:19] op_sel:[1,0] op_sel_hi:[0,0]
	v_pk_fma_f32 v[20:21], v[4:5], v[244:245], v[18:19] neg_lo:[0,0,1] neg_hi:[0,0,1]
	v_pk_fma_f32 v[4:5], v[4:5], v[244:245], v[18:19] op_sel_hi:[1,0,1]
	s_nop 0
	v_mov_b32_e32 v21, v5
	s_waitcnt vmcnt(2) lgkmcnt(2)
	v_pk_mul_f32 v[4:5], v[6:7], v[246:247] op_sel:[1,1] op_sel_hi:[0,1]
	v_pk_fma_f32 v[18:19], v[6:7], v[246:247], v[4:5] neg_lo:[0,0,1] neg_hi:[0,0,1]
	v_pk_fma_f32 v[4:5], v[6:7], v[246:247], v[4:5] op_sel_hi:[1,0,1]
	v_pk_add_f32 v[2:3], v[2:3], v[20:21]
	v_mov_b32_e32 v4, v249
	v_mov_b32_e32 v19, v5
	v_pk_mul_f32 v[4:5], v[8:9], v[4:5] op_sel:[1,0] op_sel_hi:[0,0]
	v_pk_fma_f32 v[6:7], v[8:9], v[248:249], v[4:5] neg_lo:[0,0,1] neg_hi:[0,0,1]
	v_pk_fma_f32 v[4:5], v[8:9], v[248:249], v[4:5] op_sel_hi:[1,0,1]
	v_pk_add_f32 v[2:3], v[2:3], v[18:19]
	v_mov_b32_e32 v7, v5
	s_waitcnt vmcnt(1) lgkmcnt(1)
	v_pk_mul_f32 v[4:5], v[10:11], v[250:251] op_sel:[1,1] op_sel_hi:[0,1]
	v_pk_add_f32 v[2:3], v[2:3], v[6:7]
	v_pk_fma_f32 v[6:7], v[10:11], v[250:251], v[4:5] neg_lo:[0,0,1] neg_hi:[0,0,1]
	v_pk_fma_f32 v[4:5], v[10:11], v[250:251], v[4:5] op_sel_hi:[1,0,1]
	s_nop 0
	v_mov_b32_e32 v4, v253
	v_mov_b32_e32 v7, v5
	v_pk_mul_f32 v[4:5], v[12:13], v[4:5] op_sel:[1,0] op_sel_hi:[0,0]
	v_pk_add_f32 v[2:3], v[2:3], v[6:7]
	v_pk_fma_f32 v[6:7], v[12:13], v[252:253], v[4:5] neg_lo:[0,0,1] neg_hi:[0,0,1]
	v_pk_fma_f32 v[4:5], v[12:13], v[252:253], v[4:5] op_sel_hi:[1,0,1]
	s_nop 0
	v_mov_b32_e32 v7, v5
	s_waitcnt vmcnt(0) lgkmcnt(0)
	v_pk_mul_f32 v[4:5], v[14:15], v[150:151] op_sel:[1,1] op_sel_hi:[0,1]
	v_pk_add_f32 v[2:3], v[2:3], v[6:7]
	v_pk_fma_f32 v[6:7], v[14:15], v[150:151], v[4:5] neg_lo:[0,0,1] neg_hi:[0,0,1]
	v_pk_fma_f32 v[4:5], v[14:15], v[150:151], v[4:5] op_sel_hi:[1,0,1]
	s_nop 0
	v_mov_b32_e32 v4, v153
	v_mov_b32_e32 v7, v5
	v_pk_mul_f32 v[4:5], v[16:17], v[4:5] op_sel:[1,0] op_sel_hi:[0,0]
	v_pk_add_f32 v[2:3], v[2:3], v[6:7]
	v_pk_fma_f32 v[6:7], v[16:17], v[152:153], v[4:5] neg_lo:[0,0,1] neg_hi:[0,0,1]
	v_pk_fma_f32 v[4:5], v[16:17], v[152:153], v[4:5] op_sel_hi:[1,0,1]
	s_nop 0
	v_mov_b32_e32 v7, v5
	scratch_load_dwordx2 v[4:5], off, off offset:32
	v_pk_add_f32 v[2:3], v[2:3], v[6:7]
	s_waitcnt vmcnt(0)
	v_pk_add_f32 v[2:3], v[4:5], v[2:3] neg_lo:[0,1] neg_hi:[0,1]
	scratch_store_dwordx2 off, v[2:3], off offset:32
	s_and_saveexec_b64 s[0:1], vcc
	s_cbranch_execz .LBB114_313
; %bb.312:
	scratch_load_dwordx2 v[2:3], off, off offset:24
	v_mov_b32_e32 v4, 0
	v_mov_b32_e32 v5, v4
	scratch_store_dwordx2 off, v[4:5], off offset:24
	s_waitcnt vmcnt(1)
	ds_write_b64 v1, v[2:3]
.LBB114_313:
	s_or_b64 exec, exec, s[0:1]
	v_mov_b32_e32 v118, 0
	s_waitcnt lgkmcnt(0)
	; wave barrier
	ds_read_b128 v[14:17], v118 offset:448
	ds_read_b128 v[10:13], v118 offset:464
	;; [unrolled: 1-line block ×4, first 2 shown]
	scratch_load_dwordx4 v[18:21], off, off offset:32
	scratch_load_dwordx4 v[38:41], off, off offset:96
	;; [unrolled: 1-line block ×14, first 2 shown]
	v_cmp_lt_u32_e32 vcc, 2, v0
	scratch_load_dwordx4 v[46:49], off, off offset:112
	scratch_load_dwordx4 v[54:57], off, off offset:128
	;; [unrolled: 1-line block ×3, first 2 shown]
	ds_read_b128 v[238:241], v118 offset:752
	s_waitcnt vmcnt(16) lgkmcnt(4)
	v_mul_f32_e32 v22, v14, v19
	v_fmac_f32_e32 v22, v15, v18
	v_mul_f32_e32 v23, v16, v21
	v_add_f32_e32 v22, 0, v22
	v_fmac_f32_e32 v23, v17, v20
	v_add_f32_e32 v26, v22, v23
	scratch_load_dwordx4 v[22:25], off, off offset:48
	v_mul_f32_e32 v15, v15, v19
	v_fma_f32 v14, v14, v18, -v15
	v_mul_f32_e32 v15, v17, v21
	v_add_f32_e32 v14, 0, v14
	v_fma_f32 v15, v16, v20, -v15
	v_add_f32_e32 v14, v14, v15
	s_waitcnt vmcnt(4)
	v_mov_b32_e32 v18, v245
	s_waitcnt lgkmcnt(0)
	v_mul_f32_e32 v163, v238, v243
	v_pk_mul_f32 v[18:19], v[240:241], v[18:19] op_sel:[1,0] op_sel_hi:[0,0]
	v_fmac_f32_e32 v163, v239, v242
	v_pk_fma_f32 v[20:21], v[240:241], v[244:245], v[18:19] neg_lo:[0,0,1] neg_hi:[0,0,1]
	v_pk_fma_f32 v[18:19], v[240:241], v[244:245], v[18:19] op_sel_hi:[1,0,1]
	s_waitcnt vmcnt(0)
	v_mul_f32_e32 v27, v10, v23
	v_fmac_f32_e32 v27, v11, v22
	v_add_f32_e32 v26, v26, v27
	v_mul_f32_e32 v27, v12, v25
	v_fmac_f32_e32 v27, v13, v24
	v_add_f32_e32 v30, v26, v27
	scratch_load_dwordx4 v[26:29], off, off offset:64
	v_mul_f32_e32 v11, v11, v23
	v_fma_f32 v10, v10, v22, -v11
	v_mul_f32_e32 v11, v13, v25
	v_add_f32_e32 v10, v14, v10
	v_fma_f32 v11, v12, v24, -v11
	v_add_f32_e32 v10, v10, v11
	v_mov_b32_e32 v21, v19
	s_waitcnt vmcnt(0)
	v_mul_f32_e32 v31, v6, v27
	v_fmac_f32_e32 v31, v7, v26
	v_add_f32_e32 v30, v30, v31
	v_mul_f32_e32 v31, v8, v29
	v_fmac_f32_e32 v31, v9, v28
	v_add_f32_e32 v34, v30, v31
	scratch_load_dwordx4 v[30:33], off, off offset:80
	v_mul_f32_e32 v7, v7, v27
	v_fma_f32 v6, v6, v26, -v7
	v_mul_f32_e32 v7, v9, v29
	v_add_f32_e32 v6, v10, v6
	v_fma_f32 v7, v8, v28, -v7
	v_add_f32_e32 v6, v6, v7
	s_waitcnt vmcnt(0)
	v_mul_f32_e32 v35, v2, v31
	v_fmac_f32_e32 v35, v3, v30
	v_add_f32_e32 v34, v34, v35
	v_mul_f32_e32 v35, v4, v33
	v_fmac_f32_e32 v35, v5, v32
	v_add_f32_e32 v42, v34, v35
	ds_read_b128 v[34:37], v118 offset:512
	v_mul_f32_e32 v3, v3, v31
	v_fma_f32 v2, v2, v30, -v3
	v_mul_f32_e32 v3, v5, v33
	v_add_f32_e32 v2, v6, v2
	s_waitcnt lgkmcnt(0)
	v_mul_f32_e32 v43, v34, v39
	v_fmac_f32_e32 v43, v35, v38
	v_add_f32_e32 v42, v42, v43
	v_mul_f32_e32 v43, v36, v41
	v_fmac_f32_e32 v43, v37, v40
	v_add_f32_e32 v50, v42, v43
	ds_read_b128 v[42:45], v118 offset:528
	v_fma_f32 v3, v4, v32, -v3
	v_add_f32_e32 v2, v2, v3
	v_mul_f32_e32 v3, v35, v39
	v_fma_f32 v3, v34, v38, -v3
	s_waitcnt lgkmcnt(0)
	v_mul_f32_e32 v51, v42, v47
	v_fmac_f32_e32 v51, v43, v46
	v_add_f32_e32 v50, v50, v51
	v_mul_f32_e32 v51, v44, v49
	v_fmac_f32_e32 v51, v45, v48
	v_add_f32_e32 v58, v50, v51
	ds_read_b128 v[50:53], v118 offset:544
	v_add_f32_e32 v2, v2, v3
	v_mul_f32_e32 v3, v37, v41
	v_fma_f32 v3, v36, v40, -v3
	v_add_f32_e32 v2, v2, v3
	s_waitcnt lgkmcnt(0)
	v_mul_f32_e32 v59, v50, v55
	v_fmac_f32_e32 v59, v51, v54
	v_add_f32_e32 v58, v58, v59
	v_mul_f32_e32 v59, v52, v57
	v_fmac_f32_e32 v59, v53, v56
	v_add_f32_e32 v66, v58, v59
	ds_read_b128 v[58:61], v118 offset:560
	v_mul_f32_e32 v3, v43, v47
	v_fma_f32 v3, v42, v46, -v3
	v_add_f32_e32 v2, v2, v3
	v_mul_f32_e32 v3, v45, v49
	s_waitcnt lgkmcnt(0)
	v_mul_f32_e32 v67, v58, v63
	v_fmac_f32_e32 v67, v59, v62
	v_add_f32_e32 v66, v66, v67
	v_mul_f32_e32 v67, v60, v65
	v_fmac_f32_e32 v67, v61, v64
	v_add_f32_e32 v74, v66, v67
	ds_read_b128 v[66:69], v118 offset:576
	v_fma_f32 v3, v44, v48, -v3
	v_add_f32_e32 v2, v2, v3
	v_mul_f32_e32 v3, v51, v55
	v_fma_f32 v3, v50, v54, -v3
	s_waitcnt lgkmcnt(0)
	v_mul_f32_e32 v75, v66, v71
	v_fmac_f32_e32 v75, v67, v70
	v_add_f32_e32 v74, v74, v75
	v_mul_f32_e32 v75, v68, v73
	v_fmac_f32_e32 v75, v69, v72
	v_add_f32_e32 v82, v74, v75
	ds_read_b128 v[74:77], v118 offset:592
	v_add_f32_e32 v2, v2, v3
	v_mul_f32_e32 v3, v53, v57
	v_fma_f32 v3, v52, v56, -v3
	v_add_f32_e32 v2, v2, v3
	s_waitcnt lgkmcnt(0)
	v_mul_f32_e32 v83, v74, v79
	v_fmac_f32_e32 v83, v75, v78
	v_add_f32_e32 v82, v82, v83
	v_mul_f32_e32 v83, v76, v81
	v_fmac_f32_e32 v83, v77, v80
	v_add_f32_e32 v90, v82, v83
	ds_read_b128 v[82:85], v118 offset:608
	v_mul_f32_e32 v3, v59, v63
	v_fma_f32 v3, v58, v62, -v3
	v_add_f32_e32 v2, v2, v3
	v_mul_f32_e32 v3, v61, v65
	;; [unrolled: 36-line block ×4, first 2 shown]
	s_waitcnt lgkmcnt(0)
	v_mul_f32_e32 v142, v134, v139
	v_fmac_f32_e32 v142, v135, v138
	v_add_f32_e32 v119, v119, v142
	v_mul_f32_e32 v142, v136, v141
	v_fmac_f32_e32 v142, v137, v140
	v_add_f32_e32 v119, v119, v142
	ds_read_b128 v[142:145], v118 offset:720
	v_fma_f32 v3, v92, v96, -v3
	v_add_f32_e32 v2, v2, v3
	v_mul_f32_e32 v3, v99, v103
	v_fma_f32 v3, v98, v102, -v3
	s_waitcnt lgkmcnt(0)
	v_mul_f32_e32 v150, v142, v147
	v_fmac_f32_e32 v150, v143, v146
	v_add_f32_e32 v119, v119, v150
	v_mul_f32_e32 v150, v144, v149
	v_fmac_f32_e32 v150, v145, v148
	v_add_f32_e32 v119, v119, v150
	ds_read_b128 v[150:153], v118 offset:736
	v_add_f32_e32 v2, v2, v3
	v_mul_f32_e32 v3, v101, v105
	v_fma_f32 v3, v100, v104, -v3
	v_add_f32_e32 v2, v2, v3
	s_waitcnt lgkmcnt(0)
	v_mul_f32_e32 v154, v150, v235
	v_fmac_f32_e32 v154, v151, v234
	v_add_f32_e32 v159, v119, v154
	scratch_load_dwordx4 v[246:249], off, off offset:352
	scratch_load_dwordx4 v[250:253], off, off offset:368
	;; [unrolled: 1-line block ×3, first 2 shown]
	scratch_load_dwordx2 v[164:165], off, off offset:400
	v_mul_f32_e32 v3, v107, v111
	v_fma_f32 v3, v106, v110, -v3
	v_add_f32_e32 v2, v2, v3
	v_mul_f32_e32 v3, v109, v113
	v_fma_f32 v3, v108, v112, -v3
	v_add_f32_e32 v2, v2, v3
	v_mul_f32_e32 v3, v115, v121
	v_fma_f32 v3, v114, v120, -v3
	v_add_f32_e32 v2, v2, v3
	v_mul_f32_e32 v3, v117, v123
	v_fma_f32 v3, v116, v122, -v3
	v_add_f32_e32 v2, v2, v3
	v_mul_f32_e32 v3, v125, v129
	v_fma_f32 v3, v124, v128, -v3
	v_add_f32_e32 v2, v2, v3
	v_mul_f32_e32 v3, v127, v131
	v_fma_f32 v3, v126, v130, -v3
	v_add_f32_e32 v2, v2, v3
	v_mul_f32_e32 v3, v135, v139
	v_fma_f32 v3, v134, v138, -v3
	v_add_f32_e32 v2, v2, v3
	v_mul_f32_e32 v3, v137, v141
	v_fma_f32 v3, v136, v140, -v3
	v_add_f32_e32 v2, v2, v3
	v_mul_f32_e32 v3, v143, v147
	v_fma_f32 v3, v142, v146, -v3
	v_add_f32_e32 v2, v2, v3
	v_mul_f32_e32 v3, v145, v149
	v_fma_f32 v3, v144, v148, -v3
	v_add_f32_e32 v2, v2, v3
	v_mul_f32_e32 v3, v151, v235
	v_fma_f32 v3, v150, v234, -v3
	v_add_f32_e32 v158, v2, v3
	v_mul_f32_e32 v2, v153, v237
	v_mul_f32_e32 v161, v152, v237
	v_fma_f32 v160, v152, v236, -v2
	v_mul_f32_e32 v2, v239, v243
	v_fmac_f32_e32 v161, v153, v236
	v_fma_f32 v162, v238, v242, -v2
	ds_read_b128 v[2:5], v118 offset:768
	ds_read_b128 v[6:9], v118 offset:784
	;; [unrolled: 1-line block ×3, first 2 shown]
	ds_read_b64 v[14:15], v118 offset:816
	v_pk_add_f32 v[16:17], v[158:159], v[160:161]
	s_waitcnt vmcnt(3) lgkmcnt(3)
	v_pk_mul_f32 v[18:19], v[2:3], v[246:247] op_sel:[1,1] op_sel_hi:[0,1]
	v_pk_add_f32 v[16:17], v[16:17], v[162:163]
	s_nop 0
	v_pk_add_f32 v[16:17], v[16:17], v[20:21]
	v_pk_fma_f32 v[20:21], v[2:3], v[246:247], v[18:19] neg_lo:[0,0,1] neg_hi:[0,0,1]
	v_pk_fma_f32 v[2:3], v[2:3], v[246:247], v[18:19] op_sel_hi:[1,0,1]
	s_nop 0
	v_mov_b32_e32 v21, v3
	v_pk_add_f32 v[2:3], v[16:17], v[20:21]
	v_mov_b32_e32 v16, v249
	v_pk_mul_f32 v[16:17], v[4:5], v[16:17] op_sel:[1,0] op_sel_hi:[0,0]
	v_pk_fma_f32 v[18:19], v[4:5], v[248:249], v[16:17] neg_lo:[0,0,1] neg_hi:[0,0,1]
	v_pk_fma_f32 v[4:5], v[4:5], v[248:249], v[16:17] op_sel_hi:[1,0,1]
	s_nop 0
	v_mov_b32_e32 v19, v5
	s_waitcnt vmcnt(2) lgkmcnt(2)
	v_pk_mul_f32 v[4:5], v[6:7], v[250:251] op_sel:[1,1] op_sel_hi:[0,1]
	v_pk_fma_f32 v[16:17], v[6:7], v[250:251], v[4:5] neg_lo:[0,0,1] neg_hi:[0,0,1]
	v_pk_fma_f32 v[4:5], v[6:7], v[250:251], v[4:5] op_sel_hi:[1,0,1]
	v_pk_add_f32 v[2:3], v[2:3], v[18:19]
	v_mov_b32_e32 v4, v253
	v_mov_b32_e32 v17, v5
	v_pk_mul_f32 v[4:5], v[8:9], v[4:5] op_sel:[1,0] op_sel_hi:[0,0]
	v_pk_fma_f32 v[6:7], v[8:9], v[252:253], v[4:5] neg_lo:[0,0,1] neg_hi:[0,0,1]
	v_pk_fma_f32 v[4:5], v[8:9], v[252:253], v[4:5] op_sel_hi:[1,0,1]
	v_pk_add_f32 v[2:3], v[2:3], v[16:17]
	v_mov_b32_e32 v7, v5
	s_waitcnt vmcnt(1) lgkmcnt(1)
	v_pk_mul_f32 v[4:5], v[10:11], v[154:155] op_sel:[1,1] op_sel_hi:[0,1]
	v_pk_add_f32 v[2:3], v[2:3], v[6:7]
	v_pk_fma_f32 v[6:7], v[10:11], v[154:155], v[4:5] neg_lo:[0,0,1] neg_hi:[0,0,1]
	v_pk_fma_f32 v[4:5], v[10:11], v[154:155], v[4:5] op_sel_hi:[1,0,1]
	s_nop 0
	v_mov_b32_e32 v4, v157
	v_mov_b32_e32 v7, v5
	v_pk_mul_f32 v[4:5], v[12:13], v[4:5] op_sel:[1,0] op_sel_hi:[0,0]
	v_pk_add_f32 v[2:3], v[2:3], v[6:7]
	v_pk_fma_f32 v[6:7], v[12:13], v[156:157], v[4:5] neg_lo:[0,0,1] neg_hi:[0,0,1]
	v_pk_fma_f32 v[4:5], v[12:13], v[156:157], v[4:5] op_sel_hi:[1,0,1]
	s_nop 0
	v_mov_b32_e32 v7, v5
	s_waitcnt vmcnt(0) lgkmcnt(0)
	v_pk_mul_f32 v[4:5], v[14:15], v[164:165] op_sel:[1,1] op_sel_hi:[0,1]
	v_pk_add_f32 v[2:3], v[2:3], v[6:7]
	v_pk_fma_f32 v[6:7], v[14:15], v[164:165], v[4:5] neg_lo:[0,0,1] neg_hi:[0,0,1]
	v_pk_fma_f32 v[4:5], v[14:15], v[164:165], v[4:5] op_sel_hi:[1,0,1]
	s_nop 0
	v_mov_b32_e32 v7, v5
	scratch_load_dwordx2 v[4:5], off, off offset:24
	v_pk_add_f32 v[2:3], v[2:3], v[6:7]
	s_waitcnt vmcnt(0)
	v_pk_add_f32 v[2:3], v[4:5], v[2:3] neg_lo:[0,1] neg_hi:[0,1]
	scratch_store_dwordx2 off, v[2:3], off offset:24
	s_and_saveexec_b64 s[0:1], vcc
	s_cbranch_execz .LBB114_315
; %bb.314:
	scratch_load_dwordx2 v[2:3], off, off offset:16
	v_mov_b32_e32 v119, v118
	scratch_store_dwordx2 off, v[118:119], off offset:16
	s_waitcnt vmcnt(1)
	ds_write_b64 v1, v[2:3]
.LBB114_315:
	s_or_b64 exec, exec, s[0:1]
	s_waitcnt lgkmcnt(0)
	; wave barrier
	scratch_load_dwordx4 v[6:9], off, off offset:24
	scratch_load_dwordx4 v[14:17], off, off offset:40
	;; [unrolled: 1-line block ×10, first 2 shown]
	ds_read2_b64 v[2:5], v118 offset0:55 offset1:56
	ds_read2_b64 v[234:237], v118 offset0:93 offset1:94
	scratch_load_dwordx4 v[86:89], off, off offset:184
	scratch_load_dwordx4 v[94:97], off, off offset:200
	;; [unrolled: 1-line block ×10, first 2 shown]
	v_cmp_lt_u32_e32 vcc, 1, v0
	s_waitcnt vmcnt(19) lgkmcnt(1)
	v_mul_f32_e32 v10, v2, v7
	v_fmac_f32_e32 v10, v3, v6
	v_mul_f32_e32 v11, v4, v9
	v_add_f32_e32 v10, 0, v10
	v_fmac_f32_e32 v11, v5, v8
	v_add_f32_e32 v18, v10, v11
	ds_read2_b64 v[10:13], v118 offset0:57 offset1:58
	v_mul_f32_e32 v3, v3, v7
	v_fma_f32 v2, v2, v6, -v3
	v_mul_f32_e32 v3, v5, v9
	v_add_f32_e32 v2, 0, v2
	s_waitcnt vmcnt(18) lgkmcnt(0)
	v_mul_f32_e32 v19, v10, v15
	v_fmac_f32_e32 v19, v11, v14
	v_add_f32_e32 v18, v18, v19
	v_mul_f32_e32 v19, v12, v17
	v_fmac_f32_e32 v19, v13, v16
	v_add_f32_e32 v26, v18, v19
	ds_read2_b64 v[18:21], v118 offset0:59 offset1:60
	v_fma_f32 v3, v4, v8, -v3
	v_add_f32_e32 v2, v2, v3
	v_mul_f32_e32 v3, v11, v15
	v_fma_f32 v3, v10, v14, -v3
	s_waitcnt vmcnt(17) lgkmcnt(0)
	v_mul_f32_e32 v27, v18, v23
	v_fmac_f32_e32 v27, v19, v22
	v_add_f32_e32 v26, v26, v27
	v_mul_f32_e32 v27, v20, v25
	v_fmac_f32_e32 v27, v21, v24
	v_add_f32_e32 v34, v26, v27
	ds_read2_b64 v[26:29], v118 offset0:61 offset1:62
	v_add_f32_e32 v2, v2, v3
	v_mul_f32_e32 v3, v13, v17
	v_fma_f32 v3, v12, v16, -v3
	v_add_f32_e32 v2, v2, v3
	s_waitcnt vmcnt(16) lgkmcnt(0)
	v_mul_f32_e32 v35, v26, v31
	v_fmac_f32_e32 v35, v27, v30
	v_add_f32_e32 v34, v34, v35
	v_mul_f32_e32 v35, v28, v33
	v_fmac_f32_e32 v35, v29, v32
	v_add_f32_e32 v42, v34, v35
	ds_read2_b64 v[34:37], v118 offset0:63 offset1:64
	v_mul_f32_e32 v3, v19, v23
	v_fma_f32 v3, v18, v22, -v3
	v_add_f32_e32 v2, v2, v3
	v_mul_f32_e32 v3, v21, v25
	s_waitcnt vmcnt(15) lgkmcnt(0)
	v_mul_f32_e32 v43, v34, v39
	v_fmac_f32_e32 v43, v35, v38
	v_add_f32_e32 v42, v42, v43
	v_mul_f32_e32 v43, v36, v41
	v_fmac_f32_e32 v43, v37, v40
	v_add_f32_e32 v50, v42, v43
	ds_read2_b64 v[42:45], v118 offset0:65 offset1:66
	v_fma_f32 v3, v20, v24, -v3
	v_add_f32_e32 v2, v2, v3
	v_mul_f32_e32 v3, v27, v31
	v_fma_f32 v3, v26, v30, -v3
	s_waitcnt vmcnt(14) lgkmcnt(0)
	v_mul_f32_e32 v51, v42, v47
	v_fmac_f32_e32 v51, v43, v46
	v_add_f32_e32 v50, v50, v51
	v_mul_f32_e32 v51, v44, v49
	v_fmac_f32_e32 v51, v45, v48
	v_add_f32_e32 v58, v50, v51
	ds_read2_b64 v[50:53], v118 offset0:67 offset1:68
	v_add_f32_e32 v2, v2, v3
	v_mul_f32_e32 v3, v29, v33
	v_fma_f32 v3, v28, v32, -v3
	v_add_f32_e32 v2, v2, v3
	s_waitcnt vmcnt(13) lgkmcnt(0)
	v_mul_f32_e32 v59, v50, v55
	v_fmac_f32_e32 v59, v51, v54
	v_add_f32_e32 v58, v58, v59
	v_mul_f32_e32 v59, v52, v57
	v_fmac_f32_e32 v59, v53, v56
	v_add_f32_e32 v66, v58, v59
	ds_read2_b64 v[58:61], v118 offset0:69 offset1:70
	v_mul_f32_e32 v3, v35, v39
	v_fma_f32 v3, v34, v38, -v3
	v_add_f32_e32 v2, v2, v3
	v_mul_f32_e32 v3, v37, v41
	;; [unrolled: 36-line block ×5, first 2 shown]
	s_waitcnt vmcnt(3) lgkmcnt(0)
	v_mul_f32_e32 v142, v134, v139
	v_fmac_f32_e32 v142, v135, v138
	v_add_f32_e32 v119, v119, v142
	v_mul_f32_e32 v142, v136, v141
	v_fmac_f32_e32 v142, v137, v140
	v_add_f32_e32 v119, v119, v142
	ds_read2_b64 v[142:145], v118 offset0:89 offset1:90
	v_fma_f32 v3, v84, v88, -v3
	v_add_f32_e32 v2, v2, v3
	v_mul_f32_e32 v3, v91, v95
	v_fma_f32 v3, v90, v94, -v3
	s_waitcnt vmcnt(2) lgkmcnt(0)
	v_mul_f32_e32 v150, v142, v147
	v_fmac_f32_e32 v150, v143, v146
	v_add_f32_e32 v119, v119, v150
	v_mul_f32_e32 v150, v144, v149
	v_fmac_f32_e32 v150, v145, v148
	v_add_f32_e32 v119, v119, v150
	ds_read2_b64 v[150:153], v118 offset0:91 offset1:92
	v_add_f32_e32 v2, v2, v3
	v_mul_f32_e32 v3, v93, v97
	v_fma_f32 v3, v92, v96, -v3
	v_add_f32_e32 v2, v2, v3
	s_waitcnt vmcnt(1) lgkmcnt(0)
	v_mul_f32_e32 v158, v150, v155
	v_fmac_f32_e32 v158, v151, v154
	v_add_f32_e32 v119, v119, v158
	v_mul_f32_e32 v158, v152, v157
	v_fmac_f32_e32 v158, v153, v156
	v_add_f32_e32 v163, v119, v158
	scratch_load_dwordx4 v[242:245], off, off offset:344
	scratch_load_dwordx4 v[246:249], off, off offset:360
	;; [unrolled: 1-line block ×4, first 2 shown]
	v_mul_f32_e32 v3, v99, v103
	v_fma_f32 v3, v98, v102, -v3
	v_add_f32_e32 v2, v2, v3
	v_mul_f32_e32 v3, v101, v105
	v_fma_f32 v3, v100, v104, -v3
	v_add_f32_e32 v2, v2, v3
	v_mul_f32_e32 v3, v107, v111
	v_fma_f32 v3, v106, v110, -v3
	v_add_f32_e32 v2, v2, v3
	v_mul_f32_e32 v3, v109, v113
	v_fma_f32 v3, v108, v112, -v3
	v_add_f32_e32 v2, v2, v3
	v_mul_f32_e32 v3, v115, v121
	v_fma_f32 v3, v114, v120, -v3
	v_add_f32_e32 v2, v2, v3
	v_mul_f32_e32 v3, v117, v123
	v_fma_f32 v3, v116, v122, -v3
	v_add_f32_e32 v2, v2, v3
	v_mul_f32_e32 v3, v125, v129
	v_fma_f32 v3, v124, v128, -v3
	v_add_f32_e32 v2, v2, v3
	v_mul_f32_e32 v3, v127, v131
	v_fma_f32 v3, v126, v130, -v3
	v_add_f32_e32 v2, v2, v3
	v_mul_f32_e32 v3, v135, v139
	v_fma_f32 v3, v134, v138, -v3
	v_add_f32_e32 v2, v2, v3
	v_mul_f32_e32 v3, v137, v141
	v_fma_f32 v3, v136, v140, -v3
	v_add_f32_e32 v2, v2, v3
	v_mul_f32_e32 v3, v143, v147
	v_fma_f32 v3, v142, v146, -v3
	v_add_f32_e32 v2, v2, v3
	v_mul_f32_e32 v3, v145, v149
	v_fma_f32 v3, v144, v148, -v3
	v_add_f32_e32 v2, v2, v3
	v_mul_f32_e32 v3, v151, v155
	v_fma_f32 v3, v150, v154, -v3
	v_add_f32_e32 v2, v2, v3
	v_mul_f32_e32 v3, v153, v157
	v_fma_f32 v3, v152, v156, -v3
	v_add_f32_e32 v162, v2, v3
	s_waitcnt vmcnt(4)
	v_mul_f32_e32 v2, v235, v239
	v_fma_f32 v164, v234, v238, -v2
	v_mul_f32_e32 v2, v237, v241
	v_fma_f32 v254, v236, v240, -v2
	ds_read2_b64 v[2:5], v118 offset0:95 offset1:96
	ds_read2_b64 v[6:9], v118 offset0:97 offset1:98
	;; [unrolled: 1-line block ×4, first 2 shown]
	v_mul_f32_e32 v165, v234, v239
	v_fmac_f32_e32 v165, v235, v238
	v_mul_f32_e32 v255, v236, v241
	v_fmac_f32_e32 v255, v237, v240
	v_pk_add_f32 v[18:19], v[162:163], v[164:165]
	s_waitcnt vmcnt(3) lgkmcnt(3)
	v_pk_mul_f32 v[20:21], v[2:3], v[242:243] op_sel:[1,1] op_sel_hi:[0,1]
	v_pk_fma_f32 v[22:23], v[2:3], v[242:243], v[20:21] neg_lo:[0,0,1] neg_hi:[0,0,1]
	v_pk_fma_f32 v[2:3], v[2:3], v[242:243], v[20:21] op_sel_hi:[1,0,1]
	v_pk_add_f32 v[18:19], v[18:19], v[254:255]
	v_mov_b32_e32 v23, v3
	v_pk_add_f32 v[2:3], v[18:19], v[22:23]
	v_mov_b32_e32 v18, v245
	v_pk_mul_f32 v[18:19], v[4:5], v[18:19] op_sel:[1,0] op_sel_hi:[0,0]
	v_pk_fma_f32 v[20:21], v[4:5], v[244:245], v[18:19] neg_lo:[0,0,1] neg_hi:[0,0,1]
	v_pk_fma_f32 v[4:5], v[4:5], v[244:245], v[18:19] op_sel_hi:[1,0,1]
	s_nop 0
	v_mov_b32_e32 v21, v5
	s_waitcnt vmcnt(2) lgkmcnt(2)
	v_pk_mul_f32 v[4:5], v[6:7], v[246:247] op_sel:[1,1] op_sel_hi:[0,1]
	v_pk_fma_f32 v[18:19], v[6:7], v[246:247], v[4:5] neg_lo:[0,0,1] neg_hi:[0,0,1]
	v_pk_fma_f32 v[4:5], v[6:7], v[246:247], v[4:5] op_sel_hi:[1,0,1]
	v_pk_add_f32 v[2:3], v[2:3], v[20:21]
	v_mov_b32_e32 v4, v249
	v_mov_b32_e32 v19, v5
	v_pk_mul_f32 v[4:5], v[8:9], v[4:5] op_sel:[1,0] op_sel_hi:[0,0]
	v_pk_fma_f32 v[6:7], v[8:9], v[248:249], v[4:5] neg_lo:[0,0,1] neg_hi:[0,0,1]
	v_pk_fma_f32 v[4:5], v[8:9], v[248:249], v[4:5] op_sel_hi:[1,0,1]
	v_pk_add_f32 v[2:3], v[2:3], v[18:19]
	v_mov_b32_e32 v7, v5
	s_waitcnt vmcnt(1) lgkmcnt(1)
	v_pk_mul_f32 v[4:5], v[10:11], v[250:251] op_sel:[1,1] op_sel_hi:[0,1]
	v_pk_add_f32 v[2:3], v[2:3], v[6:7]
	v_pk_fma_f32 v[6:7], v[10:11], v[250:251], v[4:5] neg_lo:[0,0,1] neg_hi:[0,0,1]
	v_pk_fma_f32 v[4:5], v[10:11], v[250:251], v[4:5] op_sel_hi:[1,0,1]
	s_nop 0
	v_mov_b32_e32 v4, v253
	v_mov_b32_e32 v7, v5
	v_pk_mul_f32 v[4:5], v[12:13], v[4:5] op_sel:[1,0] op_sel_hi:[0,0]
	v_pk_add_f32 v[2:3], v[2:3], v[6:7]
	v_pk_fma_f32 v[6:7], v[12:13], v[252:253], v[4:5] neg_lo:[0,0,1] neg_hi:[0,0,1]
	v_pk_fma_f32 v[4:5], v[12:13], v[252:253], v[4:5] op_sel_hi:[1,0,1]
	s_nop 0
	v_mov_b32_e32 v7, v5
	s_waitcnt vmcnt(0) lgkmcnt(0)
	v_pk_mul_f32 v[4:5], v[14:15], v[158:159] op_sel:[1,1] op_sel_hi:[0,1]
	v_pk_add_f32 v[2:3], v[2:3], v[6:7]
	v_pk_fma_f32 v[6:7], v[14:15], v[158:159], v[4:5] neg_lo:[0,0,1] neg_hi:[0,0,1]
	v_pk_fma_f32 v[4:5], v[14:15], v[158:159], v[4:5] op_sel_hi:[1,0,1]
	s_nop 0
	v_mov_b32_e32 v4, v161
	v_mov_b32_e32 v7, v5
	v_pk_mul_f32 v[4:5], v[16:17], v[4:5] op_sel:[1,0] op_sel_hi:[0,0]
	v_pk_add_f32 v[2:3], v[2:3], v[6:7]
	v_pk_fma_f32 v[6:7], v[16:17], v[160:161], v[4:5] neg_lo:[0,0,1] neg_hi:[0,0,1]
	v_pk_fma_f32 v[4:5], v[16:17], v[160:161], v[4:5] op_sel_hi:[1,0,1]
	s_nop 0
	v_mov_b32_e32 v7, v5
	scratch_load_dwordx2 v[4:5], off, off offset:16
	v_pk_add_f32 v[2:3], v[2:3], v[6:7]
	s_waitcnt vmcnt(0)
	v_pk_add_f32 v[2:3], v[4:5], v[2:3] neg_lo:[0,1] neg_hi:[0,1]
	scratch_store_dwordx2 off, v[2:3], off offset:16
	s_and_saveexec_b64 s[0:1], vcc
	s_cbranch_execz .LBB114_317
; %bb.316:
	scratch_load_dwordx2 v[2:3], off, off offset:8
	v_mov_b32_e32 v4, 0
	v_mov_b32_e32 v5, v4
	scratch_store_dwordx2 off, v[4:5], off offset:8
	s_waitcnt vmcnt(1)
	ds_write_b64 v1, v[2:3]
.LBB114_317:
	s_or_b64 exec, exec, s[0:1]
	v_mov_b32_e32 v234, 0
	s_waitcnt lgkmcnt(0)
	; wave barrier
	ds_read_b128 v[14:17], v234 offset:432
	ds_read_b128 v[10:13], v234 offset:448
	;; [unrolled: 1-line block ×4, first 2 shown]
	scratch_load_dwordx4 v[18:21], off, off offset:16
	scratch_load_dwordx4 v[38:41], off, off offset:80
	;; [unrolled: 1-line block ×15, first 2 shown]
	v_cmp_ne_u32_e32 vcc, 0, v0
	scratch_load_dwordx4 v[46:49], off, off offset:96
	scratch_load_dwordx4 v[54:57], off, off offset:112
	;; [unrolled: 1-line block ×3, first 2 shown]
	ds_read_b128 v[134:137], v234 offset:688
	ds_read_b128 v[142:145], v234 offset:704
	;; [unrolled: 1-line block ×5, first 2 shown]
	s_waitcnt vmcnt(17) lgkmcnt(8)
	v_mul_f32_e32 v22, v14, v19
	v_fmac_f32_e32 v22, v15, v18
	v_mul_f32_e32 v23, v16, v21
	v_add_f32_e32 v22, 0, v22
	v_fmac_f32_e32 v23, v17, v20
	v_add_f32_e32 v26, v22, v23
	scratch_load_dwordx4 v[22:25], off, off offset:32
	v_mul_f32_e32 v15, v15, v19
	v_fma_f32 v14, v14, v18, -v15
	v_mul_f32_e32 v15, v17, v21
	v_add_f32_e32 v14, 0, v14
	v_fma_f32 v15, v16, v20, -v15
	v_add_f32_e32 v14, v14, v15
	s_waitcnt vmcnt(5) lgkmcnt(1)
	v_mul_f32_e32 v167, v160, v239
	s_waitcnt vmcnt(4)
	v_mov_b32_e32 v18, v247
	v_fmac_f32_e32 v167, v161, v238
	s_waitcnt lgkmcnt(0)
	v_mul_f32_e32 v169, v240, v245
	v_pk_mul_f32 v[18:19], v[242:243], v[18:19] op_sel:[1,0] op_sel_hi:[0,0]
	v_fmac_f32_e32 v169, v241, v244
	v_pk_fma_f32 v[20:21], v[242:243], v[246:247], v[18:19] neg_lo:[0,0,1] neg_hi:[0,0,1]
	v_pk_fma_f32 v[18:19], v[242:243], v[246:247], v[18:19] op_sel_hi:[1,0,1]
	s_waitcnt vmcnt(0)
	v_mul_f32_e32 v27, v10, v23
	v_fmac_f32_e32 v27, v11, v22
	v_add_f32_e32 v26, v26, v27
	v_mul_f32_e32 v27, v12, v25
	v_fmac_f32_e32 v27, v13, v24
	v_add_f32_e32 v30, v26, v27
	scratch_load_dwordx4 v[26:29], off, off offset:48
	v_mul_f32_e32 v11, v11, v23
	v_fma_f32 v10, v10, v22, -v11
	v_mul_f32_e32 v11, v13, v25
	v_add_f32_e32 v10, v14, v10
	v_fma_f32 v11, v12, v24, -v11
	v_add_f32_e32 v10, v10, v11
	v_mov_b32_e32 v21, v19
	s_waitcnt vmcnt(0)
	v_mul_f32_e32 v31, v6, v27
	v_fmac_f32_e32 v31, v7, v26
	v_add_f32_e32 v30, v30, v31
	v_mul_f32_e32 v31, v8, v29
	v_fmac_f32_e32 v31, v9, v28
	v_add_f32_e32 v34, v30, v31
	scratch_load_dwordx4 v[30:33], off, off offset:64
	v_mul_f32_e32 v7, v7, v27
	v_fma_f32 v6, v6, v26, -v7
	v_mul_f32_e32 v7, v9, v29
	v_add_f32_e32 v6, v10, v6
	v_fma_f32 v7, v8, v28, -v7
	v_add_f32_e32 v6, v6, v7
	s_waitcnt vmcnt(0)
	v_mul_f32_e32 v35, v2, v31
	v_fmac_f32_e32 v35, v3, v30
	v_add_f32_e32 v34, v34, v35
	v_mul_f32_e32 v35, v4, v33
	v_fmac_f32_e32 v35, v5, v32
	v_add_f32_e32 v42, v34, v35
	ds_read_b128 v[34:37], v234 offset:496
	v_mul_f32_e32 v3, v3, v31
	v_fma_f32 v2, v2, v30, -v3
	v_mul_f32_e32 v3, v5, v33
	v_add_f32_e32 v2, v6, v2
	s_waitcnt lgkmcnt(0)
	v_mul_f32_e32 v43, v34, v39
	v_fmac_f32_e32 v43, v35, v38
	v_add_f32_e32 v42, v42, v43
	v_mul_f32_e32 v43, v36, v41
	v_fmac_f32_e32 v43, v37, v40
	v_add_f32_e32 v50, v42, v43
	ds_read_b128 v[42:45], v234 offset:512
	v_fma_f32 v3, v4, v32, -v3
	v_add_f32_e32 v2, v2, v3
	v_mul_f32_e32 v3, v35, v39
	v_fma_f32 v3, v34, v38, -v3
	s_waitcnt lgkmcnt(0)
	v_mul_f32_e32 v51, v42, v47
	v_fmac_f32_e32 v51, v43, v46
	v_add_f32_e32 v50, v50, v51
	v_mul_f32_e32 v51, v44, v49
	v_fmac_f32_e32 v51, v45, v48
	v_add_f32_e32 v58, v50, v51
	ds_read_b128 v[50:53], v234 offset:528
	v_add_f32_e32 v2, v2, v3
	v_mul_f32_e32 v3, v37, v41
	v_fma_f32 v3, v36, v40, -v3
	v_add_f32_e32 v2, v2, v3
	s_waitcnt lgkmcnt(0)
	v_mul_f32_e32 v59, v50, v55
	v_fmac_f32_e32 v59, v51, v54
	v_add_f32_e32 v58, v58, v59
	v_mul_f32_e32 v59, v52, v57
	v_fmac_f32_e32 v59, v53, v56
	v_add_f32_e32 v66, v58, v59
	ds_read_b128 v[58:61], v234 offset:544
	v_mul_f32_e32 v3, v43, v47
	v_fma_f32 v3, v42, v46, -v3
	v_add_f32_e32 v2, v2, v3
	v_mul_f32_e32 v3, v45, v49
	s_waitcnt lgkmcnt(0)
	v_mul_f32_e32 v67, v58, v63
	v_fmac_f32_e32 v67, v59, v62
	v_add_f32_e32 v66, v66, v67
	v_mul_f32_e32 v67, v60, v65
	v_fmac_f32_e32 v67, v61, v64
	v_add_f32_e32 v74, v66, v67
	ds_read_b128 v[66:69], v234 offset:560
	v_fma_f32 v3, v44, v48, -v3
	v_add_f32_e32 v2, v2, v3
	v_mul_f32_e32 v3, v51, v55
	v_fma_f32 v3, v50, v54, -v3
	s_waitcnt lgkmcnt(0)
	v_mul_f32_e32 v75, v66, v71
	v_fmac_f32_e32 v75, v67, v70
	v_add_f32_e32 v74, v74, v75
	v_mul_f32_e32 v75, v68, v73
	v_fmac_f32_e32 v75, v69, v72
	v_add_f32_e32 v82, v74, v75
	ds_read_b128 v[74:77], v234 offset:576
	v_add_f32_e32 v2, v2, v3
	v_mul_f32_e32 v3, v53, v57
	v_fma_f32 v3, v52, v56, -v3
	v_add_f32_e32 v2, v2, v3
	s_waitcnt lgkmcnt(0)
	v_mul_f32_e32 v83, v74, v79
	v_fmac_f32_e32 v83, v75, v78
	v_add_f32_e32 v82, v82, v83
	v_mul_f32_e32 v83, v76, v81
	v_fmac_f32_e32 v83, v77, v80
	v_add_f32_e32 v90, v82, v83
	ds_read_b128 v[82:85], v234 offset:592
	v_mul_f32_e32 v3, v59, v63
	v_fma_f32 v3, v58, v62, -v3
	v_add_f32_e32 v2, v2, v3
	v_mul_f32_e32 v3, v61, v65
	;; [unrolled: 36-line block ×3, first 2 shown]
	s_waitcnt lgkmcnt(0)
	v_mul_f32_e32 v115, v106, v111
	v_fmac_f32_e32 v115, v107, v110
	v_add_f32_e32 v114, v114, v115
	v_mul_f32_e32 v115, v108, v113
	v_fmac_f32_e32 v115, v109, v112
	v_add_f32_e32 v122, v114, v115
	ds_read_b128 v[114:117], v234 offset:656
	v_fma_f32 v3, v76, v80, -v3
	v_add_f32_e32 v2, v2, v3
	v_mul_f32_e32 v3, v83, v87
	v_fma_f32 v3, v82, v86, -v3
	s_waitcnt lgkmcnt(0)
	v_mul_f32_e32 v123, v114, v119
	v_fmac_f32_e32 v123, v115, v118
	v_add_f32_e32 v122, v122, v123
	v_mul_f32_e32 v123, v116, v121
	v_fmac_f32_e32 v123, v117, v120
	v_add_f32_e32 v130, v122, v123
	ds_read_b128 v[122:125], v234 offset:672
	scratch_load_dwordx4 v[248:251], off, off offset:352
	scratch_load_dwordx4 v[252:255], off, off offset:368
	;; [unrolled: 1-line block ×3, first 2 shown]
	scratch_load_dwordx2 v[170:171], off, off offset:400
	v_add_f32_e32 v2, v2, v3
	v_mul_f32_e32 v3, v85, v89
	v_fma_f32 v3, v84, v88, -v3
	v_add_f32_e32 v2, v2, v3
	v_mul_f32_e32 v3, v91, v95
	v_fma_f32 v3, v90, v94, -v3
	v_add_f32_e32 v2, v2, v3
	v_mul_f32_e32 v3, v93, v97
	v_fma_f32 v3, v92, v96, -v3
	v_add_f32_e32 v2, v2, v3
	v_mul_f32_e32 v3, v99, v103
	v_fma_f32 v3, v98, v102, -v3
	v_add_f32_e32 v2, v2, v3
	v_mul_f32_e32 v3, v101, v105
	v_fma_f32 v3, v100, v104, -v3
	v_add_f32_e32 v2, v2, v3
	v_mul_f32_e32 v3, v107, v111
	v_fma_f32 v3, v106, v110, -v3
	v_add_f32_e32 v2, v2, v3
	v_mul_f32_e32 v3, v109, v113
	v_fma_f32 v3, v108, v112, -v3
	v_add_f32_e32 v2, v2, v3
	v_mul_f32_e32 v3, v115, v119
	v_fma_f32 v3, v114, v118, -v3
	v_add_f32_e32 v2, v2, v3
	v_mul_f32_e32 v3, v117, v121
	v_fma_f32 v3, v116, v120, -v3
	s_waitcnt lgkmcnt(0)
	v_mul_f32_e32 v131, v122, v127
	v_add_f32_e32 v2, v2, v3
	v_mul_f32_e32 v3, v123, v127
	v_fmac_f32_e32 v131, v123, v126
	v_fma_f32 v3, v122, v126, -v3
	v_add_f32_e32 v130, v130, v131
	v_mul_f32_e32 v131, v124, v129
	v_add_f32_e32 v2, v2, v3
	v_mul_f32_e32 v3, v125, v129
	v_fmac_f32_e32 v131, v125, v128
	v_fma_f32 v3, v124, v128, -v3
	v_add_f32_e32 v130, v130, v131
	;; [unrolled: 6-line block ×9, first 2 shown]
	v_add_f32_e32 v130, v2, v3
	v_mul_f32_e32 v2, v161, v239
	v_fma_f32 v166, v160, v238, -v2
	v_mul_f32_e32 v2, v241, v245
	v_fma_f32 v168, v240, v244, -v2
	ds_read_b128 v[2:5], v234 offset:768
	ds_read_b128 v[6:9], v234 offset:784
	;; [unrolled: 1-line block ×3, first 2 shown]
	ds_read_b64 v[14:15], v234 offset:816
	v_pk_add_f32 v[16:17], v[130:131], v[166:167]
	s_waitcnt vmcnt(3) lgkmcnt(3)
	v_pk_mul_f32 v[18:19], v[2:3], v[248:249] op_sel:[1,1] op_sel_hi:[0,1]
	v_pk_add_f32 v[16:17], v[16:17], v[168:169]
	s_nop 0
	v_pk_add_f32 v[16:17], v[16:17], v[20:21]
	v_pk_fma_f32 v[20:21], v[2:3], v[248:249], v[18:19] neg_lo:[0,0,1] neg_hi:[0,0,1]
	v_pk_fma_f32 v[2:3], v[2:3], v[248:249], v[18:19] op_sel_hi:[1,0,1]
	s_nop 0
	v_mov_b32_e32 v21, v3
	v_pk_add_f32 v[2:3], v[16:17], v[20:21]
	v_mov_b32_e32 v16, v251
	v_pk_mul_f32 v[16:17], v[4:5], v[16:17] op_sel:[1,0] op_sel_hi:[0,0]
	v_pk_fma_f32 v[18:19], v[4:5], v[250:251], v[16:17] neg_lo:[0,0,1] neg_hi:[0,0,1]
	v_pk_fma_f32 v[4:5], v[4:5], v[250:251], v[16:17] op_sel_hi:[1,0,1]
	s_nop 0
	v_mov_b32_e32 v19, v5
	s_waitcnt vmcnt(2) lgkmcnt(2)
	v_pk_mul_f32 v[4:5], v[6:7], v[252:253] op_sel:[1,1] op_sel_hi:[0,1]
	v_pk_fma_f32 v[16:17], v[6:7], v[252:253], v[4:5] neg_lo:[0,0,1] neg_hi:[0,0,1]
	v_pk_fma_f32 v[4:5], v[6:7], v[252:253], v[4:5] op_sel_hi:[1,0,1]
	v_pk_add_f32 v[2:3], v[2:3], v[18:19]
	v_mov_b32_e32 v4, v255
	v_mov_b32_e32 v17, v5
	v_pk_mul_f32 v[4:5], v[8:9], v[4:5] op_sel:[1,0] op_sel_hi:[0,0]
	v_pk_fma_f32 v[6:7], v[8:9], v[254:255], v[4:5] neg_lo:[0,0,1] neg_hi:[0,0,1]
	v_pk_fma_f32 v[4:5], v[8:9], v[254:255], v[4:5] op_sel_hi:[1,0,1]
	v_pk_add_f32 v[2:3], v[2:3], v[16:17]
	v_mov_b32_e32 v7, v5
	s_waitcnt vmcnt(1) lgkmcnt(1)
	v_pk_mul_f32 v[4:5], v[10:11], v[162:163] op_sel:[1,1] op_sel_hi:[0,1]
	v_pk_add_f32 v[2:3], v[2:3], v[6:7]
	v_pk_fma_f32 v[6:7], v[10:11], v[162:163], v[4:5] neg_lo:[0,0,1] neg_hi:[0,0,1]
	v_pk_fma_f32 v[4:5], v[10:11], v[162:163], v[4:5] op_sel_hi:[1,0,1]
	s_nop 0
	v_mov_b32_e32 v4, v165
	v_mov_b32_e32 v7, v5
	v_pk_mul_f32 v[4:5], v[12:13], v[4:5] op_sel:[1,0] op_sel_hi:[0,0]
	v_pk_add_f32 v[2:3], v[2:3], v[6:7]
	v_pk_fma_f32 v[6:7], v[12:13], v[164:165], v[4:5] neg_lo:[0,0,1] neg_hi:[0,0,1]
	v_pk_fma_f32 v[4:5], v[12:13], v[164:165], v[4:5] op_sel_hi:[1,0,1]
	s_nop 0
	v_mov_b32_e32 v7, v5
	s_waitcnt vmcnt(0) lgkmcnt(0)
	v_pk_mul_f32 v[4:5], v[14:15], v[170:171] op_sel:[1,1] op_sel_hi:[0,1]
	v_pk_add_f32 v[2:3], v[2:3], v[6:7]
	v_pk_fma_f32 v[6:7], v[14:15], v[170:171], v[4:5] neg_lo:[0,0,1] neg_hi:[0,0,1]
	v_pk_fma_f32 v[4:5], v[14:15], v[170:171], v[4:5] op_sel_hi:[1,0,1]
	s_nop 0
	v_mov_b32_e32 v7, v5
	scratch_load_dwordx2 v[4:5], off, off offset:8
	v_pk_add_f32 v[2:3], v[2:3], v[6:7]
	s_waitcnt vmcnt(0)
	v_pk_add_f32 v[2:3], v[4:5], v[2:3] neg_lo:[0,1] neg_hi:[0,1]
	scratch_store_dwordx2 off, v[2:3], off offset:8
	s_and_saveexec_b64 s[0:1], vcc
	s_cbranch_execz .LBB114_319
; %bb.318:
	scratch_load_dwordx2 v[2:3], off, off
	v_mov_b32_e32 v235, v234
	scratch_store_dwordx2 off, v[234:235], off
	s_waitcnt vmcnt(1)
	ds_write_b64 v1, v[2:3]
.LBB114_319:
	s_or_b64 exec, exec, s[0:1]
	s_waitcnt lgkmcnt(0)
	; wave barrier
	scratch_load_dwordx4 v[4:7], off, off offset:8
	scratch_load_dwordx4 v[12:15], off, off offset:24
	;; [unrolled: 1-line block ×10, first 2 shown]
	ds_read2_b64 v[0:3], v234 offset0:53 offset1:54
	scratch_load_dwordx4 v[84:87], off, off offset:168
	scratch_load_dwordx4 v[92:95], off, off offset:184
	;; [unrolled: 1-line block ×11, first 2 shown]
	s_and_b64 vcc, exec, s[10:11]
	s_waitcnt vmcnt(20) lgkmcnt(0)
	v_mul_f32_e32 v8, v0, v5
	v_fmac_f32_e32 v8, v1, v4
	v_mul_f32_e32 v9, v2, v7
	v_add_f32_e32 v8, 0, v8
	v_fmac_f32_e32 v9, v3, v6
	v_add_f32_e32 v16, v8, v9
	ds_read2_b64 v[8:11], v234 offset0:55 offset1:56
	v_mul_f32_e32 v1, v1, v5
	v_fma_f32 v0, v0, v4, -v1
	v_mul_f32_e32 v1, v3, v7
	v_add_f32_e32 v0, 0, v0
	s_waitcnt vmcnt(19) lgkmcnt(0)
	v_mul_f32_e32 v17, v8, v13
	v_fmac_f32_e32 v17, v9, v12
	v_add_f32_e32 v16, v16, v17
	v_mul_f32_e32 v17, v10, v15
	v_fmac_f32_e32 v17, v11, v14
	v_add_f32_e32 v24, v16, v17
	ds_read2_b64 v[16:19], v234 offset0:57 offset1:58
	v_fma_f32 v1, v2, v6, -v1
	v_add_f32_e32 v0, v0, v1
	v_mul_f32_e32 v1, v9, v13
	v_fma_f32 v1, v8, v12, -v1
	s_waitcnt vmcnt(18) lgkmcnt(0)
	v_mul_f32_e32 v25, v16, v21
	v_fmac_f32_e32 v25, v17, v20
	v_add_f32_e32 v24, v24, v25
	v_mul_f32_e32 v25, v18, v23
	v_fmac_f32_e32 v25, v19, v22
	v_add_f32_e32 v32, v24, v25
	ds_read2_b64 v[24:27], v234 offset0:59 offset1:60
	v_add_f32_e32 v0, v0, v1
	v_mul_f32_e32 v1, v11, v15
	v_fma_f32 v1, v10, v14, -v1
	v_add_f32_e32 v0, v0, v1
	s_waitcnt vmcnt(17) lgkmcnt(0)
	v_mul_f32_e32 v33, v24, v29
	v_fmac_f32_e32 v33, v25, v28
	v_add_f32_e32 v32, v32, v33
	v_mul_f32_e32 v33, v26, v31
	v_fmac_f32_e32 v33, v27, v30
	v_add_f32_e32 v40, v32, v33
	ds_read2_b64 v[32:35], v234 offset0:61 offset1:62
	v_mul_f32_e32 v1, v17, v21
	v_fma_f32 v1, v16, v20, -v1
	v_add_f32_e32 v0, v0, v1
	v_mul_f32_e32 v1, v19, v23
	s_waitcnt vmcnt(16) lgkmcnt(0)
	v_mul_f32_e32 v41, v32, v37
	v_fmac_f32_e32 v41, v33, v36
	v_add_f32_e32 v40, v40, v41
	v_mul_f32_e32 v41, v34, v39
	v_fmac_f32_e32 v41, v35, v38
	v_add_f32_e32 v48, v40, v41
	ds_read2_b64 v[40:43], v234 offset0:63 offset1:64
	v_fma_f32 v1, v18, v22, -v1
	v_add_f32_e32 v0, v0, v1
	v_mul_f32_e32 v1, v25, v29
	v_fma_f32 v1, v24, v28, -v1
	s_waitcnt vmcnt(15) lgkmcnt(0)
	v_mul_f32_e32 v49, v40, v45
	v_fmac_f32_e32 v49, v41, v44
	v_add_f32_e32 v48, v48, v49
	v_mul_f32_e32 v49, v42, v47
	v_fmac_f32_e32 v49, v43, v46
	v_add_f32_e32 v56, v48, v49
	ds_read2_b64 v[48:51], v234 offset0:65 offset1:66
	v_add_f32_e32 v0, v0, v1
	v_mul_f32_e32 v1, v27, v31
	v_fma_f32 v1, v26, v30, -v1
	v_add_f32_e32 v0, v0, v1
	s_waitcnt vmcnt(14) lgkmcnt(0)
	v_mul_f32_e32 v57, v48, v53
	v_fmac_f32_e32 v57, v49, v52
	v_add_f32_e32 v56, v56, v57
	v_mul_f32_e32 v57, v50, v55
	v_fmac_f32_e32 v57, v51, v54
	v_add_f32_e32 v64, v56, v57
	ds_read2_b64 v[56:59], v234 offset0:67 offset1:68
	v_mul_f32_e32 v1, v33, v37
	v_fma_f32 v1, v32, v36, -v1
	v_add_f32_e32 v0, v0, v1
	v_mul_f32_e32 v1, v35, v39
	;; [unrolled: 36-line block ×6, first 2 shown]
	s_waitcnt vmcnt(1) lgkmcnt(0)
	v_mul_f32_e32 v163, v154, v159
	v_fmac_f32_e32 v163, v155, v158
	v_add_f32_e32 v162, v162, v163
	v_mul_f32_e32 v163, v156, v161
	v_fmac_f32_e32 v163, v157, v160
	v_add_f32_e32 v167, v162, v163
	ds_read2_b64 v[162:165], v234 offset0:93 offset1:94
	scratch_load_dwordx4 v[240:243], off, off offset:344
	scratch_load_dwordx4 v[244:247], off, off offset:360
	;; [unrolled: 1-line block ×4, first 2 shown]
	v_fma_f32 v1, v98, v102, -v1
	v_add_f32_e32 v0, v0, v1
	v_mul_f32_e32 v1, v105, v109
	v_fma_f32 v1, v104, v108, -v1
	v_add_f32_e32 v0, v0, v1
	v_mul_f32_e32 v1, v107, v111
	;; [unrolled: 3-line block ×14, first 2 shown]
	v_fma_f32 v1, v156, v160, -v1
	v_add_f32_e32 v166, v0, v1
	s_waitcnt vmcnt(4) lgkmcnt(0)
	v_mul_f32_e32 v0, v163, v237
	v_fma_f32 v168, v162, v236, -v0
	v_mul_f32_e32 v0, v165, v239
	v_fma_f32 v170, v164, v238, -v0
	ds_read2_b64 v[0:3], v234 offset0:95 offset1:96
	ds_read2_b64 v[4:7], v234 offset0:97 offset1:98
	;; [unrolled: 1-line block ×4, first 2 shown]
	v_mul_f32_e32 v169, v162, v237
	v_fmac_f32_e32 v169, v163, v236
	v_mul_f32_e32 v171, v164, v239
	v_fmac_f32_e32 v171, v165, v238
	v_pk_add_f32 v[16:17], v[166:167], v[168:169]
	s_waitcnt vmcnt(3) lgkmcnt(3)
	v_pk_mul_f32 v[18:19], v[0:1], v[240:241] op_sel:[1,1] op_sel_hi:[0,1]
	v_pk_fma_f32 v[20:21], v[0:1], v[240:241], v[18:19] neg_lo:[0,0,1] neg_hi:[0,0,1]
	v_pk_fma_f32 v[0:1], v[0:1], v[240:241], v[18:19] op_sel_hi:[1,0,1]
	v_pk_add_f32 v[16:17], v[16:17], v[170:171]
	v_mov_b32_e32 v21, v1
	v_pk_add_f32 v[0:1], v[16:17], v[20:21]
	v_mov_b32_e32 v16, v243
	v_pk_mul_f32 v[16:17], v[2:3], v[16:17] op_sel:[1,0] op_sel_hi:[0,0]
	v_pk_fma_f32 v[18:19], v[2:3], v[242:243], v[16:17] neg_lo:[0,0,1] neg_hi:[0,0,1]
	v_pk_fma_f32 v[2:3], v[2:3], v[242:243], v[16:17] op_sel_hi:[1,0,1]
	s_nop 0
	v_mov_b32_e32 v19, v3
	s_waitcnt vmcnt(2) lgkmcnt(2)
	v_pk_mul_f32 v[2:3], v[4:5], v[244:245] op_sel:[1,1] op_sel_hi:[0,1]
	v_pk_fma_f32 v[16:17], v[4:5], v[244:245], v[2:3] neg_lo:[0,0,1] neg_hi:[0,0,1]
	v_pk_fma_f32 v[2:3], v[4:5], v[244:245], v[2:3] op_sel_hi:[1,0,1]
	v_pk_add_f32 v[0:1], v[0:1], v[18:19]
	v_mov_b32_e32 v2, v247
	v_mov_b32_e32 v17, v3
	v_pk_mul_f32 v[2:3], v[6:7], v[2:3] op_sel:[1,0] op_sel_hi:[0,0]
	v_pk_fma_f32 v[4:5], v[6:7], v[246:247], v[2:3] neg_lo:[0,0,1] neg_hi:[0,0,1]
	v_pk_fma_f32 v[2:3], v[6:7], v[246:247], v[2:3] op_sel_hi:[1,0,1]
	v_pk_add_f32 v[0:1], v[0:1], v[16:17]
	v_mov_b32_e32 v5, v3
	s_waitcnt vmcnt(1) lgkmcnt(1)
	v_pk_mul_f32 v[2:3], v[8:9], v[248:249] op_sel:[1,1] op_sel_hi:[0,1]
	v_pk_add_f32 v[0:1], v[0:1], v[4:5]
	v_pk_fma_f32 v[4:5], v[8:9], v[248:249], v[2:3] neg_lo:[0,0,1] neg_hi:[0,0,1]
	v_pk_fma_f32 v[2:3], v[8:9], v[248:249], v[2:3] op_sel_hi:[1,0,1]
	s_nop 0
	v_mov_b32_e32 v2, v251
	v_mov_b32_e32 v5, v3
	v_pk_mul_f32 v[2:3], v[10:11], v[2:3] op_sel:[1,0] op_sel_hi:[0,0]
	v_pk_add_f32 v[0:1], v[0:1], v[4:5]
	v_pk_fma_f32 v[4:5], v[10:11], v[250:251], v[2:3] neg_lo:[0,0,1] neg_hi:[0,0,1]
	v_pk_fma_f32 v[2:3], v[10:11], v[250:251], v[2:3] op_sel_hi:[1,0,1]
	s_nop 0
	v_mov_b32_e32 v5, v3
	s_waitcnt vmcnt(0) lgkmcnt(0)
	v_pk_mul_f32 v[2:3], v[12:13], v[252:253] op_sel:[1,1] op_sel_hi:[0,1]
	v_pk_add_f32 v[0:1], v[0:1], v[4:5]
	v_pk_fma_f32 v[4:5], v[12:13], v[252:253], v[2:3] neg_lo:[0,0,1] neg_hi:[0,0,1]
	v_pk_fma_f32 v[2:3], v[12:13], v[252:253], v[2:3] op_sel_hi:[1,0,1]
	s_nop 0
	v_mov_b32_e32 v2, v255
	v_mov_b32_e32 v5, v3
	v_pk_mul_f32 v[2:3], v[14:15], v[2:3] op_sel:[1,0] op_sel_hi:[0,0]
	v_pk_add_f32 v[0:1], v[0:1], v[4:5]
	v_pk_fma_f32 v[4:5], v[14:15], v[254:255], v[2:3] neg_lo:[0,0,1] neg_hi:[0,0,1]
	v_pk_fma_f32 v[2:3], v[14:15], v[254:255], v[2:3] op_sel_hi:[1,0,1]
	s_nop 0
	v_mov_b32_e32 v5, v3
	scratch_load_dwordx2 v[2:3], off, off
	v_pk_add_f32 v[0:1], v[0:1], v[4:5]
	s_waitcnt vmcnt(0)
	v_pk_add_f32 v[0:1], v[2:3], v[0:1] neg_lo:[0,1] neg_hi:[0,1]
	scratch_store_dwordx2 off, v[0:1], off
	s_cbranch_vccz .LBB114_420
; %bb.320:
	v_mov_b32_e32 v0, 0
	global_load_dword v1, v0, s[8:9] offset:196
	s_waitcnt vmcnt(0)
	v_readfirstlane_b32 s0, v1
	s_add_i32 s0, s0, -1
	s_cmp_lg_u32 s0, 49
	s_cbranch_scc0 .LBB114_322
; %bb.321:
	s_lshl_b32 s0, s0, 3
	s_nop 0
	scratch_load_dwordx2 v[2:3], off, s0
	scratch_load_dwordx2 v[4:5], off, off offset:392
	s_waitcnt vmcnt(1)
	scratch_store_dwordx2 off, v[2:3], off offset:392
	s_waitcnt vmcnt(1)
	scratch_store_dwordx2 off, v[4:5], s0
.LBB114_322:
	global_load_dword v0, v0, s[8:9] offset:192
	s_waitcnt vmcnt(0)
	v_readfirstlane_b32 s0, v0
	s_add_i32 s0, s0, -1
	s_cmp_eq_u32 s0, 48
	s_cbranch_scc1 .LBB114_324
; %bb.323:
	s_lshl_b32 s0, s0, 3
	s_nop 0
	scratch_load_dwordx2 v[0:1], off, s0
	scratch_load_dwordx2 v[2:3], off, off offset:384
	s_waitcnt vmcnt(1)
	scratch_store_dwordx2 off, v[0:1], off offset:384
	s_waitcnt vmcnt(1)
	scratch_store_dwordx2 off, v[2:3], s0
.LBB114_324:
	v_mov_b32_e32 v0, 0
	global_load_dword v1, v0, s[8:9] offset:188
	s_waitcnt vmcnt(0)
	v_readfirstlane_b32 s0, v1
	s_add_i32 s0, s0, -1
	s_cmp_eq_u32 s0, 47
	s_cbranch_scc1 .LBB114_326
; %bb.325:
	s_lshl_b32 s0, s0, 3
	s_nop 0
	scratch_load_dwordx2 v[2:3], off, s0
	scratch_load_dwordx2 v[4:5], off, off offset:376
	s_waitcnt vmcnt(1)
	scratch_store_dwordx2 off, v[2:3], off offset:376
	s_waitcnt vmcnt(1)
	scratch_store_dwordx2 off, v[4:5], s0
.LBB114_326:
	global_load_dword v0, v0, s[8:9] offset:184
	s_waitcnt vmcnt(0)
	v_readfirstlane_b32 s0, v0
	s_add_i32 s0, s0, -1
	s_cmp_eq_u32 s0, 46
	s_cbranch_scc1 .LBB114_328
; %bb.327:
	s_lshl_b32 s0, s0, 3
	s_nop 0
	scratch_load_dwordx2 v[0:1], off, s0
	scratch_load_dwordx2 v[2:3], off, off offset:368
	s_waitcnt vmcnt(1)
	scratch_store_dwordx2 off, v[0:1], off offset:368
	s_waitcnt vmcnt(1)
	scratch_store_dwordx2 off, v[2:3], s0
.LBB114_328:
	v_mov_b32_e32 v0, 0
	global_load_dword v1, v0, s[8:9] offset:180
	s_waitcnt vmcnt(0)
	v_readfirstlane_b32 s0, v1
	s_add_i32 s0, s0, -1
	s_cmp_eq_u32 s0, 45
	s_cbranch_scc1 .LBB114_330
; %bb.329:
	s_lshl_b32 s0, s0, 3
	s_nop 0
	scratch_load_dwordx2 v[2:3], off, s0
	scratch_load_dwordx2 v[4:5], off, off offset:360
	s_waitcnt vmcnt(1)
	scratch_store_dwordx2 off, v[2:3], off offset:360
	s_waitcnt vmcnt(1)
	scratch_store_dwordx2 off, v[4:5], s0
.LBB114_330:
	;; [unrolled: 33-line block ×24, first 2 shown]
	global_load_dword v2, v0, s[8:9]
	s_nop 0
	scratch_load_dwordx2 v[0:1], off, off
	s_waitcnt vmcnt(1)
	v_readfirstlane_b32 s0, v2
	s_add_i32 s0, s0, -1
	s_cmp_eq_u32 s0, 0
	s_cbranch_scc1 .LBB114_420
; %bb.419:
	s_lshl_b32 s0, s0, 3
	s_nop 0
	scratch_load_dwordx2 v[2:3], off, s0
	s_waitcnt vmcnt(0)
	scratch_store_dwordx2 off, v[2:3], off
	scratch_store_dwordx2 off, v[0:1], s0
	scratch_load_dwordx2 v[0:1], off, off
.LBB114_420:
	s_waitcnt vmcnt(0)
	flat_store_dwordx2 v[132:133], v[0:1]
	scratch_load_dwordx2 v[0:1], off, off offset:8
	v_accvgpr_read_b32 v3, a1
	v_accvgpr_read_b32 v2, a0
	s_waitcnt vmcnt(0)
	flat_store_dwordx2 v[2:3], v[0:1]
	scratch_load_dwordx2 v[0:1], off, off offset:16
	v_accvgpr_read_b32 v2, a2
	v_accvgpr_read_b32 v3, a3
	;; [unrolled: 5-line block ×19, first 2 shown]
	s_waitcnt vmcnt(0)
	flat_store_dwordx2 v[2:3], v[0:1]
	scratch_load_dwordx2 v[0:1], off, off offset:160
	s_waitcnt vmcnt(0)
	flat_store_dwordx2 v[172:173], v[0:1]
	scratch_load_dwordx2 v[0:1], off, off offset:168
	;; [unrolled: 3-line block ×31, first 2 shown]
	s_waitcnt vmcnt(0)
	flat_store_dwordx2 v[232:233], v[0:1]
	s_endpgm
	.section	.rodata,"a",@progbits
	.p2align	6, 0x0
	.amdhsa_kernel _ZN9rocsolver6v33100L18getri_kernel_smallILi51E19rocblas_complex_numIfEPKPS3_EEvT1_iilPiilS8_bb
		.amdhsa_group_segment_fixed_size 824
		.amdhsa_private_segment_fixed_size 416
		.amdhsa_kernarg_size 60
		.amdhsa_user_sgpr_count 2
		.amdhsa_user_sgpr_dispatch_ptr 0
		.amdhsa_user_sgpr_queue_ptr 0
		.amdhsa_user_sgpr_kernarg_segment_ptr 1
		.amdhsa_user_sgpr_dispatch_id 0
		.amdhsa_user_sgpr_kernarg_preload_length 0
		.amdhsa_user_sgpr_kernarg_preload_offset 0
		.amdhsa_user_sgpr_private_segment_size 0
		.amdhsa_uses_dynamic_stack 0
		.amdhsa_enable_private_segment 1
		.amdhsa_system_sgpr_workgroup_id_x 1
		.amdhsa_system_sgpr_workgroup_id_y 0
		.amdhsa_system_sgpr_workgroup_id_z 0
		.amdhsa_system_sgpr_workgroup_info 0
		.amdhsa_system_vgpr_workitem_id 0
		.amdhsa_next_free_vgpr 294
		.amdhsa_next_free_sgpr 17
		.amdhsa_accum_offset 256
		.amdhsa_reserve_vcc 1
		.amdhsa_float_round_mode_32 0
		.amdhsa_float_round_mode_16_64 0
		.amdhsa_float_denorm_mode_32 3
		.amdhsa_float_denorm_mode_16_64 3
		.amdhsa_dx10_clamp 1
		.amdhsa_ieee_mode 1
		.amdhsa_fp16_overflow 0
		.amdhsa_tg_split 0
		.amdhsa_exception_fp_ieee_invalid_op 0
		.amdhsa_exception_fp_denorm_src 0
		.amdhsa_exception_fp_ieee_div_zero 0
		.amdhsa_exception_fp_ieee_overflow 0
		.amdhsa_exception_fp_ieee_underflow 0
		.amdhsa_exception_fp_ieee_inexact 0
		.amdhsa_exception_int_div_zero 0
	.end_amdhsa_kernel
	.section	.text._ZN9rocsolver6v33100L18getri_kernel_smallILi51E19rocblas_complex_numIfEPKPS3_EEvT1_iilPiilS8_bb,"axG",@progbits,_ZN9rocsolver6v33100L18getri_kernel_smallILi51E19rocblas_complex_numIfEPKPS3_EEvT1_iilPiilS8_bb,comdat
.Lfunc_end114:
	.size	_ZN9rocsolver6v33100L18getri_kernel_smallILi51E19rocblas_complex_numIfEPKPS3_EEvT1_iilPiilS8_bb, .Lfunc_end114-_ZN9rocsolver6v33100L18getri_kernel_smallILi51E19rocblas_complex_numIfEPKPS3_EEvT1_iilPiilS8_bb
                                        ; -- End function
	.set _ZN9rocsolver6v33100L18getri_kernel_smallILi51E19rocblas_complex_numIfEPKPS3_EEvT1_iilPiilS8_bb.num_vgpr, 256
	.set _ZN9rocsolver6v33100L18getri_kernel_smallILi51E19rocblas_complex_numIfEPKPS3_EEvT1_iilPiilS8_bb.num_agpr, 38
	.set _ZN9rocsolver6v33100L18getri_kernel_smallILi51E19rocblas_complex_numIfEPKPS3_EEvT1_iilPiilS8_bb.numbered_sgpr, 17
	.set _ZN9rocsolver6v33100L18getri_kernel_smallILi51E19rocblas_complex_numIfEPKPS3_EEvT1_iilPiilS8_bb.num_named_barrier, 0
	.set _ZN9rocsolver6v33100L18getri_kernel_smallILi51E19rocblas_complex_numIfEPKPS3_EEvT1_iilPiilS8_bb.private_seg_size, 416
	.set _ZN9rocsolver6v33100L18getri_kernel_smallILi51E19rocblas_complex_numIfEPKPS3_EEvT1_iilPiilS8_bb.uses_vcc, 1
	.set _ZN9rocsolver6v33100L18getri_kernel_smallILi51E19rocblas_complex_numIfEPKPS3_EEvT1_iilPiilS8_bb.uses_flat_scratch, 0
	.set _ZN9rocsolver6v33100L18getri_kernel_smallILi51E19rocblas_complex_numIfEPKPS3_EEvT1_iilPiilS8_bb.has_dyn_sized_stack, 0
	.set _ZN9rocsolver6v33100L18getri_kernel_smallILi51E19rocblas_complex_numIfEPKPS3_EEvT1_iilPiilS8_bb.has_recursion, 0
	.set _ZN9rocsolver6v33100L18getri_kernel_smallILi51E19rocblas_complex_numIfEPKPS3_EEvT1_iilPiilS8_bb.has_indirect_call, 0
	.section	.AMDGPU.csdata,"",@progbits
; Kernel info:
; codeLenInByte = 76472
; TotalNumSgprs: 23
; NumVgprs: 256
; NumAgprs: 38
; TotalNumVgprs: 294
; ScratchSize: 416
; MemoryBound: 0
; FloatMode: 240
; IeeeMode: 1
; LDSByteSize: 824 bytes/workgroup (compile time only)
; SGPRBlocks: 2
; VGPRBlocks: 36
; NumSGPRsForWavesPerEU: 23
; NumVGPRsForWavesPerEU: 294
; AccumOffset: 256
; Occupancy: 1
; WaveLimiterHint : 1
; COMPUTE_PGM_RSRC2:SCRATCH_EN: 1
; COMPUTE_PGM_RSRC2:USER_SGPR: 2
; COMPUTE_PGM_RSRC2:TRAP_HANDLER: 0
; COMPUTE_PGM_RSRC2:TGID_X_EN: 1
; COMPUTE_PGM_RSRC2:TGID_Y_EN: 0
; COMPUTE_PGM_RSRC2:TGID_Z_EN: 0
; COMPUTE_PGM_RSRC2:TIDIG_COMP_CNT: 0
; COMPUTE_PGM_RSRC3_GFX90A:ACCUM_OFFSET: 63
; COMPUTE_PGM_RSRC3_GFX90A:TG_SPLIT: 0
	.section	.text._ZN9rocsolver6v33100L18getri_kernel_smallILi52E19rocblas_complex_numIfEPKPS3_EEvT1_iilPiilS8_bb,"axG",@progbits,_ZN9rocsolver6v33100L18getri_kernel_smallILi52E19rocblas_complex_numIfEPKPS3_EEvT1_iilPiilS8_bb,comdat
	.globl	_ZN9rocsolver6v33100L18getri_kernel_smallILi52E19rocblas_complex_numIfEPKPS3_EEvT1_iilPiilS8_bb ; -- Begin function _ZN9rocsolver6v33100L18getri_kernel_smallILi52E19rocblas_complex_numIfEPKPS3_EEvT1_iilPiilS8_bb
	.p2align	8
	.type	_ZN9rocsolver6v33100L18getri_kernel_smallILi52E19rocblas_complex_numIfEPKPS3_EEvT1_iilPiilS8_bb,@function
_ZN9rocsolver6v33100L18getri_kernel_smallILi52E19rocblas_complex_numIfEPKPS3_EEvT1_iilPiilS8_bb: ; @_ZN9rocsolver6v33100L18getri_kernel_smallILi52E19rocblas_complex_numIfEPKPS3_EEvT1_iilPiilS8_bb
; %bb.0:
	v_cmp_gt_u32_e32 vcc, 52, v0
	s_and_saveexec_b64 s[4:5], vcc
	s_cbranch_execz .LBB115_222
; %bb.1:
	s_load_dword s14, s[0:1], 0x38
	s_load_dwordx2 s[8:9], s[0:1], 0x0
	s_load_dwordx4 s[4:7], s[0:1], 0x28
	s_waitcnt lgkmcnt(0)
	s_bitcmp1_b32 s14, 8
	s_cselect_b64 s[10:11], -1, 0
	s_ashr_i32 s3, s2, 31
	s_lshl_b64 s[12:13], s[2:3], 3
	s_add_u32 s8, s8, s12
	s_addc_u32 s9, s9, s13
	s_load_dwordx2 s[12:13], s[8:9], 0x0
	s_bfe_u32 s8, s14, 0x10008
	s_cmp_eq_u32 s8, 0
                                        ; implicit-def: $sgpr8_sgpr9
	s_cbranch_scc1 .LBB115_3
; %bb.2:
	s_load_dword s8, s[0:1], 0x20
	s_load_dwordx2 s[14:15], s[0:1], 0x18
	s_mul_i32 s9, s4, s3
	s_mul_hi_u32 s16, s4, s2
	s_add_i32 s16, s16, s9
	s_mul_i32 s5, s5, s2
	s_add_i32 s5, s16, s5
	s_mul_i32 s4, s4, s2
	s_waitcnt lgkmcnt(0)
	s_ashr_i32 s9, s8, 31
	s_lshl_b64 s[4:5], s[4:5], 2
	s_add_u32 s14, s14, s4
	s_addc_u32 s15, s15, s5
	s_lshl_b64 s[4:5], s[8:9], 2
	s_add_u32 s8, s14, s4
	s_addc_u32 s9, s15, s5
.LBB115_3:
	s_load_dwordx2 s[4:5], s[0:1], 0x8
	s_load_dword s14, s[0:1], 0x38
	v_lshlrev_b32_e32 v2, 3, v0
	v_mov_b32_e32 v3, 0
	s_waitcnt lgkmcnt(0)
	s_ashr_i32 s1, s4, 31
	s_mov_b32 s0, s4
	s_lshl_b64 s[0:1], s[0:1], 3
	s_add_u32 s0, s12, s0
	s_addc_u32 s1, s13, s1
	v_lshl_add_u64 v[140:141], s[0:1], 0, v[2:3]
	flat_load_dwordx2 v[4:5], v[140:141]
	s_mov_b32 s12, s5
	s_ashr_i32 s13, s5, 31
	v_lshl_add_u64 v[6:7], s[12:13], 3, v[140:141]
	v_accvgpr_write_b32 a0, v6
	s_add_i32 s4, s5, s5
	v_accvgpr_write_b32 a1, v7
	s_bitcmp0_b32 s14, 0
	s_waitcnt vmcnt(0) lgkmcnt(0)
	scratch_store_dwordx2 off, v[4:5], off
	flat_load_dwordx2 v[4:5], v[6:7]
	v_add_u32_e32 v6, s4, v0
	v_ashrrev_i32_e32 v7, 31, v6
	v_lshl_add_u64 v[8:9], v[6:7], 3, s[0:1]
	v_add_u32_e32 v6, s5, v6
	v_accvgpr_write_b32 a2, v8
	v_ashrrev_i32_e32 v7, 31, v6
	v_accvgpr_write_b32 a3, v9
	s_waitcnt vmcnt(0) lgkmcnt(0)
	scratch_store_dwordx2 off, v[4:5], off offset:8
	flat_load_dwordx2 v[4:5], v[8:9]
	v_lshl_add_u64 v[8:9], v[6:7], 3, s[0:1]
	v_add_u32_e32 v6, s5, v6
	v_accvgpr_write_b32 a4, v8
	v_ashrrev_i32_e32 v7, 31, v6
	v_accvgpr_write_b32 a5, v9
	s_waitcnt vmcnt(0) lgkmcnt(0)
	scratch_store_dwordx2 off, v[4:5], off offset:16
	flat_load_dwordx2 v[4:5], v[8:9]
	;; [unrolled: 8-line block ×21, first 2 shown]
	v_lshl_add_u64 v[8:9], v[6:7], 3, s[0:1]
	v_add_u32_e32 v6, s5, v6
	v_ashrrev_i32_e32 v7, 31, v6
	v_lshl_add_u64 v[188:189], v[6:7], 3, s[0:1]
	v_add_u32_e32 v6, s5, v6
	v_ashrrev_i32_e32 v7, 31, v6
	;; [unrolled: 3-line block ×26, first 2 shown]
	v_lshl_add_u64 v[238:239], v[6:7], 3, s[0:1]
	s_waitcnt vmcnt(0) lgkmcnt(0)
	scratch_store_dwordx2 off, v[4:5], off offset:176
	flat_load_dwordx2 v[4:5], v[8:9]
	v_add_u32_e32 v6, s5, v6
	v_ashrrev_i32_e32 v7, 31, v6
	v_lshl_add_u64 v[240:241], v[6:7], 3, s[0:1]
	v_add_u32_e32 v6, s5, v6
	v_ashrrev_i32_e32 v7, 31, v6
	v_lshl_add_u64 v[242:243], v[6:7], 3, s[0:1]
	v_accvgpr_write_b32 a45, v9
	v_accvgpr_write_b32 a44, v8
	s_mov_b64 s[4:5], -1
	s_waitcnt vmcnt(0) lgkmcnt(0)
	scratch_store_dwordx2 off, v[4:5], off offset:184
	flat_load_dwordx2 v[4:5], v[188:189]
	s_waitcnt vmcnt(0) lgkmcnt(0)
	scratch_store_dwordx2 off, v[4:5], off offset:192
	flat_load_dwordx2 v[4:5], v[190:191]
	;; [unrolled: 3-line block ×28, first 2 shown]
	s_waitcnt vmcnt(0) lgkmcnt(0)
	scratch_store_dwordx2 off, v[4:5], off offset:408
	s_cbranch_scc1 .LBB115_220
; %bb.4:
	v_cmp_eq_u32_e64 s[0:1], 0, v0
	s_and_saveexec_b64 s[4:5], s[0:1]
; %bb.5:
	v_mov_b32_e32 v1, 0
	ds_write_b32 v1, v1 offset:832
; %bb.6:
	s_or_b64 exec, exec, s[4:5]
	s_waitcnt lgkmcnt(0)
	; wave barrier
	scratch_load_dwordx2 v[4:5], v2, off
	s_waitcnt vmcnt(0)
	v_cmp_eq_f32_e32 vcc, 0, v4
	v_cmp_eq_f32_e64 s[4:5], 0, v5
	s_and_b64 s[4:5], vcc, s[4:5]
	s_and_saveexec_b64 s[12:13], s[4:5]
	s_cbranch_execz .LBB115_10
; %bb.7:
	v_mov_b32_e32 v1, 0
	ds_read_b32 v4, v1 offset:832
	v_add_u32_e32 v3, 1, v0
	s_waitcnt lgkmcnt(0)
	v_readfirstlane_b32 s4, v4
	s_cmp_eq_u32 s4, 0
	s_cselect_b64 s[14:15], -1, 0
	v_cmp_gt_i32_e32 vcc, s4, v3
	s_or_b64 s[14:15], s[14:15], vcc
	s_and_b64 exec, exec, s[14:15]
	s_cbranch_execz .LBB115_10
; %bb.8:
	s_mov_b64 s[14:15], 0
	v_mov_b32_e32 v4, s4
.LBB115_9:                              ; =>This Inner Loop Header: Depth=1
	ds_cmpst_rtn_b32 v4, v1, v4, v3 offset:832
	s_waitcnt lgkmcnt(0)
	v_cmp_ne_u32_e32 vcc, 0, v4
	v_cmp_le_i32_e64 s[4:5], v4, v3
	s_and_b64 s[4:5], vcc, s[4:5]
	s_and_b64 s[4:5], exec, s[4:5]
	s_or_b64 s[14:15], s[4:5], s[14:15]
	s_andn2_b64 exec, exec, s[14:15]
	s_cbranch_execnz .LBB115_9
.LBB115_10:
	s_or_b64 exec, exec, s[12:13]
	v_mov_b32_e32 v3, 0
	; wave barrier
	ds_read_b32 v1, v3 offset:832
	s_and_saveexec_b64 s[4:5], s[0:1]
	s_cbranch_execz .LBB115_12
; %bb.11:
	s_lshl_b64 s[12:13], s[2:3], 2
	s_add_u32 s12, s6, s12
	s_addc_u32 s13, s7, s13
	s_waitcnt lgkmcnt(0)
	global_store_dword v3, v1, s[12:13]
.LBB115_12:
	s_or_b64 exec, exec, s[4:5]
	s_waitcnt lgkmcnt(0)
	v_cmp_ne_u32_e32 vcc, 0, v1
	s_mov_b64 s[4:5], 0
	s_cbranch_vccnz .LBB115_220
; %bb.13:
	v_mov_b32_e32 v3, v2
	scratch_load_dwordx2 v[4:5], v3, off
                                        ; implicit-def: $vgpr7
                                        ; implicit-def: $vgpr8
	s_waitcnt vmcnt(0)
	v_cmp_ngt_f32_e64 s[4:5], |v4|, |v5|
	s_and_saveexec_b64 s[12:13], s[4:5]
	s_xor_b64 s[4:5], exec, s[12:13]
	s_cbranch_execz .LBB115_15
; %bb.14:
	v_div_scale_f32 v1, s[12:13], v5, v5, v4
	v_rcp_f32_e32 v6, v1
	v_div_scale_f32 v7, vcc, v4, v5, v4
	v_fma_f32 v8, -v1, v6, 1.0
	v_fmac_f32_e32 v6, v8, v6
	v_mul_f32_e32 v8, v7, v6
	v_fma_f32 v9, -v1, v8, v7
	v_fmac_f32_e32 v8, v9, v6
	v_fma_f32 v1, -v1, v8, v7
	v_div_fmas_f32 v1, v1, v6, v8
	v_div_fixup_f32 v1, v1, v5, v4
	v_fmac_f32_e32 v5, v4, v1
	v_div_scale_f32 v4, s[12:13], v5, v5, -1.0
	v_rcp_f32_e32 v6, v4
	s_nop 0
	v_fma_f32 v7, -v4, v6, 1.0
	v_fmac_f32_e32 v6, v7, v6
	v_div_scale_f32 v7, vcc, -1.0, v5, -1.0
	v_mul_f32_e32 v8, v7, v6
	v_fma_f32 v9, -v4, v8, v7
	v_fmac_f32_e32 v8, v9, v6
	v_fma_f32 v4, -v4, v8, v7
	v_div_fmas_f32 v4, v4, v6, v8
	v_div_fixup_f32 v7, v4, v5, -1.0
	v_mul_f32_e32 v8, v1, v7
	v_xor_b32_e32 v6, 0x80000000, v8
                                        ; implicit-def: $vgpr4_vgpr5
.LBB115_15:
	s_andn2_saveexec_b64 s[4:5], s[4:5]
	s_cbranch_execz .LBB115_17
; %bb.16:
	v_div_scale_f32 v1, s[12:13], v4, v4, v5
	v_rcp_f32_e32 v6, v1
	v_div_scale_f32 v7, vcc, v5, v4, v5
	v_fma_f32 v8, -v1, v6, 1.0
	v_fmac_f32_e32 v6, v8, v6
	v_mul_f32_e32 v8, v7, v6
	v_fma_f32 v9, -v1, v8, v7
	v_fmac_f32_e32 v8, v9, v6
	v_fma_f32 v1, -v1, v8, v7
	v_div_fmas_f32 v1, v1, v6, v8
	v_div_fixup_f32 v1, v1, v4, v5
	v_fmac_f32_e32 v4, v5, v1
	v_div_scale_f32 v5, s[12:13], v4, v4, 1.0
	v_rcp_f32_e32 v6, v5
	s_nop 0
	v_fma_f32 v7, -v5, v6, 1.0
	v_fmac_f32_e32 v6, v7, v6
	v_div_scale_f32 v7, vcc, 1.0, v4, 1.0
	v_mul_f32_e32 v8, v7, v6
	v_fma_f32 v9, -v5, v8, v7
	v_fmac_f32_e32 v8, v9, v6
	v_fma_f32 v5, -v5, v8, v7
	v_div_fmas_f32 v5, v5, v6, v8
	v_div_fixup_f32 v6, v5, v4, 1.0
	v_xor_b32_e32 v8, 0x80000000, v6
	v_mul_f32_e64 v7, v1, -v6
.LBB115_17:
	s_or_b64 exec, exec, s[4:5]
	scratch_store_dwordx2 v3, v[6:7], off
	scratch_load_dwordx2 v[4:5], off, off offset:8
	v_xor_b32_e32 v9, 0x80000000, v7
	v_add_u32_e32 v1, 0x1a0, v2
	s_waitcnt vmcnt(0)
	ds_write2_b64 v2, v[8:9], v[4:5] offset1:52
	s_waitcnt lgkmcnt(0)
	; wave barrier
	s_and_saveexec_b64 s[4:5], s[0:1]
	s_cbranch_execz .LBB115_19
; %bb.18:
	scratch_load_dwordx2 v[4:5], v3, off
	ds_read_b64 v[6:7], v1
	v_mov_b32_e32 v8, 0
	ds_read_b64 v[8:9], v8 offset:8
	s_waitcnt vmcnt(0) lgkmcnt(1)
	v_pk_mul_f32 v[10:11], v[6:7], v[4:5] op_sel:[1,1] op_sel_hi:[0,1]
	v_pk_fma_f32 v[12:13], v[6:7], v[4:5], v[10:11] neg_lo:[0,0,1] neg_hi:[0,0,1]
	v_pk_fma_f32 v[4:5], v[6:7], v[4:5], v[10:11] op_sel_hi:[1,0,1]
	s_nop 0
	v_mov_b32_e32 v13, v5
	v_pk_add_f32 v[4:5], v[12:13], 0 op_sel_hi:[1,0]
	s_waitcnt lgkmcnt(0)
	v_pk_mul_f32 v[6:7], v[4:5], v[8:9] op_sel:[1,1] op_sel_hi:[0,1]
	v_pk_fma_f32 v[10:11], v[4:5], v[8:9], v[6:7] neg_lo:[0,0,1] neg_hi:[0,0,1]
	v_pk_fma_f32 v[4:5], v[4:5], v[8:9], v[6:7] op_sel_hi:[1,0,1]
	s_nop 0
	v_mov_b32_e32 v11, v5
	scratch_store_dwordx2 off, v[10:11], off offset:8
.LBB115_19:
	s_or_b64 exec, exec, s[4:5]
	; wave barrier
	scratch_load_dwordx2 v[4:5], off, off offset:16
	v_cmp_gt_u32_e32 vcc, 2, v0
	s_waitcnt vmcnt(0)
	ds_write_b64 v1, v[4:5]
	s_waitcnt lgkmcnt(0)
	; wave barrier
	s_and_saveexec_b64 s[4:5], vcc
	s_cbranch_execz .LBB115_23
; %bb.20:
	scratch_load_dwordx2 v[4:5], v3, off
	ds_read_b64 v[6:7], v1
	s_waitcnt vmcnt(0) lgkmcnt(0)
	v_pk_mul_f32 v[8:9], v[6:7], v[4:5] op_sel:[1,1] op_sel_hi:[0,1]
	v_pk_fma_f32 v[10:11], v[6:7], v[4:5], v[8:9] neg_lo:[0,0,1] neg_hi:[0,0,1]
	v_pk_fma_f32 v[4:5], v[6:7], v[4:5], v[8:9] op_sel_hi:[1,0,1]
	s_nop 0
	v_mov_b32_e32 v11, v5
	v_pk_add_f32 v[4:5], v[10:11], 0 op_sel_hi:[1,0]
	s_and_saveexec_b64 s[12:13], s[0:1]
	s_cbranch_execz .LBB115_22
; %bb.21:
	scratch_load_dwordx2 v[6:7], off, off offset:8
	v_mov_b32_e32 v3, 0
	ds_read_b64 v[8:9], v3 offset:424
	s_waitcnt vmcnt(0) lgkmcnt(0)
	v_pk_mul_f32 v[10:11], v[8:9], v[6:7] op_sel:[1,1] op_sel_hi:[0,1]
	v_pk_fma_f32 v[12:13], v[8:9], v[6:7], v[10:11] neg_lo:[0,0,1] neg_hi:[0,0,1]
	v_pk_fma_f32 v[6:7], v[8:9], v[6:7], v[10:11] op_sel_hi:[1,0,1]
	s_nop 0
	v_mov_b32_e32 v13, v7
	v_pk_add_f32 v[4:5], v[4:5], v[12:13]
.LBB115_22:
	s_or_b64 exec, exec, s[12:13]
	v_mov_b32_e32 v3, 0
	ds_read_b64 v[6:7], v3 offset:16
	s_waitcnt lgkmcnt(0)
	v_pk_mul_f32 v[8:9], v[4:5], v[6:7] op_sel:[1,1] op_sel_hi:[0,1]
	v_pk_fma_f32 v[10:11], v[4:5], v[6:7], v[8:9] neg_lo:[0,0,1] neg_hi:[0,0,1]
	v_pk_fma_f32 v[4:5], v[4:5], v[6:7], v[8:9] op_sel_hi:[1,0,1]
	s_nop 0
	v_mov_b32_e32 v11, v5
	scratch_store_dwordx2 off, v[10:11], off offset:16
.LBB115_23:
	s_or_b64 exec, exec, s[4:5]
	; wave barrier
	scratch_load_dwordx2 v[4:5], off, off offset:24
	v_cmp_gt_u32_e32 vcc, 3, v0
	v_add_u32_e32 v6, -1, v0
	s_waitcnt vmcnt(0)
	ds_write_b64 v1, v[4:5]
	s_waitcnt lgkmcnt(0)
	; wave barrier
	s_and_saveexec_b64 s[0:1], vcc
	s_cbranch_execz .LBB115_27
; %bb.24:
	v_mov_b32_e32 v4, 0
	v_add_u32_e32 v3, -1, v0
	v_add_u32_e32 v7, 0x1a0, v2
	v_mov_b32_e32 v8, v2
	s_mov_b64 s[4:5], 0
	v_mov_b32_e32 v5, v4
.LBB115_25:                             ; =>This Inner Loop Header: Depth=1
	scratch_load_dwordx2 v[10:11], v8, off
	ds_read_b64 v[12:13], v7
	v_add_u32_e32 v3, 1, v3
	v_cmp_lt_u32_e32 vcc, 1, v3
	v_add_u32_e32 v7, 8, v7
	v_add_u32_e32 v8, 8, v8
	s_or_b64 s[4:5], vcc, s[4:5]
	s_waitcnt vmcnt(0) lgkmcnt(0)
	v_pk_mul_f32 v[14:15], v[12:13], v[10:11] op_sel:[1,1] op_sel_hi:[0,1]
	v_pk_fma_f32 v[16:17], v[12:13], v[10:11], v[14:15] neg_lo:[0,0,1] neg_hi:[0,0,1]
	v_pk_fma_f32 v[10:11], v[12:13], v[10:11], v[14:15] op_sel_hi:[1,0,1]
	s_nop 0
	v_mov_b32_e32 v17, v11
	v_pk_add_f32 v[4:5], v[4:5], v[16:17]
	s_andn2_b64 exec, exec, s[4:5]
	s_cbranch_execnz .LBB115_25
; %bb.26:
	s_or_b64 exec, exec, s[4:5]
	v_mov_b32_e32 v3, 0
	ds_read_b64 v[8:9], v3 offset:24
	s_waitcnt lgkmcnt(0)
	v_pk_mul_f32 v[10:11], v[4:5], v[8:9] op_sel:[1,1] op_sel_hi:[0,1]
	v_pk_fma_f32 v[12:13], v[4:5], v[8:9], v[10:11] neg_lo:[0,0,1] neg_hi:[0,0,1]
	v_pk_fma_f32 v[4:5], v[4:5], v[8:9], v[10:11] op_sel_hi:[1,0,1]
	s_nop 0
	v_mov_b32_e32 v13, v5
	scratch_store_dwordx2 off, v[12:13], off offset:24
.LBB115_27:
	s_or_b64 exec, exec, s[0:1]
	; wave barrier
	scratch_load_dwordx2 v[4:5], off, off offset:32
	v_cmp_gt_u32_e32 vcc, 4, v0
	s_waitcnt vmcnt(0)
	ds_write_b64 v1, v[4:5]
	s_waitcnt lgkmcnt(0)
	; wave barrier
	s_and_saveexec_b64 s[0:1], vcc
	s_cbranch_execz .LBB115_31
; %bb.28:
	v_mov_b32_e32 v4, 0
	v_add_u32_e32 v3, -1, v0
	v_add_u32_e32 v7, 0x1a0, v2
	v_mov_b32_e32 v8, v2
	s_mov_b64 s[4:5], 0
	v_mov_b32_e32 v5, v4
.LBB115_29:                             ; =>This Inner Loop Header: Depth=1
	scratch_load_dwordx2 v[10:11], v8, off
	ds_read_b64 v[12:13], v7
	v_add_u32_e32 v3, 1, v3
	v_cmp_lt_u32_e32 vcc, 2, v3
	v_add_u32_e32 v7, 8, v7
	v_add_u32_e32 v8, 8, v8
	s_or_b64 s[4:5], vcc, s[4:5]
	s_waitcnt vmcnt(0) lgkmcnt(0)
	v_pk_mul_f32 v[14:15], v[12:13], v[10:11] op_sel:[1,1] op_sel_hi:[0,1]
	v_pk_fma_f32 v[16:17], v[12:13], v[10:11], v[14:15] neg_lo:[0,0,1] neg_hi:[0,0,1]
	v_pk_fma_f32 v[10:11], v[12:13], v[10:11], v[14:15] op_sel_hi:[1,0,1]
	s_nop 0
	v_mov_b32_e32 v17, v11
	v_pk_add_f32 v[4:5], v[4:5], v[16:17]
	s_andn2_b64 exec, exec, s[4:5]
	s_cbranch_execnz .LBB115_29
; %bb.30:
	s_or_b64 exec, exec, s[4:5]
	v_mov_b32_e32 v3, 0
	ds_read_b64 v[8:9], v3 offset:32
	s_waitcnt lgkmcnt(0)
	v_pk_mul_f32 v[10:11], v[4:5], v[8:9] op_sel:[1,1] op_sel_hi:[0,1]
	v_pk_fma_f32 v[12:13], v[4:5], v[8:9], v[10:11] neg_lo:[0,0,1] neg_hi:[0,0,1]
	v_pk_fma_f32 v[4:5], v[4:5], v[8:9], v[10:11] op_sel_hi:[1,0,1]
	s_nop 0
	v_mov_b32_e32 v13, v5
	scratch_store_dwordx2 off, v[12:13], off offset:32
.LBB115_31:
	s_or_b64 exec, exec, s[0:1]
	; wave barrier
	scratch_load_dwordx2 v[4:5], off, off offset:40
	v_cmp_gt_u32_e32 vcc, 5, v0
	;; [unrolled: 46-line block ×19, first 2 shown]
	s_waitcnt vmcnt(0)
	ds_write_b64 v1, v[4:5]
	s_waitcnt lgkmcnt(0)
	; wave barrier
	s_and_saveexec_b64 s[0:1], vcc
	s_cbranch_execz .LBB115_103
; %bb.100:
	v_mov_b32_e32 v4, 0
	v_add_u32_e32 v3, -1, v0
	v_add_u32_e32 v7, 0x1a0, v2
	v_mov_b32_e32 v8, v2
	s_mov_b64 s[4:5], 0
	v_mov_b32_e32 v5, v4
.LBB115_101:                            ; =>This Inner Loop Header: Depth=1
	scratch_load_dwordx2 v[10:11], v8, off
	ds_read_b64 v[12:13], v7
	v_add_u32_e32 v3, 1, v3
	v_cmp_lt_u32_e32 vcc, 20, v3
	v_add_u32_e32 v7, 8, v7
	v_add_u32_e32 v8, 8, v8
	s_or_b64 s[4:5], vcc, s[4:5]
	s_waitcnt vmcnt(0) lgkmcnt(0)
	v_pk_mul_f32 v[14:15], v[12:13], v[10:11] op_sel:[1,1] op_sel_hi:[0,1]
	v_pk_fma_f32 v[16:17], v[12:13], v[10:11], v[14:15] neg_lo:[0,0,1] neg_hi:[0,0,1]
	v_pk_fma_f32 v[10:11], v[12:13], v[10:11], v[14:15] op_sel_hi:[1,0,1]
	s_nop 0
	v_mov_b32_e32 v17, v11
	v_pk_add_f32 v[4:5], v[4:5], v[16:17]
	s_andn2_b64 exec, exec, s[4:5]
	s_cbranch_execnz .LBB115_101
; %bb.102:
	s_or_b64 exec, exec, s[4:5]
	v_mov_b32_e32 v3, 0
	ds_read_b64 v[8:9], v3 offset:176
	s_waitcnt lgkmcnt(0)
	v_pk_mul_f32 v[10:11], v[4:5], v[8:9] op_sel:[1,1] op_sel_hi:[0,1]
	v_pk_fma_f32 v[12:13], v[4:5], v[8:9], v[10:11] neg_lo:[0,0,1] neg_hi:[0,0,1]
	v_pk_fma_f32 v[4:5], v[4:5], v[8:9], v[10:11] op_sel_hi:[1,0,1]
	s_nop 0
	v_mov_b32_e32 v13, v5
	scratch_store_dwordx2 off, v[12:13], off offset:176
.LBB115_103:
	s_or_b64 exec, exec, s[0:1]
	; wave barrier
	scratch_load_dwordx2 v[4:5], off, off offset:184
	v_cmp_gt_u32_e32 vcc, 23, v0
	s_waitcnt vmcnt(0)
	ds_write_b64 v1, v[4:5]
	s_waitcnt lgkmcnt(0)
	; wave barrier
	s_and_saveexec_b64 s[0:1], vcc
	s_cbranch_execz .LBB115_107
; %bb.104:
	v_mov_b32_e32 v4, 0
	v_add_u32_e32 v3, -1, v0
	v_add_u32_e32 v7, 0x1a0, v2
	v_mov_b32_e32 v8, v2
	s_mov_b64 s[4:5], 0
	v_mov_b32_e32 v5, v4
.LBB115_105:                            ; =>This Inner Loop Header: Depth=1
	scratch_load_dwordx2 v[10:11], v8, off
	ds_read_b64 v[12:13], v7
	v_add_u32_e32 v3, 1, v3
	v_cmp_lt_u32_e32 vcc, 21, v3
	v_add_u32_e32 v7, 8, v7
	v_add_u32_e32 v8, 8, v8
	s_or_b64 s[4:5], vcc, s[4:5]
	s_waitcnt vmcnt(0) lgkmcnt(0)
	v_pk_mul_f32 v[14:15], v[12:13], v[10:11] op_sel:[1,1] op_sel_hi:[0,1]
	v_pk_fma_f32 v[16:17], v[12:13], v[10:11], v[14:15] neg_lo:[0,0,1] neg_hi:[0,0,1]
	v_pk_fma_f32 v[10:11], v[12:13], v[10:11], v[14:15] op_sel_hi:[1,0,1]
	s_nop 0
	v_mov_b32_e32 v17, v11
	v_pk_add_f32 v[4:5], v[4:5], v[16:17]
	s_andn2_b64 exec, exec, s[4:5]
	s_cbranch_execnz .LBB115_105
; %bb.106:
	s_or_b64 exec, exec, s[4:5]
	v_mov_b32_e32 v3, 0
	ds_read_b64 v[8:9], v3 offset:184
	s_waitcnt lgkmcnt(0)
	v_pk_mul_f32 v[10:11], v[4:5], v[8:9] op_sel:[1,1] op_sel_hi:[0,1]
	v_pk_fma_f32 v[12:13], v[4:5], v[8:9], v[10:11] neg_lo:[0,0,1] neg_hi:[0,0,1]
	v_pk_fma_f32 v[4:5], v[4:5], v[8:9], v[10:11] op_sel_hi:[1,0,1]
	s_nop 0
	v_mov_b32_e32 v13, v5
	scratch_store_dwordx2 off, v[12:13], off offset:184
.LBB115_107:
	s_or_b64 exec, exec, s[0:1]
	; wave barrier
	scratch_load_dwordx2 v[4:5], off, off offset:192
	v_cmp_gt_u32_e32 vcc, 24, v0
	;; [unrolled: 46-line block ×28, first 2 shown]
	s_waitcnt vmcnt(0)
	ds_write_b64 v1, v[4:5]
	s_waitcnt lgkmcnt(0)
	; wave barrier
	s_and_saveexec_b64 s[0:1], vcc
	s_cbranch_execz .LBB115_215
; %bb.212:
	v_mov_b32_e32 v4, 0
	v_add_u32_e32 v3, -1, v0
	v_add_u32_e32 v7, 0x1a0, v2
	v_mov_b32_e32 v8, v2
	s_mov_b64 s[4:5], 0
	v_mov_b32_e32 v5, v4
.LBB115_213:                            ; =>This Inner Loop Header: Depth=1
	scratch_load_dwordx2 v[10:11], v8, off
	ds_read_b64 v[12:13], v7
	v_add_u32_e32 v3, 1, v3
	v_cmp_lt_u32_e32 vcc, 48, v3
	v_add_u32_e32 v7, 8, v7
	v_add_u32_e32 v8, 8, v8
	s_or_b64 s[4:5], vcc, s[4:5]
	s_waitcnt vmcnt(0) lgkmcnt(0)
	v_pk_mul_f32 v[14:15], v[12:13], v[10:11] op_sel:[1,1] op_sel_hi:[0,1]
	v_pk_fma_f32 v[16:17], v[12:13], v[10:11], v[14:15] neg_lo:[0,0,1] neg_hi:[0,0,1]
	v_pk_fma_f32 v[10:11], v[12:13], v[10:11], v[14:15] op_sel_hi:[1,0,1]
	s_nop 0
	v_mov_b32_e32 v17, v11
	v_pk_add_f32 v[4:5], v[4:5], v[16:17]
	s_andn2_b64 exec, exec, s[4:5]
	s_cbranch_execnz .LBB115_213
; %bb.214:
	s_or_b64 exec, exec, s[4:5]
	v_mov_b32_e32 v3, 0
	ds_read_b64 v[8:9], v3 offset:400
	s_waitcnt lgkmcnt(0)
	v_pk_mul_f32 v[10:11], v[4:5], v[8:9] op_sel:[1,1] op_sel_hi:[0,1]
	v_pk_fma_f32 v[12:13], v[4:5], v[8:9], v[10:11] neg_lo:[0,0,1] neg_hi:[0,0,1]
	v_pk_fma_f32 v[4:5], v[4:5], v[8:9], v[10:11] op_sel_hi:[1,0,1]
	s_nop 0
	v_mov_b32_e32 v13, v5
	scratch_store_dwordx2 off, v[12:13], off offset:400
.LBB115_215:
	s_or_b64 exec, exec, s[0:1]
	; wave barrier
	scratch_load_dwordx2 v[4:5], off, off offset:408
	v_cmp_ne_u32_e32 vcc, 51, v0
	s_waitcnt vmcnt(0)
	ds_write_b64 v1, v[4:5]
	s_waitcnt lgkmcnt(0)
	; wave barrier
	s_and_saveexec_b64 s[0:1], vcc
	s_cbranch_execz .LBB115_219
; %bb.216:
	v_add_u32_e32 v1, 0x1a0, v2
	v_mov_b32_e32 v4, v2
	v_mov_b32_e32 v2, 0
	s_mov_b64 s[4:5], 0
	v_mov_b32_e32 v3, v2
.LBB115_217:                            ; =>This Inner Loop Header: Depth=1
	scratch_load_dwordx2 v[8:9], v4, off
	ds_read_b64 v[10:11], v1
	v_add_u32_e32 v6, 1, v6
	v_cmp_lt_u32_e32 vcc, 49, v6
	v_add_u32_e32 v1, 8, v1
	v_add_u32_e32 v4, 8, v4
	s_or_b64 s[4:5], vcc, s[4:5]
	s_waitcnt vmcnt(0) lgkmcnt(0)
	v_pk_mul_f32 v[12:13], v[10:11], v[8:9] op_sel:[1,1] op_sel_hi:[0,1]
	v_pk_fma_f32 v[14:15], v[10:11], v[8:9], v[12:13] neg_lo:[0,0,1] neg_hi:[0,0,1]
	v_pk_fma_f32 v[8:9], v[10:11], v[8:9], v[12:13] op_sel_hi:[1,0,1]
	s_nop 0
	v_mov_b32_e32 v15, v9
	v_pk_add_f32 v[2:3], v[2:3], v[14:15]
	s_andn2_b64 exec, exec, s[4:5]
	s_cbranch_execnz .LBB115_217
; %bb.218:
	s_or_b64 exec, exec, s[4:5]
	v_mov_b32_e32 v1, 0
	ds_read_b64 v[4:5], v1 offset:408
	s_waitcnt lgkmcnt(0)
	v_pk_mul_f32 v[6:7], v[2:3], v[4:5] op_sel:[1,1] op_sel_hi:[0,1]
	v_pk_fma_f32 v[8:9], v[2:3], v[4:5], v[6:7] neg_lo:[0,0,1] neg_hi:[0,0,1]
	v_pk_fma_f32 v[2:3], v[2:3], v[4:5], v[6:7] op_sel_hi:[1,0,1]
	s_nop 0
	v_mov_b32_e32 v9, v3
	scratch_store_dwordx2 off, v[8:9], off offset:408
.LBB115_219:
	s_or_b64 exec, exec, s[0:1]
	s_mov_b64 s[4:5], -1
	; wave barrier
.LBB115_220:
	s_and_b64 vcc, exec, s[4:5]
	s_cbranch_vccz .LBB115_222
; %bb.221:
	s_lshl_b64 s[0:1], s[2:3], 2
	s_add_u32 s0, s6, s0
	s_addc_u32 s1, s7, s1
	v_mov_b32_e32 v1, 0
	global_load_dword v1, v1, s[0:1]
	s_waitcnt vmcnt(0)
	v_cmp_ne_u32_e32 vcc, 0, v1
	s_cbranch_vccz .LBB115_223
.LBB115_222:
	s_endpgm
.LBB115_223:
	v_mov_b32_e32 v1, 0x1a0
	v_lshl_add_u32 v1, v0, 3, v1
	v_cmp_eq_u32_e32 vcc, 51, v0
	s_and_saveexec_b64 s[0:1], vcc
	s_cbranch_execz .LBB115_225
; %bb.224:
	scratch_load_dwordx2 v[2:3], off, off offset:400
	v_mov_b32_e32 v4, 0
	v_mov_b32_e32 v5, v4
	scratch_store_dwordx2 off, v[4:5], off offset:400
	s_waitcnt vmcnt(1)
	ds_write_b64 v1, v[2:3]
.LBB115_225:
	s_or_b64 exec, exec, s[0:1]
	s_waitcnt lgkmcnt(0)
	; wave barrier
	scratch_load_dwordx2 v[4:5], off, off offset:408
	scratch_load_dwordx2 v[6:7], off, off offset:400
	v_mov_b32_e32 v2, 0
	ds_read_b64 v[8:9], v2 offset:824
	v_cmp_lt_u32_e32 vcc, 49, v0
	s_waitcnt vmcnt(1) lgkmcnt(0)
	v_pk_mul_f32 v[10:11], v[8:9], v[4:5] op_sel:[1,1] op_sel_hi:[0,1]
	v_pk_fma_f32 v[12:13], v[8:9], v[4:5], v[10:11] neg_lo:[0,0,1] neg_hi:[0,0,1]
	v_pk_fma_f32 v[4:5], v[8:9], v[4:5], v[10:11] op_sel_hi:[1,0,1]
	s_nop 0
	v_mov_b32_e32 v13, v5
	v_pk_add_f32 v[4:5], v[12:13], 0 op_sel_hi:[1,0]
	s_waitcnt vmcnt(0)
	v_pk_add_f32 v[4:5], v[6:7], v[4:5] neg_lo:[0,1] neg_hi:[0,1]
	scratch_store_dwordx2 off, v[4:5], off offset:400
	s_and_saveexec_b64 s[0:1], vcc
	s_cbranch_execz .LBB115_227
; %bb.226:
	scratch_load_dwordx2 v[4:5], off, off offset:392
	v_mov_b32_e32 v3, v2
	scratch_store_dwordx2 off, v[2:3], off offset:392
	s_waitcnt vmcnt(1)
	ds_write_b64 v1, v[4:5]
.LBB115_227:
	s_or_b64 exec, exec, s[0:1]
	s_waitcnt lgkmcnt(0)
	; wave barrier
	scratch_load_dwordx4 v[4:7], off, off offset:400
	scratch_load_dwordx2 v[12:13], off, off offset:392
	ds_read_b128 v[8:11], v2 offset:816
	v_cmp_lt_u32_e32 vcc, 48, v0
	s_waitcnt vmcnt(1) lgkmcnt(0)
	v_pk_mul_f32 v[2:3], v[8:9], v[4:5] op_sel:[1,1] op_sel_hi:[0,1]
	v_mov_b32_e32 v14, v7
	v_pk_fma_f32 v[16:17], v[8:9], v[4:5], v[2:3] neg_lo:[0,0,1] neg_hi:[0,0,1]
	v_pk_fma_f32 v[2:3], v[8:9], v[4:5], v[2:3] op_sel_hi:[1,0,1]
	v_pk_mul_f32 v[4:5], v[10:11], v[14:15] op_sel:[1,0] op_sel_hi:[0,0]
	v_mov_b32_e32 v17, v3
	v_pk_fma_f32 v[2:3], v[10:11], v[6:7], v[4:5] neg_lo:[0,0,1] neg_hi:[0,0,1]
	v_pk_fma_f32 v[4:5], v[10:11], v[6:7], v[4:5] op_sel_hi:[1,0,1]
	v_pk_add_f32 v[6:7], v[16:17], 0 op_sel_hi:[1,0]
	v_mov_b32_e32 v3, v5
	v_pk_add_f32 v[2:3], v[6:7], v[2:3]
	s_waitcnt vmcnt(0)
	v_pk_add_f32 v[2:3], v[12:13], v[2:3] neg_lo:[0,1] neg_hi:[0,1]
	scratch_store_dwordx2 off, v[2:3], off offset:392
	s_and_saveexec_b64 s[0:1], vcc
	s_cbranch_execz .LBB115_229
; %bb.228:
	scratch_load_dwordx2 v[2:3], off, off offset:384
	v_mov_b32_e32 v4, 0
	v_mov_b32_e32 v5, v4
	scratch_store_dwordx2 off, v[4:5], off offset:384
	s_waitcnt vmcnt(1)
	ds_write_b64 v1, v[2:3]
.LBB115_229:
	s_or_b64 exec, exec, s[0:1]
	s_waitcnt lgkmcnt(0)
	; wave barrier
	scratch_load_dwordx4 v[4:7], off, off offset:392
	scratch_load_dwordx2 v[12:13], off, off offset:408
	v_mov_b32_e32 v2, 0
	ds_read2_b64 v[8:11], v2 offset0:101 offset1:102
	ds_read_b64 v[14:15], v2 offset:824
	v_cmp_lt_u32_e32 vcc, 47, v0
	s_waitcnt vmcnt(1) lgkmcnt(1)
	v_pk_mul_f32 v[16:17], v[8:9], v[4:5] op_sel:[1,1] op_sel_hi:[0,1]
	v_pk_fma_f32 v[18:19], v[8:9], v[4:5], v[16:17] neg_lo:[0,0,1] neg_hi:[0,0,1]
	v_pk_fma_f32 v[4:5], v[8:9], v[4:5], v[16:17] op_sel_hi:[1,0,1]
	v_mov_b32_e32 v8, v7
	v_pk_mul_f32 v[8:9], v[10:11], v[8:9] op_sel:[1,0] op_sel_hi:[0,0]
	v_pk_fma_f32 v[16:17], v[10:11], v[6:7], v[8:9] neg_lo:[0,0,1] neg_hi:[0,0,1]
	v_pk_fma_f32 v[6:7], v[10:11], v[6:7], v[8:9] op_sel_hi:[1,0,1]
	v_mov_b32_e32 v19, v5
	v_mov_b32_e32 v17, v7
	s_waitcnt vmcnt(0) lgkmcnt(0)
	v_pk_mul_f32 v[6:7], v[14:15], v[12:13] op_sel:[1,1] op_sel_hi:[0,1]
	v_pk_fma_f32 v[8:9], v[14:15], v[12:13], v[6:7] neg_lo:[0,0,1] neg_hi:[0,0,1]
	v_pk_fma_f32 v[6:7], v[14:15], v[12:13], v[6:7] op_sel_hi:[1,0,1]
	v_pk_add_f32 v[4:5], v[18:19], 0 op_sel_hi:[1,0]
	v_mov_b32_e32 v9, v7
	scratch_load_dwordx2 v[6:7], off, off offset:384
	v_pk_add_f32 v[4:5], v[4:5], v[16:17]
	s_nop 0
	v_pk_add_f32 v[4:5], v[4:5], v[8:9]
	s_waitcnt vmcnt(0)
	v_pk_add_f32 v[4:5], v[6:7], v[4:5] neg_lo:[0,1] neg_hi:[0,1]
	scratch_store_dwordx2 off, v[4:5], off offset:384
	s_and_saveexec_b64 s[0:1], vcc
	s_cbranch_execz .LBB115_231
; %bb.230:
	scratch_load_dwordx2 v[4:5], off, off offset:376
	v_mov_b32_e32 v3, v2
	scratch_store_dwordx2 off, v[2:3], off offset:376
	s_waitcnt vmcnt(1)
	ds_write_b64 v1, v[4:5]
.LBB115_231:
	s_or_b64 exec, exec, s[0:1]
	s_waitcnt lgkmcnt(0)
	; wave barrier
	scratch_load_dwordx4 v[4:7], off, off offset:384
	scratch_load_dwordx4 v[8:11], off, off offset:400
	ds_read_b128 v[12:15], v2 offset:800
	ds_read_b128 v[16:19], v2 offset:816
	v_cmp_lt_u32_e32 vcc, 46, v0
	s_waitcnt vmcnt(1) lgkmcnt(1)
	v_pk_mul_f32 v[2:3], v[12:13], v[4:5] op_sel:[1,1] op_sel_hi:[0,1]
	v_pk_fma_f32 v[20:21], v[12:13], v[4:5], v[2:3] neg_lo:[0,0,1] neg_hi:[0,0,1]
	v_pk_fma_f32 v[2:3], v[12:13], v[4:5], v[2:3] op_sel_hi:[1,0,1]
	v_mov_b32_e32 v4, v7
	v_pk_mul_f32 v[4:5], v[14:15], v[4:5] op_sel:[1,0] op_sel_hi:[0,0]
	v_pk_fma_f32 v[12:13], v[14:15], v[6:7], v[4:5] neg_lo:[0,0,1] neg_hi:[0,0,1]
	v_pk_fma_f32 v[4:5], v[14:15], v[6:7], v[4:5] op_sel_hi:[1,0,1]
	v_mov_b32_e32 v21, v3
	v_mov_b32_e32 v13, v5
	s_waitcnt vmcnt(0) lgkmcnt(0)
	v_pk_mul_f32 v[4:5], v[16:17], v[8:9] op_sel:[1,1] op_sel_hi:[0,1]
	v_pk_fma_f32 v[6:7], v[16:17], v[8:9], v[4:5] neg_lo:[0,0,1] neg_hi:[0,0,1]
	v_pk_fma_f32 v[4:5], v[16:17], v[8:9], v[4:5] op_sel_hi:[1,0,1]
	v_pk_add_f32 v[2:3], v[20:21], 0 op_sel_hi:[1,0]
	v_mov_b32_e32 v4, v11
	v_pk_add_f32 v[2:3], v[2:3], v[12:13]
	v_mov_b32_e32 v7, v5
	v_pk_mul_f32 v[4:5], v[18:19], v[4:5] op_sel:[1,0] op_sel_hi:[0,0]
	v_pk_add_f32 v[2:3], v[2:3], v[6:7]
	v_pk_fma_f32 v[6:7], v[18:19], v[10:11], v[4:5] neg_lo:[0,0,1] neg_hi:[0,0,1]
	v_pk_fma_f32 v[4:5], v[18:19], v[10:11], v[4:5] op_sel_hi:[1,0,1]
	s_nop 0
	v_mov_b32_e32 v7, v5
	scratch_load_dwordx2 v[4:5], off, off offset:376
	v_pk_add_f32 v[2:3], v[2:3], v[6:7]
	s_waitcnt vmcnt(0)
	v_pk_add_f32 v[2:3], v[4:5], v[2:3] neg_lo:[0,1] neg_hi:[0,1]
	scratch_store_dwordx2 off, v[2:3], off offset:376
	s_and_saveexec_b64 s[0:1], vcc
	s_cbranch_execz .LBB115_233
; %bb.232:
	scratch_load_dwordx2 v[2:3], off, off offset:368
	v_mov_b32_e32 v4, 0
	v_mov_b32_e32 v5, v4
	scratch_store_dwordx2 off, v[4:5], off offset:368
	s_waitcnt vmcnt(1)
	ds_write_b64 v1, v[2:3]
.LBB115_233:
	s_or_b64 exec, exec, s[0:1]
	s_waitcnt lgkmcnt(0)
	; wave barrier
	scratch_load_dwordx4 v[4:7], off, off offset:376
	scratch_load_dwordx4 v[8:11], off, off offset:392
	scratch_load_dwordx2 v[20:21], off, off offset:408
	scratch_load_dwordx2 v[22:23], off, off offset:368
	v_mov_b32_e32 v2, 0
	ds_read2_b64 v[12:15], v2 offset0:99 offset1:100
	ds_read2_b64 v[16:19], v2 offset0:101 offset1:102
	ds_read_b64 v[24:25], v2 offset:824
	v_cmp_lt_u32_e32 vcc, 45, v0
	s_waitcnt vmcnt(3) lgkmcnt(2)
	v_pk_mul_f32 v[26:27], v[12:13], v[4:5] op_sel:[1,1] op_sel_hi:[0,1]
	v_mov_b32_e32 v28, v7
	v_pk_fma_f32 v[36:37], v[12:13], v[4:5], v[26:27] neg_lo:[0,0,1] neg_hi:[0,0,1]
	v_pk_fma_f32 v[4:5], v[12:13], v[4:5], v[26:27] op_sel_hi:[1,0,1]
	v_pk_mul_f32 v[12:13], v[14:15], v[28:29] op_sel:[1,0] op_sel_hi:[0,0]
	s_waitcnt vmcnt(2) lgkmcnt(1)
	v_pk_mul_f32 v[30:31], v[16:17], v[8:9] op_sel:[1,1] op_sel_hi:[0,1]
	v_mov_b32_e32 v32, v11
	v_mov_b32_e32 v37, v5
	v_pk_fma_f32 v[4:5], v[14:15], v[6:7], v[12:13] neg_lo:[0,0,1] neg_hi:[0,0,1]
	v_pk_fma_f32 v[6:7], v[14:15], v[6:7], v[12:13] op_sel_hi:[1,0,1]
	v_pk_fma_f32 v[26:27], v[16:17], v[8:9], v[30:31] neg_lo:[0,0,1] neg_hi:[0,0,1]
	v_pk_fma_f32 v[8:9], v[16:17], v[8:9], v[30:31] op_sel_hi:[1,0,1]
	v_pk_mul_f32 v[16:17], v[18:19], v[32:33] op_sel:[1,0] op_sel_hi:[0,0]
	v_pk_add_f32 v[12:13], v[36:37], 0 op_sel_hi:[1,0]
	v_mov_b32_e32 v5, v7
	s_waitcnt vmcnt(1) lgkmcnt(0)
	v_pk_mul_f32 v[34:35], v[24:25], v[20:21] op_sel:[1,1] op_sel_hi:[0,1]
	v_mov_b32_e32 v27, v9
	v_pk_fma_f32 v[8:9], v[18:19], v[10:11], v[16:17] neg_lo:[0,0,1] neg_hi:[0,0,1]
	v_pk_fma_f32 v[10:11], v[18:19], v[10:11], v[16:17] op_sel_hi:[1,0,1]
	v_pk_add_f32 v[4:5], v[12:13], v[4:5]
	v_pk_fma_f32 v[28:29], v[24:25], v[20:21], v[34:35] neg_lo:[0,0,1] neg_hi:[0,0,1]
	v_pk_fma_f32 v[20:21], v[24:25], v[20:21], v[34:35] op_sel_hi:[1,0,1]
	v_mov_b32_e32 v9, v11
	v_pk_add_f32 v[4:5], v[4:5], v[26:27]
	v_mov_b32_e32 v29, v21
	v_pk_add_f32 v[4:5], v[4:5], v[8:9]
	s_nop 0
	v_pk_add_f32 v[4:5], v[4:5], v[28:29]
	s_waitcnt vmcnt(0)
	v_pk_add_f32 v[4:5], v[22:23], v[4:5] neg_lo:[0,1] neg_hi:[0,1]
	scratch_store_dwordx2 off, v[4:5], off offset:368
	s_and_saveexec_b64 s[0:1], vcc
	s_cbranch_execz .LBB115_235
; %bb.234:
	scratch_load_dwordx2 v[4:5], off, off offset:360
	v_mov_b32_e32 v3, v2
	scratch_store_dwordx2 off, v[2:3], off offset:360
	s_waitcnt vmcnt(1)
	ds_write_b64 v1, v[4:5]
.LBB115_235:
	s_or_b64 exec, exec, s[0:1]
	s_waitcnt lgkmcnt(0)
	; wave barrier
	scratch_load_dwordx4 v[4:7], off, off offset:368
	scratch_load_dwordx4 v[8:11], off, off offset:384
	;; [unrolled: 1-line block ×3, first 2 shown]
	scratch_load_dwordx2 v[28:29], off, off offset:360
	ds_read_b128 v[16:19], v2 offset:784
	ds_read_b128 v[20:23], v2 offset:800
	;; [unrolled: 1-line block ×3, first 2 shown]
	v_cmp_lt_u32_e32 vcc, 44, v0
	s_waitcnt vmcnt(3) lgkmcnt(2)
	v_pk_mul_f32 v[2:3], v[16:17], v[4:5] op_sel:[1,1] op_sel_hi:[0,1]
	v_mov_b32_e32 v30, v7
	s_waitcnt vmcnt(2) lgkmcnt(1)
	v_pk_mul_f32 v[32:33], v[20:21], v[8:9] op_sel:[1,1] op_sel_hi:[0,1]
	v_mov_b32_e32 v34, v11
	;; [unrolled: 3-line block ×3, first 2 shown]
	v_pk_fma_f32 v[40:41], v[16:17], v[4:5], v[2:3] neg_lo:[0,0,1] neg_hi:[0,0,1]
	v_pk_fma_f32 v[2:3], v[16:17], v[4:5], v[2:3] op_sel_hi:[1,0,1]
	v_pk_mul_f32 v[4:5], v[18:19], v[30:31] op_sel:[1,0] op_sel_hi:[0,0]
	v_pk_fma_f32 v[16:17], v[20:21], v[8:9], v[32:33] neg_lo:[0,0,1] neg_hi:[0,0,1]
	v_pk_fma_f32 v[8:9], v[20:21], v[8:9], v[32:33] op_sel_hi:[1,0,1]
	v_pk_mul_f32 v[20:21], v[22:23], v[34:35] op_sel:[1,0] op_sel_hi:[0,0]
	;; [unrolled: 3-line block ×3, first 2 shown]
	v_mov_b32_e32 v41, v3
	v_pk_fma_f32 v[2:3], v[18:19], v[6:7], v[4:5] neg_lo:[0,0,1] neg_hi:[0,0,1]
	v_pk_fma_f32 v[4:5], v[18:19], v[6:7], v[4:5] op_sel_hi:[1,0,1]
	v_mov_b32_e32 v17, v9
	v_pk_fma_f32 v[6:7], v[22:23], v[10:11], v[20:21] neg_lo:[0,0,1] neg_hi:[0,0,1]
	v_pk_fma_f32 v[8:9], v[22:23], v[10:11], v[20:21] op_sel_hi:[1,0,1]
	;; [unrolled: 3-line block ×3, first 2 shown]
	v_pk_add_f32 v[14:15], v[40:41], 0 op_sel_hi:[1,0]
	v_mov_b32_e32 v3, v5
	v_pk_add_f32 v[2:3], v[14:15], v[2:3]
	v_mov_b32_e32 v7, v9
	v_pk_add_f32 v[2:3], v[2:3], v[16:17]
	;; [unrolled: 2-line block ×3, first 2 shown]
	s_nop 0
	v_pk_add_f32 v[2:3], v[2:3], v[30:31]
	s_nop 0
	v_pk_add_f32 v[2:3], v[2:3], v[10:11]
	s_waitcnt vmcnt(0)
	v_pk_add_f32 v[2:3], v[28:29], v[2:3] neg_lo:[0,1] neg_hi:[0,1]
	scratch_store_dwordx2 off, v[2:3], off offset:360
	s_and_saveexec_b64 s[0:1], vcc
	s_cbranch_execz .LBB115_237
; %bb.236:
	scratch_load_dwordx2 v[2:3], off, off offset:352
	v_mov_b32_e32 v4, 0
	v_mov_b32_e32 v5, v4
	scratch_store_dwordx2 off, v[4:5], off offset:352
	s_waitcnt vmcnt(1)
	ds_write_b64 v1, v[2:3]
.LBB115_237:
	s_or_b64 exec, exec, s[0:1]
	s_waitcnt lgkmcnt(0)
	; wave barrier
	scratch_load_dwordx4 v[4:7], off, off offset:360
	scratch_load_dwordx4 v[8:11], off, off offset:376
	;; [unrolled: 1-line block ×3, first 2 shown]
	scratch_load_dwordx2 v[28:29], off, off offset:408
	scratch_load_dwordx2 v[30:31], off, off offset:352
	v_mov_b32_e32 v2, 0
	ds_read2_b64 v[16:19], v2 offset0:97 offset1:98
	ds_read2_b64 v[20:23], v2 offset0:99 offset1:100
	;; [unrolled: 1-line block ×3, first 2 shown]
	ds_read_b64 v[32:33], v2 offset:824
	v_cmp_lt_u32_e32 vcc, 43, v0
	s_waitcnt vmcnt(4) lgkmcnt(3)
	v_pk_mul_f32 v[34:35], v[16:17], v[4:5] op_sel:[1,1] op_sel_hi:[0,1]
	v_mov_b32_e32 v36, v7
	v_pk_fma_f32 v[48:49], v[16:17], v[4:5], v[34:35] neg_lo:[0,0,1] neg_hi:[0,0,1]
	v_pk_fma_f32 v[4:5], v[16:17], v[4:5], v[34:35] op_sel_hi:[1,0,1]
	v_pk_mul_f32 v[16:17], v[18:19], v[36:37] op_sel:[1,0] op_sel_hi:[0,0]
	s_waitcnt vmcnt(3) lgkmcnt(2)
	v_pk_mul_f32 v[38:39], v[20:21], v[8:9] op_sel:[1,1] op_sel_hi:[0,1]
	v_mov_b32_e32 v40, v11
	v_mov_b32_e32 v49, v5
	v_pk_fma_f32 v[4:5], v[18:19], v[6:7], v[16:17] neg_lo:[0,0,1] neg_hi:[0,0,1]
	v_pk_fma_f32 v[6:7], v[18:19], v[6:7], v[16:17] op_sel_hi:[1,0,1]
	v_pk_fma_f32 v[34:35], v[20:21], v[8:9], v[38:39] neg_lo:[0,0,1] neg_hi:[0,0,1]
	v_pk_fma_f32 v[8:9], v[20:21], v[8:9], v[38:39] op_sel_hi:[1,0,1]
	v_pk_mul_f32 v[20:21], v[22:23], v[40:41] op_sel:[1,0] op_sel_hi:[0,0]
	v_pk_add_f32 v[16:17], v[48:49], 0 op_sel_hi:[1,0]
	v_mov_b32_e32 v5, v7
	s_waitcnt vmcnt(2) lgkmcnt(1)
	v_pk_mul_f32 v[42:43], v[24:25], v[12:13] op_sel:[1,1] op_sel_hi:[0,1]
	v_mov_b32_e32 v44, v15
	v_mov_b32_e32 v35, v9
	v_pk_fma_f32 v[8:9], v[22:23], v[10:11], v[20:21] neg_lo:[0,0,1] neg_hi:[0,0,1]
	v_pk_fma_f32 v[10:11], v[22:23], v[10:11], v[20:21] op_sel_hi:[1,0,1]
	v_pk_add_f32 v[4:5], v[16:17], v[4:5]
	v_pk_fma_f32 v[36:37], v[24:25], v[12:13], v[42:43] neg_lo:[0,0,1] neg_hi:[0,0,1]
	v_pk_fma_f32 v[12:13], v[24:25], v[12:13], v[42:43] op_sel_hi:[1,0,1]
	v_pk_mul_f32 v[24:25], v[26:27], v[44:45] op_sel:[1,0] op_sel_hi:[0,0]
	v_mov_b32_e32 v9, v11
	v_pk_add_f32 v[4:5], v[4:5], v[34:35]
	s_waitcnt vmcnt(1) lgkmcnt(0)
	v_pk_mul_f32 v[46:47], v[32:33], v[28:29] op_sel:[1,1] op_sel_hi:[0,1]
	v_mov_b32_e32 v37, v13
	v_pk_fma_f32 v[12:13], v[26:27], v[14:15], v[24:25] neg_lo:[0,0,1] neg_hi:[0,0,1]
	v_pk_fma_f32 v[14:15], v[26:27], v[14:15], v[24:25] op_sel_hi:[1,0,1]
	v_pk_add_f32 v[4:5], v[4:5], v[8:9]
	v_pk_fma_f32 v[38:39], v[32:33], v[28:29], v[46:47] neg_lo:[0,0,1] neg_hi:[0,0,1]
	v_pk_fma_f32 v[28:29], v[32:33], v[28:29], v[46:47] op_sel_hi:[1,0,1]
	v_mov_b32_e32 v13, v15
	v_pk_add_f32 v[4:5], v[4:5], v[36:37]
	v_mov_b32_e32 v39, v29
	v_pk_add_f32 v[4:5], v[4:5], v[12:13]
	s_nop 0
	v_pk_add_f32 v[4:5], v[4:5], v[38:39]
	s_waitcnt vmcnt(0)
	v_pk_add_f32 v[4:5], v[30:31], v[4:5] neg_lo:[0,1] neg_hi:[0,1]
	scratch_store_dwordx2 off, v[4:5], off offset:352
	s_and_saveexec_b64 s[0:1], vcc
	s_cbranch_execz .LBB115_239
; %bb.238:
	scratch_load_dwordx2 v[4:5], off, off offset:344
	v_mov_b32_e32 v3, v2
	scratch_store_dwordx2 off, v[2:3], off offset:344
	s_waitcnt vmcnt(1)
	ds_write_b64 v1, v[4:5]
.LBB115_239:
	s_or_b64 exec, exec, s[0:1]
	s_waitcnt lgkmcnt(0)
	; wave barrier
	scratch_load_dwordx4 v[4:7], off, off offset:352
	scratch_load_dwordx4 v[8:11], off, off offset:368
	;; [unrolled: 1-line block ×4, first 2 shown]
	scratch_load_dwordx2 v[36:37], off, off offset:344
	ds_read_b128 v[20:23], v2 offset:768
	ds_read_b128 v[24:27], v2 offset:784
	;; [unrolled: 1-line block ×4, first 2 shown]
	v_cmp_lt_u32_e32 vcc, 42, v0
	s_waitcnt vmcnt(4) lgkmcnt(3)
	v_pk_mul_f32 v[2:3], v[20:21], v[4:5] op_sel:[1,1] op_sel_hi:[0,1]
	v_mov_b32_e32 v38, v7
	s_waitcnt vmcnt(3) lgkmcnt(2)
	v_pk_mul_f32 v[40:41], v[24:25], v[8:9] op_sel:[1,1] op_sel_hi:[0,1]
	v_mov_b32_e32 v42, v11
	;; [unrolled: 3-line block ×4, first 2 shown]
	v_pk_fma_f32 v[52:53], v[20:21], v[4:5], v[2:3] neg_lo:[0,0,1] neg_hi:[0,0,1]
	v_pk_fma_f32 v[2:3], v[20:21], v[4:5], v[2:3] op_sel_hi:[1,0,1]
	v_pk_mul_f32 v[4:5], v[22:23], v[38:39] op_sel:[1,0] op_sel_hi:[0,0]
	v_pk_fma_f32 v[20:21], v[24:25], v[8:9], v[40:41] neg_lo:[0,0,1] neg_hi:[0,0,1]
	v_pk_fma_f32 v[8:9], v[24:25], v[8:9], v[40:41] op_sel_hi:[1,0,1]
	v_pk_mul_f32 v[24:25], v[26:27], v[42:43] op_sel:[1,0] op_sel_hi:[0,0]
	;; [unrolled: 3-line block ×4, first 2 shown]
	v_mov_b32_e32 v53, v3
	v_pk_fma_f32 v[2:3], v[22:23], v[6:7], v[4:5] neg_lo:[0,0,1] neg_hi:[0,0,1]
	v_pk_fma_f32 v[4:5], v[22:23], v[6:7], v[4:5] op_sel_hi:[1,0,1]
	v_mov_b32_e32 v21, v9
	v_pk_fma_f32 v[6:7], v[26:27], v[10:11], v[24:25] neg_lo:[0,0,1] neg_hi:[0,0,1]
	v_pk_fma_f32 v[8:9], v[26:27], v[10:11], v[24:25] op_sel_hi:[1,0,1]
	;; [unrolled: 3-line block ×4, first 2 shown]
	v_pk_add_f32 v[18:19], v[52:53], 0 op_sel_hi:[1,0]
	v_mov_b32_e32 v3, v5
	v_pk_add_f32 v[2:3], v[18:19], v[2:3]
	v_mov_b32_e32 v7, v9
	v_pk_add_f32 v[2:3], v[2:3], v[20:21]
	;; [unrolled: 2-line block ×4, first 2 shown]
	s_nop 0
	v_pk_add_f32 v[2:3], v[2:3], v[10:11]
	s_nop 0
	v_pk_add_f32 v[2:3], v[2:3], v[40:41]
	s_nop 0
	v_pk_add_f32 v[2:3], v[2:3], v[14:15]
	s_waitcnt vmcnt(0)
	v_pk_add_f32 v[2:3], v[36:37], v[2:3] neg_lo:[0,1] neg_hi:[0,1]
	scratch_store_dwordx2 off, v[2:3], off offset:344
	s_and_saveexec_b64 s[0:1], vcc
	s_cbranch_execz .LBB115_241
; %bb.240:
	scratch_load_dwordx2 v[2:3], off, off offset:336
	v_mov_b32_e32 v4, 0
	v_mov_b32_e32 v5, v4
	scratch_store_dwordx2 off, v[4:5], off offset:336
	s_waitcnt vmcnt(1)
	ds_write_b64 v1, v[2:3]
.LBB115_241:
	s_or_b64 exec, exec, s[0:1]
	s_waitcnt lgkmcnt(0)
	; wave barrier
	scratch_load_dwordx4 v[4:7], off, off offset:344
	scratch_load_dwordx4 v[8:11], off, off offset:360
	;; [unrolled: 1-line block ×4, first 2 shown]
	scratch_load_dwordx2 v[36:37], off, off offset:408
	scratch_load_dwordx2 v[38:39], off, off offset:336
	v_mov_b32_e32 v2, 0
	ds_read2_b64 v[20:23], v2 offset0:95 offset1:96
	ds_read2_b64 v[24:27], v2 offset0:97 offset1:98
	;; [unrolled: 1-line block ×4, first 2 shown]
	ds_read_b64 v[40:41], v2 offset:824
	v_cmp_lt_u32_e32 vcc, 41, v0
	s_waitcnt vmcnt(5) lgkmcnt(4)
	v_mul_f32_e32 v43, v20, v5
	v_mul_f32_e32 v3, v21, v5
	v_mov_b32_e32 v44, v7
	s_waitcnt vmcnt(4) lgkmcnt(3)
	v_pk_mul_f32 v[46:47], v[24:25], v[8:9] op_sel:[1,1] op_sel_hi:[0,1]
	v_mov_b32_e32 v48, v11
	s_waitcnt vmcnt(1) lgkmcnt(0)
	v_pk_mul_f32 v[58:59], v[40:41], v[36:37] op_sel:[1,1] op_sel_hi:[0,1]
	v_fmac_f32_e32 v43, v21, v4
	v_fma_f32 v42, v20, v4, -v3
	v_pk_mul_f32 v[4:5], v[22:23], v[44:45] op_sel:[1,0] op_sel_hi:[0,0]
	v_pk_fma_f32 v[20:21], v[24:25], v[8:9], v[46:47] neg_lo:[0,0,1] neg_hi:[0,0,1]
	v_pk_fma_f32 v[8:9], v[24:25], v[8:9], v[46:47] op_sel_hi:[1,0,1]
	v_pk_mul_f32 v[24:25], v[26:27], v[48:49] op_sel:[1,0] op_sel_hi:[0,0]
	v_pk_fma_f32 v[48:49], v[40:41], v[36:37], v[58:59] neg_lo:[0,0,1] neg_hi:[0,0,1]
	v_pk_fma_f32 v[36:37], v[40:41], v[36:37], v[58:59] op_sel_hi:[1,0,1]
	v_pk_add_f32 v[40:41], v[42:43], 0 op_sel_hi:[1,0]
	v_pk_fma_f32 v[42:43], v[22:23], v[6:7], v[4:5] neg_lo:[0,0,1] neg_hi:[0,0,1]
	v_pk_fma_f32 v[4:5], v[22:23], v[6:7], v[4:5] op_sel_hi:[1,0,1]
	v_pk_mul_f32 v[50:51], v[28:29], v[12:13] op_sel:[1,1] op_sel_hi:[0,1]
	v_mov_b32_e32 v43, v5
	v_mov_b32_e32 v52, v15
	;; [unrolled: 1-line block ×3, first 2 shown]
	v_pk_fma_f32 v[6:7], v[26:27], v[10:11], v[24:25] neg_lo:[0,0,1] neg_hi:[0,0,1]
	v_pk_fma_f32 v[8:9], v[26:27], v[10:11], v[24:25] op_sel_hi:[1,0,1]
	v_pk_add_f32 v[4:5], v[40:41], v[42:43]
	v_pk_fma_f32 v[44:45], v[28:29], v[12:13], v[50:51] neg_lo:[0,0,1] neg_hi:[0,0,1]
	v_pk_fma_f32 v[12:13], v[28:29], v[12:13], v[50:51] op_sel_hi:[1,0,1]
	v_pk_mul_f32 v[28:29], v[30:31], v[52:53] op_sel:[1,0] op_sel_hi:[0,0]
	v_mov_b32_e32 v7, v9
	v_pk_add_f32 v[4:5], v[4:5], v[20:21]
	v_pk_mul_f32 v[54:55], v[32:33], v[16:17] op_sel:[1,1] op_sel_hi:[0,1]
	v_mov_b32_e32 v56, v19
	v_mov_b32_e32 v45, v13
	v_pk_fma_f32 v[10:11], v[30:31], v[14:15], v[28:29] neg_lo:[0,0,1] neg_hi:[0,0,1]
	v_pk_fma_f32 v[12:13], v[30:31], v[14:15], v[28:29] op_sel_hi:[1,0,1]
	v_pk_add_f32 v[4:5], v[4:5], v[6:7]
	v_pk_fma_f32 v[46:47], v[32:33], v[16:17], v[54:55] neg_lo:[0,0,1] neg_hi:[0,0,1]
	v_pk_fma_f32 v[16:17], v[32:33], v[16:17], v[54:55] op_sel_hi:[1,0,1]
	v_pk_mul_f32 v[32:33], v[34:35], v[56:57] op_sel:[1,0] op_sel_hi:[0,0]
	v_mov_b32_e32 v11, v13
	v_pk_add_f32 v[4:5], v[4:5], v[44:45]
	v_mov_b32_e32 v47, v17
	v_pk_fma_f32 v[14:15], v[34:35], v[18:19], v[32:33] neg_lo:[0,0,1] neg_hi:[0,0,1]
	v_pk_fma_f32 v[16:17], v[34:35], v[18:19], v[32:33] op_sel_hi:[1,0,1]
	v_pk_add_f32 v[4:5], v[4:5], v[10:11]
	v_mov_b32_e32 v15, v17
	v_pk_add_f32 v[4:5], v[4:5], v[46:47]
	v_mov_b32_e32 v49, v37
	v_pk_add_f32 v[4:5], v[4:5], v[14:15]
	s_nop 0
	v_pk_add_f32 v[4:5], v[4:5], v[48:49]
	s_waitcnt vmcnt(0)
	v_pk_add_f32 v[4:5], v[38:39], v[4:5] neg_lo:[0,1] neg_hi:[0,1]
	scratch_store_dwordx2 off, v[4:5], off offset:336
	s_and_saveexec_b64 s[0:1], vcc
	s_cbranch_execz .LBB115_243
; %bb.242:
	scratch_load_dwordx2 v[4:5], off, off offset:328
	v_mov_b32_e32 v3, v2
	scratch_store_dwordx2 off, v[2:3], off offset:328
	s_waitcnt vmcnt(1)
	ds_write_b64 v1, v[4:5]
.LBB115_243:
	s_or_b64 exec, exec, s[0:1]
	s_waitcnt lgkmcnt(0)
	; wave barrier
	scratch_load_dwordx4 v[4:7], off, off offset:336
	scratch_load_dwordx4 v[8:11], off, off offset:352
	scratch_load_dwordx4 v[12:15], off, off offset:368
	scratch_load_dwordx4 v[16:19], off, off offset:384
	scratch_load_dwordx4 v[20:23], off, off offset:400
	scratch_load_dwordx2 v[44:45], off, off offset:328
	ds_read_b128 v[24:27], v2 offset:752
	ds_read_b128 v[28:31], v2 offset:768
	;; [unrolled: 1-line block ×5, first 2 shown]
	v_cmp_lt_u32_e32 vcc, 40, v0
	s_waitcnt vmcnt(5) lgkmcnt(4)
	v_mul_f32_e32 v3, v24, v5
	v_mul_f32_e32 v2, v25, v5
	;; [unrolled: 1-line block ×4, first 2 shown]
	s_waitcnt vmcnt(4) lgkmcnt(3)
	v_pk_mul_f32 v[48:49], v[28:29], v[8:9] op_sel:[1,1] op_sel_hi:[0,1]
	v_mov_b32_e32 v50, v11
	v_fmac_f32_e32 v3, v25, v4
	v_fma_f32 v2, v24, v4, -v2
	v_fmac_f32_e32 v47, v27, v6
	v_fma_f32 v46, v26, v6, -v5
	v_pk_fma_f32 v[4:5], v[28:29], v[8:9], v[48:49] neg_lo:[0,0,1] neg_hi:[0,0,1]
	v_pk_fma_f32 v[6:7], v[28:29], v[8:9], v[48:49] op_sel_hi:[1,0,1]
	v_pk_mul_f32 v[8:9], v[30:31], v[50:51] op_sel:[1,0] op_sel_hi:[0,0]
	v_pk_add_f32 v[2:3], v[2:3], 0 op_sel_hi:[1,0]
	s_waitcnt vmcnt(3) lgkmcnt(2)
	v_pk_mul_f32 v[52:53], v[32:33], v[12:13] op_sel:[1,1] op_sel_hi:[0,1]
	v_mov_b32_e32 v54, v15
	v_mov_b32_e32 v5, v7
	v_pk_fma_f32 v[6:7], v[30:31], v[10:11], v[8:9] neg_lo:[0,0,1] neg_hi:[0,0,1]
	v_pk_fma_f32 v[8:9], v[30:31], v[10:11], v[8:9] op_sel_hi:[1,0,1]
	v_pk_add_f32 v[2:3], v[2:3], v[46:47]
	v_pk_fma_f32 v[24:25], v[32:33], v[12:13], v[52:53] neg_lo:[0,0,1] neg_hi:[0,0,1]
	v_pk_fma_f32 v[12:13], v[32:33], v[12:13], v[52:53] op_sel_hi:[1,0,1]
	v_pk_mul_f32 v[26:27], v[34:35], v[54:55] op_sel:[1,0] op_sel_hi:[0,0]
	v_mov_b32_e32 v7, v9
	v_pk_add_f32 v[2:3], v[2:3], v[4:5]
	s_waitcnt vmcnt(2) lgkmcnt(1)
	v_pk_mul_f32 v[56:57], v[36:37], v[16:17] op_sel:[1,1] op_sel_hi:[0,1]
	v_mov_b32_e32 v58, v19
	v_mov_b32_e32 v25, v13
	v_pk_fma_f32 v[10:11], v[34:35], v[14:15], v[26:27] neg_lo:[0,0,1] neg_hi:[0,0,1]
	v_pk_fma_f32 v[12:13], v[34:35], v[14:15], v[26:27] op_sel_hi:[1,0,1]
	v_pk_add_f32 v[2:3], v[2:3], v[6:7]
	v_pk_fma_f32 v[28:29], v[36:37], v[16:17], v[56:57] neg_lo:[0,0,1] neg_hi:[0,0,1]
	v_pk_fma_f32 v[16:17], v[36:37], v[16:17], v[56:57] op_sel_hi:[1,0,1]
	v_pk_mul_f32 v[32:33], v[38:39], v[58:59] op_sel:[1,0] op_sel_hi:[0,0]
	v_mov_b32_e32 v11, v13
	v_pk_add_f32 v[2:3], v[2:3], v[24:25]
	;; [unrolled: 12-line block ×3, first 2 shown]
	v_mov_b32_e32 v37, v21
	v_pk_fma_f32 v[18:19], v[42:43], v[22:23], v[40:41] neg_lo:[0,0,1] neg_hi:[0,0,1]
	v_pk_fma_f32 v[20:21], v[42:43], v[22:23], v[40:41] op_sel_hi:[1,0,1]
	v_pk_add_f32 v[2:3], v[2:3], v[14:15]
	v_mov_b32_e32 v19, v21
	v_pk_add_f32 v[2:3], v[2:3], v[36:37]
	s_nop 0
	v_pk_add_f32 v[2:3], v[2:3], v[18:19]
	s_waitcnt vmcnt(0)
	v_pk_add_f32 v[2:3], v[44:45], v[2:3] neg_lo:[0,1] neg_hi:[0,1]
	scratch_store_dwordx2 off, v[2:3], off offset:328
	s_and_saveexec_b64 s[0:1], vcc
	s_cbranch_execz .LBB115_245
; %bb.244:
	scratch_load_dwordx2 v[2:3], off, off offset:320
	v_mov_b32_e32 v4, 0
	v_mov_b32_e32 v5, v4
	scratch_store_dwordx2 off, v[4:5], off offset:320
	s_waitcnt vmcnt(1)
	ds_write_b64 v1, v[2:3]
.LBB115_245:
	s_or_b64 exec, exec, s[0:1]
	s_waitcnt lgkmcnt(0)
	; wave barrier
	scratch_load_dwordx4 v[4:7], off, off offset:328
	scratch_load_dwordx4 v[8:11], off, off offset:344
	;; [unrolled: 1-line block ×5, first 2 shown]
	scratch_load_dwordx2 v[44:45], off, off offset:408
	scratch_load_dwordx2 v[46:47], off, off offset:320
	v_mov_b32_e32 v2, 0
	ds_read2_b64 v[24:27], v2 offset0:93 offset1:94
	ds_read2_b64 v[28:31], v2 offset0:95 offset1:96
	ds_read2_b64 v[32:35], v2 offset0:97 offset1:98
	ds_read2_b64 v[36:39], v2 offset0:99 offset1:100
	ds_read2_b64 v[40:43], v2 offset0:101 offset1:102
	ds_read_b64 v[48:49], v2 offset:824
	v_cmp_lt_u32_e32 vcc, 39, v0
	s_waitcnt vmcnt(6) lgkmcnt(5)
	v_mul_f32_e32 v3, v24, v5
	v_mul_f32_e32 v5, v25, v5
	;; [unrolled: 1-line block ×3, first 2 shown]
	s_waitcnt vmcnt(5) lgkmcnt(4)
	v_mul_f32_e32 v53, v28, v9
	v_mul_f32_e32 v7, v27, v7
	;; [unrolled: 1-line block ×3, first 2 shown]
	v_mov_b32_e32 v54, v11
	s_waitcnt vmcnt(3) lgkmcnt(2)
	v_pk_mul_f32 v[60:61], v[36:37], v[16:17] op_sel:[1,1] op_sel_hi:[0,1]
	s_waitcnt vmcnt(2) lgkmcnt(1)
	v_pk_mul_f32 v[64:65], v[40:41], v[20:21] op_sel:[1,1] op_sel_hi:[0,1]
	;; [unrolled: 2-line block ×3, first 2 shown]
	v_fmac_f32_e32 v3, v25, v4
	v_fma_f32 v55, v24, v4, -v5
	v_fmac_f32_e32 v51, v27, v6
	v_fmac_f32_e32 v53, v29, v8
	v_fma_f32 v50, v26, v6, -v7
	v_fma_f32 v52, v28, v8, -v9
	v_pk_mul_f32 v[4:5], v[30:31], v[54:55] op_sel:[1,0] op_sel_hi:[0,0]
	v_pk_fma_f32 v[24:25], v[36:37], v[16:17], v[60:61] neg_lo:[0,0,1] neg_hi:[0,0,1]
	v_pk_fma_f32 v[16:17], v[36:37], v[16:17], v[60:61] op_sel_hi:[1,0,1]
	v_pk_fma_f32 v[28:29], v[40:41], v[20:21], v[64:65] neg_lo:[0,0,1] neg_hi:[0,0,1]
	v_pk_fma_f32 v[20:21], v[40:41], v[20:21], v[64:65] op_sel_hi:[1,0,1]
	;; [unrolled: 2-line block ×3, first 2 shown]
	v_add_f32_e32 v45, 0, v3
	v_add_f32_e32 v44, 0, v55
	v_pk_mul_f32 v[56:57], v[32:33], v[12:13] op_sel:[1,1] op_sel_hi:[0,1]
	v_mov_b32_e32 v58, v15
	v_pk_fma_f32 v[48:49], v[30:31], v[10:11], v[4:5] neg_lo:[0,0,1] neg_hi:[0,0,1]
	v_pk_fma_f32 v[4:5], v[30:31], v[10:11], v[4:5] op_sel_hi:[1,0,1]
	v_mov_b32_e32 v29, v21
	v_pk_add_f32 v[20:21], v[44:45], v[50:51]
	v_pk_fma_f32 v[6:7], v[32:33], v[12:13], v[56:57] neg_lo:[0,0,1] neg_hi:[0,0,1]
	v_pk_fma_f32 v[8:9], v[32:33], v[12:13], v[56:57] op_sel_hi:[1,0,1]
	v_pk_mul_f32 v[12:13], v[34:35], v[58:59] op_sel:[1,0] op_sel_hi:[0,0]
	v_mov_b32_e32 v49, v5
	v_pk_add_f32 v[4:5], v[20:21], v[52:53]
	v_mov_b32_e32 v62, v19
	v_mov_b32_e32 v7, v9
	v_pk_fma_f32 v[8:9], v[34:35], v[14:15], v[12:13] neg_lo:[0,0,1] neg_hi:[0,0,1]
	v_pk_fma_f32 v[10:11], v[34:35], v[14:15], v[12:13] op_sel_hi:[1,0,1]
	v_pk_add_f32 v[4:5], v[4:5], v[48:49]
	v_pk_mul_f32 v[26:27], v[38:39], v[62:63] op_sel:[1,0] op_sel_hi:[0,0]
	v_mov_b32_e32 v9, v11
	v_pk_add_f32 v[4:5], v[4:5], v[6:7]
	v_mov_b32_e32 v66, v23
	v_mov_b32_e32 v25, v17
	v_pk_fma_f32 v[12:13], v[38:39], v[18:19], v[26:27] neg_lo:[0,0,1] neg_hi:[0,0,1]
	v_pk_fma_f32 v[14:15], v[38:39], v[18:19], v[26:27] op_sel_hi:[1,0,1]
	v_pk_add_f32 v[4:5], v[4:5], v[8:9]
	v_pk_mul_f32 v[32:33], v[42:43], v[66:67] op_sel:[1,0] op_sel_hi:[0,0]
	v_mov_b32_e32 v13, v15
	v_pk_add_f32 v[4:5], v[4:5], v[24:25]
	v_pk_fma_f32 v[16:17], v[42:43], v[22:23], v[32:33] neg_lo:[0,0,1] neg_hi:[0,0,1]
	v_pk_fma_f32 v[18:19], v[42:43], v[22:23], v[32:33] op_sel_hi:[1,0,1]
	v_pk_add_f32 v[4:5], v[4:5], v[12:13]
	v_mov_b32_e32 v17, v19
	v_pk_add_f32 v[4:5], v[4:5], v[28:29]
	v_mov_b32_e32 v37, v41
	v_pk_add_f32 v[4:5], v[4:5], v[16:17]
	s_nop 0
	v_pk_add_f32 v[4:5], v[4:5], v[36:37]
	s_waitcnt vmcnt(0)
	v_pk_add_f32 v[4:5], v[46:47], v[4:5] neg_lo:[0,1] neg_hi:[0,1]
	scratch_store_dwordx2 off, v[4:5], off offset:320
	s_and_saveexec_b64 s[0:1], vcc
	s_cbranch_execz .LBB115_247
; %bb.246:
	scratch_load_dwordx2 v[4:5], off, off offset:312
	v_mov_b32_e32 v3, v2
	scratch_store_dwordx2 off, v[2:3], off offset:312
	s_waitcnt vmcnt(1)
	ds_write_b64 v1, v[4:5]
.LBB115_247:
	s_or_b64 exec, exec, s[0:1]
	s_waitcnt lgkmcnt(0)
	; wave barrier
	ds_read_b128 v[4:7], v2 offset:736
	ds_read_b128 v[8:11], v2 offset:752
	;; [unrolled: 1-line block ×4, first 2 shown]
	scratch_load_dwordx4 v[20:23], off, off offset:320
	v_cmp_lt_u32_e32 vcc, 38, v0
	s_waitcnt vmcnt(0) lgkmcnt(3)
	v_mul_f32_e32 v3, v4, v21
	v_fmac_f32_e32 v3, v5, v20
	v_mul_f32_e32 v24, v6, v23
	v_add_f32_e32 v3, 0, v3
	v_fmac_f32_e32 v24, v7, v22
	v_add_f32_e32 v45, v3, v24
	scratch_load_dwordx4 v[24:27], off, off offset:336
	scratch_load_dwordx4 v[28:31], off, off offset:352
	;; [unrolled: 1-line block ×5, first 2 shown]
	v_mul_f32_e32 v3, v5, v21
	v_fma_f32 v3, v4, v20, -v3
	v_mul_f32_e32 v4, v7, v23
	v_fma_f32 v4, v6, v22, -v4
	v_add_f32_e32 v3, 0, v3
	v_add_f32_e32 v44, v3, v4
	s_waitcnt vmcnt(3) lgkmcnt(1)
	v_pk_mul_f32 v[20:21], v[12:13], v[28:29] op_sel:[1,1] op_sel_hi:[0,1]
	v_pk_fma_f32 v[22:23], v[12:13], v[28:29], v[20:21] neg_lo:[0,0,1] neg_hi:[0,0,1]
	v_pk_fma_f32 v[12:13], v[12:13], v[28:29], v[20:21] op_sel_hi:[1,0,1]
	v_mul_f32_e32 v47, v8, v25
	v_mov_b32_e32 v12, v31
	v_mul_f32_e32 v3, v9, v25
	v_mov_b32_e32 v23, v13
	v_pk_mul_f32 v[12:13], v[14:15], v[12:13] op_sel:[1,0] op_sel_hi:[0,0]
	v_fmac_f32_e32 v47, v9, v24
	v_mul_f32_e32 v49, v10, v27
	v_fma_f32 v46, v8, v24, -v3
	v_mul_f32_e32 v3, v11, v27
	v_pk_fma_f32 v[20:21], v[14:15], v[30:31], v[12:13] neg_lo:[0,0,1] neg_hi:[0,0,1]
	v_pk_fma_f32 v[12:13], v[14:15], v[30:31], v[12:13] op_sel_hi:[1,0,1]
	v_fmac_f32_e32 v49, v11, v26
	v_fma_f32 v48, v10, v26, -v3
	ds_read_b128 v[4:7], v2 offset:800
	ds_read_b128 v[8:11], v2 offset:816
	v_pk_add_f32 v[2:3], v[44:45], v[46:47]
	v_mov_b32_e32 v21, v13
	s_waitcnt vmcnt(2) lgkmcnt(2)
	v_pk_mul_f32 v[12:13], v[16:17], v[32:33] op_sel:[1,1] op_sel_hi:[0,1]
	v_pk_add_f32 v[2:3], v[2:3], v[48:49]
	v_pk_fma_f32 v[14:15], v[16:17], v[32:33], v[12:13] neg_lo:[0,0,1] neg_hi:[0,0,1]
	v_pk_fma_f32 v[12:13], v[16:17], v[32:33], v[12:13] op_sel_hi:[1,0,1]
	v_pk_add_f32 v[2:3], v[2:3], v[22:23]
	v_mov_b32_e32 v12, v35
	v_pk_add_f32 v[2:3], v[2:3], v[20:21]
	v_mov_b32_e32 v15, v13
	v_pk_mul_f32 v[12:13], v[18:19], v[12:13] op_sel:[1,0] op_sel_hi:[0,0]
	v_pk_add_f32 v[2:3], v[2:3], v[14:15]
	v_pk_fma_f32 v[14:15], v[18:19], v[34:35], v[12:13] neg_lo:[0,0,1] neg_hi:[0,0,1]
	v_pk_fma_f32 v[12:13], v[18:19], v[34:35], v[12:13] op_sel_hi:[1,0,1]
	s_nop 0
	v_mov_b32_e32 v15, v13
	s_waitcnt vmcnt(1) lgkmcnt(1)
	v_pk_mul_f32 v[12:13], v[4:5], v[36:37] op_sel:[1,1] op_sel_hi:[0,1]
	v_pk_add_f32 v[2:3], v[2:3], v[14:15]
	v_pk_fma_f32 v[14:15], v[4:5], v[36:37], v[12:13] neg_lo:[0,0,1] neg_hi:[0,0,1]
	v_pk_fma_f32 v[4:5], v[4:5], v[36:37], v[12:13] op_sel_hi:[1,0,1]
	s_nop 0
	v_mov_b32_e32 v4, v39
	v_mov_b32_e32 v15, v5
	v_pk_mul_f32 v[4:5], v[6:7], v[4:5] op_sel:[1,0] op_sel_hi:[0,0]
	v_pk_fma_f32 v[12:13], v[6:7], v[38:39], v[4:5] neg_lo:[0,0,1] neg_hi:[0,0,1]
	v_pk_fma_f32 v[4:5], v[6:7], v[38:39], v[4:5] op_sel_hi:[1,0,1]
	v_pk_add_f32 v[2:3], v[2:3], v[14:15]
	v_mov_b32_e32 v13, v5
	s_waitcnt vmcnt(0) lgkmcnt(0)
	v_pk_mul_f32 v[4:5], v[8:9], v[40:41] op_sel:[1,1] op_sel_hi:[0,1]
	v_pk_fma_f32 v[6:7], v[8:9], v[40:41], v[4:5] neg_lo:[0,0,1] neg_hi:[0,0,1]
	v_pk_fma_f32 v[4:5], v[8:9], v[40:41], v[4:5] op_sel_hi:[1,0,1]
	v_pk_add_f32 v[2:3], v[2:3], v[12:13]
	v_mov_b32_e32 v4, v43
	v_mov_b32_e32 v7, v5
	v_pk_mul_f32 v[4:5], v[10:11], v[4:5] op_sel:[1,0] op_sel_hi:[0,0]
	v_pk_add_f32 v[2:3], v[2:3], v[6:7]
	v_pk_fma_f32 v[6:7], v[10:11], v[42:43], v[4:5] neg_lo:[0,0,1] neg_hi:[0,0,1]
	v_pk_fma_f32 v[4:5], v[10:11], v[42:43], v[4:5] op_sel_hi:[1,0,1]
	s_nop 0
	v_mov_b32_e32 v7, v5
	scratch_load_dwordx2 v[4:5], off, off offset:312
	v_pk_add_f32 v[2:3], v[2:3], v[6:7]
	s_waitcnt vmcnt(0)
	v_pk_add_f32 v[2:3], v[4:5], v[2:3] neg_lo:[0,1] neg_hi:[0,1]
	scratch_store_dwordx2 off, v[2:3], off offset:312
	s_and_saveexec_b64 s[0:1], vcc
	s_cbranch_execz .LBB115_249
; %bb.248:
	scratch_load_dwordx2 v[2:3], off, off offset:304
	v_mov_b32_e32 v4, 0
	v_mov_b32_e32 v5, v4
	scratch_store_dwordx2 off, v[4:5], off offset:304
	s_waitcnt vmcnt(1)
	ds_write_b64 v1, v[2:3]
.LBB115_249:
	s_or_b64 exec, exec, s[0:1]
	s_waitcnt lgkmcnt(0)
	; wave barrier
	scratch_load_dwordx4 v[8:11], off, off offset:312
	scratch_load_dwordx4 v[16:19], off, off offset:328
	v_mov_b32_e32 v2, 0
	ds_read2_b64 v[4:7], v2 offset0:91 offset1:92
	scratch_load_dwordx4 v[24:27], off, off offset:344
	v_cmp_lt_u32_e32 vcc, 37, v0
	s_waitcnt vmcnt(2) lgkmcnt(0)
	v_mul_f32_e32 v3, v4, v9
	v_fmac_f32_e32 v3, v5, v8
	v_mul_f32_e32 v12, v6, v11
	v_add_f32_e32 v3, 0, v3
	v_fmac_f32_e32 v12, v7, v10
	v_add_f32_e32 v3, v3, v12
	ds_read2_b64 v[12:15], v2 offset0:93 offset1:94
	s_waitcnt vmcnt(1) lgkmcnt(0)
	v_mul_f32_e32 v20, v12, v17
	v_fmac_f32_e32 v20, v13, v16
	v_add_f32_e32 v41, v3, v20
	ds_read2_b64 v[20:23], v2 offset0:95 offset1:96
	scratch_load_dwordx4 v[28:31], off, off offset:360
	scratch_load_dwordx4 v[32:35], off, off offset:376
	;; [unrolled: 1-line block ×3, first 2 shown]
	scratch_load_dwordx2 v[46:47], off, off offset:408
	v_mul_f32_e32 v3, v5, v9
	v_fma_f32 v3, v4, v8, -v3
	v_mul_f32_e32 v4, v7, v11
	v_add_f32_e32 v3, 0, v3
	v_fma_f32 v4, v6, v10, -v4
	v_add_f32_e32 v3, v3, v4
	v_mul_f32_e32 v4, v13, v17
	v_fma_f32 v4, v12, v16, -v4
	v_add_f32_e32 v40, v3, v4
	v_mul_f32_e32 v3, v15, v19
	v_fma_f32 v42, v14, v18, -v3
	s_waitcnt vmcnt(4) lgkmcnt(0)
	v_mul_f32_e32 v3, v21, v25
	v_mul_f32_e32 v43, v14, v19
	;; [unrolled: 1-line block ×3, first 2 shown]
	v_fma_f32 v44, v20, v24, -v3
	v_mov_b32_e32 v20, v27
	v_fmac_f32_e32 v43, v15, v18
	v_fmac_f32_e32 v45, v21, v24
	ds_read2_b64 v[4:7], v2 offset0:97 offset1:98
	ds_read2_b64 v[8:11], v2 offset0:99 offset1:100
	;; [unrolled: 1-line block ×3, first 2 shown]
	ds_read_b64 v[16:17], v2 offset:824
	v_pk_mul_f32 v[20:21], v[22:23], v[20:21] op_sel:[1,0] op_sel_hi:[0,0]
	v_pk_fma_f32 v[24:25], v[22:23], v[26:27], v[20:21] neg_lo:[0,0,1] neg_hi:[0,0,1]
	v_pk_fma_f32 v[20:21], v[22:23], v[26:27], v[20:21] op_sel_hi:[1,0,1]
	v_pk_add_f32 v[18:19], v[40:41], v[42:43]
	v_mov_b32_e32 v25, v21
	v_pk_add_f32 v[18:19], v[18:19], v[44:45]
	s_waitcnt vmcnt(3) lgkmcnt(3)
	v_pk_mul_f32 v[20:21], v[4:5], v[28:29] op_sel:[1,1] op_sel_hi:[0,1]
	v_pk_fma_f32 v[22:23], v[4:5], v[28:29], v[20:21] neg_lo:[0,0,1] neg_hi:[0,0,1]
	v_pk_fma_f32 v[4:5], v[4:5], v[28:29], v[20:21] op_sel_hi:[1,0,1]
	v_pk_add_f32 v[18:19], v[18:19], v[24:25]
	v_mov_b32_e32 v23, v5
	v_pk_add_f32 v[4:5], v[18:19], v[22:23]
	v_mov_b32_e32 v18, v31
	v_pk_mul_f32 v[18:19], v[6:7], v[18:19] op_sel:[1,0] op_sel_hi:[0,0]
	v_pk_fma_f32 v[20:21], v[6:7], v[30:31], v[18:19] neg_lo:[0,0,1] neg_hi:[0,0,1]
	v_pk_fma_f32 v[6:7], v[6:7], v[30:31], v[18:19] op_sel_hi:[1,0,1]
	s_nop 0
	v_mov_b32_e32 v21, v7
	s_waitcnt vmcnt(2) lgkmcnt(2)
	v_pk_mul_f32 v[6:7], v[8:9], v[32:33] op_sel:[1,1] op_sel_hi:[0,1]
	v_pk_fma_f32 v[18:19], v[8:9], v[32:33], v[6:7] neg_lo:[0,0,1] neg_hi:[0,0,1]
	v_pk_fma_f32 v[6:7], v[8:9], v[32:33], v[6:7] op_sel_hi:[1,0,1]
	v_pk_add_f32 v[4:5], v[4:5], v[20:21]
	v_mov_b32_e32 v6, v35
	v_mov_b32_e32 v19, v7
	v_pk_mul_f32 v[6:7], v[10:11], v[6:7] op_sel:[1,0] op_sel_hi:[0,0]
	v_pk_fma_f32 v[8:9], v[10:11], v[34:35], v[6:7] neg_lo:[0,0,1] neg_hi:[0,0,1]
	v_pk_fma_f32 v[6:7], v[10:11], v[34:35], v[6:7] op_sel_hi:[1,0,1]
	v_pk_add_f32 v[4:5], v[4:5], v[18:19]
	v_mov_b32_e32 v9, v7
	s_waitcnt vmcnt(1) lgkmcnt(1)
	v_pk_mul_f32 v[6:7], v[12:13], v[36:37] op_sel:[1,1] op_sel_hi:[0,1]
	v_pk_add_f32 v[4:5], v[4:5], v[8:9]
	v_pk_fma_f32 v[8:9], v[12:13], v[36:37], v[6:7] neg_lo:[0,0,1] neg_hi:[0,0,1]
	v_pk_fma_f32 v[6:7], v[12:13], v[36:37], v[6:7] op_sel_hi:[1,0,1]
	s_nop 0
	v_mov_b32_e32 v6, v39
	v_mov_b32_e32 v9, v7
	v_pk_mul_f32 v[6:7], v[14:15], v[6:7] op_sel:[1,0] op_sel_hi:[0,0]
	v_pk_add_f32 v[4:5], v[4:5], v[8:9]
	v_pk_fma_f32 v[8:9], v[14:15], v[38:39], v[6:7] neg_lo:[0,0,1] neg_hi:[0,0,1]
	v_pk_fma_f32 v[6:7], v[14:15], v[38:39], v[6:7] op_sel_hi:[1,0,1]
	s_nop 0
	v_mov_b32_e32 v9, v7
	s_waitcnt vmcnt(0) lgkmcnt(0)
	v_pk_mul_f32 v[6:7], v[16:17], v[46:47] op_sel:[1,1] op_sel_hi:[0,1]
	v_pk_add_f32 v[4:5], v[4:5], v[8:9]
	v_pk_fma_f32 v[8:9], v[16:17], v[46:47], v[6:7] neg_lo:[0,0,1] neg_hi:[0,0,1]
	v_pk_fma_f32 v[6:7], v[16:17], v[46:47], v[6:7] op_sel_hi:[1,0,1]
	s_nop 0
	v_mov_b32_e32 v9, v7
	scratch_load_dwordx2 v[6:7], off, off offset:304
	v_pk_add_f32 v[4:5], v[4:5], v[8:9]
	s_waitcnt vmcnt(0)
	v_pk_add_f32 v[4:5], v[6:7], v[4:5] neg_lo:[0,1] neg_hi:[0,1]
	scratch_store_dwordx2 off, v[4:5], off offset:304
	s_and_saveexec_b64 s[0:1], vcc
	s_cbranch_execz .LBB115_251
; %bb.250:
	scratch_load_dwordx2 v[4:5], off, off offset:296
	v_mov_b32_e32 v3, v2
	scratch_store_dwordx2 off, v[2:3], off offset:296
	s_waitcnt vmcnt(1)
	ds_write_b64 v1, v[4:5]
.LBB115_251:
	s_or_b64 exec, exec, s[0:1]
	s_waitcnt lgkmcnt(0)
	; wave barrier
	ds_read_b128 v[4:7], v2 offset:720
	ds_read_b128 v[8:11], v2 offset:736
	;; [unrolled: 1-line block ×4, first 2 shown]
	scratch_load_dwordx4 v[20:23], off, off offset:304
	v_cmp_lt_u32_e32 vcc, 36, v0
	s_waitcnt vmcnt(0) lgkmcnt(3)
	v_mul_f32_e32 v3, v4, v21
	v_fmac_f32_e32 v3, v5, v20
	v_mul_f32_e32 v24, v6, v23
	v_add_f32_e32 v3, 0, v3
	v_fmac_f32_e32 v24, v7, v22
	v_add_f32_e32 v3, v3, v24
	scratch_load_dwordx4 v[24:27], off, off offset:320
	s_waitcnt vmcnt(0) lgkmcnt(2)
	v_mul_f32_e32 v28, v8, v25
	v_fmac_f32_e32 v28, v9, v24
	v_add_f32_e32 v3, v3, v28
	v_mul_f32_e32 v28, v10, v27
	v_fmac_f32_e32 v28, v11, v26
	v_add_f32_e32 v49, v3, v28
	scratch_load_dwordx4 v[28:31], off, off offset:336
	scratch_load_dwordx4 v[32:35], off, off offset:352
	;; [unrolled: 1-line block ×5, first 2 shown]
	v_mul_f32_e32 v3, v5, v21
	v_fma_f32 v3, v4, v20, -v3
	v_mul_f32_e32 v4, v7, v23
	v_add_f32_e32 v3, 0, v3
	v_fma_f32 v4, v6, v22, -v4
	v_add_f32_e32 v3, v3, v4
	v_mul_f32_e32 v4, v9, v25
	v_fma_f32 v4, v8, v24, -v4
	v_add_f32_e32 v3, v3, v4
	v_mul_f32_e32 v4, v11, v27
	v_fma_f32 v4, v10, v26, -v4
	v_add_f32_e32 v48, v3, v4
	s_waitcnt vmcnt(3) lgkmcnt(0)
	v_pk_mul_f32 v[20:21], v[16:17], v[32:33] op_sel:[1,1] op_sel_hi:[0,1]
	v_pk_fma_f32 v[22:23], v[16:17], v[32:33], v[20:21] neg_lo:[0,0,1] neg_hi:[0,0,1]
	v_mul_f32_e32 v3, v13, v29
	v_mul_f32_e32 v51, v12, v29
	v_mul_f32_e32 v53, v14, v31
	v_fma_f32 v50, v12, v28, -v3
	v_mul_f32_e32 v3, v15, v31
	v_pk_fma_f32 v[16:17], v[16:17], v[32:33], v[20:21] op_sel_hi:[1,0,1]
	v_fmac_f32_e32 v51, v13, v28
	v_fmac_f32_e32 v53, v15, v30
	v_fma_f32 v52, v14, v30, -v3
	ds_read_b128 v[4:7], v2 offset:784
	ds_read_b128 v[8:11], v2 offset:800
	;; [unrolled: 1-line block ×3, first 2 shown]
	v_mov_b32_e32 v16, v35
	v_mov_b32_e32 v23, v17
	v_pk_mul_f32 v[16:17], v[18:19], v[16:17] op_sel:[1,0] op_sel_hi:[0,0]
	v_pk_fma_f32 v[20:21], v[18:19], v[34:35], v[16:17] neg_lo:[0,0,1] neg_hi:[0,0,1]
	v_pk_fma_f32 v[16:17], v[18:19], v[34:35], v[16:17] op_sel_hi:[1,0,1]
	v_pk_add_f32 v[2:3], v[48:49], v[50:51]
	v_mov_b32_e32 v21, v17
	s_waitcnt vmcnt(2) lgkmcnt(2)
	v_pk_mul_f32 v[16:17], v[4:5], v[36:37] op_sel:[1,1] op_sel_hi:[0,1]
	v_pk_fma_f32 v[18:19], v[4:5], v[36:37], v[16:17] neg_lo:[0,0,1] neg_hi:[0,0,1]
	v_pk_fma_f32 v[4:5], v[4:5], v[36:37], v[16:17] op_sel_hi:[1,0,1]
	v_pk_add_f32 v[2:3], v[2:3], v[52:53]
	v_mov_b32_e32 v4, v39
	v_mov_b32_e32 v19, v5
	v_pk_mul_f32 v[4:5], v[6:7], v[4:5] op_sel:[1,0] op_sel_hi:[0,0]
	v_pk_fma_f32 v[16:17], v[6:7], v[38:39], v[4:5] neg_lo:[0,0,1] neg_hi:[0,0,1]
	v_pk_fma_f32 v[4:5], v[6:7], v[38:39], v[4:5] op_sel_hi:[1,0,1]
	v_pk_add_f32 v[2:3], v[2:3], v[22:23]
	v_mov_b32_e32 v17, v5
	s_waitcnt vmcnt(1) lgkmcnt(1)
	v_pk_mul_f32 v[4:5], v[8:9], v[40:41] op_sel:[1,1] op_sel_hi:[0,1]
	v_pk_add_f32 v[2:3], v[2:3], v[20:21]
	v_pk_fma_f32 v[6:7], v[8:9], v[40:41], v[4:5] neg_lo:[0,0,1] neg_hi:[0,0,1]
	v_pk_fma_f32 v[4:5], v[8:9], v[40:41], v[4:5] op_sel_hi:[1,0,1]
	v_pk_add_f32 v[2:3], v[2:3], v[18:19]
	v_mov_b32_e32 v4, v43
	v_pk_add_f32 v[2:3], v[2:3], v[16:17]
	v_mov_b32_e32 v7, v5
	v_pk_mul_f32 v[4:5], v[10:11], v[4:5] op_sel:[1,0] op_sel_hi:[0,0]
	v_pk_add_f32 v[2:3], v[2:3], v[6:7]
	v_pk_fma_f32 v[6:7], v[10:11], v[42:43], v[4:5] neg_lo:[0,0,1] neg_hi:[0,0,1]
	v_pk_fma_f32 v[4:5], v[10:11], v[42:43], v[4:5] op_sel_hi:[1,0,1]
	s_nop 0
	v_mov_b32_e32 v7, v5
	s_waitcnt vmcnt(0) lgkmcnt(0)
	v_pk_mul_f32 v[4:5], v[12:13], v[44:45] op_sel:[1,1] op_sel_hi:[0,1]
	v_pk_add_f32 v[2:3], v[2:3], v[6:7]
	v_pk_fma_f32 v[6:7], v[12:13], v[44:45], v[4:5] neg_lo:[0,0,1] neg_hi:[0,0,1]
	v_pk_fma_f32 v[4:5], v[12:13], v[44:45], v[4:5] op_sel_hi:[1,0,1]
	s_nop 0
	v_mov_b32_e32 v4, v47
	v_mov_b32_e32 v7, v5
	v_pk_mul_f32 v[4:5], v[14:15], v[4:5] op_sel:[1,0] op_sel_hi:[0,0]
	v_pk_add_f32 v[2:3], v[2:3], v[6:7]
	v_pk_fma_f32 v[6:7], v[14:15], v[46:47], v[4:5] neg_lo:[0,0,1] neg_hi:[0,0,1]
	v_pk_fma_f32 v[4:5], v[14:15], v[46:47], v[4:5] op_sel_hi:[1,0,1]
	s_nop 0
	v_mov_b32_e32 v7, v5
	scratch_load_dwordx2 v[4:5], off, off offset:296
	v_pk_add_f32 v[2:3], v[2:3], v[6:7]
	s_waitcnt vmcnt(0)
	v_pk_add_f32 v[2:3], v[4:5], v[2:3] neg_lo:[0,1] neg_hi:[0,1]
	scratch_store_dwordx2 off, v[2:3], off offset:296
	s_and_saveexec_b64 s[0:1], vcc
	s_cbranch_execz .LBB115_253
; %bb.252:
	scratch_load_dwordx2 v[2:3], off, off offset:288
	v_mov_b32_e32 v4, 0
	v_mov_b32_e32 v5, v4
	scratch_store_dwordx2 off, v[4:5], off offset:288
	s_waitcnt vmcnt(1)
	ds_write_b64 v1, v[2:3]
.LBB115_253:
	s_or_b64 exec, exec, s[0:1]
	s_waitcnt lgkmcnt(0)
	; wave barrier
	scratch_load_dwordx4 v[8:11], off, off offset:296
	scratch_load_dwordx4 v[16:19], off, off offset:312
	;; [unrolled: 1-line block ×4, first 2 shown]
	v_mov_b32_e32 v2, 0
	ds_read2_b64 v[4:7], v2 offset0:89 offset1:90
	v_cmp_lt_u32_e32 vcc, 35, v0
	s_waitcnt vmcnt(3) lgkmcnt(0)
	v_mul_f32_e32 v3, v4, v9
	v_fmac_f32_e32 v3, v5, v8
	v_mul_f32_e32 v12, v6, v11
	v_add_f32_e32 v3, 0, v3
	v_fmac_f32_e32 v12, v7, v10
	v_add_f32_e32 v3, v3, v12
	ds_read2_b64 v[12:15], v2 offset0:91 offset1:92
	s_waitcnt vmcnt(2) lgkmcnt(0)
	v_mul_f32_e32 v20, v12, v17
	v_fmac_f32_e32 v20, v13, v16
	v_add_f32_e32 v3, v3, v20
	v_mul_f32_e32 v20, v14, v19
	v_fmac_f32_e32 v20, v15, v18
	v_add_f32_e32 v3, v3, v20
	ds_read2_b64 v[20:23], v2 offset0:93 offset1:94
	s_waitcnt vmcnt(1) lgkmcnt(0)
	v_mul_f32_e32 v28, v20, v25
	v_fmac_f32_e32 v28, v21, v24
	v_add_f32_e32 v49, v3, v28
	ds_read2_b64 v[28:31], v2 offset0:95 offset1:96
	scratch_load_dwordx4 v[36:39], off, off offset:360
	scratch_load_dwordx4 v[40:43], off, off offset:376
	;; [unrolled: 1-line block ×3, first 2 shown]
	scratch_load_dwordx2 v[54:55], off, off offset:408
	v_mul_f32_e32 v3, v5, v9
	v_fma_f32 v3, v4, v8, -v3
	v_mul_f32_e32 v4, v7, v11
	v_add_f32_e32 v3, 0, v3
	v_fma_f32 v4, v6, v10, -v4
	v_add_f32_e32 v3, v3, v4
	v_mul_f32_e32 v4, v13, v17
	v_fma_f32 v4, v12, v16, -v4
	v_add_f32_e32 v3, v3, v4
	v_mul_f32_e32 v4, v15, v19
	v_fma_f32 v4, v14, v18, -v4
	v_add_f32_e32 v3, v3, v4
	v_mul_f32_e32 v4, v21, v25
	v_fma_f32 v4, v20, v24, -v4
	v_mul_f32_e32 v51, v22, v27
	v_add_f32_e32 v48, v3, v4
	v_mul_f32_e32 v3, v23, v27
	s_waitcnt vmcnt(4)
	v_mov_b32_e32 v20, v35
	v_fmac_f32_e32 v51, v23, v26
	s_waitcnt lgkmcnt(0)
	v_mul_f32_e32 v53, v28, v33
	v_fma_f32 v50, v22, v26, -v3
	v_mul_f32_e32 v3, v29, v33
	ds_read2_b64 v[4:7], v2 offset0:97 offset1:98
	ds_read2_b64 v[8:11], v2 offset0:99 offset1:100
	;; [unrolled: 1-line block ×3, first 2 shown]
	ds_read_b64 v[16:17], v2 offset:824
	v_pk_mul_f32 v[20:21], v[30:31], v[20:21] op_sel:[1,0] op_sel_hi:[0,0]
	v_fmac_f32_e32 v53, v29, v32
	v_fma_f32 v52, v28, v32, -v3
	v_pk_add_f32 v[18:19], v[48:49], v[50:51]
	v_pk_fma_f32 v[22:23], v[30:31], v[34:35], v[20:21] neg_lo:[0,0,1] neg_hi:[0,0,1]
	v_pk_fma_f32 v[20:21], v[30:31], v[34:35], v[20:21] op_sel_hi:[1,0,1]
	v_pk_add_f32 v[18:19], v[18:19], v[52:53]
	v_mov_b32_e32 v23, v21
	v_pk_add_f32 v[18:19], v[18:19], v[22:23]
	s_waitcnt vmcnt(3) lgkmcnt(3)
	v_pk_mul_f32 v[20:21], v[4:5], v[36:37] op_sel:[1,1] op_sel_hi:[0,1]
	v_pk_fma_f32 v[22:23], v[4:5], v[36:37], v[20:21] neg_lo:[0,0,1] neg_hi:[0,0,1]
	v_pk_fma_f32 v[4:5], v[4:5], v[36:37], v[20:21] op_sel_hi:[1,0,1]
	s_nop 0
	v_mov_b32_e32 v23, v5
	v_pk_add_f32 v[4:5], v[18:19], v[22:23]
	v_mov_b32_e32 v18, v39
	v_pk_mul_f32 v[18:19], v[6:7], v[18:19] op_sel:[1,0] op_sel_hi:[0,0]
	v_pk_fma_f32 v[20:21], v[6:7], v[38:39], v[18:19] neg_lo:[0,0,1] neg_hi:[0,0,1]
	v_pk_fma_f32 v[6:7], v[6:7], v[38:39], v[18:19] op_sel_hi:[1,0,1]
	s_nop 0
	v_mov_b32_e32 v21, v7
	s_waitcnt vmcnt(2) lgkmcnt(2)
	v_pk_mul_f32 v[6:7], v[8:9], v[40:41] op_sel:[1,1] op_sel_hi:[0,1]
	v_pk_fma_f32 v[18:19], v[8:9], v[40:41], v[6:7] neg_lo:[0,0,1] neg_hi:[0,0,1]
	v_pk_fma_f32 v[6:7], v[8:9], v[40:41], v[6:7] op_sel_hi:[1,0,1]
	v_pk_add_f32 v[4:5], v[4:5], v[20:21]
	v_mov_b32_e32 v6, v43
	v_mov_b32_e32 v19, v7
	v_pk_mul_f32 v[6:7], v[10:11], v[6:7] op_sel:[1,0] op_sel_hi:[0,0]
	v_pk_fma_f32 v[8:9], v[10:11], v[42:43], v[6:7] neg_lo:[0,0,1] neg_hi:[0,0,1]
	v_pk_fma_f32 v[6:7], v[10:11], v[42:43], v[6:7] op_sel_hi:[1,0,1]
	v_pk_add_f32 v[4:5], v[4:5], v[18:19]
	v_mov_b32_e32 v9, v7
	s_waitcnt vmcnt(1) lgkmcnt(1)
	v_pk_mul_f32 v[6:7], v[12:13], v[44:45] op_sel:[1,1] op_sel_hi:[0,1]
	v_pk_add_f32 v[4:5], v[4:5], v[8:9]
	v_pk_fma_f32 v[8:9], v[12:13], v[44:45], v[6:7] neg_lo:[0,0,1] neg_hi:[0,0,1]
	v_pk_fma_f32 v[6:7], v[12:13], v[44:45], v[6:7] op_sel_hi:[1,0,1]
	s_nop 0
	v_mov_b32_e32 v6, v47
	v_mov_b32_e32 v9, v7
	v_pk_mul_f32 v[6:7], v[14:15], v[6:7] op_sel:[1,0] op_sel_hi:[0,0]
	v_pk_add_f32 v[4:5], v[4:5], v[8:9]
	v_pk_fma_f32 v[8:9], v[14:15], v[46:47], v[6:7] neg_lo:[0,0,1] neg_hi:[0,0,1]
	v_pk_fma_f32 v[6:7], v[14:15], v[46:47], v[6:7] op_sel_hi:[1,0,1]
	s_nop 0
	v_mov_b32_e32 v9, v7
	s_waitcnt vmcnt(0) lgkmcnt(0)
	v_pk_mul_f32 v[6:7], v[16:17], v[54:55] op_sel:[1,1] op_sel_hi:[0,1]
	v_pk_add_f32 v[4:5], v[4:5], v[8:9]
	v_pk_fma_f32 v[8:9], v[16:17], v[54:55], v[6:7] neg_lo:[0,0,1] neg_hi:[0,0,1]
	v_pk_fma_f32 v[6:7], v[16:17], v[54:55], v[6:7] op_sel_hi:[1,0,1]
	s_nop 0
	v_mov_b32_e32 v9, v7
	scratch_load_dwordx2 v[6:7], off, off offset:288
	v_pk_add_f32 v[4:5], v[4:5], v[8:9]
	s_waitcnt vmcnt(0)
	v_pk_add_f32 v[4:5], v[6:7], v[4:5] neg_lo:[0,1] neg_hi:[0,1]
	scratch_store_dwordx2 off, v[4:5], off offset:288
	s_and_saveexec_b64 s[0:1], vcc
	s_cbranch_execz .LBB115_255
; %bb.254:
	scratch_load_dwordx2 v[4:5], off, off offset:280
	v_mov_b32_e32 v3, v2
	scratch_store_dwordx2 off, v[2:3], off offset:280
	s_waitcnt vmcnt(1)
	ds_write_b64 v1, v[4:5]
.LBB115_255:
	s_or_b64 exec, exec, s[0:1]
	s_waitcnt lgkmcnt(0)
	; wave barrier
	ds_read_b128 v[4:7], v2 offset:704
	ds_read_b128 v[8:11], v2 offset:720
	;; [unrolled: 1-line block ×4, first 2 shown]
	scratch_load_dwordx4 v[20:23], off, off offset:288
	v_cmp_lt_u32_e32 vcc, 34, v0
	s_waitcnt vmcnt(0) lgkmcnt(3)
	v_mul_f32_e32 v3, v4, v21
	v_fmac_f32_e32 v3, v5, v20
	v_mul_f32_e32 v24, v6, v23
	v_add_f32_e32 v3, 0, v3
	v_fmac_f32_e32 v24, v7, v22
	v_add_f32_e32 v3, v3, v24
	scratch_load_dwordx4 v[24:27], off, off offset:304
	s_waitcnt vmcnt(0) lgkmcnt(2)
	v_mul_f32_e32 v28, v8, v25
	v_fmac_f32_e32 v28, v9, v24
	v_add_f32_e32 v3, v3, v28
	v_mul_f32_e32 v28, v10, v27
	v_fmac_f32_e32 v28, v11, v26
	v_add_f32_e32 v3, v3, v28
	scratch_load_dwordx4 v[28:31], off, off offset:320
	s_waitcnt vmcnt(0) lgkmcnt(1)
	v_mul_f32_e32 v32, v12, v29
	v_fmac_f32_e32 v32, v13, v28
	v_add_f32_e32 v3, v3, v32
	v_mul_f32_e32 v32, v14, v31
	v_fmac_f32_e32 v32, v15, v30
	v_add_f32_e32 v53, v3, v32
	scratch_load_dwordx4 v[32:35], off, off offset:336
	scratch_load_dwordx4 v[36:39], off, off offset:352
	;; [unrolled: 1-line block ×5, first 2 shown]
	v_mul_f32_e32 v3, v5, v21
	v_fma_f32 v3, v4, v20, -v3
	v_mul_f32_e32 v4, v7, v23
	v_add_f32_e32 v3, 0, v3
	v_fma_f32 v4, v6, v22, -v4
	v_add_f32_e32 v3, v3, v4
	v_mul_f32_e32 v4, v9, v25
	v_fma_f32 v4, v8, v24, -v4
	v_add_f32_e32 v3, v3, v4
	v_mul_f32_e32 v4, v11, v27
	;; [unrolled: 3-line block ×4, first 2 shown]
	v_fma_f32 v4, v14, v30, -v4
	v_add_f32_e32 v52, v3, v4
	s_waitcnt vmcnt(4) lgkmcnt(0)
	v_mul_f32_e32 v3, v17, v33
	v_mul_f32_e32 v55, v16, v33
	;; [unrolled: 1-line block ×3, first 2 shown]
	v_fma_f32 v54, v16, v32, -v3
	v_mul_f32_e32 v3, v19, v35
	v_fmac_f32_e32 v55, v17, v32
	v_fmac_f32_e32 v57, v19, v34
	v_fma_f32 v56, v18, v34, -v3
	ds_read_b128 v[4:7], v2 offset:768
	ds_read_b128 v[8:11], v2 offset:784
	;; [unrolled: 1-line block ×4, first 2 shown]
	v_pk_add_f32 v[2:3], v[52:53], v[54:55]
	s_waitcnt vmcnt(3) lgkmcnt(3)
	v_pk_mul_f32 v[20:21], v[4:5], v[36:37] op_sel:[1,1] op_sel_hi:[0,1]
	v_pk_fma_f32 v[22:23], v[4:5], v[36:37], v[20:21] neg_lo:[0,0,1] neg_hi:[0,0,1]
	v_pk_fma_f32 v[4:5], v[4:5], v[36:37], v[20:21] op_sel_hi:[1,0,1]
	v_pk_add_f32 v[2:3], v[2:3], v[56:57]
	v_mov_b32_e32 v4, v39
	v_mov_b32_e32 v23, v5
	v_pk_mul_f32 v[4:5], v[6:7], v[4:5] op_sel:[1,0] op_sel_hi:[0,0]
	v_pk_fma_f32 v[20:21], v[6:7], v[38:39], v[4:5] neg_lo:[0,0,1] neg_hi:[0,0,1]
	v_pk_fma_f32 v[4:5], v[6:7], v[38:39], v[4:5] op_sel_hi:[1,0,1]
	v_pk_add_f32 v[2:3], v[2:3], v[22:23]
	v_mov_b32_e32 v21, v5
	s_waitcnt vmcnt(2) lgkmcnt(2)
	v_pk_mul_f32 v[4:5], v[8:9], v[40:41] op_sel:[1,1] op_sel_hi:[0,1]
	v_pk_fma_f32 v[6:7], v[8:9], v[40:41], v[4:5] neg_lo:[0,0,1] neg_hi:[0,0,1]
	v_pk_fma_f32 v[4:5], v[8:9], v[40:41], v[4:5] op_sel_hi:[1,0,1]
	v_pk_add_f32 v[2:3], v[2:3], v[20:21]
	v_mov_b32_e32 v4, v43
	v_mov_b32_e32 v7, v5
	v_pk_mul_f32 v[4:5], v[10:11], v[4:5] op_sel:[1,0] op_sel_hi:[0,0]
	v_pk_add_f32 v[2:3], v[2:3], v[6:7]
	v_pk_fma_f32 v[6:7], v[10:11], v[42:43], v[4:5] neg_lo:[0,0,1] neg_hi:[0,0,1]
	v_pk_fma_f32 v[4:5], v[10:11], v[42:43], v[4:5] op_sel_hi:[1,0,1]
	s_nop 0
	v_mov_b32_e32 v7, v5
	s_waitcnt vmcnt(1) lgkmcnt(1)
	v_pk_mul_f32 v[4:5], v[12:13], v[44:45] op_sel:[1,1] op_sel_hi:[0,1]
	v_pk_add_f32 v[2:3], v[2:3], v[6:7]
	v_pk_fma_f32 v[6:7], v[12:13], v[44:45], v[4:5] neg_lo:[0,0,1] neg_hi:[0,0,1]
	v_pk_fma_f32 v[4:5], v[12:13], v[44:45], v[4:5] op_sel_hi:[1,0,1]
	s_nop 0
	v_mov_b32_e32 v4, v47
	v_mov_b32_e32 v7, v5
	v_pk_mul_f32 v[4:5], v[14:15], v[4:5] op_sel:[1,0] op_sel_hi:[0,0]
	v_pk_add_f32 v[2:3], v[2:3], v[6:7]
	v_pk_fma_f32 v[6:7], v[14:15], v[46:47], v[4:5] neg_lo:[0,0,1] neg_hi:[0,0,1]
	v_pk_fma_f32 v[4:5], v[14:15], v[46:47], v[4:5] op_sel_hi:[1,0,1]
	s_nop 0
	v_mov_b32_e32 v7, v5
	s_waitcnt vmcnt(0) lgkmcnt(0)
	v_pk_mul_f32 v[4:5], v[16:17], v[48:49] op_sel:[1,1] op_sel_hi:[0,1]
	v_pk_add_f32 v[2:3], v[2:3], v[6:7]
	v_pk_fma_f32 v[6:7], v[16:17], v[48:49], v[4:5] neg_lo:[0,0,1] neg_hi:[0,0,1]
	v_pk_fma_f32 v[4:5], v[16:17], v[48:49], v[4:5] op_sel_hi:[1,0,1]
	s_nop 0
	v_mov_b32_e32 v4, v51
	v_mov_b32_e32 v7, v5
	v_pk_mul_f32 v[4:5], v[18:19], v[4:5] op_sel:[1,0] op_sel_hi:[0,0]
	v_pk_add_f32 v[2:3], v[2:3], v[6:7]
	v_pk_fma_f32 v[6:7], v[18:19], v[50:51], v[4:5] neg_lo:[0,0,1] neg_hi:[0,0,1]
	v_pk_fma_f32 v[4:5], v[18:19], v[50:51], v[4:5] op_sel_hi:[1,0,1]
	s_nop 0
	v_mov_b32_e32 v7, v5
	scratch_load_dwordx2 v[4:5], off, off offset:280
	v_pk_add_f32 v[2:3], v[2:3], v[6:7]
	s_waitcnt vmcnt(0)
	v_pk_add_f32 v[2:3], v[4:5], v[2:3] neg_lo:[0,1] neg_hi:[0,1]
	scratch_store_dwordx2 off, v[2:3], off offset:280
	s_and_saveexec_b64 s[0:1], vcc
	s_cbranch_execz .LBB115_257
; %bb.256:
	scratch_load_dwordx2 v[2:3], off, off offset:272
	v_mov_b32_e32 v4, 0
	v_mov_b32_e32 v5, v4
	scratch_store_dwordx2 off, v[4:5], off offset:272
	s_waitcnt vmcnt(1)
	ds_write_b64 v1, v[2:3]
.LBB115_257:
	s_or_b64 exec, exec, s[0:1]
	s_waitcnt lgkmcnt(0)
	; wave barrier
	scratch_load_dwordx4 v[8:11], off, off offset:280
	scratch_load_dwordx4 v[16:19], off, off offset:296
	;; [unrolled: 1-line block ×4, first 2 shown]
	v_mov_b32_e32 v2, 0
	ds_read2_b64 v[4:7], v2 offset0:87 offset1:88
	scratch_load_dwordx4 v[40:43], off, off offset:344
	v_cmp_lt_u32_e32 vcc, 33, v0
	s_waitcnt vmcnt(4) lgkmcnt(0)
	v_mul_f32_e32 v3, v4, v9
	v_fmac_f32_e32 v3, v5, v8
	v_mul_f32_e32 v12, v6, v11
	v_add_f32_e32 v3, 0, v3
	v_fmac_f32_e32 v12, v7, v10
	v_add_f32_e32 v3, v3, v12
	ds_read2_b64 v[12:15], v2 offset0:89 offset1:90
	s_waitcnt vmcnt(3) lgkmcnt(0)
	v_mul_f32_e32 v20, v12, v17
	v_fmac_f32_e32 v20, v13, v16
	v_add_f32_e32 v3, v3, v20
	v_mul_f32_e32 v20, v14, v19
	v_fmac_f32_e32 v20, v15, v18
	v_add_f32_e32 v3, v3, v20
	ds_read2_b64 v[20:23], v2 offset0:91 offset1:92
	s_waitcnt vmcnt(2) lgkmcnt(0)
	v_mul_f32_e32 v28, v20, v25
	v_fmac_f32_e32 v28, v21, v24
	v_add_f32_e32 v3, v3, v28
	v_mul_f32_e32 v28, v22, v27
	v_fmac_f32_e32 v28, v23, v26
	v_add_f32_e32 v3, v3, v28
	ds_read2_b64 v[28:31], v2 offset0:93 offset1:94
	s_waitcnt vmcnt(1) lgkmcnt(0)
	v_mul_f32_e32 v36, v28, v33
	v_fmac_f32_e32 v36, v29, v32
	v_add_f32_e32 v57, v3, v36
	ds_read2_b64 v[36:39], v2 offset0:95 offset1:96
	scratch_load_dwordx4 v[44:47], off, off offset:360
	scratch_load_dwordx4 v[48:51], off, off offset:376
	;; [unrolled: 1-line block ×3, first 2 shown]
	scratch_load_dwordx2 v[62:63], off, off offset:408
	v_mul_f32_e32 v3, v5, v9
	v_fma_f32 v3, v4, v8, -v3
	v_mul_f32_e32 v4, v7, v11
	v_add_f32_e32 v3, 0, v3
	v_fma_f32 v4, v6, v10, -v4
	v_add_f32_e32 v3, v3, v4
	v_mul_f32_e32 v4, v13, v17
	v_fma_f32 v4, v12, v16, -v4
	v_add_f32_e32 v3, v3, v4
	v_mul_f32_e32 v4, v15, v19
	;; [unrolled: 3-line block ×5, first 2 shown]
	v_fma_f32 v4, v28, v32, -v4
	v_mul_f32_e32 v59, v30, v35
	v_add_f32_e32 v56, v3, v4
	v_mul_f32_e32 v3, v31, v35
	s_waitcnt vmcnt(4)
	v_mov_b32_e32 v20, v43
	v_fmac_f32_e32 v59, v31, v34
	s_waitcnt lgkmcnt(0)
	v_mul_f32_e32 v61, v36, v41
	v_fma_f32 v58, v30, v34, -v3
	v_mul_f32_e32 v3, v37, v41
	ds_read2_b64 v[4:7], v2 offset0:97 offset1:98
	ds_read2_b64 v[8:11], v2 offset0:99 offset1:100
	;; [unrolled: 1-line block ×3, first 2 shown]
	ds_read_b64 v[16:17], v2 offset:824
	v_pk_mul_f32 v[20:21], v[38:39], v[20:21] op_sel:[1,0] op_sel_hi:[0,0]
	v_fmac_f32_e32 v61, v37, v40
	v_fma_f32 v60, v36, v40, -v3
	v_pk_add_f32 v[18:19], v[56:57], v[58:59]
	v_pk_fma_f32 v[22:23], v[38:39], v[42:43], v[20:21] neg_lo:[0,0,1] neg_hi:[0,0,1]
	v_pk_fma_f32 v[20:21], v[38:39], v[42:43], v[20:21] op_sel_hi:[1,0,1]
	v_pk_add_f32 v[18:19], v[18:19], v[60:61]
	v_mov_b32_e32 v23, v21
	v_pk_add_f32 v[18:19], v[18:19], v[22:23]
	s_waitcnt vmcnt(3) lgkmcnt(3)
	v_pk_mul_f32 v[20:21], v[4:5], v[44:45] op_sel:[1,1] op_sel_hi:[0,1]
	v_pk_fma_f32 v[22:23], v[4:5], v[44:45], v[20:21] neg_lo:[0,0,1] neg_hi:[0,0,1]
	v_pk_fma_f32 v[4:5], v[4:5], v[44:45], v[20:21] op_sel_hi:[1,0,1]
	s_nop 0
	v_mov_b32_e32 v23, v5
	v_pk_add_f32 v[4:5], v[18:19], v[22:23]
	v_mov_b32_e32 v18, v47
	v_pk_mul_f32 v[18:19], v[6:7], v[18:19] op_sel:[1,0] op_sel_hi:[0,0]
	v_pk_fma_f32 v[20:21], v[6:7], v[46:47], v[18:19] neg_lo:[0,0,1] neg_hi:[0,0,1]
	v_pk_fma_f32 v[6:7], v[6:7], v[46:47], v[18:19] op_sel_hi:[1,0,1]
	s_nop 0
	v_mov_b32_e32 v21, v7
	s_waitcnt vmcnt(2) lgkmcnt(2)
	v_pk_mul_f32 v[6:7], v[8:9], v[48:49] op_sel:[1,1] op_sel_hi:[0,1]
	v_pk_fma_f32 v[18:19], v[8:9], v[48:49], v[6:7] neg_lo:[0,0,1] neg_hi:[0,0,1]
	v_pk_fma_f32 v[6:7], v[8:9], v[48:49], v[6:7] op_sel_hi:[1,0,1]
	v_pk_add_f32 v[4:5], v[4:5], v[20:21]
	v_mov_b32_e32 v6, v51
	v_mov_b32_e32 v19, v7
	v_pk_mul_f32 v[6:7], v[10:11], v[6:7] op_sel:[1,0] op_sel_hi:[0,0]
	v_pk_fma_f32 v[8:9], v[10:11], v[50:51], v[6:7] neg_lo:[0,0,1] neg_hi:[0,0,1]
	v_pk_fma_f32 v[6:7], v[10:11], v[50:51], v[6:7] op_sel_hi:[1,0,1]
	v_pk_add_f32 v[4:5], v[4:5], v[18:19]
	v_mov_b32_e32 v9, v7
	s_waitcnt vmcnt(1) lgkmcnt(1)
	v_pk_mul_f32 v[6:7], v[12:13], v[52:53] op_sel:[1,1] op_sel_hi:[0,1]
	v_pk_add_f32 v[4:5], v[4:5], v[8:9]
	v_pk_fma_f32 v[8:9], v[12:13], v[52:53], v[6:7] neg_lo:[0,0,1] neg_hi:[0,0,1]
	v_pk_fma_f32 v[6:7], v[12:13], v[52:53], v[6:7] op_sel_hi:[1,0,1]
	s_nop 0
	v_mov_b32_e32 v6, v55
	v_mov_b32_e32 v9, v7
	v_pk_mul_f32 v[6:7], v[14:15], v[6:7] op_sel:[1,0] op_sel_hi:[0,0]
	v_pk_add_f32 v[4:5], v[4:5], v[8:9]
	v_pk_fma_f32 v[8:9], v[14:15], v[54:55], v[6:7] neg_lo:[0,0,1] neg_hi:[0,0,1]
	v_pk_fma_f32 v[6:7], v[14:15], v[54:55], v[6:7] op_sel_hi:[1,0,1]
	s_nop 0
	v_mov_b32_e32 v9, v7
	s_waitcnt vmcnt(0) lgkmcnt(0)
	v_pk_mul_f32 v[6:7], v[16:17], v[62:63] op_sel:[1,1] op_sel_hi:[0,1]
	v_pk_add_f32 v[4:5], v[4:5], v[8:9]
	v_pk_fma_f32 v[8:9], v[16:17], v[62:63], v[6:7] neg_lo:[0,0,1] neg_hi:[0,0,1]
	v_pk_fma_f32 v[6:7], v[16:17], v[62:63], v[6:7] op_sel_hi:[1,0,1]
	s_nop 0
	v_mov_b32_e32 v9, v7
	scratch_load_dwordx2 v[6:7], off, off offset:272
	v_pk_add_f32 v[4:5], v[4:5], v[8:9]
	s_waitcnt vmcnt(0)
	v_pk_add_f32 v[4:5], v[6:7], v[4:5] neg_lo:[0,1] neg_hi:[0,1]
	scratch_store_dwordx2 off, v[4:5], off offset:272
	s_and_saveexec_b64 s[0:1], vcc
	s_cbranch_execz .LBB115_259
; %bb.258:
	scratch_load_dwordx2 v[4:5], off, off offset:264
	v_mov_b32_e32 v3, v2
	scratch_store_dwordx2 off, v[2:3], off offset:264
	s_waitcnt vmcnt(1)
	ds_write_b64 v1, v[4:5]
.LBB115_259:
	s_or_b64 exec, exec, s[0:1]
	s_waitcnt lgkmcnt(0)
	; wave barrier
	ds_read_b128 v[4:7], v2 offset:688
	ds_read_b128 v[8:11], v2 offset:704
	ds_read_b128 v[12:15], v2 offset:720
	ds_read_b128 v[16:19], v2 offset:736
	scratch_load_dwordx4 v[20:23], off, off offset:272
	scratch_load_dwordx4 v[40:43], off, off offset:336
	v_cmp_lt_u32_e32 vcc, 32, v0
	s_waitcnt vmcnt(1) lgkmcnt(3)
	v_mul_f32_e32 v3, v4, v21
	v_fmac_f32_e32 v3, v5, v20
	v_mul_f32_e32 v24, v6, v23
	v_add_f32_e32 v3, 0, v3
	v_fmac_f32_e32 v24, v7, v22
	v_add_f32_e32 v3, v3, v24
	scratch_load_dwordx4 v[24:27], off, off offset:288
	s_waitcnt vmcnt(0) lgkmcnt(2)
	v_mul_f32_e32 v28, v8, v25
	v_fmac_f32_e32 v28, v9, v24
	v_add_f32_e32 v3, v3, v28
	v_mul_f32_e32 v28, v10, v27
	v_fmac_f32_e32 v28, v11, v26
	v_add_f32_e32 v3, v3, v28
	scratch_load_dwordx4 v[28:31], off, off offset:304
	s_waitcnt vmcnt(0) lgkmcnt(1)
	v_mul_f32_e32 v32, v12, v29
	v_fmac_f32_e32 v32, v13, v28
	v_add_f32_e32 v3, v3, v32
	v_mul_f32_e32 v32, v14, v31
	;; [unrolled: 8-line block ×3, first 2 shown]
	v_fmac_f32_e32 v36, v19, v34
	v_add_f32_e32 v61, v3, v36
	ds_read_b128 v[36:39], v2 offset:752
	scratch_load_dwordx4 v[44:47], off, off offset:352
	scratch_load_dwordx4 v[48:51], off, off offset:368
	;; [unrolled: 1-line block ×4, first 2 shown]
	v_mul_f32_e32 v3, v5, v21
	v_fma_f32 v3, v4, v20, -v3
	v_mul_f32_e32 v4, v7, v23
	v_add_f32_e32 v3, 0, v3
	v_fma_f32 v4, v6, v22, -v4
	v_add_f32_e32 v3, v3, v4
	v_mul_f32_e32 v4, v9, v25
	v_fma_f32 v4, v8, v24, -v4
	v_add_f32_e32 v3, v3, v4
	v_mul_f32_e32 v4, v11, v27
	;; [unrolled: 3-line block ×6, first 2 shown]
	v_fma_f32 v4, v18, v34, -v4
	v_add_f32_e32 v60, v3, v4
	ds_read_b128 v[4:7], v2 offset:768
	ds_read_b128 v[8:11], v2 offset:784
	;; [unrolled: 1-line block ×4, first 2 shown]
	s_waitcnt lgkmcnt(4)
	v_mul_f32_e32 v63, v36, v41
	v_mul_f32_e32 v3, v37, v41
	v_fmac_f32_e32 v63, v37, v40
	v_mul_f32_e32 v65, v38, v43
	v_fma_f32 v62, v36, v40, -v3
	v_mul_f32_e32 v3, v39, v43
	v_fmac_f32_e32 v65, v39, v42
	v_fma_f32 v64, v38, v42, -v3
	v_pk_add_f32 v[2:3], v[60:61], v[62:63]
	s_waitcnt vmcnt(3) lgkmcnt(3)
	v_pk_mul_f32 v[20:21], v[4:5], v[44:45] op_sel:[1,1] op_sel_hi:[0,1]
	v_pk_fma_f32 v[22:23], v[4:5], v[44:45], v[20:21] neg_lo:[0,0,1] neg_hi:[0,0,1]
	v_pk_fma_f32 v[4:5], v[4:5], v[44:45], v[20:21] op_sel_hi:[1,0,1]
	v_pk_add_f32 v[2:3], v[2:3], v[64:65]
	v_mov_b32_e32 v4, v47
	v_mov_b32_e32 v23, v5
	v_pk_mul_f32 v[4:5], v[6:7], v[4:5] op_sel:[1,0] op_sel_hi:[0,0]
	v_pk_fma_f32 v[20:21], v[6:7], v[46:47], v[4:5] neg_lo:[0,0,1] neg_hi:[0,0,1]
	v_pk_fma_f32 v[4:5], v[6:7], v[46:47], v[4:5] op_sel_hi:[1,0,1]
	v_pk_add_f32 v[2:3], v[2:3], v[22:23]
	v_mov_b32_e32 v21, v5
	s_waitcnt vmcnt(2) lgkmcnt(2)
	v_pk_mul_f32 v[4:5], v[8:9], v[48:49] op_sel:[1,1] op_sel_hi:[0,1]
	v_pk_fma_f32 v[6:7], v[8:9], v[48:49], v[4:5] neg_lo:[0,0,1] neg_hi:[0,0,1]
	v_pk_fma_f32 v[4:5], v[8:9], v[48:49], v[4:5] op_sel_hi:[1,0,1]
	v_pk_add_f32 v[2:3], v[2:3], v[20:21]
	v_mov_b32_e32 v4, v51
	v_mov_b32_e32 v7, v5
	v_pk_mul_f32 v[4:5], v[10:11], v[4:5] op_sel:[1,0] op_sel_hi:[0,0]
	v_pk_add_f32 v[2:3], v[2:3], v[6:7]
	v_pk_fma_f32 v[6:7], v[10:11], v[50:51], v[4:5] neg_lo:[0,0,1] neg_hi:[0,0,1]
	v_pk_fma_f32 v[4:5], v[10:11], v[50:51], v[4:5] op_sel_hi:[1,0,1]
	s_nop 0
	v_mov_b32_e32 v7, v5
	s_waitcnt vmcnt(1) lgkmcnt(1)
	v_pk_mul_f32 v[4:5], v[12:13], v[52:53] op_sel:[1,1] op_sel_hi:[0,1]
	v_pk_add_f32 v[2:3], v[2:3], v[6:7]
	v_pk_fma_f32 v[6:7], v[12:13], v[52:53], v[4:5] neg_lo:[0,0,1] neg_hi:[0,0,1]
	v_pk_fma_f32 v[4:5], v[12:13], v[52:53], v[4:5] op_sel_hi:[1,0,1]
	s_nop 0
	v_mov_b32_e32 v4, v55
	v_mov_b32_e32 v7, v5
	v_pk_mul_f32 v[4:5], v[14:15], v[4:5] op_sel:[1,0] op_sel_hi:[0,0]
	v_pk_add_f32 v[2:3], v[2:3], v[6:7]
	v_pk_fma_f32 v[6:7], v[14:15], v[54:55], v[4:5] neg_lo:[0,0,1] neg_hi:[0,0,1]
	v_pk_fma_f32 v[4:5], v[14:15], v[54:55], v[4:5] op_sel_hi:[1,0,1]
	s_nop 0
	v_mov_b32_e32 v7, v5
	s_waitcnt vmcnt(0) lgkmcnt(0)
	v_pk_mul_f32 v[4:5], v[16:17], v[56:57] op_sel:[1,1] op_sel_hi:[0,1]
	v_pk_add_f32 v[2:3], v[2:3], v[6:7]
	v_pk_fma_f32 v[6:7], v[16:17], v[56:57], v[4:5] neg_lo:[0,0,1] neg_hi:[0,0,1]
	v_pk_fma_f32 v[4:5], v[16:17], v[56:57], v[4:5] op_sel_hi:[1,0,1]
	s_nop 0
	v_mov_b32_e32 v4, v59
	v_mov_b32_e32 v7, v5
	v_pk_mul_f32 v[4:5], v[18:19], v[4:5] op_sel:[1,0] op_sel_hi:[0,0]
	v_pk_add_f32 v[2:3], v[2:3], v[6:7]
	v_pk_fma_f32 v[6:7], v[18:19], v[58:59], v[4:5] neg_lo:[0,0,1] neg_hi:[0,0,1]
	v_pk_fma_f32 v[4:5], v[18:19], v[58:59], v[4:5] op_sel_hi:[1,0,1]
	s_nop 0
	v_mov_b32_e32 v7, v5
	scratch_load_dwordx2 v[4:5], off, off offset:264
	v_pk_add_f32 v[2:3], v[2:3], v[6:7]
	s_waitcnt vmcnt(0)
	v_pk_add_f32 v[2:3], v[4:5], v[2:3] neg_lo:[0,1] neg_hi:[0,1]
	scratch_store_dwordx2 off, v[2:3], off offset:264
	s_and_saveexec_b64 s[0:1], vcc
	s_cbranch_execz .LBB115_261
; %bb.260:
	scratch_load_dwordx2 v[2:3], off, off offset:256
	v_mov_b32_e32 v4, 0
	v_mov_b32_e32 v5, v4
	scratch_store_dwordx2 off, v[4:5], off offset:256
	s_waitcnt vmcnt(1)
	ds_write_b64 v1, v[2:3]
.LBB115_261:
	s_or_b64 exec, exec, s[0:1]
	s_waitcnt lgkmcnt(0)
	; wave barrier
	scratch_load_dwordx4 v[4:7], off, off offset:264
	scratch_load_dwordx4 v[8:11], off, off offset:280
	;; [unrolled: 1-line block ×9, first 2 shown]
	scratch_load_dwordx2 v[76:77], off, off offset:408
	scratch_load_dwordx2 v[78:79], off, off offset:256
	v_mov_b32_e32 v2, 0
	ds_read2_b64 v[40:43], v2 offset0:85 offset1:86
	ds_read2_b64 v[44:47], v2 offset0:87 offset1:88
	;; [unrolled: 1-line block ×9, first 2 shown]
	ds_read_b64 v[80:81], v2 offset:824
	v_cmp_lt_u32_e32 vcc, 31, v0
	s_waitcnt vmcnt(10) lgkmcnt(9)
	v_mul_f32_e32 v87, v42, v7
	v_mul_f32_e32 v3, v40, v5
	;; [unrolled: 1-line block ×3, first 2 shown]
	v_fmac_f32_e32 v87, v43, v6
	s_waitcnt vmcnt(9) lgkmcnt(8)
	v_mul_f32_e32 v88, v44, v9
	s_waitcnt vmcnt(5)
	v_mov_b32_e32 v86, v27
	v_mul_f32_e32 v89, v46, v11
	s_waitcnt lgkmcnt(7)
	v_mul_f32_e32 v91, v50, v15
	v_mul_f32_e32 v7, v43, v7
	;; [unrolled: 1-line block ×5, first 2 shown]
	v_fmac_f32_e32 v3, v41, v4
	v_fma_f32 v40, v40, v4, -v5
	s_waitcnt lgkmcnt(4)
	v_pk_mul_f32 v[4:5], v[62:63], v[86:87] op_sel:[1,0] op_sel_hi:[0,0]
	v_fmac_f32_e32 v88, v45, v8
	v_fma_f32 v41, v42, v6, -v7
	v_fma_f32 v8, v44, v8, -v9
	;; [unrolled: 1-line block ×4, first 2 shown]
	v_add_f32_e32 v3, 0, v3
	v_add_f32_e32 v15, 0, v40
	v_pk_fma_f32 v[6:7], v[62:63], v[26:27], v[4:5] neg_lo:[0,0,1] neg_hi:[0,0,1]
	v_pk_fma_f32 v[4:5], v[62:63], v[26:27], v[4:5] op_sel_hi:[1,0,1]
	v_add_f32_e32 v3, v3, v87
	v_add_f32_e32 v4, v15, v41
	v_mul_f32_e32 v90, v48, v13
	v_mul_f32_e32 v13, v49, v13
	v_fmac_f32_e32 v89, v47, v10
	v_add_f32_e32 v3, v3, v88
	v_add_f32_e32 v4, v4, v8
	v_fmac_f32_e32 v90, v49, v12
	v_fma_f32 v10, v48, v12, -v13
	v_add_f32_e32 v3, v3, v89
	v_add_f32_e32 v4, v4, v9
	v_mul_f32_e32 v92, v52, v17
	v_mul_f32_e32 v17, v53, v17
	v_fmac_f32_e32 v91, v51, v14
	v_add_f32_e32 v3, v3, v90
	v_add_f32_e32 v4, v4, v10
	v_mul_f32_e32 v93, v54, v19
	v_mul_f32_e32 v19, v55, v19
	v_fmac_f32_e32 v92, v53, v16
	v_fma_f32 v12, v52, v16, -v17
	v_add_f32_e32 v3, v3, v91
	v_add_f32_e32 v4, v4, v11
	v_mul_f32_e32 v94, v56, v21
	v_mul_f32_e32 v21, v57, v21
	v_fmac_f32_e32 v93, v55, v18
	v_fma_f32 v13, v54, v18, -v19
	;; [unrolled: 6-line block ×4, first 2 shown]
	v_mov_b32_e32 v7, v5
	v_add_f32_e32 v5, v3, v94
	v_add_f32_e32 v4, v4, v14
	v_fmac_f32_e32 v85, v61, v24
	v_fma_f32 v84, v60, v24, -v25
	v_pk_add_f32 v[4:5], v[4:5], v[82:83]
	s_nop 0
	v_pk_add_f32 v[4:5], v[4:5], v[84:85]
	s_nop 0
	v_pk_add_f32 v[4:5], v[4:5], v[6:7]
	s_waitcnt vmcnt(4) lgkmcnt(3)
	v_pk_mul_f32 v[6:7], v[64:65], v[28:29] op_sel:[1,1] op_sel_hi:[0,1]
	v_pk_fma_f32 v[8:9], v[64:65], v[28:29], v[6:7] neg_lo:[0,0,1] neg_hi:[0,0,1]
	v_pk_fma_f32 v[6:7], v[64:65], v[28:29], v[6:7] op_sel_hi:[1,0,1]
	s_nop 0
	v_mov_b32_e32 v6, v31
	v_mov_b32_e32 v9, v7
	v_pk_mul_f32 v[6:7], v[66:67], v[6:7] op_sel:[1,0] op_sel_hi:[0,0]
	v_pk_add_f32 v[4:5], v[4:5], v[8:9]
	v_pk_fma_f32 v[8:9], v[66:67], v[30:31], v[6:7] neg_lo:[0,0,1] neg_hi:[0,0,1]
	v_pk_fma_f32 v[6:7], v[66:67], v[30:31], v[6:7] op_sel_hi:[1,0,1]
	s_nop 0
	v_mov_b32_e32 v9, v7
	s_waitcnt vmcnt(3) lgkmcnt(2)
	v_pk_mul_f32 v[6:7], v[68:69], v[32:33] op_sel:[1,1] op_sel_hi:[0,1]
	v_pk_add_f32 v[4:5], v[4:5], v[8:9]
	v_pk_fma_f32 v[8:9], v[68:69], v[32:33], v[6:7] neg_lo:[0,0,1] neg_hi:[0,0,1]
	v_pk_fma_f32 v[6:7], v[68:69], v[32:33], v[6:7] op_sel_hi:[1,0,1]
	s_nop 0
	v_mov_b32_e32 v6, v35
	v_mov_b32_e32 v9, v7
	v_pk_mul_f32 v[6:7], v[70:71], v[6:7] op_sel:[1,0] op_sel_hi:[0,0]
	v_pk_add_f32 v[4:5], v[4:5], v[8:9]
	v_pk_fma_f32 v[8:9], v[70:71], v[34:35], v[6:7] neg_lo:[0,0,1] neg_hi:[0,0,1]
	v_pk_fma_f32 v[6:7], v[70:71], v[34:35], v[6:7] op_sel_hi:[1,0,1]
	s_nop 0
	v_mov_b32_e32 v9, v7
	s_waitcnt vmcnt(2) lgkmcnt(1)
	v_pk_mul_f32 v[6:7], v[72:73], v[36:37] op_sel:[1,1] op_sel_hi:[0,1]
	v_pk_add_f32 v[4:5], v[4:5], v[8:9]
	;; [unrolled: 14-line block ×3, first 2 shown]
	v_pk_fma_f32 v[8:9], v[80:81], v[76:77], v[6:7] neg_lo:[0,0,1] neg_hi:[0,0,1]
	v_pk_fma_f32 v[6:7], v[80:81], v[76:77], v[6:7] op_sel_hi:[1,0,1]
	s_nop 0
	v_mov_b32_e32 v9, v7
	v_pk_add_f32 v[4:5], v[4:5], v[8:9]
	s_waitcnt vmcnt(0)
	v_pk_add_f32 v[4:5], v[78:79], v[4:5] neg_lo:[0,1] neg_hi:[0,1]
	scratch_store_dwordx2 off, v[4:5], off offset:256
	s_and_saveexec_b64 s[0:1], vcc
	s_cbranch_execz .LBB115_263
; %bb.262:
	scratch_load_dwordx2 v[4:5], off, off offset:248
	v_mov_b32_e32 v3, v2
	scratch_store_dwordx2 off, v[2:3], off offset:248
	s_waitcnt vmcnt(1)
	ds_write_b64 v1, v[4:5]
.LBB115_263:
	s_or_b64 exec, exec, s[0:1]
	s_waitcnt lgkmcnt(0)
	; wave barrier
	scratch_load_dwordx4 v[4:7], off, off offset:256
	scratch_load_dwordx4 v[8:11], off, off offset:272
	;; [unrolled: 1-line block ×7, first 2 shown]
	ds_read_b128 v[32:35], v2 offset:672
	ds_read_b128 v[36:39], v2 offset:688
	;; [unrolled: 1-line block ×6, first 2 shown]
	scratch_load_dwordx4 v[56:59], off, off offset:368
	scratch_load_dwordx4 v[60:63], off, off offset:384
	;; [unrolled: 1-line block ×3, first 2 shown]
	ds_read_b128 v[68:71], v2 offset:768
	ds_read_b128 v[72:75], v2 offset:784
	;; [unrolled: 1-line block ×4, first 2 shown]
	scratch_load_dwordx2 v[2:3], off, off offset:248
	v_cmp_lt_u32_e32 vcc, 30, v0
	s_waitcnt vmcnt(10) lgkmcnt(9)
	v_mul_f32_e32 v90, v32, v5
	v_mul_f32_e32 v5, v33, v5
	;; [unrolled: 1-line block ×3, first 2 shown]
	s_waitcnt vmcnt(9) lgkmcnt(8)
	v_mul_f32_e32 v92, v36, v9
	s_waitcnt vmcnt(8) lgkmcnt(7)
	v_mul_f32_e32 v95, v42, v15
	v_mul_f32_e32 v7, v35, v7
	;; [unrolled: 1-line block ×4, first 2 shown]
	v_fmac_f32_e32 v90, v33, v4
	v_fma_f32 v4, v32, v4, -v5
	v_fmac_f32_e32 v91, v35, v6
	v_fmac_f32_e32 v95, v43, v14
	v_fma_f32 v5, v34, v6, -v7
	v_fma_f32 v6, v36, v8, -v9
	;; [unrolled: 1-line block ×3, first 2 shown]
	v_add_f32_e32 v14, 0, v90
	v_add_f32_e32 v4, 0, v4
	v_mul_f32_e32 v93, v38, v11
	v_mul_f32_e32 v11, v39, v11
	v_fmac_f32_e32 v92, v37, v8
	v_add_f32_e32 v14, v14, v91
	v_add_f32_e32 v4, v4, v5
	v_mul_f32_e32 v94, v40, v13
	v_mul_f32_e32 v13, v41, v13
	v_fmac_f32_e32 v93, v39, v10
	v_fma_f32 v7, v38, v10, -v11
	v_add_f32_e32 v5, v14, v92
	v_add_f32_e32 v4, v4, v6
	v_fmac_f32_e32 v94, v41, v12
	v_fma_f32 v8, v40, v12, -v13
	v_add_f32_e32 v5, v5, v93
	v_add_f32_e32 v4, v4, v7
	s_waitcnt vmcnt(7) lgkmcnt(6)
	v_mul_f32_e32 v96, v44, v17
	v_mul_f32_e32 v17, v45, v17
	v_add_f32_e32 v5, v5, v94
	v_add_f32_e32 v4, v4, v8
	v_mul_f32_e32 v97, v46, v19
	v_mul_f32_e32 v19, v47, v19
	v_fmac_f32_e32 v96, v45, v16
	v_fma_f32 v10, v44, v16, -v17
	v_add_f32_e32 v5, v5, v95
	v_add_f32_e32 v4, v4, v9
	s_waitcnt vmcnt(6) lgkmcnt(5)
	v_mul_f32_e32 v98, v48, v21
	v_mul_f32_e32 v21, v49, v21
	v_fmac_f32_e32 v97, v47, v18
	v_fma_f32 v11, v46, v18, -v19
	v_add_f32_e32 v5, v5, v96
	v_add_f32_e32 v4, v4, v10
	v_mul_f32_e32 v99, v50, v23
	v_mul_f32_e32 v23, v51, v23
	v_fmac_f32_e32 v98, v49, v20
	v_fma_f32 v12, v48, v20, -v21
	v_add_f32_e32 v5, v5, v97
	v_add_f32_e32 v4, v4, v11
	s_waitcnt vmcnt(5) lgkmcnt(4)
	v_mul_f32_e32 v85, v52, v25
	v_mul_f32_e32 v25, v53, v25
	v_fmac_f32_e32 v99, v51, v22
	v_fma_f32 v13, v50, v22, -v23
	v_add_f32_e32 v5, v5, v98
	v_add_f32_e32 v4, v4, v12
	v_mul_f32_e32 v87, v54, v27
	v_mul_f32_e32 v27, v55, v27
	s_waitcnt vmcnt(4) lgkmcnt(3)
	v_pk_mul_f32 v[88:89], v[68:69], v[28:29] op_sel:[1,1] op_sel_hi:[0,1]
	v_fmac_f32_e32 v85, v53, v24
	v_fma_f32 v84, v52, v24, -v25
	v_add_f32_e32 v5, v5, v99
	v_add_f32_e32 v4, v4, v13
	v_fmac_f32_e32 v87, v55, v26
	v_fma_f32 v86, v54, v26, -v27
	v_pk_add_f32 v[4:5], v[4:5], v[84:85]
	v_pk_fma_f32 v[6:7], v[68:69], v[28:29], v[88:89] neg_lo:[0,0,1] neg_hi:[0,0,1]
	v_pk_fma_f32 v[8:9], v[68:69], v[28:29], v[88:89] op_sel_hi:[1,0,1]
	v_pk_add_f32 v[4:5], v[4:5], v[86:87]
	v_mov_b32_e32 v7, v9
	v_pk_add_f32 v[4:5], v[4:5], v[6:7]
	v_mov_b32_e32 v6, v31
	v_pk_mul_f32 v[6:7], v[70:71], v[6:7] op_sel:[1,0] op_sel_hi:[0,0]
	v_pk_fma_f32 v[8:9], v[70:71], v[30:31], v[6:7] neg_lo:[0,0,1] neg_hi:[0,0,1]
	v_pk_fma_f32 v[6:7], v[70:71], v[30:31], v[6:7] op_sel_hi:[1,0,1]
	s_nop 0
	v_mov_b32_e32 v9, v7
	s_waitcnt vmcnt(3) lgkmcnt(2)
	v_pk_mul_f32 v[6:7], v[72:73], v[56:57] op_sel:[1,1] op_sel_hi:[0,1]
	v_pk_add_f32 v[4:5], v[4:5], v[8:9]
	v_pk_fma_f32 v[8:9], v[72:73], v[56:57], v[6:7] neg_lo:[0,0,1] neg_hi:[0,0,1]
	v_pk_fma_f32 v[6:7], v[72:73], v[56:57], v[6:7] op_sel_hi:[1,0,1]
	s_nop 0
	v_mov_b32_e32 v6, v59
	v_mov_b32_e32 v9, v7
	v_pk_mul_f32 v[6:7], v[74:75], v[6:7] op_sel:[1,0] op_sel_hi:[0,0]
	v_pk_add_f32 v[4:5], v[4:5], v[8:9]
	v_pk_fma_f32 v[8:9], v[74:75], v[58:59], v[6:7] neg_lo:[0,0,1] neg_hi:[0,0,1]
	v_pk_fma_f32 v[6:7], v[74:75], v[58:59], v[6:7] op_sel_hi:[1,0,1]
	s_nop 0
	v_mov_b32_e32 v9, v7
	s_waitcnt vmcnt(2) lgkmcnt(1)
	v_pk_mul_f32 v[6:7], v[76:77], v[60:61] op_sel:[1,1] op_sel_hi:[0,1]
	v_pk_add_f32 v[4:5], v[4:5], v[8:9]
	v_pk_fma_f32 v[8:9], v[76:77], v[60:61], v[6:7] neg_lo:[0,0,1] neg_hi:[0,0,1]
	v_pk_fma_f32 v[6:7], v[76:77], v[60:61], v[6:7] op_sel_hi:[1,0,1]
	s_nop 0
	v_mov_b32_e32 v6, v63
	v_mov_b32_e32 v9, v7
	v_pk_mul_f32 v[6:7], v[78:79], v[6:7] op_sel:[1,0] op_sel_hi:[0,0]
	v_pk_add_f32 v[4:5], v[4:5], v[8:9]
	;; [unrolled: 14-line block ×3, first 2 shown]
	v_pk_fma_f32 v[8:9], v[82:83], v[66:67], v[6:7] neg_lo:[0,0,1] neg_hi:[0,0,1]
	v_pk_fma_f32 v[6:7], v[82:83], v[66:67], v[6:7] op_sel_hi:[1,0,1]
	s_nop 0
	v_mov_b32_e32 v9, v7
	v_pk_add_f32 v[4:5], v[4:5], v[8:9]
	s_waitcnt vmcnt(0)
	v_pk_add_f32 v[2:3], v[2:3], v[4:5] neg_lo:[0,1] neg_hi:[0,1]
	scratch_store_dwordx2 off, v[2:3], off offset:248
	s_and_saveexec_b64 s[0:1], vcc
	s_cbranch_execz .LBB115_265
; %bb.264:
	scratch_load_dwordx2 v[2:3], off, off offset:240
	v_mov_b32_e32 v4, 0
	v_mov_b32_e32 v5, v4
	scratch_store_dwordx2 off, v[4:5], off offset:240
	s_waitcnt vmcnt(1)
	ds_write_b64 v1, v[2:3]
.LBB115_265:
	s_or_b64 exec, exec, s[0:1]
	s_waitcnt lgkmcnt(0)
	; wave barrier
	scratch_load_dwordx4 v[2:5], off, off offset:248
	scratch_load_dwordx4 v[8:11], off, off offset:264
	scratch_load_dwordx4 v[12:15], off, off offset:280
	scratch_load_dwordx4 v[16:19], off, off offset:296
	scratch_load_dwordx4 v[20:23], off, off offset:312
	scratch_load_dwordx4 v[24:27], off, off offset:328
	scratch_load_dwordx4 v[28:31], off, off offset:344
	scratch_load_dwordx4 v[32:35], off, off offset:360
	scratch_load_dwordx4 v[36:39], off, off offset:376
	scratch_load_dwordx4 v[40:43], off, off offset:392
	scratch_load_dwordx2 v[76:77], off, off offset:408
	scratch_load_dwordx2 v[78:79], off, off offset:240
	v_mov_b32_e32 v6, 0
	ds_read2_b64 v[44:47], v6 offset0:83 offset1:84
	ds_read2_b64 v[48:51], v6 offset0:85 offset1:86
	;; [unrolled: 1-line block ×8, first 2 shown]
	v_cmp_lt_u32_e32 vcc, 29, v0
	s_waitcnt vmcnt(11) lgkmcnt(7)
	v_mul_f32_e32 v7, v44, v3
	v_mul_f32_e32 v3, v45, v3
	;; [unrolled: 1-line block ×4, first 2 shown]
	v_fmac_f32_e32 v7, v45, v2
	v_fma_f32 v2, v44, v2, -v3
	s_waitcnt vmcnt(10) lgkmcnt(6)
	v_mul_f32_e32 v82, v48, v9
	v_mul_f32_e32 v9, v49, v9
	v_fma_f32 v3, v46, v4, -v5
	v_add_f32_e32 v2, 0, v2
	v_mul_f32_e32 v84, v50, v11
	v_mul_f32_e32 v11, v51, v11
	v_fmac_f32_e32 v80, v47, v4
	v_fma_f32 v4, v48, v8, -v9
	v_add_f32_e32 v7, 0, v7
	v_add_f32_e32 v2, v2, v3
	s_waitcnt vmcnt(9) lgkmcnt(5)
	v_mul_f32_e32 v85, v52, v13
	v_mul_f32_e32 v13, v53, v13
	v_fmac_f32_e32 v82, v49, v8
	v_fma_f32 v5, v50, v10, -v11
	v_add_f32_e32 v7, v7, v80
	v_add_f32_e32 v2, v2, v4
	v_mul_f32_e32 v86, v54, v15
	v_mul_f32_e32 v15, v55, v15
	v_fmac_f32_e32 v84, v51, v10
	v_fma_f32 v8, v52, v12, -v13
	v_add_f32_e32 v3, v7, v82
	v_add_f32_e32 v2, v2, v5
	s_waitcnt vmcnt(8) lgkmcnt(4)
	v_mul_f32_e32 v87, v56, v17
	v_mul_f32_e32 v17, v57, v17
	v_fmac_f32_e32 v85, v53, v12
	v_fma_f32 v9, v54, v14, -v15
	v_add_f32_e32 v3, v3, v84
	;; [unrolled: 13-line block ×4, first 2 shown]
	v_add_f32_e32 v2, v2, v12
	v_fmac_f32_e32 v90, v63, v22
	v_fma_f32 v14, v64, v24, -v25
	v_add_f32_e32 v3, v3, v89
	v_add_f32_e32 v2, v2, v13
	v_mul_f32_e32 v81, v66, v27
	v_fmac_f32_e32 v91, v65, v24
	v_add_f32_e32 v3, v3, v90
	v_add_f32_e32 v12, v2, v14
	v_mul_f32_e32 v2, v67, v27
	s_waitcnt vmcnt(5)
	v_mov_b32_e32 v16, v31
	s_waitcnt lgkmcnt(1)
	v_mul_f32_e32 v83, v68, v29
	v_fmac_f32_e32 v81, v67, v26
	v_add_f32_e32 v13, v3, v91
	v_fma_f32 v80, v66, v26, -v2
	v_mul_f32_e32 v2, v69, v29
	v_pk_mul_f32 v[16:17], v[70:71], v[16:17] op_sel:[1,0] op_sel_hi:[0,0]
	v_fmac_f32_e32 v83, v69, v28
	v_fma_f32 v82, v68, v28, -v2
	v_pk_add_f32 v[12:13], v[12:13], v[80:81]
	v_pk_fma_f32 v[18:19], v[70:71], v[30:31], v[16:17] neg_lo:[0,0,1] neg_hi:[0,0,1]
	v_pk_fma_f32 v[16:17], v[70:71], v[30:31], v[16:17] op_sel_hi:[1,0,1]
	v_pk_add_f32 v[12:13], v[12:13], v[82:83]
	v_mov_b32_e32 v19, v17
	s_waitcnt vmcnt(4) lgkmcnt(0)
	v_pk_mul_f32 v[16:17], v[72:73], v[32:33] op_sel:[1,1] op_sel_hi:[0,1]
	v_pk_add_f32 v[12:13], v[12:13], v[18:19]
	v_pk_fma_f32 v[18:19], v[72:73], v[32:33], v[16:17] neg_lo:[0,0,1] neg_hi:[0,0,1]
	v_pk_fma_f32 v[16:17], v[72:73], v[32:33], v[16:17] op_sel_hi:[1,0,1]
	ds_read2_b64 v[2:5], v6 offset0:99 offset1:100
	ds_read2_b64 v[8:11], v6 offset0:101 offset1:102
	ds_read_b64 v[14:15], v6 offset:824
	v_mov_b32_e32 v16, v35
	v_mov_b32_e32 v19, v17
	v_pk_mul_f32 v[16:17], v[74:75], v[16:17] op_sel:[1,0] op_sel_hi:[0,0]
	v_pk_add_f32 v[12:13], v[12:13], v[18:19]
	v_pk_fma_f32 v[18:19], v[74:75], v[34:35], v[16:17] neg_lo:[0,0,1] neg_hi:[0,0,1]
	v_pk_fma_f32 v[16:17], v[74:75], v[34:35], v[16:17] op_sel_hi:[1,0,1]
	s_nop 0
	v_mov_b32_e32 v19, v17
	s_waitcnt vmcnt(3) lgkmcnt(2)
	v_pk_mul_f32 v[16:17], v[2:3], v[36:37] op_sel:[1,1] op_sel_hi:[0,1]
	v_pk_add_f32 v[12:13], v[12:13], v[18:19]
	v_pk_fma_f32 v[18:19], v[2:3], v[36:37], v[16:17] neg_lo:[0,0,1] neg_hi:[0,0,1]
	v_pk_fma_f32 v[2:3], v[2:3], v[36:37], v[16:17] op_sel_hi:[1,0,1]
	s_nop 0
	v_mov_b32_e32 v19, v3
	v_pk_add_f32 v[2:3], v[12:13], v[18:19]
	v_mov_b32_e32 v12, v39
	v_pk_mul_f32 v[12:13], v[4:5], v[12:13] op_sel:[1,0] op_sel_hi:[0,0]
	v_pk_fma_f32 v[16:17], v[4:5], v[38:39], v[12:13] neg_lo:[0,0,1] neg_hi:[0,0,1]
	v_pk_fma_f32 v[4:5], v[4:5], v[38:39], v[12:13] op_sel_hi:[1,0,1]
	s_nop 0
	v_mov_b32_e32 v17, v5
	s_waitcnt vmcnt(2) lgkmcnt(1)
	v_pk_mul_f32 v[4:5], v[8:9], v[40:41] op_sel:[1,1] op_sel_hi:[0,1]
	v_pk_fma_f32 v[12:13], v[8:9], v[40:41], v[4:5] neg_lo:[0,0,1] neg_hi:[0,0,1]
	v_pk_fma_f32 v[4:5], v[8:9], v[40:41], v[4:5] op_sel_hi:[1,0,1]
	v_pk_add_f32 v[2:3], v[2:3], v[16:17]
	v_mov_b32_e32 v4, v43
	v_mov_b32_e32 v13, v5
	v_pk_mul_f32 v[4:5], v[10:11], v[4:5] op_sel:[1,0] op_sel_hi:[0,0]
	v_pk_fma_f32 v[8:9], v[10:11], v[42:43], v[4:5] neg_lo:[0,0,1] neg_hi:[0,0,1]
	v_pk_fma_f32 v[4:5], v[10:11], v[42:43], v[4:5] op_sel_hi:[1,0,1]
	v_pk_add_f32 v[2:3], v[2:3], v[12:13]
	v_mov_b32_e32 v9, v5
	s_waitcnt vmcnt(1) lgkmcnt(0)
	v_pk_mul_f32 v[4:5], v[14:15], v[76:77] op_sel:[1,1] op_sel_hi:[0,1]
	v_pk_add_f32 v[2:3], v[2:3], v[8:9]
	v_pk_fma_f32 v[8:9], v[14:15], v[76:77], v[4:5] neg_lo:[0,0,1] neg_hi:[0,0,1]
	v_pk_fma_f32 v[4:5], v[14:15], v[76:77], v[4:5] op_sel_hi:[1,0,1]
	s_nop 0
	v_mov_b32_e32 v9, v5
	v_pk_add_f32 v[2:3], v[2:3], v[8:9]
	s_waitcnt vmcnt(0)
	v_pk_add_f32 v[2:3], v[78:79], v[2:3] neg_lo:[0,1] neg_hi:[0,1]
	scratch_store_dwordx2 off, v[2:3], off offset:240
	s_and_saveexec_b64 s[0:1], vcc
	s_cbranch_execz .LBB115_267
; %bb.266:
	scratch_load_dwordx2 v[2:3], off, off offset:232
	v_mov_b32_e32 v7, v6
	scratch_store_dwordx2 off, v[6:7], off offset:232
	s_waitcnt vmcnt(1)
	ds_write_b64 v1, v[2:3]
.LBB115_267:
	s_or_b64 exec, exec, s[0:1]
	s_waitcnt lgkmcnt(0)
	; wave barrier
	scratch_load_dwordx4 v[8:11], off, off offset:240
	scratch_load_dwordx4 v[12:15], off, off offset:256
	;; [unrolled: 1-line block ×7, first 2 shown]
	ds_read_b128 v[36:39], v6 offset:656
	ds_read_b128 v[40:43], v6 offset:672
	;; [unrolled: 1-line block ×6, first 2 shown]
	scratch_load_dwordx4 v[60:63], off, off offset:352
	scratch_load_dwordx4 v[64:67], off, off offset:368
	;; [unrolled: 1-line block ×4, first 2 shown]
	ds_read_b128 v[72:75], v6 offset:752
	ds_read_b128 v[76:79], v6 offset:768
	scratch_load_dwordx2 v[80:81], off, off offset:232
	v_cmp_lt_u32_e32 vcc, 28, v0
	s_waitcnt vmcnt(11) lgkmcnt(7)
	v_mul_f32_e32 v7, v36, v9
	v_mul_f32_e32 v82, v38, v11
	;; [unrolled: 1-line block ×3, first 2 shown]
	v_fmac_f32_e32 v7, v37, v8
	s_waitcnt vmcnt(10) lgkmcnt(6)
	v_mul_f32_e32 v84, v40, v13
	v_mul_f32_e32 v11, v39, v11
	v_fmac_f32_e32 v82, v39, v10
	v_fma_f32 v8, v36, v8, -v9
	v_add_f32_e32 v7, 0, v7
	v_mul_f32_e32 v86, v42, v15
	v_mul_f32_e32 v13, v41, v13
	v_fmac_f32_e32 v84, v41, v12
	v_fma_f32 v9, v38, v10, -v11
	v_add_f32_e32 v8, 0, v8
	v_add_f32_e32 v7, v7, v82
	s_waitcnt vmcnt(9) lgkmcnt(5)
	v_mul_f32_e32 v87, v44, v17
	v_mul_f32_e32 v15, v43, v15
	v_fmac_f32_e32 v86, v43, v14
	v_fma_f32 v10, v40, v12, -v13
	v_add_f32_e32 v8, v8, v9
	v_add_f32_e32 v7, v7, v84
	v_mul_f32_e32 v88, v46, v19
	v_mul_f32_e32 v17, v45, v17
	v_fmac_f32_e32 v87, v45, v16
	v_fma_f32 v11, v42, v14, -v15
	v_add_f32_e32 v8, v8, v10
	v_add_f32_e32 v7, v7, v86
	s_waitcnt vmcnt(8) lgkmcnt(4)
	v_mul_f32_e32 v89, v48, v21
	v_mul_f32_e32 v19, v47, v19
	v_fmac_f32_e32 v88, v47, v18
	v_fma_f32 v12, v44, v16, -v17
	v_add_f32_e32 v8, v8, v11
	;; [unrolled: 13-line block ×4, first 2 shown]
	v_add_f32_e32 v7, v7, v91
	v_mul_f32_e32 v94, v58, v31
	v_mul_f32_e32 v29, v57, v29
	v_fmac_f32_e32 v93, v57, v28
	v_fma_f32 v17, v54, v26, -v27
	v_add_f32_e32 v8, v8, v16
	v_add_f32_e32 v7, v7, v92
	v_fmac_f32_e32 v94, v59, v30
	v_fma_f32 v18, v56, v28, -v29
	v_add_f32_e32 v8, v8, v17
	v_add_f32_e32 v7, v7, v93
	;; [unrolled: 1-line block ×4, first 2 shown]
	v_mul_f32_e32 v8, v59, v31
	v_fma_f32 v8, v58, v30, -v8
	s_waitcnt vmcnt(5) lgkmcnt(1)
	v_mul_f32_e32 v83, v72, v33
	v_add_f32_e32 v20, v7, v8
	v_mul_f32_e32 v7, v73, v33
	v_fmac_f32_e32 v83, v73, v32
	v_fma_f32 v82, v72, v32, -v7
	v_mul_f32_e32 v7, v75, v35
	v_fma_f32 v84, v74, v34, -v7
	ds_read_b128 v[8:11], v6 offset:784
	ds_read_b128 v[12:15], v6 offset:800
	;; [unrolled: 1-line block ×3, first 2 shown]
	v_pk_add_f32 v[6:7], v[20:21], v[82:83]
	s_waitcnt vmcnt(4) lgkmcnt(3)
	v_pk_mul_f32 v[20:21], v[76:77], v[60:61] op_sel:[1,1] op_sel_hi:[0,1]
	v_mul_f32_e32 v85, v74, v35
	v_pk_fma_f32 v[22:23], v[76:77], v[60:61], v[20:21] neg_lo:[0,0,1] neg_hi:[0,0,1]
	v_pk_fma_f32 v[20:21], v[76:77], v[60:61], v[20:21] op_sel_hi:[1,0,1]
	v_fmac_f32_e32 v85, v75, v34
	v_mov_b32_e32 v20, v63
	v_pk_add_f32 v[6:7], v[6:7], v[84:85]
	v_mov_b32_e32 v23, v21
	v_pk_mul_f32 v[20:21], v[78:79], v[20:21] op_sel:[1,0] op_sel_hi:[0,0]
	v_pk_add_f32 v[6:7], v[6:7], v[22:23]
	v_pk_fma_f32 v[22:23], v[78:79], v[62:63], v[20:21] neg_lo:[0,0,1] neg_hi:[0,0,1]
	v_pk_fma_f32 v[20:21], v[78:79], v[62:63], v[20:21] op_sel_hi:[1,0,1]
	s_nop 0
	v_mov_b32_e32 v23, v21
	s_waitcnt vmcnt(3) lgkmcnt(2)
	v_pk_mul_f32 v[20:21], v[8:9], v[64:65] op_sel:[1,1] op_sel_hi:[0,1]
	v_pk_add_f32 v[6:7], v[6:7], v[22:23]
	v_pk_fma_f32 v[22:23], v[8:9], v[64:65], v[20:21] neg_lo:[0,0,1] neg_hi:[0,0,1]
	v_pk_fma_f32 v[8:9], v[8:9], v[64:65], v[20:21] op_sel_hi:[1,0,1]
	s_nop 0
	v_mov_b32_e32 v8, v67
	v_mov_b32_e32 v23, v9
	v_pk_mul_f32 v[8:9], v[10:11], v[8:9] op_sel:[1,0] op_sel_hi:[0,0]
	v_pk_fma_f32 v[20:21], v[10:11], v[66:67], v[8:9] neg_lo:[0,0,1] neg_hi:[0,0,1]
	v_pk_fma_f32 v[8:9], v[10:11], v[66:67], v[8:9] op_sel_hi:[1,0,1]
	v_pk_add_f32 v[6:7], v[6:7], v[22:23]
	v_mov_b32_e32 v21, v9
	s_waitcnt vmcnt(2) lgkmcnt(1)
	v_pk_mul_f32 v[8:9], v[12:13], v[68:69] op_sel:[1,1] op_sel_hi:[0,1]
	v_pk_fma_f32 v[10:11], v[12:13], v[68:69], v[8:9] neg_lo:[0,0,1] neg_hi:[0,0,1]
	v_pk_fma_f32 v[8:9], v[12:13], v[68:69], v[8:9] op_sel_hi:[1,0,1]
	v_pk_add_f32 v[6:7], v[6:7], v[20:21]
	v_mov_b32_e32 v8, v71
	v_mov_b32_e32 v11, v9
	v_pk_mul_f32 v[8:9], v[14:15], v[8:9] op_sel:[1,0] op_sel_hi:[0,0]
	v_pk_add_f32 v[6:7], v[6:7], v[10:11]
	v_pk_fma_f32 v[10:11], v[14:15], v[70:71], v[8:9] neg_lo:[0,0,1] neg_hi:[0,0,1]
	v_pk_fma_f32 v[8:9], v[14:15], v[70:71], v[8:9] op_sel_hi:[1,0,1]
	s_nop 0
	v_mov_b32_e32 v11, v9
	s_waitcnt vmcnt(1) lgkmcnt(0)
	v_pk_mul_f32 v[8:9], v[16:17], v[2:3] op_sel:[1,1] op_sel_hi:[0,1]
	v_pk_add_f32 v[6:7], v[6:7], v[10:11]
	v_pk_fma_f32 v[10:11], v[16:17], v[2:3], v[8:9] neg_lo:[0,0,1] neg_hi:[0,0,1]
	v_pk_fma_f32 v[2:3], v[16:17], v[2:3], v[8:9] op_sel_hi:[1,0,1]
	s_nop 0
	v_mov_b32_e32 v11, v3
	v_pk_add_f32 v[2:3], v[6:7], v[10:11]
	v_mov_b32_e32 v6, v5
	v_pk_mul_f32 v[6:7], v[18:19], v[6:7] op_sel:[1,0] op_sel_hi:[0,0]
	v_pk_fma_f32 v[8:9], v[18:19], v[4:5], v[6:7] neg_lo:[0,0,1] neg_hi:[0,0,1]
	v_pk_fma_f32 v[4:5], v[18:19], v[4:5], v[6:7] op_sel_hi:[1,0,1]
	s_nop 0
	v_mov_b32_e32 v9, v5
	v_pk_add_f32 v[2:3], v[2:3], v[8:9]
	s_waitcnt vmcnt(0)
	v_pk_add_f32 v[2:3], v[80:81], v[2:3] neg_lo:[0,1] neg_hi:[0,1]
	scratch_store_dwordx2 off, v[2:3], off offset:232
	s_and_saveexec_b64 s[0:1], vcc
	s_cbranch_execz .LBB115_269
; %bb.268:
	scratch_load_dwordx2 v[2:3], off, off offset:224
	v_mov_b32_e32 v4, 0
	v_mov_b32_e32 v5, v4
	scratch_store_dwordx2 off, v[4:5], off offset:224
	s_waitcnt vmcnt(1)
	ds_write_b64 v1, v[2:3]
.LBB115_269:
	s_or_b64 exec, exec, s[0:1]
	s_waitcnt lgkmcnt(0)
	; wave barrier
	scratch_load_dwordx4 v[2:5], off, off offset:232
	scratch_load_dwordx4 v[14:17], off, off offset:248
	;; [unrolled: 1-line block ×11, first 2 shown]
	scratch_load_dwordx2 v[22:23], off, off offset:408
	scratch_load_dwordx2 v[36:37], off, off offset:224
	v_mov_b32_e32 v38, 0
	ds_read2_b64 v[52:55], v38 offset0:81 offset1:82
	ds_read2_b64 v[56:59], v38 offset0:83 offset1:84
	;; [unrolled: 1-line block ×8, first 2 shown]
	v_cmp_lt_u32_e32 vcc, 27, v0
	s_waitcnt vmcnt(12) lgkmcnt(7)
	v_mul_f32_e32 v39, v52, v3
	v_mul_f32_e32 v84, v54, v5
	v_mul_f32_e32 v3, v53, v3
	v_fmac_f32_e32 v39, v53, v2
	s_waitcnt vmcnt(8) lgkmcnt(3)
	v_mul_f32_e32 v93, v68, v19
	v_mul_f32_e32 v19, v69, v19
	;; [unrolled: 1-line block ×4, first 2 shown]
	v_fmac_f32_e32 v84, v55, v4
	v_fmac_f32_e32 v93, v69, v18
	v_fma_f32 v2, v52, v2, -v3
	v_fma_f32 v18, v68, v18, -v19
	v_add_f32_e32 v19, 0, v39
	v_mul_f32_e32 v88, v58, v17
	v_fmac_f32_e32 v86, v57, v14
	v_fma_f32 v3, v54, v4, -v5
	v_add_f32_e32 v2, 0, v2
	v_add_f32_e32 v19, v19, v84
	v_mul_f32_e32 v89, v60, v25
	v_fmac_f32_e32 v88, v59, v16
	v_add_f32_e32 v2, v2, v3
	v_add_f32_e32 v3, v19, v86
	v_mul_f32_e32 v90, v62, v27
	v_fmac_f32_e32 v89, v61, v24
	v_add_f32_e32 v3, v3, v88
	v_mul_f32_e32 v91, v64, v29
	v_mul_f32_e32 v15, v57, v15
	v_fmac_f32_e32 v90, v63, v26
	v_add_f32_e32 v3, v3, v89
	v_mul_f32_e32 v92, v66, v31
	v_mul_f32_e32 v17, v59, v17
	v_fmac_f32_e32 v91, v65, v28
	v_fma_f32 v4, v56, v14, -v15
	v_add_f32_e32 v3, v3, v90
	v_mul_f32_e32 v25, v61, v25
	v_fmac_f32_e32 v92, v67, v30
	v_fma_f32 v5, v58, v16, -v17
	v_add_f32_e32 v2, v2, v4
	v_add_f32_e32 v3, v3, v91
	v_mul_f32_e32 v94, v70, v21
	v_mul_f32_e32 v27, v63, v27
	v_fma_f32 v14, v60, v24, -v25
	v_add_f32_e32 v2, v2, v5
	v_add_f32_e32 v3, v3, v92
	s_waitcnt vmcnt(7) lgkmcnt(2)
	v_mul_f32_e32 v95, v72, v33
	v_mul_f32_e32 v29, v65, v29
	v_fmac_f32_e32 v94, v71, v20
	v_fma_f32 v15, v62, v26, -v27
	v_add_f32_e32 v2, v2, v14
	v_add_f32_e32 v3, v3, v93
	v_mul_f32_e32 v96, v74, v35
	v_mul_f32_e32 v31, v67, v31
	v_fmac_f32_e32 v95, v73, v32
	v_fma_f32 v16, v64, v28, -v29
	v_add_f32_e32 v2, v2, v15
	v_add_f32_e32 v3, v3, v94
	s_waitcnt vmcnt(6) lgkmcnt(1)
	v_mul_f32_e32 v97, v76, v41
	v_fmac_f32_e32 v96, v75, v34
	v_fma_f32 v17, v66, v30, -v31
	v_add_f32_e32 v2, v2, v16
	v_add_f32_e32 v3, v3, v95
	v_mul_f32_e32 v21, v71, v21
	v_fmac_f32_e32 v97, v77, v40
	v_add_f32_e32 v2, v2, v17
	v_add_f32_e32 v3, v3, v96
	;; [unrolled: 1-line block ×4, first 2 shown]
	v_fma_f32 v3, v70, v20, -v21
	v_add_f32_e32 v2, v2, v3
	v_mul_f32_e32 v3, v73, v33
	v_fma_f32 v3, v72, v32, -v3
	v_add_f32_e32 v2, v2, v3
	v_mul_f32_e32 v3, v75, v35
	v_fma_f32 v3, v74, v34, -v3
	v_add_f32_e32 v2, v2, v3
	v_mul_f32_e32 v3, v77, v41
	v_fma_f32 v3, v76, v40, -v3
	v_add_f32_e32 v24, v2, v3
	v_mul_f32_e32 v2, v79, v43
	v_mul_f32_e32 v85, v78, v43
	v_fma_f32 v84, v78, v42, -v2
	s_waitcnt vmcnt(5) lgkmcnt(0)
	v_mul_f32_e32 v2, v81, v45
	v_mov_b32_e32 v28, v47
	v_mul_f32_e32 v87, v80, v45
	v_fmac_f32_e32 v85, v79, v42
	v_fma_f32 v86, v80, v44, -v2
	ds_read2_b64 v[2:5], v38 offset0:97 offset1:98
	ds_read2_b64 v[14:17], v38 offset0:99 offset1:100
	;; [unrolled: 1-line block ×3, first 2 shown]
	ds_read_b64 v[26:27], v38 offset:824
	v_pk_mul_f32 v[28:29], v[82:83], v[28:29] op_sel:[1,0] op_sel_hi:[0,0]
	v_fmac_f32_e32 v87, v81, v44
	v_pk_add_f32 v[24:25], v[24:25], v[84:85]
	v_pk_fma_f32 v[30:31], v[82:83], v[46:47], v[28:29] neg_lo:[0,0,1] neg_hi:[0,0,1]
	v_pk_fma_f32 v[28:29], v[82:83], v[46:47], v[28:29] op_sel_hi:[1,0,1]
	v_pk_add_f32 v[24:25], v[24:25], v[86:87]
	v_mov_b32_e32 v31, v29
	s_waitcnt vmcnt(4) lgkmcnt(3)
	v_pk_mul_f32 v[28:29], v[2:3], v[48:49] op_sel:[1,1] op_sel_hi:[0,1]
	v_pk_add_f32 v[24:25], v[24:25], v[30:31]
	v_pk_fma_f32 v[30:31], v[2:3], v[48:49], v[28:29] neg_lo:[0,0,1] neg_hi:[0,0,1]
	v_pk_fma_f32 v[2:3], v[2:3], v[48:49], v[28:29] op_sel_hi:[1,0,1]
	s_nop 0
	v_mov_b32_e32 v31, v3
	v_pk_add_f32 v[2:3], v[24:25], v[30:31]
	v_mov_b32_e32 v24, v51
	v_pk_mul_f32 v[24:25], v[4:5], v[24:25] op_sel:[1,0] op_sel_hi:[0,0]
	v_pk_fma_f32 v[28:29], v[4:5], v[50:51], v[24:25] neg_lo:[0,0,1] neg_hi:[0,0,1]
	v_pk_fma_f32 v[4:5], v[4:5], v[50:51], v[24:25] op_sel_hi:[1,0,1]
	s_nop 0
	v_mov_b32_e32 v29, v5
	s_waitcnt vmcnt(3) lgkmcnt(2)
	v_pk_mul_f32 v[4:5], v[14:15], v[10:11] op_sel:[1,1] op_sel_hi:[0,1]
	v_pk_fma_f32 v[24:25], v[14:15], v[10:11], v[4:5] neg_lo:[0,0,1] neg_hi:[0,0,1]
	v_pk_fma_f32 v[4:5], v[14:15], v[10:11], v[4:5] op_sel_hi:[1,0,1]
	v_pk_add_f32 v[2:3], v[2:3], v[28:29]
	v_mov_b32_e32 v4, v13
	v_mov_b32_e32 v25, v5
	v_pk_mul_f32 v[4:5], v[16:17], v[4:5] op_sel:[1,0] op_sel_hi:[0,0]
	v_pk_fma_f32 v[10:11], v[16:17], v[12:13], v[4:5] neg_lo:[0,0,1] neg_hi:[0,0,1]
	v_pk_fma_f32 v[4:5], v[16:17], v[12:13], v[4:5] op_sel_hi:[1,0,1]
	v_pk_add_f32 v[2:3], v[2:3], v[24:25]
	v_mov_b32_e32 v11, v5
	s_waitcnt vmcnt(2) lgkmcnt(1)
	v_pk_mul_f32 v[4:5], v[18:19], v[6:7] op_sel:[1,1] op_sel_hi:[0,1]
	v_pk_add_f32 v[2:3], v[2:3], v[10:11]
	v_pk_fma_f32 v[10:11], v[18:19], v[6:7], v[4:5] neg_lo:[0,0,1] neg_hi:[0,0,1]
	v_pk_fma_f32 v[4:5], v[18:19], v[6:7], v[4:5] op_sel_hi:[1,0,1]
	s_nop 0
	v_mov_b32_e32 v4, v9
	v_mov_b32_e32 v11, v5
	v_pk_mul_f32 v[4:5], v[20:21], v[4:5] op_sel:[1,0] op_sel_hi:[0,0]
	v_pk_fma_f32 v[6:7], v[20:21], v[8:9], v[4:5] neg_lo:[0,0,1] neg_hi:[0,0,1]
	v_pk_fma_f32 v[4:5], v[20:21], v[8:9], v[4:5] op_sel_hi:[1,0,1]
	v_pk_add_f32 v[2:3], v[2:3], v[10:11]
	v_mov_b32_e32 v7, v5
	s_waitcnt vmcnt(1) lgkmcnt(0)
	v_pk_mul_f32 v[4:5], v[26:27], v[22:23] op_sel:[1,1] op_sel_hi:[0,1]
	v_pk_add_f32 v[2:3], v[2:3], v[6:7]
	v_pk_fma_f32 v[6:7], v[26:27], v[22:23], v[4:5] neg_lo:[0,0,1] neg_hi:[0,0,1]
	v_pk_fma_f32 v[4:5], v[26:27], v[22:23], v[4:5] op_sel_hi:[1,0,1]
	s_nop 0
	v_mov_b32_e32 v7, v5
	v_pk_add_f32 v[2:3], v[2:3], v[6:7]
	s_waitcnt vmcnt(0)
	v_pk_add_f32 v[2:3], v[36:37], v[2:3] neg_lo:[0,1] neg_hi:[0,1]
	scratch_store_dwordx2 off, v[2:3], off offset:224
	s_and_saveexec_b64 s[0:1], vcc
	s_cbranch_execz .LBB115_271
; %bb.270:
	scratch_load_dwordx2 v[2:3], off, off offset:216
	v_mov_b32_e32 v39, v38
	scratch_store_dwordx2 off, v[38:39], off offset:216
	s_waitcnt vmcnt(1)
	ds_write_b64 v1, v[2:3]
.LBB115_271:
	s_or_b64 exec, exec, s[0:1]
	s_waitcnt lgkmcnt(0)
	; wave barrier
	scratch_load_dwordx4 v[6:9], off, off offset:224
	scratch_load_dwordx4 v[18:21], off, off offset:240
	scratch_load_dwordx4 v[34:37], off, off offset:256
	scratch_load_dwordx4 v[40:43], off, off offset:272
	scratch_load_dwordx4 v[14:17], off, off offset:288
	scratch_load_dwordx4 v[22:25], off, off offset:304
	scratch_load_dwordx4 v[30:33], off, off offset:320
	scratch_load_dwordx4 v[44:47], off, off offset:336
	ds_read_b128 v[48:51], v38 offset:640
	ds_read_b128 v[52:55], v38 offset:656
	;; [unrolled: 1-line block ×8, first 2 shown]
	scratch_load_dwordx4 v[80:83], off, off offset:352
	scratch_load_dwordx4 v[26:29], off, off offset:368
	;; [unrolled: 1-line block ×4, first 2 shown]
	scratch_load_dwordx2 v[84:85], off, off offset:216
	v_cmp_lt_u32_e32 vcc, 26, v0
	s_waitcnt vmcnt(12) lgkmcnt(7)
	v_mul_f32_e32 v39, v48, v7
	v_mul_f32_e32 v86, v50, v9
	;; [unrolled: 1-line block ×3, first 2 shown]
	v_fmac_f32_e32 v39, v49, v6
	s_waitcnt vmcnt(8) lgkmcnt(3)
	v_mul_f32_e32 v95, v64, v15
	v_mul_f32_e32 v15, v65, v15
	v_mul_f32_e32 v88, v52, v19
	v_mul_f32_e32 v9, v51, v9
	v_fmac_f32_e32 v86, v51, v8
	v_fmac_f32_e32 v95, v65, v14
	v_fma_f32 v6, v48, v6, -v7
	v_fma_f32 v14, v64, v14, -v15
	v_add_f32_e32 v15, 0, v39
	v_mul_f32_e32 v90, v54, v21
	v_fmac_f32_e32 v88, v53, v18
	v_fma_f32 v7, v50, v8, -v9
	v_add_f32_e32 v6, 0, v6
	v_add_f32_e32 v15, v15, v86
	v_mul_f32_e32 v91, v56, v35
	v_fmac_f32_e32 v90, v55, v20
	v_add_f32_e32 v6, v6, v7
	v_add_f32_e32 v7, v15, v88
	v_mul_f32_e32 v92, v58, v37
	v_fmac_f32_e32 v91, v57, v34
	v_add_f32_e32 v7, v7, v90
	v_mul_f32_e32 v93, v60, v41
	v_fmac_f32_e32 v92, v59, v36
	;; [unrolled: 3-line block ×4, first 2 shown]
	v_add_f32_e32 v7, v7, v93
	v_mul_f32_e32 v96, v66, v17
	v_mul_f32_e32 v21, v55, v21
	v_fma_f32 v8, v52, v18, -v19
	v_add_f32_e32 v7, v7, v94
	s_waitcnt vmcnt(7) lgkmcnt(2)
	v_mul_f32_e32 v97, v68, v23
	v_mul_f32_e32 v35, v57, v35
	v_fmac_f32_e32 v96, v67, v16
	v_fma_f32 v9, v54, v20, -v21
	v_add_f32_e32 v6, v6, v8
	v_add_f32_e32 v7, v7, v95
	v_mul_f32_e32 v98, v70, v25
	v_mul_f32_e32 v37, v59, v37
	v_fmac_f32_e32 v97, v69, v22
	v_fma_f32 v18, v56, v34, -v35
	v_add_f32_e32 v6, v6, v9
	v_add_f32_e32 v7, v7, v96
	s_waitcnt vmcnt(6) lgkmcnt(1)
	v_mul_f32_e32 v99, v72, v31
	v_mul_f32_e32 v41, v61, v41
	v_fmac_f32_e32 v98, v71, v24
	v_fma_f32 v19, v58, v36, -v37
	v_add_f32_e32 v6, v6, v18
	v_add_f32_e32 v7, v7, v97
	v_mul_f32_e32 v100, v74, v33
	v_mul_f32_e32 v43, v63, v43
	v_fmac_f32_e32 v99, v73, v30
	v_fma_f32 v20, v60, v40, -v41
	v_add_f32_e32 v6, v6, v19
	v_add_f32_e32 v7, v7, v98
	v_fmac_f32_e32 v100, v75, v32
	v_fma_f32 v21, v62, v42, -v43
	v_add_f32_e32 v6, v6, v20
	v_add_f32_e32 v7, v7, v99
	;; [unrolled: 1-line block ×4, first 2 shown]
	v_mul_f32_e32 v7, v67, v17
	v_add_f32_e32 v6, v6, v14
	v_fma_f32 v7, v66, v16, -v7
	v_add_f32_e32 v6, v6, v7
	v_mul_f32_e32 v7, v69, v23
	v_fma_f32 v7, v68, v22, -v7
	v_add_f32_e32 v6, v6, v7
	v_mul_f32_e32 v7, v71, v25
	;; [unrolled: 3-line block ×4, first 2 shown]
	v_fma_f32 v7, v74, v32, -v7
	v_add_f32_e32 v34, v6, v7
	s_waitcnt vmcnt(5) lgkmcnt(0)
	v_mul_f32_e32 v6, v77, v45
	v_fma_f32 v86, v76, v44, -v6
	v_mul_f32_e32 v6, v79, v47
	v_fma_f32 v88, v78, v46, -v6
	ds_read_b128 v[6:9], v38 offset:768
	ds_read_b128 v[14:17], v38 offset:784
	;; [unrolled: 1-line block ×4, first 2 shown]
	v_mul_f32_e32 v87, v76, v45
	v_mul_f32_e32 v89, v78, v47
	v_fmac_f32_e32 v87, v77, v44
	s_waitcnt vmcnt(4) lgkmcnt(3)
	v_pk_mul_f32 v[32:33], v[6:7], v[80:81] op_sel:[1,1] op_sel_hi:[0,1]
	v_fmac_f32_e32 v89, v79, v46
	v_pk_add_f32 v[30:31], v[34:35], v[86:87]
	v_pk_fma_f32 v[34:35], v[6:7], v[80:81], v[32:33] neg_lo:[0,0,1] neg_hi:[0,0,1]
	v_pk_fma_f32 v[6:7], v[6:7], v[80:81], v[32:33] op_sel_hi:[1,0,1]
	v_pk_add_f32 v[30:31], v[30:31], v[88:89]
	v_mov_b32_e32 v35, v7
	v_pk_add_f32 v[6:7], v[30:31], v[34:35]
	v_mov_b32_e32 v30, v83
	v_pk_mul_f32 v[30:31], v[8:9], v[30:31] op_sel:[1,0] op_sel_hi:[0,0]
	v_pk_fma_f32 v[32:33], v[8:9], v[82:83], v[30:31] neg_lo:[0,0,1] neg_hi:[0,0,1]
	v_pk_fma_f32 v[8:9], v[8:9], v[82:83], v[30:31] op_sel_hi:[1,0,1]
	s_nop 0
	v_mov_b32_e32 v33, v9
	s_waitcnt vmcnt(3) lgkmcnt(2)
	v_pk_mul_f32 v[8:9], v[14:15], v[26:27] op_sel:[1,1] op_sel_hi:[0,1]
	v_pk_fma_f32 v[30:31], v[14:15], v[26:27], v[8:9] neg_lo:[0,0,1] neg_hi:[0,0,1]
	v_pk_fma_f32 v[8:9], v[14:15], v[26:27], v[8:9] op_sel_hi:[1,0,1]
	v_pk_add_f32 v[6:7], v[6:7], v[32:33]
	v_mov_b32_e32 v8, v29
	v_mov_b32_e32 v31, v9
	v_pk_mul_f32 v[8:9], v[16:17], v[8:9] op_sel:[1,0] op_sel_hi:[0,0]
	v_pk_fma_f32 v[14:15], v[16:17], v[28:29], v[8:9] neg_lo:[0,0,1] neg_hi:[0,0,1]
	v_pk_fma_f32 v[8:9], v[16:17], v[28:29], v[8:9] op_sel_hi:[1,0,1]
	v_pk_add_f32 v[6:7], v[6:7], v[30:31]
	v_mov_b32_e32 v15, v9
	s_waitcnt vmcnt(2) lgkmcnt(1)
	v_pk_mul_f32 v[8:9], v[18:19], v[10:11] op_sel:[1,1] op_sel_hi:[0,1]
	v_pk_add_f32 v[6:7], v[6:7], v[14:15]
	v_pk_fma_f32 v[14:15], v[18:19], v[10:11], v[8:9] neg_lo:[0,0,1] neg_hi:[0,0,1]
	v_pk_fma_f32 v[8:9], v[18:19], v[10:11], v[8:9] op_sel_hi:[1,0,1]
	s_nop 0
	v_mov_b32_e32 v8, v13
	v_mov_b32_e32 v15, v9
	v_pk_mul_f32 v[8:9], v[20:21], v[8:9] op_sel:[1,0] op_sel_hi:[0,0]
	v_pk_fma_f32 v[10:11], v[20:21], v[12:13], v[8:9] neg_lo:[0,0,1] neg_hi:[0,0,1]
	v_pk_fma_f32 v[8:9], v[20:21], v[12:13], v[8:9] op_sel_hi:[1,0,1]
	v_pk_add_f32 v[6:7], v[6:7], v[14:15]
	v_mov_b32_e32 v11, v9
	s_waitcnt vmcnt(1) lgkmcnt(0)
	v_pk_mul_f32 v[8:9], v[22:23], v[2:3] op_sel:[1,1] op_sel_hi:[0,1]
	v_pk_add_f32 v[6:7], v[6:7], v[10:11]
	v_pk_fma_f32 v[10:11], v[22:23], v[2:3], v[8:9] neg_lo:[0,0,1] neg_hi:[0,0,1]
	v_pk_fma_f32 v[2:3], v[22:23], v[2:3], v[8:9] op_sel_hi:[1,0,1]
	s_nop 0
	v_mov_b32_e32 v11, v3
	v_pk_add_f32 v[2:3], v[6:7], v[10:11]
	v_mov_b32_e32 v6, v5
	v_pk_mul_f32 v[6:7], v[24:25], v[6:7] op_sel:[1,0] op_sel_hi:[0,0]
	v_pk_fma_f32 v[8:9], v[24:25], v[4:5], v[6:7] neg_lo:[0,0,1] neg_hi:[0,0,1]
	v_pk_fma_f32 v[4:5], v[24:25], v[4:5], v[6:7] op_sel_hi:[1,0,1]
	s_nop 0
	v_mov_b32_e32 v9, v5
	v_pk_add_f32 v[2:3], v[2:3], v[8:9]
	s_waitcnt vmcnt(0)
	v_pk_add_f32 v[2:3], v[84:85], v[2:3] neg_lo:[0,1] neg_hi:[0,1]
	scratch_store_dwordx2 off, v[2:3], off offset:216
	s_and_saveexec_b64 s[0:1], vcc
	s_cbranch_execz .LBB115_273
; %bb.272:
	scratch_load_dwordx2 v[2:3], off, off offset:208
	v_mov_b32_e32 v4, 0
	v_mov_b32_e32 v5, v4
	scratch_store_dwordx2 off, v[4:5], off offset:208
	s_waitcnt vmcnt(1)
	ds_write_b64 v1, v[2:3]
.LBB115_273:
	s_or_b64 exec, exec, s[0:1]
	s_waitcnt lgkmcnt(0)
	; wave barrier
	scratch_load_dwordx4 v[2:5], off, off offset:216
	scratch_load_dwordx4 v[22:25], off, off offset:232
	;; [unrolled: 1-line block ×12, first 2 shown]
	scratch_load_dwordx2 v[50:51], off, off offset:408
	scratch_load_dwordx2 v[56:57], off, off offset:208
	v_mov_b32_e32 v58, 0
	ds_read2_b64 v[52:55], v58 offset0:79 offset1:80
	ds_read2_b64 v[60:63], v58 offset0:81 offset1:82
	;; [unrolled: 1-line block ×10, first 2 shown]
	v_cmp_lt_u32_e32 vcc, 25, v0
	s_waitcnt vmcnt(13) lgkmcnt(9)
	v_mul_f32_e32 v59, v52, v3
	v_mul_f32_e32 v96, v54, v5
	;; [unrolled: 1-line block ×3, first 2 shown]
	s_waitcnt vmcnt(10) lgkmcnt(6)
	v_mul_f32_e32 v103, v68, v11
	v_mul_f32_e32 v11, v69, v11
	v_fmac_f32_e32 v59, v53, v2
	v_mul_f32_e32 v98, v60, v23
	v_mul_f32_e32 v5, v55, v5
	v_fmac_f32_e32 v96, v55, v4
	v_fmac_f32_e32 v103, v69, v10
	v_fma_f32 v2, v52, v2, -v3
	v_fma_f32 v10, v68, v10, -v11
	v_add_f32_e32 v11, 0, v59
	v_mul_f32_e32 v100, v62, v25
	v_fmac_f32_e32 v98, v61, v22
	v_fma_f32 v3, v54, v4, -v5
	v_add_f32_e32 v2, 0, v2
	v_add_f32_e32 v11, v11, v96
	v_mul_f32_e32 v101, v64, v39
	v_fmac_f32_e32 v100, v63, v24
	v_add_f32_e32 v2, v2, v3
	v_add_f32_e32 v3, v11, v98
	v_mul_f32_e32 v102, v66, v41
	v_fmac_f32_e32 v101, v65, v38
	v_add_f32_e32 v3, v3, v100
	v_fmac_f32_e32 v102, v67, v40
	v_add_f32_e32 v3, v3, v101
	v_mul_f32_e32 v104, v70, v13
	v_add_f32_e32 v3, v3, v102
	s_waitcnt vmcnt(9) lgkmcnt(5)
	v_mul_f32_e32 v105, v72, v15
	v_fmac_f32_e32 v104, v71, v12
	v_add_f32_e32 v3, v3, v103
	v_mul_f32_e32 v106, v74, v17
	v_fmac_f32_e32 v105, v73, v14
	v_add_f32_e32 v3, v3, v104
	s_waitcnt vmcnt(8) lgkmcnt(4)
	v_mul_f32_e32 v107, v76, v27
	v_fmac_f32_e32 v106, v75, v16
	v_add_f32_e32 v3, v3, v105
	v_mul_f32_e32 v108, v78, v29
	v_mul_f32_e32 v23, v61, v23
	v_fmac_f32_e32 v107, v77, v26
	v_add_f32_e32 v3, v3, v106
	s_waitcnt vmcnt(7) lgkmcnt(3)
	v_mul_f32_e32 v109, v80, v31
	v_mul_f32_e32 v25, v63, v25
	v_fmac_f32_e32 v108, v79, v28
	v_fma_f32 v4, v60, v22, -v23
	v_add_f32_e32 v3, v3, v107
	v_mul_f32_e32 v110, v82, v33
	v_mul_f32_e32 v39, v65, v39
	v_fmac_f32_e32 v109, v81, v30
	v_fma_f32 v5, v62, v24, -v25
	v_add_f32_e32 v2, v2, v4
	v_add_f32_e32 v3, v3, v108
	s_waitcnt vmcnt(6) lgkmcnt(2)
	v_mul_f32_e32 v111, v84, v43
	v_mul_f32_e32 v41, v67, v41
	v_fmac_f32_e32 v110, v83, v32
	v_fma_f32 v22, v64, v38, -v39
	v_add_f32_e32 v2, v2, v5
	v_add_f32_e32 v3, v3, v109
	v_fmac_f32_e32 v111, v85, v42
	v_fma_f32 v23, v66, v40, -v41
	v_add_f32_e32 v2, v2, v22
	v_add_f32_e32 v3, v3, v110
	;; [unrolled: 1-line block ×4, first 2 shown]
	v_mul_f32_e32 v3, v71, v13
	v_add_f32_e32 v2, v2, v10
	v_fma_f32 v3, v70, v12, -v3
	v_add_f32_e32 v2, v2, v3
	v_mul_f32_e32 v3, v73, v15
	v_fma_f32 v3, v72, v14, -v3
	v_add_f32_e32 v2, v2, v3
	v_mul_f32_e32 v3, v75, v17
	;; [unrolled: 3-line block ×7, first 2 shown]
	v_fma_f32 v3, v84, v42, -v3
	v_mul_f32_e32 v97, v86, v45
	v_add_f32_e32 v22, v2, v3
	v_mul_f32_e32 v2, v87, v45
	v_fmac_f32_e32 v97, v87, v44
	v_fma_f32 v96, v86, v44, -v2
	v_pk_add_f32 v[16:17], v[22:23], v[96:97]
	s_waitcnt vmcnt(5)
	v_mov_b32_e32 v22, v49
	s_waitcnt lgkmcnt(1)
	v_mul_f32_e32 v99, v88, v47
	v_mul_f32_e32 v2, v89, v47
	v_pk_mul_f32 v[22:23], v[90:91], v[22:23] op_sel:[1,0] op_sel_hi:[0,0]
	v_fmac_f32_e32 v99, v89, v46
	v_fma_f32 v98, v88, v46, -v2
	v_pk_fma_f32 v[24:25], v[90:91], v[48:49], v[22:23] neg_lo:[0,0,1] neg_hi:[0,0,1]
	v_pk_fma_f32 v[22:23], v[90:91], v[48:49], v[22:23] op_sel_hi:[1,0,1]
	v_pk_add_f32 v[16:17], v[16:17], v[98:99]
	v_mov_b32_e32 v25, v23
	s_waitcnt vmcnt(4) lgkmcnt(0)
	v_pk_mul_f32 v[22:23], v[92:93], v[34:35] op_sel:[1,1] op_sel_hi:[0,1]
	v_pk_add_f32 v[16:17], v[16:17], v[24:25]
	v_pk_fma_f32 v[24:25], v[92:93], v[34:35], v[22:23] neg_lo:[0,0,1] neg_hi:[0,0,1]
	v_pk_fma_f32 v[22:23], v[92:93], v[34:35], v[22:23] op_sel_hi:[1,0,1]
	ds_read2_b64 v[2:5], v58 offset0:99 offset1:100
	ds_read2_b64 v[10:13], v58 offset0:101 offset1:102
	ds_read_b64 v[14:15], v58 offset:824
	v_mov_b32_e32 v22, v37
	v_mov_b32_e32 v25, v23
	v_pk_mul_f32 v[22:23], v[94:95], v[22:23] op_sel:[1,0] op_sel_hi:[0,0]
	v_pk_add_f32 v[16:17], v[16:17], v[24:25]
	v_pk_fma_f32 v[24:25], v[94:95], v[36:37], v[22:23] neg_lo:[0,0,1] neg_hi:[0,0,1]
	v_pk_fma_f32 v[22:23], v[94:95], v[36:37], v[22:23] op_sel_hi:[1,0,1]
	s_nop 0
	v_mov_b32_e32 v25, v23
	s_waitcnt vmcnt(3) lgkmcnt(2)
	v_pk_mul_f32 v[22:23], v[2:3], v[18:19] op_sel:[1,1] op_sel_hi:[0,1]
	v_pk_add_f32 v[16:17], v[16:17], v[24:25]
	v_pk_fma_f32 v[24:25], v[2:3], v[18:19], v[22:23] neg_lo:[0,0,1] neg_hi:[0,0,1]
	v_pk_fma_f32 v[2:3], v[2:3], v[18:19], v[22:23] op_sel_hi:[1,0,1]
	s_nop 0
	v_mov_b32_e32 v25, v3
	v_pk_add_f32 v[2:3], v[16:17], v[24:25]
	v_mov_b32_e32 v16, v21
	v_pk_mul_f32 v[16:17], v[4:5], v[16:17] op_sel:[1,0] op_sel_hi:[0,0]
	v_pk_fma_f32 v[18:19], v[4:5], v[20:21], v[16:17] neg_lo:[0,0,1] neg_hi:[0,0,1]
	v_pk_fma_f32 v[4:5], v[4:5], v[20:21], v[16:17] op_sel_hi:[1,0,1]
	s_nop 0
	v_mov_b32_e32 v19, v5
	s_waitcnt vmcnt(2) lgkmcnt(1)
	v_pk_mul_f32 v[4:5], v[10:11], v[6:7] op_sel:[1,1] op_sel_hi:[0,1]
	v_pk_fma_f32 v[16:17], v[10:11], v[6:7], v[4:5] neg_lo:[0,0,1] neg_hi:[0,0,1]
	v_pk_fma_f32 v[4:5], v[10:11], v[6:7], v[4:5] op_sel_hi:[1,0,1]
	v_pk_add_f32 v[2:3], v[2:3], v[18:19]
	v_mov_b32_e32 v4, v9
	v_mov_b32_e32 v17, v5
	v_pk_mul_f32 v[4:5], v[12:13], v[4:5] op_sel:[1,0] op_sel_hi:[0,0]
	v_pk_fma_f32 v[6:7], v[12:13], v[8:9], v[4:5] neg_lo:[0,0,1] neg_hi:[0,0,1]
	v_pk_fma_f32 v[4:5], v[12:13], v[8:9], v[4:5] op_sel_hi:[1,0,1]
	v_pk_add_f32 v[2:3], v[2:3], v[16:17]
	v_mov_b32_e32 v7, v5
	s_waitcnt vmcnt(1) lgkmcnt(0)
	v_pk_mul_f32 v[4:5], v[14:15], v[50:51] op_sel:[1,1] op_sel_hi:[0,1]
	v_pk_add_f32 v[2:3], v[2:3], v[6:7]
	v_pk_fma_f32 v[6:7], v[14:15], v[50:51], v[4:5] neg_lo:[0,0,1] neg_hi:[0,0,1]
	v_pk_fma_f32 v[4:5], v[14:15], v[50:51], v[4:5] op_sel_hi:[1,0,1]
	s_nop 0
	v_mov_b32_e32 v7, v5
	v_pk_add_f32 v[2:3], v[2:3], v[6:7]
	s_waitcnt vmcnt(0)
	v_pk_add_f32 v[2:3], v[56:57], v[2:3] neg_lo:[0,1] neg_hi:[0,1]
	scratch_store_dwordx2 off, v[2:3], off offset:208
	s_and_saveexec_b64 s[0:1], vcc
	s_cbranch_execz .LBB115_275
; %bb.274:
	scratch_load_dwordx2 v[2:3], off, off offset:200
	v_mov_b32_e32 v59, v58
	scratch_store_dwordx2 off, v[58:59], off offset:200
	s_waitcnt vmcnt(1)
	ds_write_b64 v1, v[2:3]
.LBB115_275:
	s_or_b64 exec, exec, s[0:1]
	s_waitcnt lgkmcnt(0)
	; wave barrier
	scratch_load_dwordx4 v[10:13], off, off offset:208
	scratch_load_dwordx4 v[26:29], off, off offset:224
	;; [unrolled: 1-line block ×9, first 2 shown]
	ds_read_b128 v[60:63], v58 offset:624
	ds_read_b128 v[64:67], v58 offset:640
	;; [unrolled: 1-line block ×8, first 2 shown]
	scratch_load_dwordx4 v[50:53], off, off offset:352
	scratch_load_dwordx4 v[34:37], off, off offset:368
	;; [unrolled: 1-line block ×4, first 2 shown]
	ds_read_b128 v[88:91], v58 offset:752
	ds_read_b128 v[92:95], v58 offset:768
	scratch_load_dwordx2 v[96:97], off, off offset:200
	v_cmp_lt_u32_e32 vcc, 24, v0
	s_waitcnt vmcnt(13) lgkmcnt(9)
	v_mul_f32_e32 v59, v60, v11
	v_mul_f32_e32 v98, v62, v13
	v_fmac_f32_e32 v59, v61, v10
	s_waitcnt vmcnt(10) lgkmcnt(6)
	v_mul_f32_e32 v105, v72, v3
	v_mul_f32_e32 v3, v73, v3
	;; [unrolled: 1-line block ×3, first 2 shown]
	v_fmac_f32_e32 v98, v63, v12
	v_fmac_f32_e32 v105, v73, v2
	v_fma_f32 v2, v72, v2, -v3
	v_add_f32_e32 v3, 0, v59
	v_mul_f32_e32 v102, v66, v29
	v_fmac_f32_e32 v100, v65, v26
	v_add_f32_e32 v3, v3, v98
	v_mul_f32_e32 v103, v68, v43
	v_fmac_f32_e32 v102, v67, v28
	;; [unrolled: 3-line block ×3, first 2 shown]
	v_add_f32_e32 v3, v3, v102
	v_fmac_f32_e32 v104, v71, v44
	v_add_f32_e32 v3, v3, v103
	v_mul_f32_e32 v106, v74, v5
	v_add_f32_e32 v3, v3, v104
	s_waitcnt vmcnt(9) lgkmcnt(5)
	v_mul_f32_e32 v107, v76, v15
	v_fmac_f32_e32 v106, v75, v4
	v_add_f32_e32 v3, v3, v105
	v_mul_f32_e32 v108, v78, v17
	v_fmac_f32_e32 v107, v77, v14
	v_add_f32_e32 v3, v3, v106
	s_waitcnt vmcnt(8) lgkmcnt(4)
	v_mul_f32_e32 v109, v80, v19
	v_mul_f32_e32 v11, v61, v11
	v_fmac_f32_e32 v108, v79, v16
	v_add_f32_e32 v3, v3, v107
	v_mul_f32_e32 v110, v82, v21
	v_mul_f32_e32 v13, v63, v13
	v_fmac_f32_e32 v109, v81, v18
	v_fma_f32 v10, v60, v10, -v11
	v_add_f32_e32 v3, v3, v108
	s_waitcnt vmcnt(7) lgkmcnt(3)
	v_mul_f32_e32 v111, v84, v31
	v_mul_f32_e32 v27, v65, v27
	v_fmac_f32_e32 v110, v83, v20
	v_fma_f32 v11, v62, v12, -v13
	v_add_f32_e32 v10, 0, v10
	v_add_f32_e32 v3, v3, v109
	v_mul_f32_e32 v112, v86, v33
	v_mul_f32_e32 v29, v67, v29
	v_fmac_f32_e32 v111, v85, v30
	v_fma_f32 v12, v64, v26, -v27
	v_add_f32_e32 v10, v10, v11
	v_add_f32_e32 v3, v3, v110
	s_waitcnt vmcnt(6) lgkmcnt(2)
	v_mul_f32_e32 v113, v54, v39
	v_mul_f32_e32 v43, v69, v43
	v_fmac_f32_e32 v112, v87, v32
	v_fma_f32 v13, v66, v28, -v29
	v_add_f32_e32 v10, v10, v12
	v_add_f32_e32 v3, v3, v111
	v_mul_f32_e32 v114, v56, v41
	v_mul_f32_e32 v45, v71, v45
	v_fmac_f32_e32 v113, v55, v38
	v_fma_f32 v26, v68, v42, -v43
	v_add_f32_e32 v10, v10, v13
	v_add_f32_e32 v3, v3, v112
	v_fmac_f32_e32 v114, v57, v40
	v_fma_f32 v27, v70, v44, -v45
	v_add_f32_e32 v10, v10, v26
	v_add_f32_e32 v3, v3, v113
	;; [unrolled: 1-line block ×4, first 2 shown]
	v_mul_f32_e32 v3, v75, v5
	v_add_f32_e32 v2, v10, v2
	v_fma_f32 v3, v74, v4, -v3
	v_add_f32_e32 v2, v2, v3
	v_mul_f32_e32 v3, v77, v15
	v_fma_f32 v3, v76, v14, -v3
	v_add_f32_e32 v2, v2, v3
	v_mul_f32_e32 v3, v79, v17
	;; [unrolled: 3-line block ×8, first 2 shown]
	v_fma_f32 v3, v56, v40, -v3
	s_waitcnt vmcnt(5) lgkmcnt(1)
	v_mul_f32_e32 v99, v88, v47
	v_add_f32_e32 v26, v2, v3
	v_mul_f32_e32 v2, v89, v47
	v_fmac_f32_e32 v99, v89, v46
	v_fma_f32 v98, v88, v46, -v2
	s_waitcnt vmcnt(4) lgkmcnt(0)
	v_pk_mul_f32 v[20:21], v[92:93], v[50:51] op_sel:[1,1] op_sel_hi:[0,1]
	v_mul_f32_e32 v101, v90, v49
	v_mul_f32_e32 v2, v91, v49
	v_pk_add_f32 v[18:19], v[26:27], v[98:99]
	v_pk_fma_f32 v[26:27], v[92:93], v[50:51], v[20:21] neg_lo:[0,0,1] neg_hi:[0,0,1]
	v_pk_fma_f32 v[20:21], v[92:93], v[50:51], v[20:21] op_sel_hi:[1,0,1]
	v_fmac_f32_e32 v101, v91, v48
	v_fma_f32 v100, v90, v48, -v2
	ds_read_b128 v[2:5], v58 offset:784
	ds_read_b128 v[10:13], v58 offset:800
	;; [unrolled: 1-line block ×3, first 2 shown]
	v_mov_b32_e32 v20, v53
	v_pk_add_f32 v[18:19], v[18:19], v[100:101]
	v_mov_b32_e32 v27, v21
	v_pk_mul_f32 v[20:21], v[94:95], v[20:21] op_sel:[1,0] op_sel_hi:[0,0]
	v_pk_add_f32 v[18:19], v[18:19], v[26:27]
	v_pk_fma_f32 v[26:27], v[94:95], v[52:53], v[20:21] neg_lo:[0,0,1] neg_hi:[0,0,1]
	v_pk_fma_f32 v[20:21], v[94:95], v[52:53], v[20:21] op_sel_hi:[1,0,1]
	s_nop 0
	v_mov_b32_e32 v27, v21
	s_waitcnt vmcnt(3) lgkmcnt(2)
	v_pk_mul_f32 v[20:21], v[2:3], v[34:35] op_sel:[1,1] op_sel_hi:[0,1]
	v_pk_add_f32 v[18:19], v[18:19], v[26:27]
	v_pk_fma_f32 v[26:27], v[2:3], v[34:35], v[20:21] neg_lo:[0,0,1] neg_hi:[0,0,1]
	v_pk_fma_f32 v[2:3], v[2:3], v[34:35], v[20:21] op_sel_hi:[1,0,1]
	s_nop 0
	v_mov_b32_e32 v27, v3
	v_pk_add_f32 v[2:3], v[18:19], v[26:27]
	v_mov_b32_e32 v18, v37
	v_pk_mul_f32 v[18:19], v[4:5], v[18:19] op_sel:[1,0] op_sel_hi:[0,0]
	v_pk_fma_f32 v[20:21], v[4:5], v[36:37], v[18:19] neg_lo:[0,0,1] neg_hi:[0,0,1]
	v_pk_fma_f32 v[4:5], v[4:5], v[36:37], v[18:19] op_sel_hi:[1,0,1]
	s_nop 0
	v_mov_b32_e32 v21, v5
	s_waitcnt vmcnt(2) lgkmcnt(1)
	v_pk_mul_f32 v[4:5], v[10:11], v[22:23] op_sel:[1,1] op_sel_hi:[0,1]
	v_pk_fma_f32 v[18:19], v[10:11], v[22:23], v[4:5] neg_lo:[0,0,1] neg_hi:[0,0,1]
	v_pk_fma_f32 v[4:5], v[10:11], v[22:23], v[4:5] op_sel_hi:[1,0,1]
	v_pk_add_f32 v[2:3], v[2:3], v[20:21]
	v_mov_b32_e32 v4, v25
	v_mov_b32_e32 v19, v5
	v_pk_mul_f32 v[4:5], v[12:13], v[4:5] op_sel:[1,0] op_sel_hi:[0,0]
	v_pk_fma_f32 v[10:11], v[12:13], v[24:25], v[4:5] neg_lo:[0,0,1] neg_hi:[0,0,1]
	v_pk_fma_f32 v[4:5], v[12:13], v[24:25], v[4:5] op_sel_hi:[1,0,1]
	v_pk_add_f32 v[2:3], v[2:3], v[18:19]
	v_mov_b32_e32 v11, v5
	s_waitcnt vmcnt(1) lgkmcnt(0)
	v_pk_mul_f32 v[4:5], v[14:15], v[6:7] op_sel:[1,1] op_sel_hi:[0,1]
	v_pk_add_f32 v[2:3], v[2:3], v[10:11]
	v_pk_fma_f32 v[10:11], v[14:15], v[6:7], v[4:5] neg_lo:[0,0,1] neg_hi:[0,0,1]
	v_pk_fma_f32 v[4:5], v[14:15], v[6:7], v[4:5] op_sel_hi:[1,0,1]
	s_nop 0
	v_mov_b32_e32 v4, v9
	v_mov_b32_e32 v11, v5
	v_pk_mul_f32 v[4:5], v[16:17], v[4:5] op_sel:[1,0] op_sel_hi:[0,0]
	v_pk_fma_f32 v[6:7], v[16:17], v[8:9], v[4:5] neg_lo:[0,0,1] neg_hi:[0,0,1]
	v_pk_fma_f32 v[4:5], v[16:17], v[8:9], v[4:5] op_sel_hi:[1,0,1]
	v_pk_add_f32 v[2:3], v[2:3], v[10:11]
	v_mov_b32_e32 v7, v5
	v_pk_add_f32 v[2:3], v[2:3], v[6:7]
	s_waitcnt vmcnt(0)
	v_pk_add_f32 v[2:3], v[96:97], v[2:3] neg_lo:[0,1] neg_hi:[0,1]
	scratch_store_dwordx2 off, v[2:3], off offset:200
	s_and_saveexec_b64 s[0:1], vcc
	s_cbranch_execz .LBB115_277
; %bb.276:
	scratch_load_dwordx2 v[2:3], off, off offset:192
	v_mov_b32_e32 v4, 0
	v_mov_b32_e32 v5, v4
	scratch_store_dwordx2 off, v[4:5], off offset:192
	s_waitcnt vmcnt(1)
	ds_write_b64 v1, v[2:3]
.LBB115_277:
	s_or_b64 exec, exec, s[0:1]
	s_waitcnt lgkmcnt(0)
	; wave barrier
	scratch_load_dwordx4 v[10:13], off, off offset:200
	scratch_load_dwordx4 v[30:33], off, off offset:216
	;; [unrolled: 1-line block ×13, first 2 shown]
	scratch_load_dwordx2 v[54:55], off, off offset:408
	scratch_load_dwordx2 v[80:81], off, off offset:192
	v_mov_b32_e32 v82, 0
	ds_read2_b64 v[56:59], v82 offset0:77 offset1:78
	ds_read2_b64 v[60:63], v82 offset0:79 offset1:80
	;; [unrolled: 1-line block ×10, first 2 shown]
	v_cmp_lt_u32_e32 vcc, 23, v0
	s_waitcnt vmcnt(14) lgkmcnt(9)
	v_mul_f32_e32 v83, v56, v11
	v_mul_f32_e32 v100, v58, v13
	s_waitcnt vmcnt(12) lgkmcnt(7)
	v_mul_f32_e32 v105, v64, v3
	v_mul_f32_e32 v3, v65, v3
	v_fmac_f32_e32 v83, v57, v10
	v_mul_f32_e32 v102, v60, v31
	v_fmac_f32_e32 v100, v59, v12
	v_fmac_f32_e32 v105, v65, v2
	v_fma_f32 v2, v64, v2, -v3
	v_add_f32_e32 v3, 0, v83
	v_mul_f32_e32 v104, v62, v33
	v_fmac_f32_e32 v102, v61, v30
	v_add_f32_e32 v3, v3, v100
	v_fmac_f32_e32 v104, v63, v32
	v_add_f32_e32 v3, v3, v102
	v_mul_f32_e32 v106, v66, v5
	v_add_f32_e32 v3, v3, v104
	s_waitcnt vmcnt(11) lgkmcnt(6)
	v_mul_f32_e32 v107, v68, v7
	v_fmac_f32_e32 v106, v67, v4
	v_add_f32_e32 v3, v3, v105
	v_mul_f32_e32 v108, v70, v9
	v_fmac_f32_e32 v107, v69, v6
	v_add_f32_e32 v3, v3, v106
	s_waitcnt vmcnt(10) lgkmcnt(5)
	v_mul_f32_e32 v109, v72, v19
	v_fmac_f32_e32 v108, v71, v8
	v_add_f32_e32 v3, v3, v107
	v_mul_f32_e32 v110, v74, v21
	v_fmac_f32_e32 v109, v73, v18
	;; [unrolled: 7-line block ×3, first 2 shown]
	v_add_f32_e32 v3, v3, v110
	s_waitcnt vmcnt(8) lgkmcnt(3)
	v_mul_f32_e32 v113, v84, v35
	v_mul_f32_e32 v11, v57, v11
	v_fmac_f32_e32 v112, v79, v24
	v_add_f32_e32 v3, v3, v111
	v_mul_f32_e32 v114, v86, v37
	v_mul_f32_e32 v13, v59, v13
	v_fmac_f32_e32 v113, v85, v34
	v_fma_f32 v10, v56, v10, -v11
	v_add_f32_e32 v3, v3, v112
	s_waitcnt vmcnt(7) lgkmcnt(2)
	v_mul_f32_e32 v115, v88, v39
	v_mul_f32_e32 v31, v61, v31
	v_fmac_f32_e32 v114, v87, v36
	v_fma_f32 v11, v58, v12, -v13
	v_add_f32_e32 v10, 0, v10
	v_add_f32_e32 v3, v3, v113
	v_mul_f32_e32 v116, v90, v41
	v_mul_f32_e32 v33, v63, v33
	v_fmac_f32_e32 v115, v89, v38
	v_fma_f32 v12, v60, v30, -v31
	v_add_f32_e32 v10, v10, v11
	v_add_f32_e32 v3, v3, v114
	s_waitcnt vmcnt(6) lgkmcnt(1)
	v_mul_f32_e32 v117, v92, v51
	v_fmac_f32_e32 v116, v91, v40
	v_fma_f32 v13, v62, v32, -v33
	v_add_f32_e32 v10, v10, v12
	v_add_f32_e32 v3, v3, v115
	v_mul_f32_e32 v5, v67, v5
	v_fmac_f32_e32 v117, v93, v50
	v_add_f32_e32 v10, v10, v13
	v_add_f32_e32 v3, v3, v116
	;; [unrolled: 1-line block ×4, first 2 shown]
	v_fma_f32 v3, v66, v4, -v5
	v_add_f32_e32 v2, v2, v3
	v_mul_f32_e32 v3, v69, v7
	v_fma_f32 v3, v68, v6, -v3
	v_add_f32_e32 v2, v2, v3
	v_mul_f32_e32 v3, v71, v9
	v_fma_f32 v3, v70, v8, -v3
	v_add_f32_e32 v2, v2, v3
	v_mul_f32_e32 v3, v73, v19
	v_fma_f32 v3, v72, v18, -v3
	v_add_f32_e32 v2, v2, v3
	v_mul_f32_e32 v3, v75, v21
	v_fma_f32 v3, v74, v20, -v3
	v_add_f32_e32 v2, v2, v3
	v_mul_f32_e32 v3, v77, v23
	v_fma_f32 v3, v76, v22, -v3
	v_add_f32_e32 v2, v2, v3
	v_mul_f32_e32 v3, v79, v25
	v_fma_f32 v3, v78, v24, -v3
	v_add_f32_e32 v2, v2, v3
	v_mul_f32_e32 v3, v85, v35
	v_fma_f32 v3, v84, v34, -v3
	v_add_f32_e32 v2, v2, v3
	v_mul_f32_e32 v3, v87, v37
	v_fma_f32 v3, v86, v36, -v3
	v_add_f32_e32 v2, v2, v3
	v_mul_f32_e32 v3, v89, v39
	v_fma_f32 v3, v88, v38, -v3
	v_add_f32_e32 v2, v2, v3
	v_mul_f32_e32 v3, v91, v41
	v_fma_f32 v3, v90, v40, -v3
	v_add_f32_e32 v2, v2, v3
	v_mul_f32_e32 v3, v93, v51
	v_fma_f32 v3, v92, v50, -v3
	v_add_f32_e32 v30, v2, v3
	v_mul_f32_e32 v2, v95, v53
	v_mul_f32_e32 v101, v94, v53
	v_fma_f32 v100, v94, v52, -v2
	s_waitcnt vmcnt(5) lgkmcnt(0)
	v_mul_f32_e32 v2, v97, v47
	v_mov_b32_e32 v22, v49
	v_mul_f32_e32 v103, v96, v47
	v_fmac_f32_e32 v101, v95, v52
	v_fma_f32 v102, v96, v46, -v2
	ds_read2_b64 v[2:5], v82 offset0:97 offset1:98
	ds_read2_b64 v[6:9], v82 offset0:99 offset1:100
	;; [unrolled: 1-line block ×3, first 2 shown]
	ds_read_b64 v[18:19], v82 offset:824
	v_pk_mul_f32 v[22:23], v[98:99], v[22:23] op_sel:[1,0] op_sel_hi:[0,0]
	v_fmac_f32_e32 v103, v97, v46
	v_pk_add_f32 v[20:21], v[30:31], v[100:101]
	v_pk_fma_f32 v[24:25], v[98:99], v[48:49], v[22:23] neg_lo:[0,0,1] neg_hi:[0,0,1]
	v_pk_fma_f32 v[22:23], v[98:99], v[48:49], v[22:23] op_sel_hi:[1,0,1]
	v_pk_add_f32 v[20:21], v[20:21], v[102:103]
	v_mov_b32_e32 v25, v23
	s_waitcnt vmcnt(4) lgkmcnt(3)
	v_pk_mul_f32 v[22:23], v[2:3], v[42:43] op_sel:[1,1] op_sel_hi:[0,1]
	v_pk_add_f32 v[20:21], v[20:21], v[24:25]
	v_pk_fma_f32 v[24:25], v[2:3], v[42:43], v[22:23] neg_lo:[0,0,1] neg_hi:[0,0,1]
	v_pk_fma_f32 v[2:3], v[2:3], v[42:43], v[22:23] op_sel_hi:[1,0,1]
	s_nop 0
	v_mov_b32_e32 v25, v3
	v_pk_add_f32 v[2:3], v[20:21], v[24:25]
	v_mov_b32_e32 v20, v45
	v_pk_mul_f32 v[20:21], v[4:5], v[20:21] op_sel:[1,0] op_sel_hi:[0,0]
	v_pk_fma_f32 v[22:23], v[4:5], v[44:45], v[20:21] neg_lo:[0,0,1] neg_hi:[0,0,1]
	v_pk_fma_f32 v[4:5], v[4:5], v[44:45], v[20:21] op_sel_hi:[1,0,1]
	s_nop 0
	v_mov_b32_e32 v23, v5
	s_waitcnt vmcnt(3) lgkmcnt(2)
	v_pk_mul_f32 v[4:5], v[6:7], v[26:27] op_sel:[1,1] op_sel_hi:[0,1]
	v_pk_fma_f32 v[20:21], v[6:7], v[26:27], v[4:5] neg_lo:[0,0,1] neg_hi:[0,0,1]
	v_pk_fma_f32 v[4:5], v[6:7], v[26:27], v[4:5] op_sel_hi:[1,0,1]
	v_pk_add_f32 v[2:3], v[2:3], v[22:23]
	v_mov_b32_e32 v4, v29
	v_mov_b32_e32 v21, v5
	v_pk_mul_f32 v[4:5], v[8:9], v[4:5] op_sel:[1,0] op_sel_hi:[0,0]
	v_pk_fma_f32 v[6:7], v[8:9], v[28:29], v[4:5] neg_lo:[0,0,1] neg_hi:[0,0,1]
	v_pk_fma_f32 v[4:5], v[8:9], v[28:29], v[4:5] op_sel_hi:[1,0,1]
	v_pk_add_f32 v[2:3], v[2:3], v[20:21]
	v_mov_b32_e32 v7, v5
	s_waitcnt vmcnt(2) lgkmcnt(1)
	v_pk_mul_f32 v[4:5], v[10:11], v[14:15] op_sel:[1,1] op_sel_hi:[0,1]
	v_pk_add_f32 v[2:3], v[2:3], v[6:7]
	v_pk_fma_f32 v[6:7], v[10:11], v[14:15], v[4:5] neg_lo:[0,0,1] neg_hi:[0,0,1]
	v_pk_fma_f32 v[4:5], v[10:11], v[14:15], v[4:5] op_sel_hi:[1,0,1]
	s_nop 0
	v_mov_b32_e32 v4, v17
	v_mov_b32_e32 v7, v5
	v_pk_mul_f32 v[4:5], v[12:13], v[4:5] op_sel:[1,0] op_sel_hi:[0,0]
	v_pk_add_f32 v[2:3], v[2:3], v[6:7]
	v_pk_fma_f32 v[6:7], v[12:13], v[16:17], v[4:5] neg_lo:[0,0,1] neg_hi:[0,0,1]
	v_pk_fma_f32 v[4:5], v[12:13], v[16:17], v[4:5] op_sel_hi:[1,0,1]
	s_nop 0
	v_mov_b32_e32 v7, v5
	s_waitcnt vmcnt(1) lgkmcnt(0)
	v_pk_mul_f32 v[4:5], v[18:19], v[54:55] op_sel:[1,1] op_sel_hi:[0,1]
	v_pk_add_f32 v[2:3], v[2:3], v[6:7]
	v_pk_fma_f32 v[6:7], v[18:19], v[54:55], v[4:5] neg_lo:[0,0,1] neg_hi:[0,0,1]
	v_pk_fma_f32 v[4:5], v[18:19], v[54:55], v[4:5] op_sel_hi:[1,0,1]
	s_nop 0
	v_mov_b32_e32 v7, v5
	v_pk_add_f32 v[2:3], v[2:3], v[6:7]
	s_waitcnt vmcnt(0)
	v_pk_add_f32 v[2:3], v[80:81], v[2:3] neg_lo:[0,1] neg_hi:[0,1]
	scratch_store_dwordx2 off, v[2:3], off offset:192
	s_and_saveexec_b64 s[0:1], vcc
	s_cbranch_execz .LBB115_279
; %bb.278:
	scratch_load_dwordx2 v[2:3], off, off offset:184
	v_mov_b32_e32 v83, v82
	scratch_store_dwordx2 off, v[82:83], off offset:184
	s_waitcnt vmcnt(1)
	ds_write_b64 v1, v[2:3]
.LBB115_279:
	s_or_b64 exec, exec, s[0:1]
	s_waitcnt lgkmcnt(0)
	; wave barrier
	scratch_load_dwordx4 v[18:21], off, off offset:192
	scratch_load_dwordx4 v[34:37], off, off offset:208
	;; [unrolled: 1-line block ×10, first 2 shown]
	ds_read_b128 v[84:87], v82 offset:608
	ds_read_b128 v[88:91], v82 offset:624
	;; [unrolled: 1-line block ×10, first 2 shown]
	scratch_load_dwordx4 v[54:57], off, off offset:352
	scratch_load_dwordx4 v[46:49], off, off offset:368
	;; [unrolled: 1-line block ×4, first 2 shown]
	scratch_load_dwordx2 v[100:101], off, off offset:184
	v_cmp_lt_u32_e32 vcc, 22, v0
	s_waitcnt vmcnt(14) lgkmcnt(9)
	v_mul_f32_e32 v83, v84, v19
	v_mul_f32_e32 v102, v86, v21
	s_waitcnt vmcnt(12) lgkmcnt(7)
	v_mul_f32_e32 v107, v92, v3
	v_mul_f32_e32 v3, v93, v3
	v_fmac_f32_e32 v83, v85, v18
	v_mul_f32_e32 v104, v88, v35
	v_fmac_f32_e32 v102, v87, v20
	v_fmac_f32_e32 v107, v93, v2
	v_fma_f32 v2, v92, v2, -v3
	v_add_f32_e32 v3, 0, v83
	v_mul_f32_e32 v106, v90, v37
	v_fmac_f32_e32 v104, v89, v34
	v_add_f32_e32 v3, v3, v102
	v_fmac_f32_e32 v106, v91, v36
	v_add_f32_e32 v3, v3, v104
	v_mul_f32_e32 v108, v94, v5
	v_add_f32_e32 v3, v3, v106
	s_waitcnt vmcnt(11) lgkmcnt(6)
	v_mul_f32_e32 v109, v96, v7
	v_fmac_f32_e32 v108, v95, v4
	v_add_f32_e32 v3, v3, v107
	v_mul_f32_e32 v110, v98, v9
	v_fmac_f32_e32 v109, v97, v6
	v_add_f32_e32 v3, v3, v108
	s_waitcnt vmcnt(10) lgkmcnt(5)
	v_mul_f32_e32 v111, v78, v11
	v_fmac_f32_e32 v110, v99, v8
	v_add_f32_e32 v3, v3, v109
	v_mul_f32_e32 v112, v80, v13
	v_fmac_f32_e32 v111, v79, v10
	;; [unrolled: 7-line block ×4, first 2 shown]
	v_add_f32_e32 v3, v3, v114
	s_waitcnt vmcnt(7) lgkmcnt(2)
	v_mul_f32_e32 v117, v66, v39
	v_mul_f32_e32 v19, v85, v19
	v_fmac_f32_e32 v116, v73, v28
	v_add_f32_e32 v3, v3, v115
	v_mul_f32_e32 v118, v68, v41
	v_mul_f32_e32 v21, v87, v21
	v_fmac_f32_e32 v117, v67, v38
	v_fma_f32 v18, v84, v18, -v19
	v_add_f32_e32 v3, v3, v116
	s_waitcnt vmcnt(6) lgkmcnt(1)
	v_mul_f32_e32 v119, v62, v43
	v_mul_f32_e32 v35, v89, v35
	v_fmac_f32_e32 v118, v69, v40
	v_fma_f32 v19, v86, v20, -v21
	v_add_f32_e32 v18, 0, v18
	v_add_f32_e32 v3, v3, v117
	v_mul_f32_e32 v120, v64, v45
	v_mul_f32_e32 v37, v91, v37
	v_fmac_f32_e32 v119, v63, v42
	v_fma_f32 v20, v88, v34, -v35
	v_add_f32_e32 v18, v18, v19
	v_add_f32_e32 v3, v3, v118
	v_fmac_f32_e32 v120, v65, v44
	v_fma_f32 v21, v90, v36, -v37
	v_add_f32_e32 v18, v18, v20
	v_add_f32_e32 v3, v3, v119
	;; [unrolled: 1-line block ×4, first 2 shown]
	v_mul_f32_e32 v3, v95, v5
	v_add_f32_e32 v2, v18, v2
	v_fma_f32 v3, v94, v4, -v3
	v_add_f32_e32 v2, v2, v3
	v_mul_f32_e32 v3, v97, v7
	v_fma_f32 v3, v96, v6, -v3
	v_add_f32_e32 v2, v2, v3
	v_mul_f32_e32 v3, v99, v9
	;; [unrolled: 3-line block ×12, first 2 shown]
	v_fma_f32 v3, v64, v44, -v3
	v_add_f32_e32 v34, v2, v3
	s_waitcnt vmcnt(5) lgkmcnt(0)
	v_mul_f32_e32 v2, v59, v51
	v_fma_f32 v102, v58, v50, -v2
	v_mul_f32_e32 v2, v61, v53
	v_fma_f32 v104, v60, v52, -v2
	ds_read_b128 v[2:5], v82 offset:768
	ds_read_b128 v[6:9], v82 offset:784
	;; [unrolled: 1-line block ×4, first 2 shown]
	v_mul_f32_e32 v103, v58, v51
	v_mul_f32_e32 v105, v60, v53
	v_fmac_f32_e32 v103, v59, v50
	s_waitcnt vmcnt(4) lgkmcnt(3)
	v_pk_mul_f32 v[24:25], v[2:3], v[54:55] op_sel:[1,1] op_sel_hi:[0,1]
	v_fmac_f32_e32 v105, v61, v52
	v_pk_add_f32 v[22:23], v[34:35], v[102:103]
	v_pk_fma_f32 v[26:27], v[2:3], v[54:55], v[24:25] neg_lo:[0,0,1] neg_hi:[0,0,1]
	v_pk_fma_f32 v[2:3], v[2:3], v[54:55], v[24:25] op_sel_hi:[1,0,1]
	v_pk_add_f32 v[22:23], v[22:23], v[104:105]
	v_mov_b32_e32 v27, v3
	v_pk_add_f32 v[2:3], v[22:23], v[26:27]
	v_mov_b32_e32 v22, v57
	v_pk_mul_f32 v[22:23], v[4:5], v[22:23] op_sel:[1,0] op_sel_hi:[0,0]
	v_pk_fma_f32 v[24:25], v[4:5], v[56:57], v[22:23] neg_lo:[0,0,1] neg_hi:[0,0,1]
	v_pk_fma_f32 v[4:5], v[4:5], v[56:57], v[22:23] op_sel_hi:[1,0,1]
	s_nop 0
	v_mov_b32_e32 v25, v5
	s_waitcnt vmcnt(3) lgkmcnt(2)
	v_pk_mul_f32 v[4:5], v[6:7], v[46:47] op_sel:[1,1] op_sel_hi:[0,1]
	v_pk_fma_f32 v[22:23], v[6:7], v[46:47], v[4:5] neg_lo:[0,0,1] neg_hi:[0,0,1]
	v_pk_fma_f32 v[4:5], v[6:7], v[46:47], v[4:5] op_sel_hi:[1,0,1]
	v_pk_add_f32 v[2:3], v[2:3], v[24:25]
	v_mov_b32_e32 v4, v49
	v_mov_b32_e32 v23, v5
	v_pk_mul_f32 v[4:5], v[8:9], v[4:5] op_sel:[1,0] op_sel_hi:[0,0]
	v_pk_fma_f32 v[6:7], v[8:9], v[48:49], v[4:5] neg_lo:[0,0,1] neg_hi:[0,0,1]
	v_pk_fma_f32 v[4:5], v[8:9], v[48:49], v[4:5] op_sel_hi:[1,0,1]
	v_pk_add_f32 v[2:3], v[2:3], v[22:23]
	v_mov_b32_e32 v7, v5
	s_waitcnt vmcnt(2) lgkmcnt(1)
	v_pk_mul_f32 v[4:5], v[10:11], v[30:31] op_sel:[1,1] op_sel_hi:[0,1]
	v_pk_add_f32 v[2:3], v[2:3], v[6:7]
	v_pk_fma_f32 v[6:7], v[10:11], v[30:31], v[4:5] neg_lo:[0,0,1] neg_hi:[0,0,1]
	v_pk_fma_f32 v[4:5], v[10:11], v[30:31], v[4:5] op_sel_hi:[1,0,1]
	s_nop 0
	v_mov_b32_e32 v4, v33
	v_mov_b32_e32 v7, v5
	v_pk_mul_f32 v[4:5], v[12:13], v[4:5] op_sel:[1,0] op_sel_hi:[0,0]
	v_pk_add_f32 v[2:3], v[2:3], v[6:7]
	v_pk_fma_f32 v[6:7], v[12:13], v[32:33], v[4:5] neg_lo:[0,0,1] neg_hi:[0,0,1]
	v_pk_fma_f32 v[4:5], v[12:13], v[32:33], v[4:5] op_sel_hi:[1,0,1]
	s_nop 0
	v_mov_b32_e32 v7, v5
	s_waitcnt vmcnt(1) lgkmcnt(0)
	v_pk_mul_f32 v[4:5], v[18:19], v[14:15] op_sel:[1,1] op_sel_hi:[0,1]
	v_pk_add_f32 v[2:3], v[2:3], v[6:7]
	v_pk_fma_f32 v[6:7], v[18:19], v[14:15], v[4:5] neg_lo:[0,0,1] neg_hi:[0,0,1]
	v_pk_fma_f32 v[4:5], v[18:19], v[14:15], v[4:5] op_sel_hi:[1,0,1]
	s_nop 0
	v_mov_b32_e32 v4, v17
	v_mov_b32_e32 v7, v5
	v_pk_mul_f32 v[4:5], v[20:21], v[4:5] op_sel:[1,0] op_sel_hi:[0,0]
	v_pk_add_f32 v[2:3], v[2:3], v[6:7]
	v_pk_fma_f32 v[6:7], v[20:21], v[16:17], v[4:5] neg_lo:[0,0,1] neg_hi:[0,0,1]
	v_pk_fma_f32 v[4:5], v[20:21], v[16:17], v[4:5] op_sel_hi:[1,0,1]
	s_nop 0
	v_mov_b32_e32 v7, v5
	v_pk_add_f32 v[2:3], v[2:3], v[6:7]
	s_waitcnt vmcnt(0)
	v_pk_add_f32 v[2:3], v[100:101], v[2:3] neg_lo:[0,1] neg_hi:[0,1]
	scratch_store_dwordx2 off, v[2:3], off offset:184
	s_and_saveexec_b64 s[0:1], vcc
	s_cbranch_execz .LBB115_281
; %bb.280:
	scratch_load_dwordx2 v[2:3], off, off offset:176
	v_mov_b32_e32 v4, 0
	v_mov_b32_e32 v5, v4
	scratch_store_dwordx2 off, v[4:5], off offset:176
	s_waitcnt vmcnt(1)
	ds_write_b64 v1, v[2:3]
.LBB115_281:
	s_or_b64 exec, exec, s[0:1]
	s_waitcnt lgkmcnt(0)
	; wave barrier
	scratch_load_dwordx4 v[18:21], off, off offset:184
	scratch_load_dwordx4 v[2:5], off, off offset:200
	;; [unrolled: 1-line block ×14, first 2 shown]
	scratch_load_dwordx2 v[58:59], off, off offset:408
	scratch_load_dwordx2 v[100:101], off, off offset:176
	v_mov_b32_e32 v102, 0
	ds_read2_b64 v[60:63], v102 offset0:75 offset1:76
	ds_read2_b64 v[64:67], v102 offset0:77 offset1:78
	;; [unrolled: 1-line block ×12, first 2 shown]
	v_cmp_lt_u32_e32 vcc, 21, v0
	s_waitcnt vmcnt(15) lgkmcnt(11)
	v_mul_f32_e32 v103, v60, v19
	v_mul_f32_e32 v112, v62, v21
	s_waitcnt vmcnt(14) lgkmcnt(10)
	v_mul_f32_e32 v114, v64, v3
	v_mul_f32_e32 v3, v65, v3
	v_fmac_f32_e32 v103, v61, v18
	v_fmac_f32_e32 v112, v63, v20
	;; [unrolled: 1-line block ×3, first 2 shown]
	v_fma_f32 v2, v64, v2, -v3
	v_add_f32_e32 v3, 0, v103
	v_mul_f32_e32 v116, v66, v5
	v_add_f32_e32 v3, v3, v112
	s_waitcnt vmcnt(13) lgkmcnt(9)
	v_mul_f32_e32 v117, v68, v7
	v_fmac_f32_e32 v116, v67, v4
	v_add_f32_e32 v3, v3, v114
	v_mul_f32_e32 v118, v70, v9
	v_fmac_f32_e32 v117, v69, v6
	v_add_f32_e32 v3, v3, v116
	s_waitcnt vmcnt(12) lgkmcnt(8)
	v_mul_f32_e32 v119, v72, v11
	v_fmac_f32_e32 v118, v71, v8
	v_add_f32_e32 v3, v3, v117
	v_mul_f32_e32 v120, v74, v13
	v_fmac_f32_e32 v119, v73, v10
	;; [unrolled: 7-line block ×6, first 2 shown]
	v_add_f32_e32 v3, v3, v126
	s_waitcnt vmcnt(7) lgkmcnt(3)
	v_mul_f32_e32 v129, v92, v43
	v_fmac_f32_e32 v128, v91, v40
	v_add_f32_e32 v3, v3, v127
	v_mul_f32_e32 v130, v94, v45
	v_mul_f32_e32 v19, v61, v19
	v_fmac_f32_e32 v129, v93, v42
	v_add_f32_e32 v3, v3, v128
	s_waitcnt vmcnt(6) lgkmcnt(2)
	v_mul_f32_e32 v131, v96, v51
	v_mul_f32_e32 v21, v63, v21
	v_fmac_f32_e32 v130, v95, v44
	v_fma_f32 v18, v60, v18, -v19
	v_add_f32_e32 v3, v3, v129
	v_fmac_f32_e32 v131, v97, v50
	v_fma_f32 v19, v62, v20, -v21
	v_add_f32_e32 v18, 0, v18
	v_add_f32_e32 v3, v3, v130
	;; [unrolled: 1-line block ×4, first 2 shown]
	v_mul_f32_e32 v3, v67, v5
	v_add_f32_e32 v2, v18, v2
	v_fma_f32 v3, v66, v4, -v3
	v_add_f32_e32 v2, v2, v3
	v_mul_f32_e32 v3, v69, v7
	v_fma_f32 v3, v68, v6, -v3
	v_add_f32_e32 v2, v2, v3
	v_mul_f32_e32 v3, v71, v9
	;; [unrolled: 3-line block ×15, first 2 shown]
	v_fma_f32 v3, v96, v50, -v3
	v_mul_f32_e32 v113, v98, v53
	v_add_f32_e32 v18, v2, v3
	v_mul_f32_e32 v2, v99, v53
	s_waitcnt vmcnt(5)
	v_mov_b32_e32 v14, v57
	s_waitcnt lgkmcnt(1)
	v_mul_f32_e32 v115, v104, v55
	v_fmac_f32_e32 v113, v99, v52
	v_fma_f32 v112, v98, v52, -v2
	v_mul_f32_e32 v2, v105, v55
	v_pk_mul_f32 v[14:15], v[106:107], v[14:15] op_sel:[1,0] op_sel_hi:[0,0]
	v_fmac_f32_e32 v115, v105, v54
	v_fma_f32 v114, v104, v54, -v2
	v_pk_add_f32 v[12:13], v[18:19], v[112:113]
	v_pk_fma_f32 v[16:17], v[106:107], v[56:57], v[14:15] neg_lo:[0,0,1] neg_hi:[0,0,1]
	v_pk_fma_f32 v[14:15], v[106:107], v[56:57], v[14:15] op_sel_hi:[1,0,1]
	v_pk_add_f32 v[12:13], v[12:13], v[114:115]
	v_mov_b32_e32 v17, v15
	s_waitcnt vmcnt(4) lgkmcnt(0)
	v_pk_mul_f32 v[14:15], v[108:109], v[46:47] op_sel:[1,1] op_sel_hi:[0,1]
	v_pk_add_f32 v[12:13], v[12:13], v[16:17]
	v_pk_fma_f32 v[16:17], v[108:109], v[46:47], v[14:15] neg_lo:[0,0,1] neg_hi:[0,0,1]
	v_pk_fma_f32 v[14:15], v[108:109], v[46:47], v[14:15] op_sel_hi:[1,0,1]
	ds_read2_b64 v[2:5], v102 offset0:99 offset1:100
	ds_read2_b64 v[6:9], v102 offset0:101 offset1:102
	ds_read_b64 v[10:11], v102 offset:824
	v_mov_b32_e32 v14, v49
	v_mov_b32_e32 v17, v15
	v_pk_mul_f32 v[14:15], v[110:111], v[14:15] op_sel:[1,0] op_sel_hi:[0,0]
	v_pk_add_f32 v[12:13], v[12:13], v[16:17]
	v_pk_fma_f32 v[16:17], v[110:111], v[48:49], v[14:15] neg_lo:[0,0,1] neg_hi:[0,0,1]
	v_pk_fma_f32 v[14:15], v[110:111], v[48:49], v[14:15] op_sel_hi:[1,0,1]
	s_nop 0
	v_mov_b32_e32 v17, v15
	s_waitcnt vmcnt(3) lgkmcnt(2)
	v_pk_mul_f32 v[14:15], v[2:3], v[34:35] op_sel:[1,1] op_sel_hi:[0,1]
	v_pk_add_f32 v[12:13], v[12:13], v[16:17]
	v_pk_fma_f32 v[16:17], v[2:3], v[34:35], v[14:15] neg_lo:[0,0,1] neg_hi:[0,0,1]
	v_pk_fma_f32 v[2:3], v[2:3], v[34:35], v[14:15] op_sel_hi:[1,0,1]
	s_nop 0
	v_mov_b32_e32 v17, v3
	v_pk_add_f32 v[2:3], v[12:13], v[16:17]
	v_mov_b32_e32 v12, v37
	v_pk_mul_f32 v[12:13], v[4:5], v[12:13] op_sel:[1,0] op_sel_hi:[0,0]
	v_pk_fma_f32 v[14:15], v[4:5], v[36:37], v[12:13] neg_lo:[0,0,1] neg_hi:[0,0,1]
	v_pk_fma_f32 v[4:5], v[4:5], v[36:37], v[12:13] op_sel_hi:[1,0,1]
	s_nop 0
	v_mov_b32_e32 v15, v5
	s_waitcnt vmcnt(2) lgkmcnt(1)
	v_pk_mul_f32 v[4:5], v[6:7], v[22:23] op_sel:[1,1] op_sel_hi:[0,1]
	v_pk_fma_f32 v[12:13], v[6:7], v[22:23], v[4:5] neg_lo:[0,0,1] neg_hi:[0,0,1]
	v_pk_fma_f32 v[4:5], v[6:7], v[22:23], v[4:5] op_sel_hi:[1,0,1]
	v_pk_add_f32 v[2:3], v[2:3], v[14:15]
	v_mov_b32_e32 v4, v25
	v_mov_b32_e32 v13, v5
	v_pk_mul_f32 v[4:5], v[8:9], v[4:5] op_sel:[1,0] op_sel_hi:[0,0]
	v_pk_fma_f32 v[6:7], v[8:9], v[24:25], v[4:5] neg_lo:[0,0,1] neg_hi:[0,0,1]
	v_pk_fma_f32 v[4:5], v[8:9], v[24:25], v[4:5] op_sel_hi:[1,0,1]
	v_pk_add_f32 v[2:3], v[2:3], v[12:13]
	v_mov_b32_e32 v7, v5
	s_waitcnt vmcnt(1) lgkmcnt(0)
	v_pk_mul_f32 v[4:5], v[10:11], v[58:59] op_sel:[1,1] op_sel_hi:[0,1]
	v_pk_add_f32 v[2:3], v[2:3], v[6:7]
	v_pk_fma_f32 v[6:7], v[10:11], v[58:59], v[4:5] neg_lo:[0,0,1] neg_hi:[0,0,1]
	v_pk_fma_f32 v[4:5], v[10:11], v[58:59], v[4:5] op_sel_hi:[1,0,1]
	s_nop 0
	v_mov_b32_e32 v7, v5
	v_pk_add_f32 v[2:3], v[2:3], v[6:7]
	s_waitcnt vmcnt(0)
	v_pk_add_f32 v[2:3], v[100:101], v[2:3] neg_lo:[0,1] neg_hi:[0,1]
	scratch_store_dwordx2 off, v[2:3], off offset:176
	s_and_saveexec_b64 s[0:1], vcc
	s_cbranch_execz .LBB115_283
; %bb.282:
	scratch_load_dwordx2 v[2:3], off, off offset:168
	v_mov_b32_e32 v103, v102
	scratch_store_dwordx2 off, v[102:103], off offset:168
	s_waitcnt vmcnt(1)
	ds_write_b64 v1, v[2:3]
.LBB115_283:
	s_or_b64 exec, exec, s[0:1]
	s_waitcnt lgkmcnt(0)
	; wave barrier
	scratch_load_dwordx4 v[22:25], off, off offset:176
	scratch_load_dwordx4 v[2:5], off, off offset:192
	scratch_load_dwordx4 v[6:9], off, off offset:208
	scratch_load_dwordx4 v[10:13], off, off offset:224
	scratch_load_dwordx4 v[14:17], off, off offset:240
	scratch_load_dwordx4 v[18:21], off, off offset:256
	scratch_load_dwordx4 v[30:33], off, off offset:272
	scratch_load_dwordx4 v[34:37], off, off offset:288
	scratch_load_dwordx4 v[42:45], off, off offset:304
	scratch_load_dwordx4 v[46:49], off, off offset:320
	scratch_load_dwordx4 v[54:57], off, off offset:336
	ds_read_b128 v[104:107], v102 offset:592
	ds_read_b128 v[98:101], v102 offset:608
	;; [unrolled: 1-line block ×10, first 2 shown]
	scratch_load_dwordx4 v[58:61], off, off offset:352
	scratch_load_dwordx4 v[50:53], off, off offset:368
	;; [unrolled: 1-line block ×4, first 2 shown]
	ds_read_b128 v[78:81], v102 offset:752
	ds_read_b128 v[108:111], v102 offset:768
	scratch_load_dwordx2 v[112:113], off, off offset:168
	v_cmp_lt_u32_e32 vcc, 20, v0
	s_waitcnt vmcnt(15) lgkmcnt(11)
	v_mul_f32_e32 v103, v104, v23
	v_mul_f32_e32 v114, v106, v25
	s_waitcnt vmcnt(14) lgkmcnt(10)
	v_mul_f32_e32 v116, v98, v3
	v_mul_f32_e32 v3, v99, v3
	v_fmac_f32_e32 v103, v105, v22
	v_fmac_f32_e32 v114, v107, v24
	;; [unrolled: 1-line block ×3, first 2 shown]
	v_fma_f32 v2, v98, v2, -v3
	v_add_f32_e32 v3, 0, v103
	v_mul_f32_e32 v118, v100, v5
	v_add_f32_e32 v3, v3, v114
	s_waitcnt vmcnt(13) lgkmcnt(9)
	v_mul_f32_e32 v119, v94, v7
	v_fmac_f32_e32 v118, v101, v4
	v_add_f32_e32 v3, v3, v116
	v_mul_f32_e32 v120, v96, v9
	v_fmac_f32_e32 v119, v95, v6
	v_add_f32_e32 v3, v3, v118
	s_waitcnt vmcnt(12) lgkmcnt(8)
	v_mul_f32_e32 v121, v90, v11
	v_fmac_f32_e32 v120, v97, v8
	v_add_f32_e32 v3, v3, v119
	v_mul_f32_e32 v122, v92, v13
	v_fmac_f32_e32 v121, v91, v10
	;; [unrolled: 7-line block ×7, first 2 shown]
	v_add_f32_e32 v3, v3, v130
	s_waitcnt vmcnt(6) lgkmcnt(2)
	v_mul_f32_e32 v133, v62, v47
	v_mul_f32_e32 v23, v105, v23
	v_fmac_f32_e32 v132, v69, v44
	v_add_f32_e32 v3, v3, v131
	v_mul_f32_e32 v134, v64, v49
	v_mul_f32_e32 v25, v107, v25
	v_fmac_f32_e32 v133, v63, v46
	v_fma_f32 v22, v104, v22, -v23
	v_add_f32_e32 v3, v3, v132
	v_fmac_f32_e32 v134, v65, v48
	v_fma_f32 v23, v106, v24, -v25
	v_add_f32_e32 v22, 0, v22
	v_add_f32_e32 v3, v3, v133
	;; [unrolled: 1-line block ×4, first 2 shown]
	v_mul_f32_e32 v3, v101, v5
	v_add_f32_e32 v2, v22, v2
	v_fma_f32 v3, v100, v4, -v3
	v_add_f32_e32 v2, v2, v3
	v_mul_f32_e32 v3, v95, v7
	v_fma_f32 v3, v94, v6, -v3
	v_add_f32_e32 v2, v2, v3
	v_mul_f32_e32 v3, v97, v9
	;; [unrolled: 3-line block ×16, first 2 shown]
	v_fma_f32 v3, v64, v48, -v3
	s_waitcnt vmcnt(5) lgkmcnt(1)
	v_mul_f32_e32 v115, v78, v55
	v_add_f32_e32 v22, v2, v3
	v_mul_f32_e32 v2, v79, v55
	s_waitcnt vmcnt(4) lgkmcnt(0)
	v_pk_mul_f32 v[16:17], v[108:109], v[58:59] op_sel:[1,1] op_sel_hi:[0,1]
	v_mul_f32_e32 v117, v80, v57
	v_fmac_f32_e32 v115, v79, v54
	v_fma_f32 v114, v78, v54, -v2
	v_mul_f32_e32 v2, v81, v57
	v_pk_fma_f32 v[18:19], v[108:109], v[58:59], v[16:17] neg_lo:[0,0,1] neg_hi:[0,0,1]
	v_pk_fma_f32 v[16:17], v[108:109], v[58:59], v[16:17] op_sel_hi:[1,0,1]
	v_fmac_f32_e32 v117, v81, v56
	v_fma_f32 v116, v80, v56, -v2
	ds_read_b128 v[2:5], v102 offset:784
	ds_read_b128 v[6:9], v102 offset:800
	;; [unrolled: 1-line block ×3, first 2 shown]
	v_pk_add_f32 v[14:15], v[22:23], v[114:115]
	v_mov_b32_e32 v16, v61
	v_pk_add_f32 v[14:15], v[14:15], v[116:117]
	v_mov_b32_e32 v19, v17
	v_pk_mul_f32 v[16:17], v[110:111], v[16:17] op_sel:[1,0] op_sel_hi:[0,0]
	v_pk_add_f32 v[14:15], v[14:15], v[18:19]
	v_pk_fma_f32 v[18:19], v[110:111], v[60:61], v[16:17] neg_lo:[0,0,1] neg_hi:[0,0,1]
	v_pk_fma_f32 v[16:17], v[110:111], v[60:61], v[16:17] op_sel_hi:[1,0,1]
	s_nop 0
	v_mov_b32_e32 v19, v17
	s_waitcnt vmcnt(3) lgkmcnt(2)
	v_pk_mul_f32 v[16:17], v[2:3], v[50:51] op_sel:[1,1] op_sel_hi:[0,1]
	v_pk_add_f32 v[14:15], v[14:15], v[18:19]
	v_pk_fma_f32 v[18:19], v[2:3], v[50:51], v[16:17] neg_lo:[0,0,1] neg_hi:[0,0,1]
	v_pk_fma_f32 v[2:3], v[2:3], v[50:51], v[16:17] op_sel_hi:[1,0,1]
	s_nop 0
	v_mov_b32_e32 v19, v3
	v_pk_add_f32 v[2:3], v[14:15], v[18:19]
	v_mov_b32_e32 v14, v53
	v_pk_mul_f32 v[14:15], v[4:5], v[14:15] op_sel:[1,0] op_sel_hi:[0,0]
	v_pk_fma_f32 v[16:17], v[4:5], v[52:53], v[14:15] neg_lo:[0,0,1] neg_hi:[0,0,1]
	v_pk_fma_f32 v[4:5], v[4:5], v[52:53], v[14:15] op_sel_hi:[1,0,1]
	s_nop 0
	v_mov_b32_e32 v17, v5
	s_waitcnt vmcnt(2) lgkmcnt(1)
	v_pk_mul_f32 v[4:5], v[6:7], v[38:39] op_sel:[1,1] op_sel_hi:[0,1]
	v_pk_fma_f32 v[14:15], v[6:7], v[38:39], v[4:5] neg_lo:[0,0,1] neg_hi:[0,0,1]
	v_pk_fma_f32 v[4:5], v[6:7], v[38:39], v[4:5] op_sel_hi:[1,0,1]
	v_pk_add_f32 v[2:3], v[2:3], v[16:17]
	v_mov_b32_e32 v4, v41
	v_mov_b32_e32 v15, v5
	v_pk_mul_f32 v[4:5], v[8:9], v[4:5] op_sel:[1,0] op_sel_hi:[0,0]
	v_pk_fma_f32 v[6:7], v[8:9], v[40:41], v[4:5] neg_lo:[0,0,1] neg_hi:[0,0,1]
	v_pk_fma_f32 v[4:5], v[8:9], v[40:41], v[4:5] op_sel_hi:[1,0,1]
	v_pk_add_f32 v[2:3], v[2:3], v[14:15]
	v_mov_b32_e32 v7, v5
	s_waitcnt vmcnt(1) lgkmcnt(0)
	v_pk_mul_f32 v[4:5], v[10:11], v[26:27] op_sel:[1,1] op_sel_hi:[0,1]
	v_pk_add_f32 v[2:3], v[2:3], v[6:7]
	v_pk_fma_f32 v[6:7], v[10:11], v[26:27], v[4:5] neg_lo:[0,0,1] neg_hi:[0,0,1]
	v_pk_fma_f32 v[4:5], v[10:11], v[26:27], v[4:5] op_sel_hi:[1,0,1]
	s_nop 0
	v_mov_b32_e32 v4, v29
	v_mov_b32_e32 v7, v5
	v_pk_mul_f32 v[4:5], v[12:13], v[4:5] op_sel:[1,0] op_sel_hi:[0,0]
	v_pk_add_f32 v[2:3], v[2:3], v[6:7]
	v_pk_fma_f32 v[6:7], v[12:13], v[28:29], v[4:5] neg_lo:[0,0,1] neg_hi:[0,0,1]
	v_pk_fma_f32 v[4:5], v[12:13], v[28:29], v[4:5] op_sel_hi:[1,0,1]
	s_nop 0
	v_mov_b32_e32 v7, v5
	v_pk_add_f32 v[2:3], v[2:3], v[6:7]
	s_waitcnt vmcnt(0)
	v_pk_add_f32 v[2:3], v[112:113], v[2:3] neg_lo:[0,1] neg_hi:[0,1]
	scratch_store_dwordx2 off, v[2:3], off offset:168
	s_and_saveexec_b64 s[0:1], vcc
	s_cbranch_execz .LBB115_285
; %bb.284:
	scratch_load_dwordx2 v[2:3], off, off offset:160
	v_mov_b32_e32 v4, 0
	v_mov_b32_e32 v5, v4
	scratch_store_dwordx2 off, v[4:5], off offset:160
	s_waitcnt vmcnt(1)
	ds_write_b64 v1, v[2:3]
.LBB115_285:
	s_or_b64 exec, exec, s[0:1]
	s_waitcnt lgkmcnt(0)
	; wave barrier
	scratch_load_dwordx4 v[2:5], off, off offset:168
	scratch_load_dwordx4 v[6:9], off, off offset:184
	;; [unrolled: 1-line block ×15, first 2 shown]
	scratch_load_dwordx2 v[62:63], off, off offset:408
	scratch_load_dwordx2 v[112:113], off, off offset:160
	v_mov_b32_e32 v114, 0
	ds_read2_b64 v[64:67], v114 offset0:73 offset1:74
	ds_read2_b64 v[68:71], v114 offset0:75 offset1:76
	;; [unrolled: 1-line block ×12, first 2 shown]
	v_cmp_lt_u32_e32 vcc, 19, v0
	s_waitcnt vmcnt(16) lgkmcnt(11)
	v_mul_f32_e32 v115, v64, v3
	v_mul_f32_e32 v116, v66, v5
	;; [unrolled: 1-line block ×3, first 2 shown]
	v_fmac_f32_e32 v115, v65, v2
	s_waitcnt vmcnt(15) lgkmcnt(10)
	v_mul_f32_e32 v118, v68, v7
	v_fmac_f32_e32 v116, v67, v4
	v_fma_f32 v2, v64, v2, -v3
	v_add_f32_e32 v3, 0, v115
	v_mul_f32_e32 v120, v70, v9
	v_fmac_f32_e32 v118, v69, v6
	v_add_f32_e32 v3, v3, v116
	s_waitcnt vmcnt(14) lgkmcnt(9)
	v_mul_f32_e32 v121, v72, v11
	v_fmac_f32_e32 v120, v71, v8
	v_add_f32_e32 v3, v3, v118
	v_mul_f32_e32 v122, v74, v13
	v_fmac_f32_e32 v121, v73, v10
	v_add_f32_e32 v3, v3, v120
	s_waitcnt vmcnt(13) lgkmcnt(8)
	v_mul_f32_e32 v123, v76, v15
	v_fmac_f32_e32 v122, v75, v12
	;; [unrolled: 7-line block ×9, first 2 shown]
	v_add_f32_e32 v3, v3, v135
	v_mul_f32_e32 v5, v67, v5
	v_fmac_f32_e32 v137, v105, v58
	v_add_f32_e32 v3, v3, v136
	v_add_f32_e32 v2, 0, v2
	;; [unrolled: 1-line block ×3, first 2 shown]
	v_fma_f32 v3, v66, v4, -v5
	v_add_f32_e32 v2, v2, v3
	v_mul_f32_e32 v3, v69, v7
	v_fma_f32 v3, v68, v6, -v3
	v_add_f32_e32 v2, v2, v3
	v_mul_f32_e32 v3, v71, v9
	;; [unrolled: 3-line block ×20, first 2 shown]
	v_mul_f32_e32 v117, v106, v61
	v_fma_f32 v116, v106, v60, -v2
	s_waitcnt vmcnt(5) lgkmcnt(0)
	v_mul_f32_e32 v2, v109, v55
	v_mov_b32_e32 v18, v57
	v_mul_f32_e32 v119, v108, v55
	v_fmac_f32_e32 v117, v107, v60
	v_fma_f32 v118, v108, v54, -v2
	ds_read2_b64 v[2:5], v114 offset0:97 offset1:98
	ds_read2_b64 v[6:9], v114 offset0:99 offset1:100
	;; [unrolled: 1-line block ×3, first 2 shown]
	ds_read_b64 v[14:15], v114 offset:824
	v_pk_mul_f32 v[18:19], v[110:111], v[18:19] op_sel:[1,0] op_sel_hi:[0,0]
	v_fmac_f32_e32 v119, v109, v54
	v_pk_add_f32 v[16:17], v[64:65], v[116:117]
	v_pk_fma_f32 v[20:21], v[110:111], v[56:57], v[18:19] neg_lo:[0,0,1] neg_hi:[0,0,1]
	v_pk_fma_f32 v[18:19], v[110:111], v[56:57], v[18:19] op_sel_hi:[1,0,1]
	v_pk_add_f32 v[16:17], v[16:17], v[118:119]
	v_mov_b32_e32 v21, v19
	s_waitcnt vmcnt(4) lgkmcnt(3)
	v_pk_mul_f32 v[18:19], v[2:3], v[50:51] op_sel:[1,1] op_sel_hi:[0,1]
	v_pk_add_f32 v[16:17], v[16:17], v[20:21]
	v_pk_fma_f32 v[20:21], v[2:3], v[50:51], v[18:19] neg_lo:[0,0,1] neg_hi:[0,0,1]
	v_pk_fma_f32 v[2:3], v[2:3], v[50:51], v[18:19] op_sel_hi:[1,0,1]
	s_nop 0
	v_mov_b32_e32 v21, v3
	v_pk_add_f32 v[2:3], v[16:17], v[20:21]
	v_mov_b32_e32 v16, v53
	v_pk_mul_f32 v[16:17], v[4:5], v[16:17] op_sel:[1,0] op_sel_hi:[0,0]
	v_pk_fma_f32 v[18:19], v[4:5], v[52:53], v[16:17] neg_lo:[0,0,1] neg_hi:[0,0,1]
	v_pk_fma_f32 v[4:5], v[4:5], v[52:53], v[16:17] op_sel_hi:[1,0,1]
	s_nop 0
	v_mov_b32_e32 v19, v5
	s_waitcnt vmcnt(3) lgkmcnt(2)
	v_pk_mul_f32 v[4:5], v[6:7], v[38:39] op_sel:[1,1] op_sel_hi:[0,1]
	v_pk_fma_f32 v[16:17], v[6:7], v[38:39], v[4:5] neg_lo:[0,0,1] neg_hi:[0,0,1]
	v_pk_fma_f32 v[4:5], v[6:7], v[38:39], v[4:5] op_sel_hi:[1,0,1]
	v_pk_add_f32 v[2:3], v[2:3], v[18:19]
	v_mov_b32_e32 v4, v41
	v_mov_b32_e32 v17, v5
	v_pk_mul_f32 v[4:5], v[8:9], v[4:5] op_sel:[1,0] op_sel_hi:[0,0]
	v_pk_fma_f32 v[6:7], v[8:9], v[40:41], v[4:5] neg_lo:[0,0,1] neg_hi:[0,0,1]
	v_pk_fma_f32 v[4:5], v[8:9], v[40:41], v[4:5] op_sel_hi:[1,0,1]
	v_pk_add_f32 v[2:3], v[2:3], v[16:17]
	v_mov_b32_e32 v7, v5
	s_waitcnt vmcnt(2) lgkmcnt(1)
	v_pk_mul_f32 v[4:5], v[10:11], v[26:27] op_sel:[1,1] op_sel_hi:[0,1]
	v_pk_add_f32 v[2:3], v[2:3], v[6:7]
	v_pk_fma_f32 v[6:7], v[10:11], v[26:27], v[4:5] neg_lo:[0,0,1] neg_hi:[0,0,1]
	v_pk_fma_f32 v[4:5], v[10:11], v[26:27], v[4:5] op_sel_hi:[1,0,1]
	s_nop 0
	v_mov_b32_e32 v4, v29
	v_mov_b32_e32 v7, v5
	v_pk_mul_f32 v[4:5], v[12:13], v[4:5] op_sel:[1,0] op_sel_hi:[0,0]
	v_pk_add_f32 v[2:3], v[2:3], v[6:7]
	v_pk_fma_f32 v[6:7], v[12:13], v[28:29], v[4:5] neg_lo:[0,0,1] neg_hi:[0,0,1]
	v_pk_fma_f32 v[4:5], v[12:13], v[28:29], v[4:5] op_sel_hi:[1,0,1]
	s_nop 0
	v_mov_b32_e32 v7, v5
	s_waitcnt vmcnt(1) lgkmcnt(0)
	v_pk_mul_f32 v[4:5], v[14:15], v[62:63] op_sel:[1,1] op_sel_hi:[0,1]
	v_pk_add_f32 v[2:3], v[2:3], v[6:7]
	v_pk_fma_f32 v[6:7], v[14:15], v[62:63], v[4:5] neg_lo:[0,0,1] neg_hi:[0,0,1]
	v_pk_fma_f32 v[4:5], v[14:15], v[62:63], v[4:5] op_sel_hi:[1,0,1]
	s_nop 0
	v_mov_b32_e32 v7, v5
	v_pk_add_f32 v[2:3], v[2:3], v[6:7]
	s_waitcnt vmcnt(0)
	v_pk_add_f32 v[2:3], v[112:113], v[2:3] neg_lo:[0,1] neg_hi:[0,1]
	scratch_store_dwordx2 off, v[2:3], off offset:160
	s_and_saveexec_b64 s[0:1], vcc
	s_cbranch_execz .LBB115_287
; %bb.286:
	scratch_load_dwordx2 v[2:3], off, off offset:152
	v_mov_b32_e32 v115, v114
	scratch_store_dwordx2 off, v[114:115], off offset:152
	s_waitcnt vmcnt(1)
	ds_write_b64 v1, v[2:3]
.LBB115_287:
	s_or_b64 exec, exec, s[0:1]
	s_waitcnt lgkmcnt(0)
	; wave barrier
	scratch_load_dwordx4 v[2:5], off, off offset:160
	scratch_load_dwordx4 v[6:9], off, off offset:176
	;; [unrolled: 1-line block ×12, first 2 shown]
	ds_read_b128 v[110:113], v114 offset:576
	ds_read_b128 v[106:109], v114 offset:592
	;; [unrolled: 1-line block ×12, first 2 shown]
	scratch_load_dwordx4 v[62:65], off, off offset:352
	scratch_load_dwordx4 v[54:57], off, off offset:368
	;; [unrolled: 1-line block ×4, first 2 shown]
	scratch_load_dwordx2 v[116:117], off, off offset:152
	v_cmp_lt_u32_e32 vcc, 18, v0
	s_waitcnt vmcnt(16) lgkmcnt(11)
	v_mul_f32_e32 v115, v110, v3
	v_mul_f32_e32 v118, v112, v5
	;; [unrolled: 1-line block ×3, first 2 shown]
	v_fmac_f32_e32 v115, v111, v2
	s_waitcnt vmcnt(15) lgkmcnt(10)
	v_mul_f32_e32 v120, v106, v7
	v_fmac_f32_e32 v118, v113, v4
	v_fma_f32 v2, v110, v2, -v3
	v_add_f32_e32 v3, 0, v115
	v_mul_f32_e32 v122, v108, v9
	v_fmac_f32_e32 v120, v107, v6
	v_add_f32_e32 v3, v3, v118
	s_waitcnt vmcnt(14) lgkmcnt(9)
	v_mul_f32_e32 v123, v102, v11
	v_fmac_f32_e32 v122, v109, v8
	v_add_f32_e32 v3, v3, v120
	v_mul_f32_e32 v124, v104, v13
	v_fmac_f32_e32 v123, v103, v10
	v_add_f32_e32 v3, v3, v122
	s_waitcnt vmcnt(13) lgkmcnt(8)
	v_mul_f32_e32 v125, v98, v15
	v_fmac_f32_e32 v124, v105, v12
	;; [unrolled: 7-line block ×9, first 2 shown]
	v_add_f32_e32 v3, v3, v137
	v_mul_f32_e32 v142, v72, v53
	v_fmac_f32_e32 v139, v71, v50
	v_add_f32_e32 v3, v3, v138
	v_fmac_f32_e32 v142, v73, v52
	v_add_f32_e32 v3, v3, v139
	v_add_f32_e32 v111, v3, v142
	v_mul_f32_e32 v3, v113, v5
	v_add_f32_e32 v2, 0, v2
	v_fma_f32 v3, v112, v4, -v3
	v_add_f32_e32 v2, v2, v3
	v_mul_f32_e32 v3, v107, v7
	v_fma_f32 v3, v106, v6, -v3
	v_add_f32_e32 v2, v2, v3
	v_mul_f32_e32 v3, v109, v9
	;; [unrolled: 3-line block ×20, first 2 shown]
	v_fma_f32 v3, v72, v52, -v3
	v_add_f32_e32 v110, v2, v3
	s_waitcnt vmcnt(5) lgkmcnt(0)
	v_mul_f32_e32 v2, v67, v59
	v_fma_f32 v118, v66, v58, -v2
	v_mul_f32_e32 v2, v69, v61
	v_fma_f32 v120, v68, v60, -v2
	ds_read_b128 v[2:5], v114 offset:768
	ds_read_b128 v[6:9], v114 offset:784
	;; [unrolled: 1-line block ×4, first 2 shown]
	v_mul_f32_e32 v119, v66, v59
	v_mul_f32_e32 v121, v68, v61
	v_fmac_f32_e32 v119, v67, v58
	s_waitcnt vmcnt(4) lgkmcnt(3)
	v_pk_mul_f32 v[20:21], v[2:3], v[62:63] op_sel:[1,1] op_sel_hi:[0,1]
	v_fmac_f32_e32 v121, v69, v60
	v_pk_add_f32 v[18:19], v[110:111], v[118:119]
	v_pk_fma_f32 v[22:23], v[2:3], v[62:63], v[20:21] neg_lo:[0,0,1] neg_hi:[0,0,1]
	v_pk_fma_f32 v[2:3], v[2:3], v[62:63], v[20:21] op_sel_hi:[1,0,1]
	v_pk_add_f32 v[18:19], v[18:19], v[120:121]
	v_mov_b32_e32 v23, v3
	v_pk_add_f32 v[2:3], v[18:19], v[22:23]
	v_mov_b32_e32 v18, v65
	v_pk_mul_f32 v[18:19], v[4:5], v[18:19] op_sel:[1,0] op_sel_hi:[0,0]
	v_pk_fma_f32 v[20:21], v[4:5], v[64:65], v[18:19] neg_lo:[0,0,1] neg_hi:[0,0,1]
	v_pk_fma_f32 v[4:5], v[4:5], v[64:65], v[18:19] op_sel_hi:[1,0,1]
	s_nop 0
	v_mov_b32_e32 v21, v5
	s_waitcnt vmcnt(3) lgkmcnt(2)
	v_pk_mul_f32 v[4:5], v[6:7], v[54:55] op_sel:[1,1] op_sel_hi:[0,1]
	v_pk_fma_f32 v[18:19], v[6:7], v[54:55], v[4:5] neg_lo:[0,0,1] neg_hi:[0,0,1]
	v_pk_fma_f32 v[4:5], v[6:7], v[54:55], v[4:5] op_sel_hi:[1,0,1]
	v_pk_add_f32 v[2:3], v[2:3], v[20:21]
	v_mov_b32_e32 v4, v57
	v_mov_b32_e32 v19, v5
	v_pk_mul_f32 v[4:5], v[8:9], v[4:5] op_sel:[1,0] op_sel_hi:[0,0]
	v_pk_fma_f32 v[6:7], v[8:9], v[56:57], v[4:5] neg_lo:[0,0,1] neg_hi:[0,0,1]
	v_pk_fma_f32 v[4:5], v[8:9], v[56:57], v[4:5] op_sel_hi:[1,0,1]
	v_pk_add_f32 v[2:3], v[2:3], v[18:19]
	v_mov_b32_e32 v7, v5
	s_waitcnt vmcnt(2) lgkmcnt(1)
	v_pk_mul_f32 v[4:5], v[10:11], v[42:43] op_sel:[1,1] op_sel_hi:[0,1]
	v_pk_add_f32 v[2:3], v[2:3], v[6:7]
	v_pk_fma_f32 v[6:7], v[10:11], v[42:43], v[4:5] neg_lo:[0,0,1] neg_hi:[0,0,1]
	v_pk_fma_f32 v[4:5], v[10:11], v[42:43], v[4:5] op_sel_hi:[1,0,1]
	s_nop 0
	v_mov_b32_e32 v4, v45
	v_mov_b32_e32 v7, v5
	v_pk_mul_f32 v[4:5], v[12:13], v[4:5] op_sel:[1,0] op_sel_hi:[0,0]
	v_pk_add_f32 v[2:3], v[2:3], v[6:7]
	v_pk_fma_f32 v[6:7], v[12:13], v[44:45], v[4:5] neg_lo:[0,0,1] neg_hi:[0,0,1]
	v_pk_fma_f32 v[4:5], v[12:13], v[44:45], v[4:5] op_sel_hi:[1,0,1]
	s_nop 0
	v_mov_b32_e32 v7, v5
	s_waitcnt vmcnt(1) lgkmcnt(0)
	v_pk_mul_f32 v[4:5], v[14:15], v[34:35] op_sel:[1,1] op_sel_hi:[0,1]
	v_pk_add_f32 v[2:3], v[2:3], v[6:7]
	v_pk_fma_f32 v[6:7], v[14:15], v[34:35], v[4:5] neg_lo:[0,0,1] neg_hi:[0,0,1]
	v_pk_fma_f32 v[4:5], v[14:15], v[34:35], v[4:5] op_sel_hi:[1,0,1]
	s_nop 0
	v_mov_b32_e32 v4, v37
	v_mov_b32_e32 v7, v5
	v_pk_mul_f32 v[4:5], v[16:17], v[4:5] op_sel:[1,0] op_sel_hi:[0,0]
	v_pk_add_f32 v[2:3], v[2:3], v[6:7]
	v_pk_fma_f32 v[6:7], v[16:17], v[36:37], v[4:5] neg_lo:[0,0,1] neg_hi:[0,0,1]
	v_pk_fma_f32 v[4:5], v[16:17], v[36:37], v[4:5] op_sel_hi:[1,0,1]
	s_nop 0
	v_mov_b32_e32 v7, v5
	v_pk_add_f32 v[2:3], v[2:3], v[6:7]
	s_waitcnt vmcnt(0)
	v_pk_add_f32 v[2:3], v[116:117], v[2:3] neg_lo:[0,1] neg_hi:[0,1]
	scratch_store_dwordx2 off, v[2:3], off offset:152
	s_and_saveexec_b64 s[0:1], vcc
	s_cbranch_execz .LBB115_289
; %bb.288:
	scratch_load_dwordx2 v[2:3], off, off offset:144
	v_mov_b32_e32 v4, 0
	v_mov_b32_e32 v5, v4
	scratch_store_dwordx2 off, v[4:5], off offset:144
	s_waitcnt vmcnt(1)
	ds_write_b64 v1, v[2:3]
.LBB115_289:
	s_or_b64 exec, exec, s[0:1]
	s_waitcnt lgkmcnt(0)
	; wave barrier
	scratch_load_dwordx4 v[2:5], off, off offset:152
	scratch_load_dwordx4 v[6:9], off, off offset:168
	;; [unrolled: 1-line block ×13, first 2 shown]
	v_mov_b32_e32 v106, 0
	scratch_load_dwordx2 v[124:125], off, off offset:144
	ds_read2_b64 v[54:57], v106 offset0:71 offset1:72
	ds_read2_b64 v[58:61], v106 offset0:73 offset1:74
	;; [unrolled: 1-line block ×14, first 2 shown]
	v_cmp_lt_u32_e32 vcc, 17, v0
	s_waitcnt vmcnt(13) lgkmcnt(13)
	v_mul_f32_e32 v107, v54, v3
	v_mul_f32_e32 v112, v56, v5
	v_fmac_f32_e32 v107, v55, v2
	s_waitcnt vmcnt(12) lgkmcnt(12)
	v_mul_f32_e32 v113, v58, v7
	v_fmac_f32_e32 v112, v57, v4
	v_add_f32_e32 v107, 0, v107
	v_mul_f32_e32 v114, v60, v9
	v_fmac_f32_e32 v113, v59, v6
	v_add_f32_e32 v107, v107, v112
	s_waitcnt vmcnt(11) lgkmcnt(11)
	v_mul_f32_e32 v115, v62, v11
	v_fmac_f32_e32 v114, v61, v8
	v_add_f32_e32 v107, v107, v113
	v_mul_f32_e32 v116, v64, v13
	v_fmac_f32_e32 v115, v63, v10
	v_add_f32_e32 v107, v107, v114
	;; [unrolled: 7-line block ×8, first 2 shown]
	s_waitcnt vmcnt(4) lgkmcnt(4)
	v_mul_f32_e32 v133, v90, v39
	v_fmac_f32_e32 v132, v89, v36
	v_add_f32_e32 v107, v107, v131
	v_fmac_f32_e32 v133, v91, v38
	v_add_f32_e32 v107, v107, v132
	v_add_f32_e32 v107, v107, v133
	scratch_load_dwordx4 v[112:115], off, off offset:360
	scratch_load_dwordx4 v[116:119], off, off offset:376
	;; [unrolled: 1-line block ×3, first 2 shown]
	scratch_load_dwordx2 v[132:133], off, off offset:408
	v_mul_f32_e32 v3, v55, v3
	v_fma_f32 v2, v54, v2, -v3
	v_mul_f32_e32 v3, v57, v5
	v_add_f32_e32 v2, 0, v2
	v_fma_f32 v3, v56, v4, -v3
	v_add_f32_e32 v2, v2, v3
	v_mul_f32_e32 v3, v59, v7
	v_fma_f32 v3, v58, v6, -v3
	v_add_f32_e32 v2, v2, v3
	v_mul_f32_e32 v3, v61, v9
	;; [unrolled: 3-line block ×18, first 2 shown]
	v_fma_f32 v3, v92, v40, -v3
	v_add_f32_e32 v2, v2, v3
	s_waitcnt vmcnt(7) lgkmcnt(3)
	v_mul_f32_e32 v3, v95, v43
	v_fma_f32 v3, v94, v42, -v3
	v_mul_f32_e32 v134, v92, v41
	v_add_f32_e32 v2, v2, v3
	v_mul_f32_e32 v3, v97, v45
	v_mul_f32_e32 v135, v94, v43
	v_fmac_f32_e32 v134, v93, v40
	v_fma_f32 v3, v96, v44, -v3
	v_mul_f32_e32 v136, v96, v45
	v_fmac_f32_e32 v135, v95, v42
	v_add_f32_e32 v107, v107, v134
	v_add_f32_e32 v2, v2, v3
	s_waitcnt vmcnt(6) lgkmcnt(2)
	v_mul_f32_e32 v3, v99, v47
	v_mul_f32_e32 v137, v98, v47
	v_fmac_f32_e32 v136, v97, v44
	v_add_f32_e32 v107, v107, v135
	v_fma_f32 v3, v98, v46, -v3
	v_mul_f32_e32 v127, v100, v49
	v_fmac_f32_e32 v137, v99, v46
	v_add_f32_e32 v107, v107, v136
	v_add_f32_e32 v130, v2, v3
	v_mul_f32_e32 v2, v101, v49
	s_waitcnt vmcnt(5)
	v_mov_b32_e32 v14, v53
	s_waitcnt lgkmcnt(1)
	v_mul_f32_e32 v129, v102, v51
	v_fmac_f32_e32 v127, v101, v48
	v_add_f32_e32 v131, v107, v137
	v_fma_f32 v126, v100, v48, -v2
	v_mul_f32_e32 v2, v103, v51
	v_pk_mul_f32 v[14:15], v[104:105], v[14:15] op_sel:[1,0] op_sel_hi:[0,0]
	v_fmac_f32_e32 v129, v103, v50
	v_fma_f32 v128, v102, v50, -v2
	v_pk_add_f32 v[12:13], v[130:131], v[126:127]
	v_pk_fma_f32 v[16:17], v[104:105], v[52:53], v[14:15] neg_lo:[0,0,1] neg_hi:[0,0,1]
	v_pk_fma_f32 v[14:15], v[104:105], v[52:53], v[14:15] op_sel_hi:[1,0,1]
	v_pk_add_f32 v[12:13], v[12:13], v[128:129]
	v_mov_b32_e32 v17, v15
	s_waitcnt vmcnt(3) lgkmcnt(0)
	v_pk_mul_f32 v[14:15], v[108:109], v[112:113] op_sel:[1,1] op_sel_hi:[0,1]
	v_pk_add_f32 v[12:13], v[12:13], v[16:17]
	v_pk_fma_f32 v[16:17], v[108:109], v[112:113], v[14:15] neg_lo:[0,0,1] neg_hi:[0,0,1]
	v_pk_fma_f32 v[14:15], v[108:109], v[112:113], v[14:15] op_sel_hi:[1,0,1]
	ds_read2_b64 v[2:5], v106 offset0:99 offset1:100
	ds_read2_b64 v[6:9], v106 offset0:101 offset1:102
	ds_read_b64 v[10:11], v106 offset:824
	v_mov_b32_e32 v14, v115
	v_mov_b32_e32 v17, v15
	v_pk_mul_f32 v[14:15], v[110:111], v[14:15] op_sel:[1,0] op_sel_hi:[0,0]
	v_pk_add_f32 v[12:13], v[12:13], v[16:17]
	v_pk_fma_f32 v[16:17], v[110:111], v[114:115], v[14:15] neg_lo:[0,0,1] neg_hi:[0,0,1]
	v_pk_fma_f32 v[14:15], v[110:111], v[114:115], v[14:15] op_sel_hi:[1,0,1]
	s_nop 0
	v_mov_b32_e32 v17, v15
	s_waitcnt vmcnt(2) lgkmcnt(2)
	v_pk_mul_f32 v[14:15], v[2:3], v[116:117] op_sel:[1,1] op_sel_hi:[0,1]
	v_pk_add_f32 v[12:13], v[12:13], v[16:17]
	v_pk_fma_f32 v[16:17], v[2:3], v[116:117], v[14:15] neg_lo:[0,0,1] neg_hi:[0,0,1]
	v_pk_fma_f32 v[2:3], v[2:3], v[116:117], v[14:15] op_sel_hi:[1,0,1]
	s_nop 0
	v_mov_b32_e32 v17, v3
	v_pk_add_f32 v[2:3], v[12:13], v[16:17]
	v_mov_b32_e32 v12, v119
	v_pk_mul_f32 v[12:13], v[4:5], v[12:13] op_sel:[1,0] op_sel_hi:[0,0]
	v_pk_fma_f32 v[14:15], v[4:5], v[118:119], v[12:13] neg_lo:[0,0,1] neg_hi:[0,0,1]
	v_pk_fma_f32 v[4:5], v[4:5], v[118:119], v[12:13] op_sel_hi:[1,0,1]
	s_nop 0
	v_mov_b32_e32 v15, v5
	s_waitcnt vmcnt(1) lgkmcnt(1)
	v_pk_mul_f32 v[4:5], v[6:7], v[120:121] op_sel:[1,1] op_sel_hi:[0,1]
	v_pk_fma_f32 v[12:13], v[6:7], v[120:121], v[4:5] neg_lo:[0,0,1] neg_hi:[0,0,1]
	v_pk_fma_f32 v[4:5], v[6:7], v[120:121], v[4:5] op_sel_hi:[1,0,1]
	v_pk_add_f32 v[2:3], v[2:3], v[14:15]
	v_mov_b32_e32 v4, v123
	v_mov_b32_e32 v13, v5
	v_pk_mul_f32 v[4:5], v[8:9], v[4:5] op_sel:[1,0] op_sel_hi:[0,0]
	v_pk_fma_f32 v[6:7], v[8:9], v[122:123], v[4:5] neg_lo:[0,0,1] neg_hi:[0,0,1]
	v_pk_fma_f32 v[4:5], v[8:9], v[122:123], v[4:5] op_sel_hi:[1,0,1]
	v_pk_add_f32 v[2:3], v[2:3], v[12:13]
	v_mov_b32_e32 v7, v5
	s_waitcnt vmcnt(0) lgkmcnt(0)
	v_pk_mul_f32 v[4:5], v[10:11], v[132:133] op_sel:[1,1] op_sel_hi:[0,1]
	v_pk_add_f32 v[2:3], v[2:3], v[6:7]
	v_pk_fma_f32 v[6:7], v[10:11], v[132:133], v[4:5] neg_lo:[0,0,1] neg_hi:[0,0,1]
	v_pk_fma_f32 v[4:5], v[10:11], v[132:133], v[4:5] op_sel_hi:[1,0,1]
	s_nop 0
	v_mov_b32_e32 v7, v5
	v_pk_add_f32 v[2:3], v[2:3], v[6:7]
	s_nop 0
	v_pk_add_f32 v[2:3], v[124:125], v[2:3] neg_lo:[0,1] neg_hi:[0,1]
	scratch_store_dwordx2 off, v[2:3], off offset:144
	s_and_saveexec_b64 s[0:1], vcc
	s_cbranch_execz .LBB115_291
; %bb.290:
	scratch_load_dwordx2 v[2:3], off, off offset:136
	v_mov_b32_e32 v107, v106
	scratch_store_dwordx2 off, v[106:107], off offset:136
	s_waitcnt vmcnt(1)
	ds_write_b64 v1, v[2:3]
.LBB115_291:
	s_or_b64 exec, exec, s[0:1]
	s_waitcnt lgkmcnt(0)
	; wave barrier
	scratch_load_dwordx4 v[2:5], off, off offset:144
	scratch_load_dwordx4 v[6:9], off, off offset:160
	;; [unrolled: 1-line block ×13, first 2 shown]
	ds_read_b128 v[102:105], v106 offset:560
	ds_read_b128 v[98:101], v106 offset:576
	;; [unrolled: 1-line block ×14, first 2 shown]
	scratch_load_dwordx2 v[128:129], off, off offset:136
	v_cmp_lt_u32_e32 vcc, 16, v0
	s_waitcnt vmcnt(13) lgkmcnt(13)
	v_mul_f32_e32 v107, v102, v3
	v_mul_f32_e32 v112, v104, v5
	v_fmac_f32_e32 v107, v103, v2
	s_waitcnt vmcnt(12) lgkmcnt(12)
	v_mul_f32_e32 v113, v98, v7
	v_fmac_f32_e32 v112, v105, v4
	v_add_f32_e32 v107, 0, v107
	v_mul_f32_e32 v114, v100, v9
	v_fmac_f32_e32 v113, v99, v6
	v_add_f32_e32 v107, v107, v112
	s_waitcnt vmcnt(11) lgkmcnt(11)
	v_mul_f32_e32 v115, v94, v11
	v_fmac_f32_e32 v114, v101, v8
	v_add_f32_e32 v107, v107, v113
	v_mul_f32_e32 v116, v96, v13
	v_fmac_f32_e32 v115, v95, v10
	v_add_f32_e32 v107, v107, v114
	s_waitcnt vmcnt(10) lgkmcnt(10)
	v_mul_f32_e32 v117, v90, v15
	v_fmac_f32_e32 v116, v97, v12
	v_add_f32_e32 v107, v107, v115
	v_mul_f32_e32 v118, v92, v17
	v_fmac_f32_e32 v117, v91, v14
	v_add_f32_e32 v107, v107, v116
	s_waitcnt vmcnt(9) lgkmcnt(9)
	v_mul_f32_e32 v119, v86, v19
	v_fmac_f32_e32 v118, v93, v16
	v_add_f32_e32 v107, v107, v117
	v_mul_f32_e32 v120, v88, v21
	v_fmac_f32_e32 v119, v87, v18
	v_add_f32_e32 v107, v107, v118
	s_waitcnt vmcnt(8) lgkmcnt(8)
	v_mul_f32_e32 v121, v82, v23
	v_fmac_f32_e32 v120, v89, v20
	v_add_f32_e32 v107, v107, v119
	v_mul_f32_e32 v122, v84, v25
	v_fmac_f32_e32 v121, v83, v22
	v_add_f32_e32 v107, v107, v120
	s_waitcnt vmcnt(7) lgkmcnt(7)
	v_mul_f32_e32 v123, v78, v27
	v_fmac_f32_e32 v122, v85, v24
	v_add_f32_e32 v107, v107, v121
	v_mul_f32_e32 v124, v80, v29
	v_fmac_f32_e32 v123, v79, v26
	v_add_f32_e32 v107, v107, v122
	s_waitcnt vmcnt(6) lgkmcnt(6)
	v_mul_f32_e32 v125, v74, v31
	v_fmac_f32_e32 v124, v81, v28
	v_add_f32_e32 v107, v107, v123
	v_mul_f32_e32 v126, v76, v33
	v_fmac_f32_e32 v125, v75, v30
	v_add_f32_e32 v107, v107, v124
	s_waitcnt vmcnt(5) lgkmcnt(5)
	v_mul_f32_e32 v127, v70, v35
	v_fmac_f32_e32 v126, v77, v32
	v_add_f32_e32 v107, v107, v125
	v_fmac_f32_e32 v127, v71, v34
	v_add_f32_e32 v107, v107, v126
	v_add_f32_e32 v107, v107, v127
	scratch_load_dwordx4 v[112:115], off, off offset:352
	scratch_load_dwordx4 v[116:119], off, off offset:368
	;; [unrolled: 1-line block ×4, first 2 shown]
	v_mul_f32_e32 v3, v103, v3
	v_fma_f32 v2, v102, v2, -v3
	v_mul_f32_e32 v3, v105, v5
	v_add_f32_e32 v2, 0, v2
	v_fma_f32 v3, v104, v4, -v3
	v_add_f32_e32 v2, v2, v3
	v_mul_f32_e32 v3, v99, v7
	v_fma_f32 v3, v98, v6, -v3
	v_add_f32_e32 v2, v2, v3
	v_mul_f32_e32 v3, v101, v9
	v_fma_f32 v3, v100, v8, -v3
	v_add_f32_e32 v2, v2, v3
	v_mul_f32_e32 v3, v95, v11
	v_fma_f32 v3, v94, v10, -v3
	v_add_f32_e32 v2, v2, v3
	v_mul_f32_e32 v3, v97, v13
	v_fma_f32 v3, v96, v12, -v3
	v_add_f32_e32 v2, v2, v3
	v_mul_f32_e32 v3, v91, v15
	v_fma_f32 v3, v90, v14, -v3
	v_add_f32_e32 v2, v2, v3
	v_mul_f32_e32 v3, v93, v17
	v_fma_f32 v3, v92, v16, -v3
	v_add_f32_e32 v2, v2, v3
	v_mul_f32_e32 v3, v87, v19
	v_fma_f32 v3, v86, v18, -v3
	v_add_f32_e32 v2, v2, v3
	v_mul_f32_e32 v3, v89, v21
	v_fma_f32 v3, v88, v20, -v3
	v_add_f32_e32 v2, v2, v3
	v_mul_f32_e32 v3, v83, v23
	v_fma_f32 v3, v82, v22, -v3
	v_add_f32_e32 v2, v2, v3
	v_mul_f32_e32 v3, v85, v25
	v_fma_f32 v3, v84, v24, -v3
	v_add_f32_e32 v2, v2, v3
	v_mul_f32_e32 v3, v79, v27
	v_fma_f32 v3, v78, v26, -v3
	v_add_f32_e32 v2, v2, v3
	v_mul_f32_e32 v3, v81, v29
	v_fma_f32 v3, v80, v28, -v3
	v_add_f32_e32 v2, v2, v3
	v_mul_f32_e32 v3, v75, v31
	v_fma_f32 v3, v74, v30, -v3
	v_add_f32_e32 v2, v2, v3
	v_mul_f32_e32 v3, v77, v33
	v_fma_f32 v3, v76, v32, -v3
	v_add_f32_e32 v2, v2, v3
	v_mul_f32_e32 v3, v71, v35
	v_fma_f32 v3, v70, v34, -v3
	v_add_f32_e32 v2, v2, v3
	v_mul_f32_e32 v3, v73, v37
	v_fma_f32 v3, v72, v36, -v3
	v_add_f32_e32 v2, v2, v3
	s_waitcnt vmcnt(8) lgkmcnt(4)
	v_mul_f32_e32 v3, v67, v39
	v_fma_f32 v3, v66, v38, -v3
	v_add_f32_e32 v2, v2, v3
	v_mul_f32_e32 v3, v69, v41
	v_fma_f32 v3, v68, v40, -v3
	v_add_f32_e32 v2, v2, v3
	s_waitcnt vmcnt(7) lgkmcnt(3)
	v_mul_f32_e32 v3, v63, v43
	v_mul_f32_e32 v130, v72, v37
	v_fma_f32 v3, v62, v42, -v3
	v_mul_f32_e32 v132, v66, v39
	v_fmac_f32_e32 v130, v73, v36
	v_add_f32_e32 v2, v2, v3
	v_mul_f32_e32 v3, v65, v45
	v_mul_f32_e32 v134, v68, v41
	v_fmac_f32_e32 v132, v67, v38
	v_add_f32_e32 v107, v107, v130
	v_fma_f32 v3, v64, v44, -v3
	v_mul_f32_e32 v135, v62, v43
	v_fmac_f32_e32 v134, v69, v40
	v_add_f32_e32 v107, v107, v132
	v_add_f32_e32 v2, v2, v3
	s_waitcnt vmcnt(6) lgkmcnt(2)
	v_mul_f32_e32 v3, v59, v47
	v_mul_f32_e32 v136, v64, v45
	v_fmac_f32_e32 v135, v63, v42
	v_add_f32_e32 v107, v107, v134
	v_fma_f32 v3, v58, v46, -v3
	v_mul_f32_e32 v137, v58, v47
	v_fmac_f32_e32 v136, v65, v44
	v_add_f32_e32 v107, v107, v135
	v_add_f32_e32 v2, v2, v3
	v_mul_f32_e32 v3, v61, v49
	v_mul_f32_e32 v138, v60, v49
	v_fmac_f32_e32 v137, v59, v46
	v_add_f32_e32 v107, v107, v136
	v_fma_f32 v3, v60, v48, -v3
	s_waitcnt vmcnt(5) lgkmcnt(1)
	v_mul_f32_e32 v131, v54, v51
	v_fmac_f32_e32 v138, v61, v48
	v_add_f32_e32 v107, v107, v137
	v_add_f32_e32 v134, v2, v3
	v_mul_f32_e32 v2, v55, v51
	s_waitcnt vmcnt(3) lgkmcnt(0)
	v_pk_mul_f32 v[16:17], v[108:109], v[112:113] op_sel:[1,1] op_sel_hi:[0,1]
	v_mul_f32_e32 v133, v56, v53
	v_fmac_f32_e32 v131, v55, v50
	v_add_f32_e32 v135, v107, v138
	v_fma_f32 v130, v54, v50, -v2
	v_mul_f32_e32 v2, v57, v53
	v_pk_fma_f32 v[18:19], v[108:109], v[112:113], v[16:17] neg_lo:[0,0,1] neg_hi:[0,0,1]
	v_pk_fma_f32 v[16:17], v[108:109], v[112:113], v[16:17] op_sel_hi:[1,0,1]
	v_fmac_f32_e32 v133, v57, v52
	v_fma_f32 v132, v56, v52, -v2
	ds_read_b128 v[2:5], v106 offset:784
	ds_read_b128 v[6:9], v106 offset:800
	;; [unrolled: 1-line block ×3, first 2 shown]
	v_pk_add_f32 v[14:15], v[134:135], v[130:131]
	v_mov_b32_e32 v16, v115
	v_pk_add_f32 v[14:15], v[14:15], v[132:133]
	v_mov_b32_e32 v19, v17
	v_pk_mul_f32 v[16:17], v[110:111], v[16:17] op_sel:[1,0] op_sel_hi:[0,0]
	v_pk_add_f32 v[14:15], v[14:15], v[18:19]
	v_pk_fma_f32 v[18:19], v[110:111], v[114:115], v[16:17] neg_lo:[0,0,1] neg_hi:[0,0,1]
	v_pk_fma_f32 v[16:17], v[110:111], v[114:115], v[16:17] op_sel_hi:[1,0,1]
	s_nop 0
	v_mov_b32_e32 v19, v17
	s_waitcnt vmcnt(2) lgkmcnt(2)
	v_pk_mul_f32 v[16:17], v[2:3], v[116:117] op_sel:[1,1] op_sel_hi:[0,1]
	v_pk_add_f32 v[14:15], v[14:15], v[18:19]
	v_pk_fma_f32 v[18:19], v[2:3], v[116:117], v[16:17] neg_lo:[0,0,1] neg_hi:[0,0,1]
	v_pk_fma_f32 v[2:3], v[2:3], v[116:117], v[16:17] op_sel_hi:[1,0,1]
	s_nop 0
	v_mov_b32_e32 v19, v3
	v_pk_add_f32 v[2:3], v[14:15], v[18:19]
	v_mov_b32_e32 v14, v119
	v_pk_mul_f32 v[14:15], v[4:5], v[14:15] op_sel:[1,0] op_sel_hi:[0,0]
	v_pk_fma_f32 v[16:17], v[4:5], v[118:119], v[14:15] neg_lo:[0,0,1] neg_hi:[0,0,1]
	v_pk_fma_f32 v[4:5], v[4:5], v[118:119], v[14:15] op_sel_hi:[1,0,1]
	s_nop 0
	v_mov_b32_e32 v17, v5
	s_waitcnt vmcnt(1) lgkmcnt(1)
	v_pk_mul_f32 v[4:5], v[6:7], v[120:121] op_sel:[1,1] op_sel_hi:[0,1]
	v_pk_fma_f32 v[14:15], v[6:7], v[120:121], v[4:5] neg_lo:[0,0,1] neg_hi:[0,0,1]
	v_pk_fma_f32 v[4:5], v[6:7], v[120:121], v[4:5] op_sel_hi:[1,0,1]
	v_pk_add_f32 v[2:3], v[2:3], v[16:17]
	v_mov_b32_e32 v4, v123
	v_mov_b32_e32 v15, v5
	v_pk_mul_f32 v[4:5], v[8:9], v[4:5] op_sel:[1,0] op_sel_hi:[0,0]
	v_pk_fma_f32 v[6:7], v[8:9], v[122:123], v[4:5] neg_lo:[0,0,1] neg_hi:[0,0,1]
	v_pk_fma_f32 v[4:5], v[8:9], v[122:123], v[4:5] op_sel_hi:[1,0,1]
	v_pk_add_f32 v[2:3], v[2:3], v[14:15]
	v_mov_b32_e32 v7, v5
	s_waitcnt vmcnt(0) lgkmcnt(0)
	v_pk_mul_f32 v[4:5], v[10:11], v[124:125] op_sel:[1,1] op_sel_hi:[0,1]
	v_pk_add_f32 v[2:3], v[2:3], v[6:7]
	v_pk_fma_f32 v[6:7], v[10:11], v[124:125], v[4:5] neg_lo:[0,0,1] neg_hi:[0,0,1]
	v_pk_fma_f32 v[4:5], v[10:11], v[124:125], v[4:5] op_sel_hi:[1,0,1]
	s_nop 0
	v_mov_b32_e32 v4, v127
	v_mov_b32_e32 v7, v5
	v_pk_mul_f32 v[4:5], v[12:13], v[4:5] op_sel:[1,0] op_sel_hi:[0,0]
	v_pk_add_f32 v[2:3], v[2:3], v[6:7]
	v_pk_fma_f32 v[6:7], v[12:13], v[126:127], v[4:5] neg_lo:[0,0,1] neg_hi:[0,0,1]
	v_pk_fma_f32 v[4:5], v[12:13], v[126:127], v[4:5] op_sel_hi:[1,0,1]
	s_nop 0
	v_mov_b32_e32 v7, v5
	v_pk_add_f32 v[2:3], v[2:3], v[6:7]
	s_nop 0
	v_pk_add_f32 v[2:3], v[128:129], v[2:3] neg_lo:[0,1] neg_hi:[0,1]
	scratch_store_dwordx2 off, v[2:3], off offset:136
	s_and_saveexec_b64 s[0:1], vcc
	s_cbranch_execz .LBB115_293
; %bb.292:
	scratch_load_dwordx2 v[2:3], off, off offset:128
	v_mov_b32_e32 v4, 0
	v_mov_b32_e32 v5, v4
	scratch_store_dwordx2 off, v[4:5], off offset:128
	s_waitcnt vmcnt(1)
	ds_write_b64 v1, v[2:3]
.LBB115_293:
	s_or_b64 exec, exec, s[0:1]
	s_waitcnt lgkmcnt(0)
	; wave barrier
	scratch_load_dwordx4 v[2:5], off, off offset:136
	scratch_load_dwordx4 v[6:9], off, off offset:152
	;; [unrolled: 1-line block ×13, first 2 shown]
	v_mov_b32_e32 v114, 0
	scratch_load_dwordx4 v[54:57], off, off offset:344
	scratch_load_dwordx2 v[128:129], off, off offset:128
	ds_read2_b64 v[58:61], v114 offset0:69 offset1:70
	ds_read2_b64 v[62:65], v114 offset0:71 offset1:72
	;; [unrolled: 1-line block ×14, first 2 shown]
	v_cmp_lt_u32_e32 vcc, 15, v0
	s_waitcnt vmcnt(14) lgkmcnt(13)
	v_mul_f32_e32 v115, v58, v3
	v_mul_f32_e32 v116, v60, v5
	v_fmac_f32_e32 v115, v59, v2
	s_waitcnt vmcnt(13) lgkmcnt(12)
	v_mul_f32_e32 v117, v62, v7
	v_fmac_f32_e32 v116, v61, v4
	v_add_f32_e32 v115, 0, v115
	v_mul_f32_e32 v118, v64, v9
	v_fmac_f32_e32 v117, v63, v6
	v_add_f32_e32 v115, v115, v116
	s_waitcnt vmcnt(12) lgkmcnt(11)
	v_mul_f32_e32 v119, v66, v11
	v_fmac_f32_e32 v118, v65, v8
	v_add_f32_e32 v115, v115, v117
	v_mul_f32_e32 v120, v68, v13
	v_fmac_f32_e32 v119, v67, v10
	v_add_f32_e32 v115, v115, v118
	;; [unrolled: 7-line block ×6, first 2 shown]
	s_waitcnt vmcnt(7) lgkmcnt(6)
	v_mul_f32_e32 v131, v86, v31
	v_fmac_f32_e32 v130, v85, v28
	v_add_f32_e32 v115, v115, v127
	scratch_load_dwordx4 v[116:119], off, off offset:360
	v_mul_f32_e32 v132, v88, v33
	v_fmac_f32_e32 v131, v87, v30
	v_add_f32_e32 v115, v115, v130
	s_waitcnt vmcnt(7) lgkmcnt(5)
	v_mul_f32_e32 v133, v90, v35
	v_fmac_f32_e32 v132, v89, v32
	v_add_f32_e32 v115, v115, v131
	v_mul_f32_e32 v134, v92, v37
	v_fmac_f32_e32 v133, v91, v34
	v_add_f32_e32 v115, v115, v132
	s_waitcnt vmcnt(6) lgkmcnt(4)
	v_mul_f32_e32 v135, v94, v39
	v_fmac_f32_e32 v134, v93, v36
	v_add_f32_e32 v115, v115, v133
	;; [unrolled: 7-line block ×3, first 2 shown]
	v_fmac_f32_e32 v137, v99, v42
	v_add_f32_e32 v115, v115, v136
	v_add_f32_e32 v115, v115, v137
	scratch_load_dwordx4 v[120:123], off, off offset:376
	scratch_load_dwordx4 v[124:127], off, off offset:392
	scratch_load_dwordx2 v[136:137], off, off offset:408
	v_mul_f32_e32 v3, v59, v3
	v_fma_f32 v2, v58, v2, -v3
	v_mul_f32_e32 v3, v61, v5
	v_add_f32_e32 v2, 0, v2
	v_fma_f32 v3, v60, v4, -v3
	v_add_f32_e32 v2, v2, v3
	v_mul_f32_e32 v3, v63, v7
	v_fma_f32 v3, v62, v6, -v3
	v_add_f32_e32 v2, v2, v3
	v_mul_f32_e32 v3, v65, v9
	;; [unrolled: 3-line block ×20, first 2 shown]
	v_fma_f32 v3, v100, v44, -v3
	v_add_f32_e32 v2, v2, v3
	s_waitcnt vmcnt(7) lgkmcnt(2)
	v_mul_f32_e32 v3, v103, v47
	v_fma_f32 v3, v102, v46, -v3
	v_add_f32_e32 v2, v2, v3
	v_mul_f32_e32 v3, v105, v49
	v_mul_f32_e32 v138, v100, v45
	v_fma_f32 v3, v104, v48, -v3
	v_mul_f32_e32 v139, v102, v47
	v_fmac_f32_e32 v138, v101, v44
	v_add_f32_e32 v2, v2, v3
	s_waitcnt vmcnt(6) lgkmcnt(1)
	v_mul_f32_e32 v3, v107, v51
	v_mul_f32_e32 v142, v104, v49
	v_fmac_f32_e32 v139, v103, v46
	v_add_f32_e32 v115, v115, v138
	v_fma_f32 v3, v106, v50, -v3
	v_mul_f32_e32 v143, v106, v51
	v_fmac_f32_e32 v142, v105, v48
	v_add_f32_e32 v115, v115, v139
	v_add_f32_e32 v130, v2, v3
	v_mul_f32_e32 v2, v109, v53
	v_fmac_f32_e32 v143, v107, v50
	v_add_f32_e32 v115, v115, v142
	v_mul_f32_e32 v133, v108, v53
	v_fma_f32 v132, v108, v52, -v2
	s_waitcnt vmcnt(5) lgkmcnt(0)
	v_mul_f32_e32 v2, v111, v55
	v_mov_b32_e32 v18, v57
	v_add_f32_e32 v131, v115, v143
	v_fmac_f32_e32 v133, v109, v52
	v_mul_f32_e32 v135, v110, v55
	v_fma_f32 v134, v110, v54, -v2
	ds_read2_b64 v[2:5], v114 offset0:97 offset1:98
	ds_read2_b64 v[6:9], v114 offset0:99 offset1:100
	;; [unrolled: 1-line block ×3, first 2 shown]
	ds_read_b64 v[14:15], v114 offset:824
	v_pk_mul_f32 v[18:19], v[112:113], v[18:19] op_sel:[1,0] op_sel_hi:[0,0]
	v_fmac_f32_e32 v135, v111, v54
	v_pk_add_f32 v[16:17], v[130:131], v[132:133]
	v_pk_fma_f32 v[20:21], v[112:113], v[56:57], v[18:19] neg_lo:[0,0,1] neg_hi:[0,0,1]
	v_pk_fma_f32 v[18:19], v[112:113], v[56:57], v[18:19] op_sel_hi:[1,0,1]
	v_pk_add_f32 v[16:17], v[16:17], v[134:135]
	v_mov_b32_e32 v21, v19
	s_waitcnt vmcnt(3) lgkmcnt(3)
	v_pk_mul_f32 v[18:19], v[2:3], v[116:117] op_sel:[1,1] op_sel_hi:[0,1]
	v_pk_add_f32 v[16:17], v[16:17], v[20:21]
	v_pk_fma_f32 v[20:21], v[2:3], v[116:117], v[18:19] neg_lo:[0,0,1] neg_hi:[0,0,1]
	v_pk_fma_f32 v[2:3], v[2:3], v[116:117], v[18:19] op_sel_hi:[1,0,1]
	s_nop 0
	v_mov_b32_e32 v21, v3
	v_pk_add_f32 v[2:3], v[16:17], v[20:21]
	v_mov_b32_e32 v16, v119
	v_pk_mul_f32 v[16:17], v[4:5], v[16:17] op_sel:[1,0] op_sel_hi:[0,0]
	v_pk_fma_f32 v[18:19], v[4:5], v[118:119], v[16:17] neg_lo:[0,0,1] neg_hi:[0,0,1]
	v_pk_fma_f32 v[4:5], v[4:5], v[118:119], v[16:17] op_sel_hi:[1,0,1]
	s_nop 0
	v_mov_b32_e32 v19, v5
	s_waitcnt vmcnt(2) lgkmcnt(2)
	v_pk_mul_f32 v[4:5], v[6:7], v[120:121] op_sel:[1,1] op_sel_hi:[0,1]
	v_pk_fma_f32 v[16:17], v[6:7], v[120:121], v[4:5] neg_lo:[0,0,1] neg_hi:[0,0,1]
	v_pk_fma_f32 v[4:5], v[6:7], v[120:121], v[4:5] op_sel_hi:[1,0,1]
	v_pk_add_f32 v[2:3], v[2:3], v[18:19]
	v_mov_b32_e32 v4, v123
	v_mov_b32_e32 v17, v5
	v_pk_mul_f32 v[4:5], v[8:9], v[4:5] op_sel:[1,0] op_sel_hi:[0,0]
	v_pk_fma_f32 v[6:7], v[8:9], v[122:123], v[4:5] neg_lo:[0,0,1] neg_hi:[0,0,1]
	v_pk_fma_f32 v[4:5], v[8:9], v[122:123], v[4:5] op_sel_hi:[1,0,1]
	v_pk_add_f32 v[2:3], v[2:3], v[16:17]
	v_mov_b32_e32 v7, v5
	s_waitcnt vmcnt(1) lgkmcnt(1)
	v_pk_mul_f32 v[4:5], v[10:11], v[124:125] op_sel:[1,1] op_sel_hi:[0,1]
	v_pk_add_f32 v[2:3], v[2:3], v[6:7]
	v_pk_fma_f32 v[6:7], v[10:11], v[124:125], v[4:5] neg_lo:[0,0,1] neg_hi:[0,0,1]
	v_pk_fma_f32 v[4:5], v[10:11], v[124:125], v[4:5] op_sel_hi:[1,0,1]
	s_nop 0
	v_mov_b32_e32 v4, v127
	v_mov_b32_e32 v7, v5
	v_pk_mul_f32 v[4:5], v[12:13], v[4:5] op_sel:[1,0] op_sel_hi:[0,0]
	v_pk_add_f32 v[2:3], v[2:3], v[6:7]
	v_pk_fma_f32 v[6:7], v[12:13], v[126:127], v[4:5] neg_lo:[0,0,1] neg_hi:[0,0,1]
	v_pk_fma_f32 v[4:5], v[12:13], v[126:127], v[4:5] op_sel_hi:[1,0,1]
	s_nop 0
	v_mov_b32_e32 v7, v5
	s_waitcnt vmcnt(0) lgkmcnt(0)
	v_pk_mul_f32 v[4:5], v[14:15], v[136:137] op_sel:[1,1] op_sel_hi:[0,1]
	v_pk_add_f32 v[2:3], v[2:3], v[6:7]
	v_pk_fma_f32 v[6:7], v[14:15], v[136:137], v[4:5] neg_lo:[0,0,1] neg_hi:[0,0,1]
	v_pk_fma_f32 v[4:5], v[14:15], v[136:137], v[4:5] op_sel_hi:[1,0,1]
	s_nop 0
	v_mov_b32_e32 v7, v5
	v_pk_add_f32 v[2:3], v[2:3], v[6:7]
	s_nop 0
	v_pk_add_f32 v[2:3], v[128:129], v[2:3] neg_lo:[0,1] neg_hi:[0,1]
	scratch_store_dwordx2 off, v[2:3], off offset:128
	s_and_saveexec_b64 s[0:1], vcc
	s_cbranch_execz .LBB115_295
; %bb.294:
	scratch_load_dwordx2 v[2:3], off, off offset:120
	v_mov_b32_e32 v115, v114
	scratch_store_dwordx2 off, v[114:115], off offset:120
	s_waitcnt vmcnt(1)
	ds_write_b64 v1, v[2:3]
.LBB115_295:
	s_or_b64 exec, exec, s[0:1]
	s_waitcnt lgkmcnt(0)
	; wave barrier
	scratch_load_dwordx4 v[2:5], off, off offset:128
	scratch_load_dwordx4 v[6:9], off, off offset:144
	;; [unrolled: 1-line block ×13, first 2 shown]
	ds_read_b128 v[110:113], v114 offset:544
	ds_read_b128 v[106:109], v114 offset:560
	;; [unrolled: 1-line block ×14, first 2 shown]
	scratch_load_dwordx4 v[66:69], off, off offset:336
	scratch_load_dwordx2 v[132:133], off, off offset:120
	v_cmp_lt_u32_e32 vcc, 14, v0
	s_waitcnt vmcnt(14) lgkmcnt(13)
	v_mul_f32_e32 v115, v110, v3
	v_mul_f32_e32 v116, v112, v5
	v_fmac_f32_e32 v115, v111, v2
	s_waitcnt vmcnt(13) lgkmcnt(12)
	v_mul_f32_e32 v117, v106, v7
	v_fmac_f32_e32 v116, v113, v4
	v_add_f32_e32 v115, 0, v115
	v_mul_f32_e32 v118, v108, v9
	v_fmac_f32_e32 v117, v107, v6
	v_add_f32_e32 v115, v115, v116
	s_waitcnt vmcnt(12) lgkmcnt(11)
	v_mul_f32_e32 v119, v102, v11
	v_fmac_f32_e32 v118, v109, v8
	v_add_f32_e32 v115, v115, v117
	v_mul_f32_e32 v120, v104, v13
	v_fmac_f32_e32 v119, v103, v10
	v_add_f32_e32 v115, v115, v118
	;; [unrolled: 7-line block ×4, first 2 shown]
	s_waitcnt vmcnt(9) lgkmcnt(8)
	v_mul_f32_e32 v125, v90, v23
	v_fmac_f32_e32 v124, v97, v20
	v_add_f32_e32 v115, v115, v123
	scratch_load_dwordx4 v[116:119], off, off offset:352
	v_mul_f32_e32 v126, v92, v25
	v_fmac_f32_e32 v125, v91, v22
	v_add_f32_e32 v115, v115, v124
	s_waitcnt vmcnt(9) lgkmcnt(7)
	v_mul_f32_e32 v127, v86, v27
	v_fmac_f32_e32 v126, v93, v24
	v_add_f32_e32 v115, v115, v125
	v_mul_f32_e32 v128, v88, v29
	v_fmac_f32_e32 v127, v87, v26
	v_add_f32_e32 v115, v115, v126
	s_waitcnt vmcnt(8) lgkmcnt(6)
	v_mul_f32_e32 v129, v82, v31
	v_fmac_f32_e32 v128, v89, v28
	v_add_f32_e32 v115, v115, v127
	v_mul_f32_e32 v130, v84, v33
	v_fmac_f32_e32 v129, v83, v30
	v_add_f32_e32 v115, v115, v128
	s_waitcnt vmcnt(7) lgkmcnt(5)
	v_mul_f32_e32 v131, v78, v35
	v_fmac_f32_e32 v130, v85, v32
	v_add_f32_e32 v115, v115, v129
	v_fmac_f32_e32 v131, v79, v34
	v_add_f32_e32 v115, v115, v130
	v_add_f32_e32 v115, v115, v131
	scratch_load_dwordx4 v[120:123], off, off offset:368
	scratch_load_dwordx4 v[124:127], off, off offset:384
	;; [unrolled: 1-line block ×3, first 2 shown]
	v_mul_f32_e32 v3, v111, v3
	v_fma_f32 v2, v110, v2, -v3
	v_mul_f32_e32 v3, v113, v5
	v_add_f32_e32 v2, 0, v2
	v_fma_f32 v3, v112, v4, -v3
	v_add_f32_e32 v2, v2, v3
	v_mul_f32_e32 v3, v107, v7
	v_fma_f32 v3, v106, v6, -v3
	v_add_f32_e32 v2, v2, v3
	v_mul_f32_e32 v3, v109, v9
	;; [unrolled: 3-line block ×16, first 2 shown]
	v_fma_f32 v3, v80, v36, -v3
	v_add_f32_e32 v2, v2, v3
	s_waitcnt vmcnt(9) lgkmcnt(4)
	v_mul_f32_e32 v3, v75, v39
	v_fma_f32 v3, v74, v38, -v3
	v_add_f32_e32 v2, v2, v3
	v_mul_f32_e32 v3, v77, v41
	v_fma_f32 v3, v76, v40, -v3
	v_add_f32_e32 v2, v2, v3
	s_waitcnt vmcnt(8) lgkmcnt(3)
	v_mul_f32_e32 v3, v71, v43
	v_fma_f32 v3, v70, v42, -v3
	v_add_f32_e32 v2, v2, v3
	v_mul_f32_e32 v3, v73, v45
	v_fma_f32 v3, v72, v44, -v3
	v_add_f32_e32 v2, v2, v3
	s_waitcnt vmcnt(7) lgkmcnt(2)
	v_mul_f32_e32 v3, v63, v47
	v_fma_f32 v3, v62, v46, -v3
	v_mul_f32_e32 v134, v80, v37
	v_add_f32_e32 v2, v2, v3
	v_mul_f32_e32 v3, v65, v49
	v_mul_f32_e32 v135, v74, v39
	v_fmac_f32_e32 v134, v81, v36
	v_fma_f32 v3, v64, v48, -v3
	v_mul_f32_e32 v136, v76, v41
	v_fmac_f32_e32 v135, v75, v38
	v_add_f32_e32 v115, v115, v134
	v_add_f32_e32 v2, v2, v3
	s_waitcnt vmcnt(6) lgkmcnt(1)
	v_mul_f32_e32 v3, v55, v51
	v_mul_f32_e32 v137, v70, v43
	v_fmac_f32_e32 v136, v77, v40
	v_add_f32_e32 v115, v115, v135
	v_fma_f32 v3, v54, v50, -v3
	v_mul_f32_e32 v138, v72, v45
	v_fmac_f32_e32 v137, v71, v42
	v_add_f32_e32 v115, v115, v136
	v_add_f32_e32 v2, v2, v3
	v_mul_f32_e32 v3, v57, v53
	v_mul_f32_e32 v139, v62, v47
	v_fmac_f32_e32 v138, v73, v44
	v_add_f32_e32 v115, v115, v137
	v_fma_f32 v3, v56, v52, -v3
	v_mul_f32_e32 v142, v64, v49
	v_fmac_f32_e32 v139, v63, v46
	v_add_f32_e32 v115, v115, v138
	v_add_f32_e32 v134, v2, v3
	s_waitcnt vmcnt(5) lgkmcnt(0)
	v_mul_f32_e32 v2, v59, v67
	v_mul_f32_e32 v143, v54, v51
	v_fmac_f32_e32 v142, v65, v48
	v_add_f32_e32 v115, v115, v139
	v_fma_f32 v136, v58, v66, -v2
	v_mul_f32_e32 v2, v61, v69
	v_mul_f32_e32 v144, v56, v53
	v_fmac_f32_e32 v143, v55, v50
	v_add_f32_e32 v115, v115, v142
	v_fma_f32 v138, v60, v68, -v2
	ds_read_b128 v[2:5], v114 offset:768
	ds_read_b128 v[6:9], v114 offset:784
	;; [unrolled: 1-line block ×4, first 2 shown]
	v_add_f32_e32 v115, v115, v143
	v_fmac_f32_e32 v144, v57, v52
	v_mul_f32_e32 v137, v58, v67
	v_add_f32_e32 v135, v115, v144
	v_fmac_f32_e32 v137, v59, v66
	v_mul_f32_e32 v139, v60, v69
	s_waitcnt vmcnt(3) lgkmcnt(3)
	v_pk_mul_f32 v[20:21], v[2:3], v[116:117] op_sel:[1,1] op_sel_hi:[0,1]
	v_fmac_f32_e32 v139, v61, v68
	v_pk_add_f32 v[18:19], v[134:135], v[136:137]
	v_pk_fma_f32 v[22:23], v[2:3], v[116:117], v[20:21] neg_lo:[0,0,1] neg_hi:[0,0,1]
	v_pk_fma_f32 v[2:3], v[2:3], v[116:117], v[20:21] op_sel_hi:[1,0,1]
	v_pk_add_f32 v[18:19], v[18:19], v[138:139]
	v_mov_b32_e32 v23, v3
	v_pk_add_f32 v[2:3], v[18:19], v[22:23]
	v_mov_b32_e32 v18, v119
	v_pk_mul_f32 v[18:19], v[4:5], v[18:19] op_sel:[1,0] op_sel_hi:[0,0]
	v_pk_fma_f32 v[20:21], v[4:5], v[118:119], v[18:19] neg_lo:[0,0,1] neg_hi:[0,0,1]
	v_pk_fma_f32 v[4:5], v[4:5], v[118:119], v[18:19] op_sel_hi:[1,0,1]
	s_nop 0
	v_mov_b32_e32 v21, v5
	s_waitcnt vmcnt(2) lgkmcnt(2)
	v_pk_mul_f32 v[4:5], v[6:7], v[120:121] op_sel:[1,1] op_sel_hi:[0,1]
	v_pk_fma_f32 v[18:19], v[6:7], v[120:121], v[4:5] neg_lo:[0,0,1] neg_hi:[0,0,1]
	v_pk_fma_f32 v[4:5], v[6:7], v[120:121], v[4:5] op_sel_hi:[1,0,1]
	v_pk_add_f32 v[2:3], v[2:3], v[20:21]
	v_mov_b32_e32 v4, v123
	v_mov_b32_e32 v19, v5
	v_pk_mul_f32 v[4:5], v[8:9], v[4:5] op_sel:[1,0] op_sel_hi:[0,0]
	v_pk_fma_f32 v[6:7], v[8:9], v[122:123], v[4:5] neg_lo:[0,0,1] neg_hi:[0,0,1]
	v_pk_fma_f32 v[4:5], v[8:9], v[122:123], v[4:5] op_sel_hi:[1,0,1]
	v_pk_add_f32 v[2:3], v[2:3], v[18:19]
	v_mov_b32_e32 v7, v5
	s_waitcnt vmcnt(1) lgkmcnt(1)
	v_pk_mul_f32 v[4:5], v[10:11], v[124:125] op_sel:[1,1] op_sel_hi:[0,1]
	v_pk_add_f32 v[2:3], v[2:3], v[6:7]
	v_pk_fma_f32 v[6:7], v[10:11], v[124:125], v[4:5] neg_lo:[0,0,1] neg_hi:[0,0,1]
	v_pk_fma_f32 v[4:5], v[10:11], v[124:125], v[4:5] op_sel_hi:[1,0,1]
	s_nop 0
	v_mov_b32_e32 v4, v127
	v_mov_b32_e32 v7, v5
	v_pk_mul_f32 v[4:5], v[12:13], v[4:5] op_sel:[1,0] op_sel_hi:[0,0]
	v_pk_add_f32 v[2:3], v[2:3], v[6:7]
	v_pk_fma_f32 v[6:7], v[12:13], v[126:127], v[4:5] neg_lo:[0,0,1] neg_hi:[0,0,1]
	v_pk_fma_f32 v[4:5], v[12:13], v[126:127], v[4:5] op_sel_hi:[1,0,1]
	s_nop 0
	v_mov_b32_e32 v7, v5
	s_waitcnt vmcnt(0) lgkmcnt(0)
	v_pk_mul_f32 v[4:5], v[14:15], v[128:129] op_sel:[1,1] op_sel_hi:[0,1]
	v_pk_add_f32 v[2:3], v[2:3], v[6:7]
	v_pk_fma_f32 v[6:7], v[14:15], v[128:129], v[4:5] neg_lo:[0,0,1] neg_hi:[0,0,1]
	v_pk_fma_f32 v[4:5], v[14:15], v[128:129], v[4:5] op_sel_hi:[1,0,1]
	s_nop 0
	v_mov_b32_e32 v4, v131
	v_mov_b32_e32 v7, v5
	v_pk_mul_f32 v[4:5], v[16:17], v[4:5] op_sel:[1,0] op_sel_hi:[0,0]
	v_pk_add_f32 v[2:3], v[2:3], v[6:7]
	v_pk_fma_f32 v[6:7], v[16:17], v[130:131], v[4:5] neg_lo:[0,0,1] neg_hi:[0,0,1]
	v_pk_fma_f32 v[4:5], v[16:17], v[130:131], v[4:5] op_sel_hi:[1,0,1]
	s_nop 0
	v_mov_b32_e32 v7, v5
	v_pk_add_f32 v[2:3], v[2:3], v[6:7]
	s_nop 0
	v_pk_add_f32 v[2:3], v[132:133], v[2:3] neg_lo:[0,1] neg_hi:[0,1]
	scratch_store_dwordx2 off, v[2:3], off offset:120
	s_and_saveexec_b64 s[0:1], vcc
	s_cbranch_execz .LBB115_297
; %bb.296:
	scratch_load_dwordx2 v[2:3], off, off offset:112
	v_mov_b32_e32 v4, 0
	v_mov_b32_e32 v5, v4
	scratch_store_dwordx2 off, v[4:5], off offset:112
	s_waitcnt vmcnt(1)
	ds_write_b64 v1, v[2:3]
.LBB115_297:
	s_or_b64 exec, exec, s[0:1]
	s_waitcnt lgkmcnt(0)
	; wave barrier
	scratch_load_dwordx4 v[2:5], off, off offset:120
	scratch_load_dwordx4 v[6:9], off, off offset:136
	;; [unrolled: 1-line block ×15, first 2 shown]
	scratch_load_dwordx2 v[142:143], off, off offset:112
	v_mov_b32_e32 v118, 0
	ds_read2_b64 v[62:65], v118 offset0:67 offset1:68
	ds_read2_b64 v[66:69], v118 offset0:69 offset1:70
	;; [unrolled: 1-line block ×14, first 2 shown]
	v_cmp_lt_u32_e32 vcc, 13, v0
	s_waitcnt vmcnt(15) lgkmcnt(13)
	v_mul_f32_e32 v119, v62, v3
	v_mul_f32_e32 v120, v64, v5
	v_fmac_f32_e32 v119, v63, v2
	s_waitcnt vmcnt(14) lgkmcnt(12)
	v_mul_f32_e32 v121, v66, v7
	v_fmac_f32_e32 v120, v65, v4
	v_add_f32_e32 v119, 0, v119
	v_mul_f32_e32 v122, v68, v9
	v_fmac_f32_e32 v121, v67, v6
	v_add_f32_e32 v119, v119, v120
	s_waitcnt vmcnt(13) lgkmcnt(11)
	v_mul_f32_e32 v123, v70, v11
	v_fmac_f32_e32 v122, v69, v8
	v_add_f32_e32 v119, v119, v121
	v_mul_f32_e32 v124, v72, v13
	v_fmac_f32_e32 v123, v71, v10
	v_add_f32_e32 v119, v119, v122
	;; [unrolled: 7-line block ×11, first 2 shown]
	s_waitcnt vmcnt(3) lgkmcnt(1)
	v_mul_f32_e32 v147, v110, v51
	v_fmac_f32_e32 v146, v109, v48
	v_add_f32_e32 v119, v119, v145
	v_add_f32_e32 v119, v119, v146
	v_fmac_f32_e32 v147, v111, v50
	v_mul_f32_e32 v120, v112, v53
	v_add_f32_e32 v119, v119, v147
	v_fmac_f32_e32 v120, v113, v52
	s_waitcnt vmcnt(2) lgkmcnt(0)
	v_mul_f32_e32 v124, v114, v55
	v_add_f32_e32 v119, v119, v120
	v_fmac_f32_e32 v124, v115, v54
	ds_read2_b64 v[120:123], v118 offset0:95 offset1:96
	v_add_f32_e32 v145, v119, v124
	ds_read2_b64 v[124:127], v118 offset0:97 offset1:98
	scratch_load_dwordx4 v[128:131], off, off offset:360
	scratch_load_dwordx4 v[132:135], off, off offset:376
	;; [unrolled: 1-line block ×3, first 2 shown]
	scratch_load_dwordx2 v[150:151], off, off offset:408
	v_mul_f32_e32 v3, v63, v3
	v_fma_f32 v2, v62, v2, -v3
	v_mul_f32_e32 v3, v65, v5
	v_add_f32_e32 v2, 0, v2
	v_fma_f32 v3, v64, v4, -v3
	v_add_f32_e32 v2, v2, v3
	v_mul_f32_e32 v3, v67, v7
	v_fma_f32 v3, v66, v6, -v3
	v_add_f32_e32 v2, v2, v3
	v_mul_f32_e32 v3, v69, v9
	;; [unrolled: 3-line block ×25, first 2 shown]
	v_fma_f32 v3, v114, v54, -v3
	v_mul_f32_e32 v147, v116, v57
	v_add_f32_e32 v144, v2, v3
	v_mul_f32_e32 v2, v117, v57
	s_waitcnt vmcnt(5)
	v_mov_b32_e32 v14, v61
	v_fmac_f32_e32 v147, v117, v56
	s_waitcnt lgkmcnt(1)
	v_mul_f32_e32 v149, v120, v59
	v_fma_f32 v146, v116, v56, -v2
	v_mul_f32_e32 v2, v121, v59
	v_pk_mul_f32 v[14:15], v[122:123], v[14:15] op_sel:[1,0] op_sel_hi:[0,0]
	v_fmac_f32_e32 v149, v121, v58
	v_fma_f32 v148, v120, v58, -v2
	v_pk_add_f32 v[12:13], v[144:145], v[146:147]
	v_pk_fma_f32 v[16:17], v[122:123], v[60:61], v[14:15] neg_lo:[0,0,1] neg_hi:[0,0,1]
	v_pk_fma_f32 v[14:15], v[122:123], v[60:61], v[14:15] op_sel_hi:[1,0,1]
	v_pk_add_f32 v[12:13], v[12:13], v[148:149]
	v_mov_b32_e32 v17, v15
	s_waitcnt vmcnt(3) lgkmcnt(0)
	v_pk_mul_f32 v[14:15], v[124:125], v[128:129] op_sel:[1,1] op_sel_hi:[0,1]
	v_pk_add_f32 v[12:13], v[12:13], v[16:17]
	v_pk_fma_f32 v[16:17], v[124:125], v[128:129], v[14:15] neg_lo:[0,0,1] neg_hi:[0,0,1]
	v_pk_fma_f32 v[14:15], v[124:125], v[128:129], v[14:15] op_sel_hi:[1,0,1]
	ds_read2_b64 v[2:5], v118 offset0:99 offset1:100
	ds_read2_b64 v[6:9], v118 offset0:101 offset1:102
	ds_read_b64 v[10:11], v118 offset:824
	v_mov_b32_e32 v14, v131
	v_mov_b32_e32 v17, v15
	v_pk_mul_f32 v[14:15], v[126:127], v[14:15] op_sel:[1,0] op_sel_hi:[0,0]
	v_pk_add_f32 v[12:13], v[12:13], v[16:17]
	v_pk_fma_f32 v[16:17], v[126:127], v[130:131], v[14:15] neg_lo:[0,0,1] neg_hi:[0,0,1]
	v_pk_fma_f32 v[14:15], v[126:127], v[130:131], v[14:15] op_sel_hi:[1,0,1]
	s_nop 0
	v_mov_b32_e32 v17, v15
	s_waitcnt vmcnt(2) lgkmcnt(2)
	v_pk_mul_f32 v[14:15], v[2:3], v[132:133] op_sel:[1,1] op_sel_hi:[0,1]
	v_pk_add_f32 v[12:13], v[12:13], v[16:17]
	v_pk_fma_f32 v[16:17], v[2:3], v[132:133], v[14:15] neg_lo:[0,0,1] neg_hi:[0,0,1]
	v_pk_fma_f32 v[2:3], v[2:3], v[132:133], v[14:15] op_sel_hi:[1,0,1]
	s_nop 0
	v_mov_b32_e32 v17, v3
	v_pk_add_f32 v[2:3], v[12:13], v[16:17]
	v_mov_b32_e32 v12, v135
	v_pk_mul_f32 v[12:13], v[4:5], v[12:13] op_sel:[1,0] op_sel_hi:[0,0]
	v_pk_fma_f32 v[14:15], v[4:5], v[134:135], v[12:13] neg_lo:[0,0,1] neg_hi:[0,0,1]
	v_pk_fma_f32 v[4:5], v[4:5], v[134:135], v[12:13] op_sel_hi:[1,0,1]
	s_nop 0
	v_mov_b32_e32 v15, v5
	s_waitcnt vmcnt(1) lgkmcnt(1)
	v_pk_mul_f32 v[4:5], v[6:7], v[136:137] op_sel:[1,1] op_sel_hi:[0,1]
	v_pk_fma_f32 v[12:13], v[6:7], v[136:137], v[4:5] neg_lo:[0,0,1] neg_hi:[0,0,1]
	v_pk_fma_f32 v[4:5], v[6:7], v[136:137], v[4:5] op_sel_hi:[1,0,1]
	v_pk_add_f32 v[2:3], v[2:3], v[14:15]
	v_mov_b32_e32 v4, v139
	v_mov_b32_e32 v13, v5
	v_pk_mul_f32 v[4:5], v[8:9], v[4:5] op_sel:[1,0] op_sel_hi:[0,0]
	v_pk_fma_f32 v[6:7], v[8:9], v[138:139], v[4:5] neg_lo:[0,0,1] neg_hi:[0,0,1]
	v_pk_fma_f32 v[4:5], v[8:9], v[138:139], v[4:5] op_sel_hi:[1,0,1]
	v_pk_add_f32 v[2:3], v[2:3], v[12:13]
	v_mov_b32_e32 v7, v5
	s_waitcnt vmcnt(0) lgkmcnt(0)
	v_pk_mul_f32 v[4:5], v[10:11], v[150:151] op_sel:[1,1] op_sel_hi:[0,1]
	v_pk_add_f32 v[2:3], v[2:3], v[6:7]
	v_pk_fma_f32 v[6:7], v[10:11], v[150:151], v[4:5] neg_lo:[0,0,1] neg_hi:[0,0,1]
	v_pk_fma_f32 v[4:5], v[10:11], v[150:151], v[4:5] op_sel_hi:[1,0,1]
	s_nop 0
	v_mov_b32_e32 v7, v5
	v_pk_add_f32 v[2:3], v[2:3], v[6:7]
	s_nop 0
	v_pk_add_f32 v[2:3], v[142:143], v[2:3] neg_lo:[0,1] neg_hi:[0,1]
	scratch_store_dwordx2 off, v[2:3], off offset:112
	s_and_saveexec_b64 s[0:1], vcc
	s_cbranch_execz .LBB115_299
; %bb.298:
	scratch_load_dwordx2 v[2:3], off, off offset:104
	v_mov_b32_e32 v119, v118
	scratch_store_dwordx2 off, v[118:119], off offset:104
	s_waitcnt vmcnt(1)
	ds_write_b64 v1, v[2:3]
.LBB115_299:
	s_or_b64 exec, exec, s[0:1]
	s_waitcnt lgkmcnt(0)
	; wave barrier
	scratch_load_dwordx4 v[2:5], off, off offset:112
	scratch_load_dwordx4 v[6:9], off, off offset:128
	;; [unrolled: 1-line block ×13, first 2 shown]
	ds_read_b128 v[114:117], v118 offset:528
	ds_read_b128 v[110:113], v118 offset:544
	;; [unrolled: 1-line block ×14, first 2 shown]
	scratch_load_dwordx4 v[62:65], off, off offset:320
	scratch_load_dwordx4 v[70:73], off, off offset:336
	scratch_load_dwordx2 v[142:143], off, off offset:104
	v_cmp_lt_u32_e32 vcc, 12, v0
	s_waitcnt vmcnt(15) lgkmcnt(13)
	v_mul_f32_e32 v119, v114, v3
	v_mul_f32_e32 v120, v116, v5
	v_fmac_f32_e32 v119, v115, v2
	s_waitcnt vmcnt(14) lgkmcnt(12)
	v_mul_f32_e32 v121, v110, v7
	v_fmac_f32_e32 v120, v117, v4
	v_add_f32_e32 v119, 0, v119
	v_mul_f32_e32 v122, v112, v9
	v_fmac_f32_e32 v121, v111, v6
	v_add_f32_e32 v119, v119, v120
	s_waitcnt vmcnt(13) lgkmcnt(11)
	v_mul_f32_e32 v123, v106, v11
	v_fmac_f32_e32 v122, v113, v8
	v_add_f32_e32 v119, v119, v121
	v_mul_f32_e32 v124, v108, v13
	v_fmac_f32_e32 v123, v107, v10
	v_add_f32_e32 v119, v119, v122
	;; [unrolled: 7-line block ×11, first 2 shown]
	s_waitcnt vmcnt(3) lgkmcnt(1)
	v_mul_f32_e32 v147, v54, v51
	v_fmac_f32_e32 v146, v69, v48
	v_add_f32_e32 v119, v119, v145
	v_fmac_f32_e32 v147, v55, v50
	v_add_f32_e32 v119, v119, v146
	v_mul_f32_e32 v120, v56, v53
	v_add_f32_e32 v119, v119, v147
	v_fmac_f32_e32 v120, v57, v52
	v_add_f32_e32 v119, v119, v120
	s_waitcnt vmcnt(2) lgkmcnt(0)
	v_mul_f32_e32 v120, v58, v63
	v_fmac_f32_e32 v120, v59, v62
	v_mul_f32_e32 v124, v60, v65
	v_add_f32_e32 v119, v119, v120
	v_fmac_f32_e32 v124, v61, v64
	ds_read_b128 v[120:123], v118 offset:752
	v_add_f32_e32 v145, v119, v124
	ds_read_b128 v[124:127], v118 offset:768
	scratch_load_dwordx4 v[128:131], off, off offset:352
	scratch_load_dwordx4 v[132:135], off, off offset:368
	;; [unrolled: 1-line block ×4, first 2 shown]
	v_mul_f32_e32 v3, v115, v3
	v_fma_f32 v2, v114, v2, -v3
	v_mul_f32_e32 v3, v117, v5
	v_add_f32_e32 v2, 0, v2
	v_fma_f32 v3, v116, v4, -v3
	v_add_f32_e32 v2, v2, v3
	v_mul_f32_e32 v3, v111, v7
	v_fma_f32 v3, v110, v6, -v3
	v_add_f32_e32 v2, v2, v3
	v_mul_f32_e32 v3, v113, v9
	;; [unrolled: 3-line block ×26, first 2 shown]
	v_fma_f32 v3, v60, v64, -v3
	s_waitcnt vmcnt(5) lgkmcnt(1)
	v_mul_f32_e32 v147, v120, v71
	v_add_f32_e32 v144, v2, v3
	v_mul_f32_e32 v2, v121, v71
	s_waitcnt vmcnt(3) lgkmcnt(0)
	v_pk_mul_f32 v[16:17], v[124:125], v[128:129] op_sel:[1,1] op_sel_hi:[0,1]
	v_fmac_f32_e32 v147, v121, v70
	v_mul_f32_e32 v149, v122, v73
	v_fma_f32 v146, v120, v70, -v2
	v_mul_f32_e32 v2, v123, v73
	v_pk_fma_f32 v[18:19], v[124:125], v[128:129], v[16:17] neg_lo:[0,0,1] neg_hi:[0,0,1]
	v_pk_fma_f32 v[16:17], v[124:125], v[128:129], v[16:17] op_sel_hi:[1,0,1]
	v_fmac_f32_e32 v149, v123, v72
	v_fma_f32 v148, v122, v72, -v2
	ds_read_b128 v[2:5], v118 offset:784
	ds_read_b128 v[6:9], v118 offset:800
	;; [unrolled: 1-line block ×3, first 2 shown]
	v_pk_add_f32 v[14:15], v[144:145], v[146:147]
	v_mov_b32_e32 v16, v131
	v_pk_add_f32 v[14:15], v[14:15], v[148:149]
	v_mov_b32_e32 v19, v17
	v_pk_mul_f32 v[16:17], v[126:127], v[16:17] op_sel:[1,0] op_sel_hi:[0,0]
	v_pk_add_f32 v[14:15], v[14:15], v[18:19]
	v_pk_fma_f32 v[18:19], v[126:127], v[130:131], v[16:17] neg_lo:[0,0,1] neg_hi:[0,0,1]
	v_pk_fma_f32 v[16:17], v[126:127], v[130:131], v[16:17] op_sel_hi:[1,0,1]
	s_nop 0
	v_mov_b32_e32 v19, v17
	s_waitcnt vmcnt(2) lgkmcnt(2)
	v_pk_mul_f32 v[16:17], v[2:3], v[132:133] op_sel:[1,1] op_sel_hi:[0,1]
	v_pk_add_f32 v[14:15], v[14:15], v[18:19]
	v_pk_fma_f32 v[18:19], v[2:3], v[132:133], v[16:17] neg_lo:[0,0,1] neg_hi:[0,0,1]
	v_pk_fma_f32 v[2:3], v[2:3], v[132:133], v[16:17] op_sel_hi:[1,0,1]
	s_nop 0
	v_mov_b32_e32 v19, v3
	v_pk_add_f32 v[2:3], v[14:15], v[18:19]
	v_mov_b32_e32 v14, v135
	v_pk_mul_f32 v[14:15], v[4:5], v[14:15] op_sel:[1,0] op_sel_hi:[0,0]
	v_pk_fma_f32 v[16:17], v[4:5], v[134:135], v[14:15] neg_lo:[0,0,1] neg_hi:[0,0,1]
	v_pk_fma_f32 v[4:5], v[4:5], v[134:135], v[14:15] op_sel_hi:[1,0,1]
	s_nop 0
	v_mov_b32_e32 v17, v5
	s_waitcnt vmcnt(1) lgkmcnt(1)
	v_pk_mul_f32 v[4:5], v[6:7], v[136:137] op_sel:[1,1] op_sel_hi:[0,1]
	v_pk_fma_f32 v[14:15], v[6:7], v[136:137], v[4:5] neg_lo:[0,0,1] neg_hi:[0,0,1]
	v_pk_fma_f32 v[4:5], v[6:7], v[136:137], v[4:5] op_sel_hi:[1,0,1]
	v_pk_add_f32 v[2:3], v[2:3], v[16:17]
	v_mov_b32_e32 v4, v139
	v_mov_b32_e32 v15, v5
	v_pk_mul_f32 v[4:5], v[8:9], v[4:5] op_sel:[1,0] op_sel_hi:[0,0]
	v_pk_fma_f32 v[6:7], v[8:9], v[138:139], v[4:5] neg_lo:[0,0,1] neg_hi:[0,0,1]
	v_pk_fma_f32 v[4:5], v[8:9], v[138:139], v[4:5] op_sel_hi:[1,0,1]
	v_pk_add_f32 v[2:3], v[2:3], v[14:15]
	v_mov_b32_e32 v7, v5
	s_waitcnt vmcnt(0) lgkmcnt(0)
	v_pk_mul_f32 v[4:5], v[10:11], v[244:245] op_sel:[1,1] op_sel_hi:[0,1]
	v_pk_add_f32 v[2:3], v[2:3], v[6:7]
	v_pk_fma_f32 v[6:7], v[10:11], v[244:245], v[4:5] neg_lo:[0,0,1] neg_hi:[0,0,1]
	v_pk_fma_f32 v[4:5], v[10:11], v[244:245], v[4:5] op_sel_hi:[1,0,1]
	s_nop 0
	v_mov_b32_e32 v4, v247
	v_mov_b32_e32 v7, v5
	v_pk_mul_f32 v[4:5], v[12:13], v[4:5] op_sel:[1,0] op_sel_hi:[0,0]
	v_pk_add_f32 v[2:3], v[2:3], v[6:7]
	v_pk_fma_f32 v[6:7], v[12:13], v[246:247], v[4:5] neg_lo:[0,0,1] neg_hi:[0,0,1]
	v_pk_fma_f32 v[4:5], v[12:13], v[246:247], v[4:5] op_sel_hi:[1,0,1]
	s_nop 0
	v_mov_b32_e32 v7, v5
	v_pk_add_f32 v[2:3], v[2:3], v[6:7]
	s_nop 0
	v_pk_add_f32 v[2:3], v[142:143], v[2:3] neg_lo:[0,1] neg_hi:[0,1]
	scratch_store_dwordx2 off, v[2:3], off offset:104
	s_and_saveexec_b64 s[0:1], vcc
	s_cbranch_execz .LBB115_301
; %bb.300:
	scratch_load_dwordx2 v[2:3], off, off offset:96
	v_mov_b32_e32 v4, 0
	v_mov_b32_e32 v5, v4
	scratch_store_dwordx2 off, v[4:5], off offset:96
	s_waitcnt vmcnt(1)
	ds_write_b64 v1, v[2:3]
.LBB115_301:
	s_or_b64 exec, exec, s[0:1]
	s_waitcnt lgkmcnt(0)
	; wave barrier
	scratch_load_dwordx4 v[2:5], off, off offset:104
	scratch_load_dwordx4 v[6:9], off, off offset:120
	;; [unrolled: 1-line block ×16, first 2 shown]
	scratch_load_dwordx2 v[142:143], off, off offset:96
	v_mov_b32_e32 v102, 0
	ds_read2_b64 v[66:69], v102 offset0:65 offset1:66
	ds_read2_b64 v[70:73], v102 offset0:67 offset1:68
	;; [unrolled: 1-line block ×14, first 2 shown]
	v_cmp_lt_u32_e32 vcc, 11, v0
	s_waitcnt vmcnt(16) lgkmcnt(13)
	v_mul_f32_e32 v103, v66, v3
	v_mul_f32_e32 v124, v68, v5
	v_fmac_f32_e32 v103, v67, v2
	s_waitcnt vmcnt(15) lgkmcnt(12)
	v_mul_f32_e32 v125, v70, v7
	v_fmac_f32_e32 v124, v69, v4
	v_add_f32_e32 v103, 0, v103
	v_mul_f32_e32 v126, v72, v9
	v_fmac_f32_e32 v125, v71, v6
	v_add_f32_e32 v103, v103, v124
	s_waitcnt vmcnt(14) lgkmcnt(11)
	v_mul_f32_e32 v127, v74, v11
	v_fmac_f32_e32 v126, v73, v8
	v_add_f32_e32 v103, v103, v125
	v_mul_f32_e32 v128, v76, v13
	v_fmac_f32_e32 v127, v75, v10
	v_add_f32_e32 v103, v103, v126
	;; [unrolled: 7-line block ×11, first 2 shown]
	v_fmac_f32_e32 v150, v115, v48
	v_add_f32_e32 v103, v103, v149
	s_waitcnt vmcnt(4) lgkmcnt(1)
	v_mul_f32_e32 v124, v116, v51
	v_add_f32_e32 v103, v103, v150
	v_fmac_f32_e32 v124, v117, v50
	v_add_f32_e32 v103, v103, v124
	v_mul_f32_e32 v124, v118, v53
	v_fmac_f32_e32 v124, v119, v52
	v_add_f32_e32 v103, v103, v124
	s_waitcnt vmcnt(3) lgkmcnt(0)
	v_mul_f32_e32 v124, v120, v55
	v_fmac_f32_e32 v124, v121, v54
	v_add_f32_e32 v103, v103, v124
	ds_read2_b64 v[124:127], v102 offset0:93 offset1:94
	v_mul_f32_e32 v128, v122, v57
	v_fmac_f32_e32 v128, v123, v56
	v_add_f32_e32 v103, v103, v128
	ds_read2_b64 v[128:131], v102 offset0:95 offset1:96
	s_waitcnt vmcnt(2) lgkmcnt(1)
	v_mul_f32_e32 v132, v124, v63
	v_fmac_f32_e32 v132, v125, v62
	v_add_f32_e32 v145, v103, v132
	scratch_load_dwordx4 v[132:135], off, off offset:360
	scratch_load_dwordx4 v[136:139], off, off offset:376
	;; [unrolled: 1-line block ×3, first 2 shown]
	scratch_load_dwordx2 v[150:151], off, off offset:408
	v_mul_f32_e32 v3, v67, v3
	v_fma_f32 v2, v66, v2, -v3
	v_mul_f32_e32 v3, v69, v5
	v_add_f32_e32 v2, 0, v2
	v_fma_f32 v3, v68, v4, -v3
	v_add_f32_e32 v2, v2, v3
	v_mul_f32_e32 v3, v71, v7
	v_fma_f32 v3, v70, v6, -v3
	v_add_f32_e32 v2, v2, v3
	v_mul_f32_e32 v3, v73, v9
	v_fma_f32 v3, v72, v8, -v3
	v_add_f32_e32 v2, v2, v3
	v_mul_f32_e32 v3, v75, v11
	v_fma_f32 v3, v74, v10, -v3
	v_add_f32_e32 v2, v2, v3
	v_mul_f32_e32 v3, v77, v13
	v_fma_f32 v3, v76, v12, -v3
	v_add_f32_e32 v2, v2, v3
	v_mul_f32_e32 v3, v79, v15
	v_fma_f32 v3, v78, v14, -v3
	v_add_f32_e32 v2, v2, v3
	v_mul_f32_e32 v3, v81, v17
	v_fma_f32 v3, v80, v16, -v3
	v_add_f32_e32 v2, v2, v3
	v_mul_f32_e32 v3, v83, v19
	v_fma_f32 v3, v82, v18, -v3
	v_add_f32_e32 v2, v2, v3
	v_mul_f32_e32 v3, v85, v21
	v_fma_f32 v3, v84, v20, -v3
	v_add_f32_e32 v2, v2, v3
	v_mul_f32_e32 v3, v87, v23
	v_fma_f32 v3, v86, v22, -v3
	v_add_f32_e32 v2, v2, v3
	v_mul_f32_e32 v3, v89, v25
	v_fma_f32 v3, v88, v24, -v3
	v_add_f32_e32 v2, v2, v3
	v_mul_f32_e32 v3, v91, v27
	v_fma_f32 v3, v90, v26, -v3
	v_add_f32_e32 v2, v2, v3
	v_mul_f32_e32 v3, v93, v29
	v_fma_f32 v3, v92, v28, -v3
	v_add_f32_e32 v2, v2, v3
	v_mul_f32_e32 v3, v95, v31
	v_fma_f32 v3, v94, v30, -v3
	v_add_f32_e32 v2, v2, v3
	v_mul_f32_e32 v3, v97, v33
	v_fma_f32 v3, v96, v32, -v3
	v_add_f32_e32 v2, v2, v3
	v_mul_f32_e32 v3, v99, v35
	v_fma_f32 v3, v98, v34, -v3
	v_add_f32_e32 v2, v2, v3
	v_mul_f32_e32 v3, v101, v37
	v_fma_f32 v3, v100, v36, -v3
	v_add_f32_e32 v2, v2, v3
	v_mul_f32_e32 v3, v105, v39
	v_fma_f32 v3, v104, v38, -v3
	v_add_f32_e32 v2, v2, v3
	v_mul_f32_e32 v3, v107, v41
	v_fma_f32 v3, v106, v40, -v3
	v_add_f32_e32 v2, v2, v3
	v_mul_f32_e32 v3, v109, v43
	v_fma_f32 v3, v108, v42, -v3
	v_add_f32_e32 v2, v2, v3
	v_mul_f32_e32 v3, v111, v45
	v_fma_f32 v3, v110, v44, -v3
	v_add_f32_e32 v2, v2, v3
	v_mul_f32_e32 v3, v113, v47
	v_fma_f32 v3, v112, v46, -v3
	v_add_f32_e32 v2, v2, v3
	v_mul_f32_e32 v3, v115, v49
	v_fma_f32 v3, v114, v48, -v3
	v_add_f32_e32 v2, v2, v3
	v_mul_f32_e32 v3, v117, v51
	v_fma_f32 v3, v116, v50, -v3
	v_add_f32_e32 v2, v2, v3
	v_mul_f32_e32 v3, v119, v53
	v_fma_f32 v3, v118, v52, -v3
	v_add_f32_e32 v2, v2, v3
	v_mul_f32_e32 v3, v121, v55
	v_fma_f32 v3, v120, v54, -v3
	v_add_f32_e32 v2, v2, v3
	v_mul_f32_e32 v3, v123, v57
	v_fma_f32 v3, v122, v56, -v3
	v_add_f32_e32 v2, v2, v3
	v_mul_f32_e32 v3, v125, v63
	v_fma_f32 v3, v124, v62, -v3
	v_add_f32_e32 v144, v2, v3
	v_mul_f32_e32 v2, v127, v65
	v_mul_f32_e32 v147, v126, v65
	v_fma_f32 v146, v126, v64, -v2
	s_waitcnt vmcnt(5) lgkmcnt(0)
	v_mul_f32_e32 v2, v129, v59
	v_mov_b32_e32 v18, v61
	v_fmac_f32_e32 v147, v127, v64
	v_mul_f32_e32 v149, v128, v59
	v_fma_f32 v148, v128, v58, -v2
	ds_read2_b64 v[2:5], v102 offset0:97 offset1:98
	ds_read2_b64 v[6:9], v102 offset0:99 offset1:100
	;; [unrolled: 1-line block ×3, first 2 shown]
	ds_read_b64 v[14:15], v102 offset:824
	v_pk_mul_f32 v[18:19], v[130:131], v[18:19] op_sel:[1,0] op_sel_hi:[0,0]
	v_fmac_f32_e32 v149, v129, v58
	v_pk_add_f32 v[16:17], v[144:145], v[146:147]
	v_pk_fma_f32 v[20:21], v[130:131], v[60:61], v[18:19] neg_lo:[0,0,1] neg_hi:[0,0,1]
	v_pk_fma_f32 v[18:19], v[130:131], v[60:61], v[18:19] op_sel_hi:[1,0,1]
	v_pk_add_f32 v[16:17], v[16:17], v[148:149]
	v_mov_b32_e32 v21, v19
	s_waitcnt vmcnt(3) lgkmcnt(3)
	v_pk_mul_f32 v[18:19], v[2:3], v[132:133] op_sel:[1,1] op_sel_hi:[0,1]
	v_pk_add_f32 v[16:17], v[16:17], v[20:21]
	v_pk_fma_f32 v[20:21], v[2:3], v[132:133], v[18:19] neg_lo:[0,0,1] neg_hi:[0,0,1]
	v_pk_fma_f32 v[2:3], v[2:3], v[132:133], v[18:19] op_sel_hi:[1,0,1]
	s_nop 0
	v_mov_b32_e32 v21, v3
	v_pk_add_f32 v[2:3], v[16:17], v[20:21]
	v_mov_b32_e32 v16, v135
	v_pk_mul_f32 v[16:17], v[4:5], v[16:17] op_sel:[1,0] op_sel_hi:[0,0]
	v_pk_fma_f32 v[18:19], v[4:5], v[134:135], v[16:17] neg_lo:[0,0,1] neg_hi:[0,0,1]
	v_pk_fma_f32 v[4:5], v[4:5], v[134:135], v[16:17] op_sel_hi:[1,0,1]
	s_nop 0
	v_mov_b32_e32 v19, v5
	s_waitcnt vmcnt(2) lgkmcnt(2)
	v_pk_mul_f32 v[4:5], v[6:7], v[136:137] op_sel:[1,1] op_sel_hi:[0,1]
	v_pk_fma_f32 v[16:17], v[6:7], v[136:137], v[4:5] neg_lo:[0,0,1] neg_hi:[0,0,1]
	v_pk_fma_f32 v[4:5], v[6:7], v[136:137], v[4:5] op_sel_hi:[1,0,1]
	v_pk_add_f32 v[2:3], v[2:3], v[18:19]
	v_mov_b32_e32 v4, v139
	v_mov_b32_e32 v17, v5
	v_pk_mul_f32 v[4:5], v[8:9], v[4:5] op_sel:[1,0] op_sel_hi:[0,0]
	v_pk_fma_f32 v[6:7], v[8:9], v[138:139], v[4:5] neg_lo:[0,0,1] neg_hi:[0,0,1]
	v_pk_fma_f32 v[4:5], v[8:9], v[138:139], v[4:5] op_sel_hi:[1,0,1]
	v_pk_add_f32 v[2:3], v[2:3], v[16:17]
	v_mov_b32_e32 v7, v5
	s_waitcnt vmcnt(1) lgkmcnt(1)
	v_pk_mul_f32 v[4:5], v[10:11], v[244:245] op_sel:[1,1] op_sel_hi:[0,1]
	v_pk_add_f32 v[2:3], v[2:3], v[6:7]
	v_pk_fma_f32 v[6:7], v[10:11], v[244:245], v[4:5] neg_lo:[0,0,1] neg_hi:[0,0,1]
	v_pk_fma_f32 v[4:5], v[10:11], v[244:245], v[4:5] op_sel_hi:[1,0,1]
	s_nop 0
	v_mov_b32_e32 v4, v247
	v_mov_b32_e32 v7, v5
	v_pk_mul_f32 v[4:5], v[12:13], v[4:5] op_sel:[1,0] op_sel_hi:[0,0]
	v_pk_add_f32 v[2:3], v[2:3], v[6:7]
	v_pk_fma_f32 v[6:7], v[12:13], v[246:247], v[4:5] neg_lo:[0,0,1] neg_hi:[0,0,1]
	v_pk_fma_f32 v[4:5], v[12:13], v[246:247], v[4:5] op_sel_hi:[1,0,1]
	s_nop 0
	v_mov_b32_e32 v7, v5
	s_waitcnt vmcnt(0) lgkmcnt(0)
	v_pk_mul_f32 v[4:5], v[14:15], v[150:151] op_sel:[1,1] op_sel_hi:[0,1]
	v_pk_add_f32 v[2:3], v[2:3], v[6:7]
	v_pk_fma_f32 v[6:7], v[14:15], v[150:151], v[4:5] neg_lo:[0,0,1] neg_hi:[0,0,1]
	v_pk_fma_f32 v[4:5], v[14:15], v[150:151], v[4:5] op_sel_hi:[1,0,1]
	s_nop 0
	v_mov_b32_e32 v7, v5
	v_pk_add_f32 v[2:3], v[2:3], v[6:7]
	s_nop 0
	v_pk_add_f32 v[2:3], v[142:143], v[2:3] neg_lo:[0,1] neg_hi:[0,1]
	scratch_store_dwordx2 off, v[2:3], off offset:96
	s_and_saveexec_b64 s[0:1], vcc
	s_cbranch_execz .LBB115_303
; %bb.302:
	scratch_load_dwordx2 v[2:3], off, off offset:88
	v_mov_b32_e32 v103, v102
	scratch_store_dwordx2 off, v[102:103], off offset:88
	s_waitcnt vmcnt(1)
	ds_write_b64 v1, v[2:3]
.LBB115_303:
	s_or_b64 exec, exec, s[0:1]
	s_waitcnt lgkmcnt(0)
	; wave barrier
	scratch_load_dwordx4 v[58:61], off, off offset:96
	scratch_load_dwordx4 v[62:65], off, off offset:112
	;; [unrolled: 1-line block ×13, first 2 shown]
	ds_read_b128 v[110:113], v102 offset:512
	ds_read_b128 v[114:117], v102 offset:528
	;; [unrolled: 1-line block ×14, first 2 shown]
	scratch_load_dwordx4 v[22:25], off, off offset:304
	scratch_load_dwordx4 v[26:29], off, off offset:320
	;; [unrolled: 1-line block ×3, first 2 shown]
	v_cmp_lt_u32_e32 vcc, 10, v0
	s_waitcnt vmcnt(15) lgkmcnt(13)
	v_mul_f32_e32 v34, v110, v59
	v_mul_f32_e32 v35, v112, v61
	v_fmac_f32_e32 v34, v111, v58
	s_waitcnt vmcnt(14) lgkmcnt(12)
	v_mul_f32_e32 v36, v114, v63
	v_fmac_f32_e32 v35, v113, v60
	v_add_f32_e32 v34, 0, v34
	v_mul_f32_e32 v37, v116, v65
	v_fmac_f32_e32 v36, v115, v62
	v_add_f32_e32 v34, v34, v35
	s_waitcnt vmcnt(13) lgkmcnt(11)
	v_mul_f32_e32 v38, v118, v67
	v_fmac_f32_e32 v37, v117, v64
	v_add_f32_e32 v34, v34, v36
	v_mul_f32_e32 v39, v120, v69
	v_fmac_f32_e32 v38, v119, v66
	v_add_f32_e32 v34, v34, v37
	;; [unrolled: 7-line block ×6, first 2 shown]
	v_mul_f32_e32 v59, v111, v59
	s_waitcnt vmcnt(8) lgkmcnt(6)
	v_mul_f32_e32 v48, v244, v87
	v_fmac_f32_e32 v47, v137, v84
	v_add_f32_e32 v34, v34, v46
	v_fma_f32 v58, v110, v58, -v59
	v_mul_f32_e32 v59, v113, v61
	v_mul_f32_e32 v49, v246, v89
	v_fmac_f32_e32 v48, v245, v86
	v_add_f32_e32 v34, v34, v47
	v_add_f32_e32 v58, 0, v58
	v_fma_f32 v59, v112, v60, -v59
	s_waitcnt vmcnt(7) lgkmcnt(5)
	v_mul_f32_e32 v50, v248, v91
	v_fmac_f32_e32 v49, v247, v88
	v_add_f32_e32 v34, v34, v48
	v_add_f32_e32 v58, v58, v59
	v_mul_f32_e32 v59, v115, v63
	v_mul_f32_e32 v51, v250, v93
	v_fmac_f32_e32 v50, v249, v90
	v_add_f32_e32 v34, v34, v49
	v_fma_f32 v59, v114, v62, -v59
	s_waitcnt vmcnt(6) lgkmcnt(4)
	v_mul_f32_e32 v52, v252, v95
	v_fmac_f32_e32 v51, v251, v92
	v_add_f32_e32 v34, v34, v50
	v_add_f32_e32 v58, v58, v59
	v_mul_f32_e32 v59, v117, v65
	v_mul_f32_e32 v53, v254, v97
	v_fmac_f32_e32 v52, v253, v94
	;; [unrolled: 10-line block ×4, first 2 shown]
	v_add_f32_e32 v34, v34, v55
	v_fma_f32 v59, v120, v68, -v59
	s_waitcnt vmcnt(3) lgkmcnt(1)
	v_mul_f32_e32 v103, v10, v7
	v_fmac_f32_e32 v57, v17, v4
	v_add_f32_e32 v34, v34, v56
	v_add_f32_e32 v58, v58, v59
	v_mul_f32_e32 v59, v123, v71
	v_fmac_f32_e32 v103, v11, v6
	v_add_f32_e32 v34, v34, v57
	v_mul_f32_e32 v35, v12, v9
	v_fma_f32 v59, v122, v70, -v59
	v_add_f32_e32 v34, v34, v103
	v_fmac_f32_e32 v35, v13, v8
	ds_read_b128 v[50:53], v102 offset:736
	ds_read_b128 v[54:57], v102 offset:752
	v_add_f32_e32 v58, v58, v59
	v_mul_f32_e32 v59, v125, v73
	v_add_f32_e32 v34, v34, v35
	s_waitcnt vmcnt(2) lgkmcnt(2)
	v_mul_f32_e32 v35, v18, v23
	v_fma_f32 v59, v124, v72, -v59
	v_fmac_f32_e32 v35, v19, v22
	v_add_f32_e32 v58, v58, v59
	v_mul_f32_e32 v59, v127, v75
	v_add_f32_e32 v34, v34, v35
	v_mul_f32_e32 v35, v20, v25
	v_fma_f32 v59, v126, v74, -v59
	v_fmac_f32_e32 v35, v21, v24
	v_add_f32_e32 v58, v58, v59
	v_mul_f32_e32 v59, v129, v77
	v_add_f32_e32 v34, v34, v35
	s_waitcnt vmcnt(1) lgkmcnt(1)
	v_mul_f32_e32 v35, v50, v27
	v_fma_f32 v59, v128, v76, -v59
	v_fmac_f32_e32 v35, v51, v26
	v_add_f32_e32 v58, v58, v59
	v_mul_f32_e32 v59, v131, v79
	v_add_f32_e32 v34, v34, v35
	v_mul_f32_e32 v35, v52, v29
	v_fma_f32 v59, v130, v78, -v59
	v_fmac_f32_e32 v35, v53, v28
	v_add_f32_e32 v58, v58, v59
	v_mul_f32_e32 v59, v133, v81
	v_add_f32_e32 v105, v34, v35
	scratch_load_dwordx4 v[46:49], off, off offset:352
	scratch_load_dwordx4 v[42:45], off, off offset:368
	;; [unrolled: 1-line block ×4, first 2 shown]
	v_fma_f32 v59, v132, v80, -v59
	v_add_f32_e32 v58, v58, v59
	v_mul_f32_e32 v59, v135, v83
	v_fma_f32 v59, v134, v82, -v59
	v_add_f32_e32 v58, v58, v59
	v_mul_f32_e32 v59, v137, v85
	;; [unrolled: 3-line block ×10, first 2 shown]
	v_fma_f32 v61, v144, v100, -v58
	scratch_load_dwordx2 v[58:59], off, off offset:88
	v_mul_f32_e32 v3, v15, v3
	v_add_f32_e32 v60, v60, v61
	v_fma_f32 v2, v14, v2, -v3
	v_mul_f32_e32 v3, v17, v5
	v_add_f32_e32 v2, v60, v2
	v_fma_f32 v3, v16, v4, -v3
	v_add_f32_e32 v2, v2, v3
	v_mul_f32_e32 v3, v11, v7
	v_fma_f32 v3, v10, v6, -v3
	v_add_f32_e32 v2, v2, v3
	v_mul_f32_e32 v3, v13, v9
	;; [unrolled: 3-line block ×6, first 2 shown]
	v_fma_f32 v3, v52, v28, -v3
	v_add_f32_e32 v104, v2, v3
	s_waitcnt vmcnt(5) lgkmcnt(0)
	v_mul_f32_e32 v2, v55, v31
	v_fma_f32 v106, v54, v30, -v2
	v_mul_f32_e32 v2, v57, v33
	v_fma_f32 v108, v56, v32, -v2
	ds_read_b128 v[2:5], v102 offset:768
	ds_read_b128 v[6:9], v102 offset:784
	;; [unrolled: 1-line block ×4, first 2 shown]
	v_mul_f32_e32 v107, v54, v31
	v_fmac_f32_e32 v107, v55, v30
	v_mul_f32_e32 v109, v56, v33
	v_fmac_f32_e32 v109, v57, v32
	v_pk_add_f32 v[18:19], v[104:105], v[106:107]
	s_waitcnt vmcnt(4) lgkmcnt(3)
	v_pk_mul_f32 v[20:21], v[2:3], v[46:47] op_sel:[1,1] op_sel_hi:[0,1]
	v_pk_fma_f32 v[22:23], v[2:3], v[46:47], v[20:21] neg_lo:[0,0,1] neg_hi:[0,0,1]
	v_pk_fma_f32 v[2:3], v[2:3], v[46:47], v[20:21] op_sel_hi:[1,0,1]
	v_pk_add_f32 v[18:19], v[18:19], v[108:109]
	v_mov_b32_e32 v23, v3
	v_pk_add_f32 v[2:3], v[18:19], v[22:23]
	v_mov_b32_e32 v18, v49
	v_pk_mul_f32 v[18:19], v[4:5], v[18:19] op_sel:[1,0] op_sel_hi:[0,0]
	v_pk_fma_f32 v[20:21], v[4:5], v[48:49], v[18:19] neg_lo:[0,0,1] neg_hi:[0,0,1]
	v_pk_fma_f32 v[4:5], v[4:5], v[48:49], v[18:19] op_sel_hi:[1,0,1]
	s_nop 0
	v_mov_b32_e32 v21, v5
	s_waitcnt vmcnt(3) lgkmcnt(2)
	v_pk_mul_f32 v[4:5], v[6:7], v[42:43] op_sel:[1,1] op_sel_hi:[0,1]
	v_pk_fma_f32 v[18:19], v[6:7], v[42:43], v[4:5] neg_lo:[0,0,1] neg_hi:[0,0,1]
	v_pk_fma_f32 v[4:5], v[6:7], v[42:43], v[4:5] op_sel_hi:[1,0,1]
	v_pk_add_f32 v[2:3], v[2:3], v[20:21]
	v_mov_b32_e32 v4, v45
	v_mov_b32_e32 v19, v5
	v_pk_mul_f32 v[4:5], v[8:9], v[4:5] op_sel:[1,0] op_sel_hi:[0,0]
	v_pk_fma_f32 v[6:7], v[8:9], v[44:45], v[4:5] neg_lo:[0,0,1] neg_hi:[0,0,1]
	v_pk_fma_f32 v[4:5], v[8:9], v[44:45], v[4:5] op_sel_hi:[1,0,1]
	v_pk_add_f32 v[2:3], v[2:3], v[18:19]
	v_mov_b32_e32 v7, v5
	s_waitcnt vmcnt(2) lgkmcnt(1)
	v_pk_mul_f32 v[4:5], v[10:11], v[38:39] op_sel:[1,1] op_sel_hi:[0,1]
	v_pk_add_f32 v[2:3], v[2:3], v[6:7]
	v_pk_fma_f32 v[6:7], v[10:11], v[38:39], v[4:5] neg_lo:[0,0,1] neg_hi:[0,0,1]
	v_pk_fma_f32 v[4:5], v[10:11], v[38:39], v[4:5] op_sel_hi:[1,0,1]
	s_nop 0
	v_mov_b32_e32 v4, v41
	v_mov_b32_e32 v7, v5
	v_pk_mul_f32 v[4:5], v[12:13], v[4:5] op_sel:[1,0] op_sel_hi:[0,0]
	v_pk_add_f32 v[2:3], v[2:3], v[6:7]
	v_pk_fma_f32 v[6:7], v[12:13], v[40:41], v[4:5] neg_lo:[0,0,1] neg_hi:[0,0,1]
	v_pk_fma_f32 v[4:5], v[12:13], v[40:41], v[4:5] op_sel_hi:[1,0,1]
	s_nop 0
	v_mov_b32_e32 v7, v5
	s_waitcnt vmcnt(1) lgkmcnt(0)
	v_pk_mul_f32 v[4:5], v[14:15], v[34:35] op_sel:[1,1] op_sel_hi:[0,1]
	v_pk_add_f32 v[2:3], v[2:3], v[6:7]
	v_pk_fma_f32 v[6:7], v[14:15], v[34:35], v[4:5] neg_lo:[0,0,1] neg_hi:[0,0,1]
	v_pk_fma_f32 v[4:5], v[14:15], v[34:35], v[4:5] op_sel_hi:[1,0,1]
	s_nop 0
	v_mov_b32_e32 v4, v37
	v_mov_b32_e32 v7, v5
	v_pk_mul_f32 v[4:5], v[16:17], v[4:5] op_sel:[1,0] op_sel_hi:[0,0]
	v_pk_add_f32 v[2:3], v[2:3], v[6:7]
	v_pk_fma_f32 v[6:7], v[16:17], v[36:37], v[4:5] neg_lo:[0,0,1] neg_hi:[0,0,1]
	v_pk_fma_f32 v[4:5], v[16:17], v[36:37], v[4:5] op_sel_hi:[1,0,1]
	s_nop 0
	v_mov_b32_e32 v7, v5
	v_pk_add_f32 v[2:3], v[2:3], v[6:7]
	s_waitcnt vmcnt(0)
	v_pk_add_f32 v[2:3], v[58:59], v[2:3] neg_lo:[0,1] neg_hi:[0,1]
	scratch_store_dwordx2 off, v[2:3], off offset:88
	s_and_saveexec_b64 s[0:1], vcc
	s_cbranch_execz .LBB115_305
; %bb.304:
	scratch_load_dwordx2 v[2:3], off, off offset:80
	v_mov_b32_e32 v4, 0
	v_mov_b32_e32 v5, v4
	scratch_store_dwordx2 off, v[4:5], off offset:80
	s_waitcnt vmcnt(1)
	ds_write_b64 v1, v[2:3]
.LBB115_305:
	s_or_b64 exec, exec, s[0:1]
	s_waitcnt lgkmcnt(0)
	; wave barrier
	scratch_load_dwordx4 v[6:9], off, off offset:88
	scratch_load_dwordx4 v[14:17], off, off offset:104
	;; [unrolled: 1-line block ×10, first 2 shown]
	v_mov_b32_e32 v102, 0
	ds_read2_b64 v[2:5], v102 offset0:63 offset1:64
	scratch_load_dwordx4 v[86:89], off, off offset:248
	scratch_load_dwordx4 v[94:97], off, off offset:264
	;; [unrolled: 1-line block ×7, first 2 shown]
	v_cmp_lt_u32_e32 vcc, 9, v0
	s_waitcnt vmcnt(16) lgkmcnt(0)
	v_mul_f32_e32 v10, v2, v7
	v_fmac_f32_e32 v10, v3, v6
	v_mul_f32_e32 v11, v4, v9
	v_add_f32_e32 v10, 0, v10
	v_fmac_f32_e32 v11, v5, v8
	v_add_f32_e32 v18, v10, v11
	ds_read2_b64 v[10:13], v102 offset0:65 offset1:66
	v_mul_f32_e32 v3, v3, v7
	v_fma_f32 v2, v2, v6, -v3
	v_mul_f32_e32 v3, v5, v9
	v_add_f32_e32 v2, 0, v2
	s_waitcnt vmcnt(15) lgkmcnt(0)
	v_mul_f32_e32 v19, v10, v15
	v_fmac_f32_e32 v19, v11, v14
	v_add_f32_e32 v18, v18, v19
	v_mul_f32_e32 v19, v12, v17
	v_fmac_f32_e32 v19, v13, v16
	v_add_f32_e32 v26, v18, v19
	ds_read2_b64 v[18:21], v102 offset0:67 offset1:68
	v_fma_f32 v3, v4, v8, -v3
	v_add_f32_e32 v2, v2, v3
	v_mul_f32_e32 v3, v11, v15
	v_fma_f32 v3, v10, v14, -v3
	s_waitcnt vmcnt(14) lgkmcnt(0)
	v_mul_f32_e32 v27, v18, v23
	v_fmac_f32_e32 v27, v19, v22
	v_add_f32_e32 v26, v26, v27
	v_mul_f32_e32 v27, v20, v25
	v_fmac_f32_e32 v27, v21, v24
	v_add_f32_e32 v34, v26, v27
	ds_read2_b64 v[26:29], v102 offset0:69 offset1:70
	v_add_f32_e32 v2, v2, v3
	v_mul_f32_e32 v3, v13, v17
	v_fma_f32 v3, v12, v16, -v3
	v_add_f32_e32 v2, v2, v3
	s_waitcnt vmcnt(13) lgkmcnt(0)
	v_mul_f32_e32 v35, v26, v31
	v_fmac_f32_e32 v35, v27, v30
	v_add_f32_e32 v34, v34, v35
	v_mul_f32_e32 v35, v28, v33
	v_fmac_f32_e32 v35, v29, v32
	v_add_f32_e32 v42, v34, v35
	ds_read2_b64 v[34:37], v102 offset0:71 offset1:72
	v_mul_f32_e32 v3, v19, v23
	v_fma_f32 v3, v18, v22, -v3
	v_add_f32_e32 v2, v2, v3
	v_mul_f32_e32 v3, v21, v25
	s_waitcnt vmcnt(12) lgkmcnt(0)
	v_mul_f32_e32 v43, v34, v39
	v_fmac_f32_e32 v43, v35, v38
	v_add_f32_e32 v42, v42, v43
	v_mul_f32_e32 v43, v36, v41
	v_fmac_f32_e32 v43, v37, v40
	v_add_f32_e32 v50, v42, v43
	ds_read2_b64 v[42:45], v102 offset0:73 offset1:74
	v_fma_f32 v3, v20, v24, -v3
	v_add_f32_e32 v2, v2, v3
	v_mul_f32_e32 v3, v27, v31
	v_fma_f32 v3, v26, v30, -v3
	s_waitcnt vmcnt(11) lgkmcnt(0)
	v_mul_f32_e32 v51, v42, v47
	v_fmac_f32_e32 v51, v43, v46
	v_add_f32_e32 v50, v50, v51
	v_mul_f32_e32 v51, v44, v49
	v_fmac_f32_e32 v51, v45, v48
	v_add_f32_e32 v58, v50, v51
	ds_read2_b64 v[50:53], v102 offset0:75 offset1:76
	v_add_f32_e32 v2, v2, v3
	v_mul_f32_e32 v3, v29, v33
	v_fma_f32 v3, v28, v32, -v3
	v_add_f32_e32 v2, v2, v3
	s_waitcnt vmcnt(10) lgkmcnt(0)
	v_mul_f32_e32 v59, v50, v55
	v_fmac_f32_e32 v59, v51, v54
	v_add_f32_e32 v58, v58, v59
	v_mul_f32_e32 v59, v52, v57
	v_fmac_f32_e32 v59, v53, v56
	v_add_f32_e32 v66, v58, v59
	ds_read2_b64 v[58:61], v102 offset0:77 offset1:78
	v_mul_f32_e32 v3, v35, v39
	v_fma_f32 v3, v34, v38, -v3
	v_add_f32_e32 v2, v2, v3
	v_mul_f32_e32 v3, v37, v41
	;; [unrolled: 36-line block ×4, first 2 shown]
	s_waitcnt vmcnt(3) lgkmcnt(0)
	v_mul_f32_e32 v116, v108, v113
	v_fmac_f32_e32 v116, v109, v112
	v_add_f32_e32 v103, v103, v116
	v_mul_f32_e32 v116, v110, v115
	v_fmac_f32_e32 v116, v111, v114
	v_add_f32_e32 v103, v103, v116
	ds_read2_b64 v[116:119], v102 offset0:91 offset1:92
	v_fma_f32 v3, v68, v72, -v3
	v_add_f32_e32 v2, v2, v3
	v_mul_f32_e32 v3, v75, v79
	v_fma_f32 v3, v74, v78, -v3
	s_waitcnt vmcnt(2) lgkmcnt(0)
	v_mul_f32_e32 v124, v116, v121
	v_fmac_f32_e32 v124, v117, v120
	v_add_f32_e32 v103, v103, v124
	v_mul_f32_e32 v124, v118, v123
	v_fmac_f32_e32 v124, v119, v122
	v_add_f32_e32 v103, v103, v124
	ds_read2_b64 v[124:127], v102 offset0:93 offset1:94
	v_add_f32_e32 v2, v2, v3
	v_mul_f32_e32 v3, v77, v81
	v_fma_f32 v3, v76, v80, -v3
	v_add_f32_e32 v2, v2, v3
	s_waitcnt vmcnt(1) lgkmcnt(0)
	v_mul_f32_e32 v132, v124, v129
	v_fmac_f32_e32 v132, v125, v128
	v_add_f32_e32 v147, v103, v132
	ds_read2_b64 v[132:135], v102 offset0:95 offset1:96
	scratch_load_dwordx4 v[142:145], off, off offset:360
	scratch_load_dwordx4 v[244:247], off, off offset:376
	;; [unrolled: 1-line block ×3, first 2 shown]
	scratch_load_dwordx2 v[152:153], off, off offset:408
	v_mul_f32_e32 v3, v83, v87
	v_fma_f32 v3, v82, v86, -v3
	v_add_f32_e32 v2, v2, v3
	v_mul_f32_e32 v3, v85, v89
	v_fma_f32 v3, v84, v88, -v3
	v_add_f32_e32 v2, v2, v3
	;; [unrolled: 3-line block ×11, first 2 shown]
	v_mul_f32_e32 v2, v127, v131
	v_mul_f32_e32 v149, v126, v131
	v_fma_f32 v148, v126, v130, -v2
	s_waitcnt vmcnt(4) lgkmcnt(0)
	v_mul_f32_e32 v2, v133, v137
	v_mov_b32_e32 v18, v139
	v_fmac_f32_e32 v149, v127, v130
	v_mul_f32_e32 v151, v132, v137
	v_fma_f32 v150, v132, v136, -v2
	ds_read2_b64 v[2:5], v102 offset0:97 offset1:98
	ds_read2_b64 v[6:9], v102 offset0:99 offset1:100
	;; [unrolled: 1-line block ×3, first 2 shown]
	ds_read_b64 v[14:15], v102 offset:824
	v_pk_mul_f32 v[18:19], v[134:135], v[18:19] op_sel:[1,0] op_sel_hi:[0,0]
	v_fmac_f32_e32 v151, v133, v136
	v_pk_add_f32 v[16:17], v[146:147], v[148:149]
	v_pk_fma_f32 v[20:21], v[134:135], v[138:139], v[18:19] neg_lo:[0,0,1] neg_hi:[0,0,1]
	v_pk_fma_f32 v[18:19], v[134:135], v[138:139], v[18:19] op_sel_hi:[1,0,1]
	v_pk_add_f32 v[16:17], v[16:17], v[150:151]
	v_mov_b32_e32 v21, v19
	v_pk_add_f32 v[16:17], v[16:17], v[20:21]
	s_waitcnt vmcnt(3) lgkmcnt(3)
	v_pk_mul_f32 v[18:19], v[2:3], v[142:143] op_sel:[1,1] op_sel_hi:[0,1]
	v_pk_fma_f32 v[20:21], v[2:3], v[142:143], v[18:19] neg_lo:[0,0,1] neg_hi:[0,0,1]
	v_pk_fma_f32 v[2:3], v[2:3], v[142:143], v[18:19] op_sel_hi:[1,0,1]
	s_nop 0
	v_mov_b32_e32 v21, v3
	v_pk_add_f32 v[2:3], v[16:17], v[20:21]
	v_mov_b32_e32 v16, v145
	v_pk_mul_f32 v[16:17], v[4:5], v[16:17] op_sel:[1,0] op_sel_hi:[0,0]
	v_pk_fma_f32 v[18:19], v[4:5], v[144:145], v[16:17] neg_lo:[0,0,1] neg_hi:[0,0,1]
	v_pk_fma_f32 v[4:5], v[4:5], v[144:145], v[16:17] op_sel_hi:[1,0,1]
	s_nop 0
	v_mov_b32_e32 v19, v5
	s_waitcnt vmcnt(2) lgkmcnt(2)
	v_pk_mul_f32 v[4:5], v[6:7], v[244:245] op_sel:[1,1] op_sel_hi:[0,1]
	v_pk_fma_f32 v[16:17], v[6:7], v[244:245], v[4:5] neg_lo:[0,0,1] neg_hi:[0,0,1]
	v_pk_fma_f32 v[4:5], v[6:7], v[244:245], v[4:5] op_sel_hi:[1,0,1]
	v_pk_add_f32 v[2:3], v[2:3], v[18:19]
	v_mov_b32_e32 v4, v247
	v_mov_b32_e32 v17, v5
	v_pk_mul_f32 v[4:5], v[8:9], v[4:5] op_sel:[1,0] op_sel_hi:[0,0]
	v_pk_fma_f32 v[6:7], v[8:9], v[246:247], v[4:5] neg_lo:[0,0,1] neg_hi:[0,0,1]
	v_pk_fma_f32 v[4:5], v[8:9], v[246:247], v[4:5] op_sel_hi:[1,0,1]
	v_pk_add_f32 v[2:3], v[2:3], v[16:17]
	v_mov_b32_e32 v7, v5
	s_waitcnt vmcnt(1) lgkmcnt(1)
	v_pk_mul_f32 v[4:5], v[10:11], v[248:249] op_sel:[1,1] op_sel_hi:[0,1]
	v_pk_add_f32 v[2:3], v[2:3], v[6:7]
	v_pk_fma_f32 v[6:7], v[10:11], v[248:249], v[4:5] neg_lo:[0,0,1] neg_hi:[0,0,1]
	v_pk_fma_f32 v[4:5], v[10:11], v[248:249], v[4:5] op_sel_hi:[1,0,1]
	s_nop 0
	v_mov_b32_e32 v4, v251
	v_mov_b32_e32 v7, v5
	v_pk_mul_f32 v[4:5], v[12:13], v[4:5] op_sel:[1,0] op_sel_hi:[0,0]
	v_pk_add_f32 v[2:3], v[2:3], v[6:7]
	v_pk_fma_f32 v[6:7], v[12:13], v[250:251], v[4:5] neg_lo:[0,0,1] neg_hi:[0,0,1]
	v_pk_fma_f32 v[4:5], v[12:13], v[250:251], v[4:5] op_sel_hi:[1,0,1]
	s_nop 0
	v_mov_b32_e32 v7, v5
	s_waitcnt vmcnt(0) lgkmcnt(0)
	v_pk_mul_f32 v[4:5], v[14:15], v[152:153] op_sel:[1,1] op_sel_hi:[0,1]
	v_pk_add_f32 v[2:3], v[2:3], v[6:7]
	v_pk_fma_f32 v[6:7], v[14:15], v[152:153], v[4:5] neg_lo:[0,0,1] neg_hi:[0,0,1]
	v_pk_fma_f32 v[4:5], v[14:15], v[152:153], v[4:5] op_sel_hi:[1,0,1]
	s_nop 0
	v_mov_b32_e32 v7, v5
	scratch_load_dwordx2 v[4:5], off, off offset:80
	v_pk_add_f32 v[2:3], v[2:3], v[6:7]
	s_waitcnt vmcnt(0)
	v_pk_add_f32 v[2:3], v[4:5], v[2:3] neg_lo:[0,1] neg_hi:[0,1]
	scratch_store_dwordx2 off, v[2:3], off offset:80
	s_and_saveexec_b64 s[0:1], vcc
	s_cbranch_execz .LBB115_307
; %bb.306:
	scratch_load_dwordx2 v[2:3], off, off offset:72
	v_mov_b32_e32 v103, v102
	scratch_store_dwordx2 off, v[102:103], off offset:72
	s_waitcnt vmcnt(1)
	ds_write_b64 v1, v[2:3]
.LBB115_307:
	s_or_b64 exec, exec, s[0:1]
	s_waitcnt lgkmcnt(0)
	; wave barrier
	ds_read_b128 v[14:17], v102 offset:496
	ds_read_b128 v[10:13], v102 offset:512
	;; [unrolled: 1-line block ×4, first 2 shown]
	scratch_load_dwordx4 v[18:21], off, off offset:80
	scratch_load_dwordx4 v[38:41], off, off offset:144
	;; [unrolled: 1-line block ×11, first 2 shown]
	v_cmp_lt_u32_e32 vcc, 8, v0
	scratch_load_dwordx4 v[46:49], off, off offset:160
	scratch_load_dwordx4 v[54:57], off, off offset:176
	;; [unrolled: 1-line block ×3, first 2 shown]
	s_waitcnt vmcnt(13) lgkmcnt(3)
	v_mul_f32_e32 v22, v14, v19
	v_fmac_f32_e32 v22, v15, v18
	v_mul_f32_e32 v23, v16, v21
	v_add_f32_e32 v22, 0, v22
	v_fmac_f32_e32 v23, v17, v20
	v_add_f32_e32 v26, v22, v23
	scratch_load_dwordx4 v[22:25], off, off offset:96
	v_mul_f32_e32 v15, v15, v19
	v_fma_f32 v14, v14, v18, -v15
	v_mul_f32_e32 v15, v17, v21
	v_add_f32_e32 v14, 0, v14
	v_fma_f32 v15, v16, v20, -v15
	v_add_f32_e32 v14, v14, v15
	s_waitcnt vmcnt(0) lgkmcnt(2)
	v_mul_f32_e32 v27, v10, v23
	v_fmac_f32_e32 v27, v11, v22
	v_add_f32_e32 v26, v26, v27
	v_mul_f32_e32 v27, v12, v25
	v_fmac_f32_e32 v27, v13, v24
	v_add_f32_e32 v30, v26, v27
	scratch_load_dwordx4 v[26:29], off, off offset:112
	v_mul_f32_e32 v11, v11, v23
	v_fma_f32 v10, v10, v22, -v11
	v_mul_f32_e32 v11, v13, v25
	v_add_f32_e32 v10, v14, v10
	v_fma_f32 v11, v12, v24, -v11
	v_add_f32_e32 v10, v10, v11
	s_waitcnt vmcnt(0) lgkmcnt(1)
	v_mul_f32_e32 v31, v6, v27
	v_fmac_f32_e32 v31, v7, v26
	v_add_f32_e32 v30, v30, v31
	v_mul_f32_e32 v31, v8, v29
	;; [unrolled: 14-line block ×3, first 2 shown]
	v_fmac_f32_e32 v35, v5, v32
	v_add_f32_e32 v42, v34, v35
	ds_read_b128 v[34:37], v102 offset:560
	v_mul_f32_e32 v3, v3, v31
	v_fma_f32 v2, v2, v30, -v3
	v_mul_f32_e32 v3, v5, v33
	v_add_f32_e32 v2, v6, v2
	s_waitcnt lgkmcnt(0)
	v_mul_f32_e32 v43, v34, v39
	v_fmac_f32_e32 v43, v35, v38
	v_add_f32_e32 v42, v42, v43
	v_mul_f32_e32 v43, v36, v41
	v_fmac_f32_e32 v43, v37, v40
	v_add_f32_e32 v50, v42, v43
	ds_read_b128 v[42:45], v102 offset:576
	v_fma_f32 v3, v4, v32, -v3
	v_add_f32_e32 v2, v2, v3
	v_mul_f32_e32 v3, v35, v39
	v_fma_f32 v3, v34, v38, -v3
	s_waitcnt lgkmcnt(0)
	v_mul_f32_e32 v51, v42, v47
	v_fmac_f32_e32 v51, v43, v46
	v_add_f32_e32 v50, v50, v51
	v_mul_f32_e32 v51, v44, v49
	v_fmac_f32_e32 v51, v45, v48
	v_add_f32_e32 v58, v50, v51
	ds_read_b128 v[50:53], v102 offset:592
	v_add_f32_e32 v2, v2, v3
	v_mul_f32_e32 v3, v37, v41
	v_fma_f32 v3, v36, v40, -v3
	v_add_f32_e32 v2, v2, v3
	s_waitcnt lgkmcnt(0)
	v_mul_f32_e32 v59, v50, v55
	v_fmac_f32_e32 v59, v51, v54
	v_add_f32_e32 v58, v58, v59
	v_mul_f32_e32 v59, v52, v57
	v_fmac_f32_e32 v59, v53, v56
	v_add_f32_e32 v66, v58, v59
	ds_read_b128 v[58:61], v102 offset:608
	v_mul_f32_e32 v3, v43, v47
	v_fma_f32 v3, v42, v46, -v3
	v_add_f32_e32 v2, v2, v3
	v_mul_f32_e32 v3, v45, v49
	s_waitcnt lgkmcnt(0)
	v_mul_f32_e32 v67, v58, v63
	v_fmac_f32_e32 v67, v59, v62
	v_add_f32_e32 v66, v66, v67
	v_mul_f32_e32 v67, v60, v65
	v_fmac_f32_e32 v67, v61, v64
	v_add_f32_e32 v74, v66, v67
	ds_read_b128 v[66:69], v102 offset:624
	v_fma_f32 v3, v44, v48, -v3
	v_add_f32_e32 v2, v2, v3
	v_mul_f32_e32 v3, v51, v55
	v_fma_f32 v3, v50, v54, -v3
	s_waitcnt lgkmcnt(0)
	v_mul_f32_e32 v75, v66, v71
	v_fmac_f32_e32 v75, v67, v70
	v_add_f32_e32 v74, v74, v75
	v_mul_f32_e32 v75, v68, v73
	v_fmac_f32_e32 v75, v69, v72
	v_add_f32_e32 v82, v74, v75
	ds_read_b128 v[74:77], v102 offset:640
	v_add_f32_e32 v2, v2, v3
	v_mul_f32_e32 v3, v53, v57
	v_fma_f32 v3, v52, v56, -v3
	v_add_f32_e32 v2, v2, v3
	s_waitcnt lgkmcnt(0)
	v_mul_f32_e32 v83, v74, v79
	v_fmac_f32_e32 v83, v75, v78
	v_add_f32_e32 v82, v82, v83
	v_mul_f32_e32 v83, v76, v81
	v_fmac_f32_e32 v83, v77, v80
	v_add_f32_e32 v90, v82, v83
	ds_read_b128 v[82:85], v102 offset:656
	v_mul_f32_e32 v3, v59, v63
	v_fma_f32 v3, v58, v62, -v3
	v_add_f32_e32 v2, v2, v3
	v_mul_f32_e32 v3, v61, v65
	;; [unrolled: 36-line block ×3, first 2 shown]
	s_waitcnt lgkmcnt(0)
	v_mul_f32_e32 v116, v108, v113
	v_fmac_f32_e32 v116, v109, v112
	v_add_f32_e32 v103, v103, v116
	v_mul_f32_e32 v116, v110, v115
	v_fmac_f32_e32 v116, v111, v114
	v_add_f32_e32 v103, v103, v116
	ds_read_b128 v[116:119], v102 offset:720
	v_fma_f32 v3, v76, v80, -v3
	v_add_f32_e32 v2, v2, v3
	v_mul_f32_e32 v3, v83, v87
	v_fma_f32 v3, v82, v86, -v3
	s_waitcnt lgkmcnt(0)
	v_mul_f32_e32 v124, v116, v121
	v_fmac_f32_e32 v124, v117, v120
	v_add_f32_e32 v103, v103, v124
	v_mul_f32_e32 v124, v118, v123
	v_fmac_f32_e32 v124, v119, v122
	v_add_f32_e32 v103, v103, v124
	ds_read_b128 v[124:127], v102 offset:736
	v_add_f32_e32 v2, v2, v3
	v_mul_f32_e32 v3, v85, v89
	v_fma_f32 v3, v84, v88, -v3
	v_add_f32_e32 v2, v2, v3
	s_waitcnt lgkmcnt(0)
	v_mul_f32_e32 v132, v124, v129
	v_fmac_f32_e32 v132, v125, v128
	v_add_f32_e32 v103, v103, v132
	v_mul_f32_e32 v132, v126, v131
	v_fmac_f32_e32 v132, v127, v130
	v_add_f32_e32 v147, v103, v132
	ds_read_b128 v[132:135], v102 offset:752
	scratch_load_dwordx4 v[142:145], off, off offset:352
	scratch_load_dwordx4 v[244:247], off, off offset:368
	;; [unrolled: 1-line block ×4, first 2 shown]
	v_mul_f32_e32 v3, v91, v95
	v_fma_f32 v3, v90, v94, -v3
	v_add_f32_e32 v2, v2, v3
	v_mul_f32_e32 v3, v93, v97
	v_fma_f32 v3, v92, v96, -v3
	v_add_f32_e32 v2, v2, v3
	;; [unrolled: 3-line block ×10, first 2 shown]
	s_waitcnt lgkmcnt(0)
	v_mul_f32_e32 v2, v133, v137
	v_fma_f32 v148, v132, v136, -v2
	v_mul_f32_e32 v2, v135, v139
	v_fma_f32 v150, v134, v138, -v2
	ds_read_b128 v[2:5], v102 offset:768
	ds_read_b128 v[6:9], v102 offset:784
	;; [unrolled: 1-line block ×4, first 2 shown]
	v_mul_f32_e32 v149, v132, v137
	v_fmac_f32_e32 v149, v133, v136
	v_mul_f32_e32 v151, v134, v139
	v_fmac_f32_e32 v151, v135, v138
	v_pk_add_f32 v[18:19], v[146:147], v[148:149]
	s_waitcnt vmcnt(3) lgkmcnt(3)
	v_pk_mul_f32 v[20:21], v[2:3], v[142:143] op_sel:[1,1] op_sel_hi:[0,1]
	v_pk_fma_f32 v[22:23], v[2:3], v[142:143], v[20:21] neg_lo:[0,0,1] neg_hi:[0,0,1]
	v_pk_fma_f32 v[2:3], v[2:3], v[142:143], v[20:21] op_sel_hi:[1,0,1]
	v_pk_add_f32 v[18:19], v[18:19], v[150:151]
	v_mov_b32_e32 v23, v3
	v_pk_add_f32 v[2:3], v[18:19], v[22:23]
	v_mov_b32_e32 v18, v145
	v_pk_mul_f32 v[18:19], v[4:5], v[18:19] op_sel:[1,0] op_sel_hi:[0,0]
	v_pk_fma_f32 v[20:21], v[4:5], v[144:145], v[18:19] neg_lo:[0,0,1] neg_hi:[0,0,1]
	v_pk_fma_f32 v[4:5], v[4:5], v[144:145], v[18:19] op_sel_hi:[1,0,1]
	s_nop 0
	v_mov_b32_e32 v21, v5
	s_waitcnt vmcnt(2) lgkmcnt(2)
	v_pk_mul_f32 v[4:5], v[6:7], v[244:245] op_sel:[1,1] op_sel_hi:[0,1]
	v_pk_fma_f32 v[18:19], v[6:7], v[244:245], v[4:5] neg_lo:[0,0,1] neg_hi:[0,0,1]
	v_pk_fma_f32 v[4:5], v[6:7], v[244:245], v[4:5] op_sel_hi:[1,0,1]
	v_pk_add_f32 v[2:3], v[2:3], v[20:21]
	v_mov_b32_e32 v4, v247
	v_mov_b32_e32 v19, v5
	v_pk_mul_f32 v[4:5], v[8:9], v[4:5] op_sel:[1,0] op_sel_hi:[0,0]
	v_pk_fma_f32 v[6:7], v[8:9], v[246:247], v[4:5] neg_lo:[0,0,1] neg_hi:[0,0,1]
	v_pk_fma_f32 v[4:5], v[8:9], v[246:247], v[4:5] op_sel_hi:[1,0,1]
	v_pk_add_f32 v[2:3], v[2:3], v[18:19]
	v_mov_b32_e32 v7, v5
	s_waitcnt vmcnt(1) lgkmcnt(1)
	v_pk_mul_f32 v[4:5], v[10:11], v[248:249] op_sel:[1,1] op_sel_hi:[0,1]
	v_pk_add_f32 v[2:3], v[2:3], v[6:7]
	v_pk_fma_f32 v[6:7], v[10:11], v[248:249], v[4:5] neg_lo:[0,0,1] neg_hi:[0,0,1]
	v_pk_fma_f32 v[4:5], v[10:11], v[248:249], v[4:5] op_sel_hi:[1,0,1]
	s_nop 0
	v_mov_b32_e32 v4, v251
	v_mov_b32_e32 v7, v5
	v_pk_mul_f32 v[4:5], v[12:13], v[4:5] op_sel:[1,0] op_sel_hi:[0,0]
	v_pk_add_f32 v[2:3], v[2:3], v[6:7]
	v_pk_fma_f32 v[6:7], v[12:13], v[250:251], v[4:5] neg_lo:[0,0,1] neg_hi:[0,0,1]
	v_pk_fma_f32 v[4:5], v[12:13], v[250:251], v[4:5] op_sel_hi:[1,0,1]
	s_nop 0
	v_mov_b32_e32 v7, v5
	s_waitcnt vmcnt(0) lgkmcnt(0)
	v_pk_mul_f32 v[4:5], v[14:15], v[252:253] op_sel:[1,1] op_sel_hi:[0,1]
	v_pk_add_f32 v[2:3], v[2:3], v[6:7]
	v_pk_fma_f32 v[6:7], v[14:15], v[252:253], v[4:5] neg_lo:[0,0,1] neg_hi:[0,0,1]
	v_pk_fma_f32 v[4:5], v[14:15], v[252:253], v[4:5] op_sel_hi:[1,0,1]
	s_nop 0
	v_mov_b32_e32 v4, v255
	v_mov_b32_e32 v7, v5
	v_pk_mul_f32 v[4:5], v[16:17], v[4:5] op_sel:[1,0] op_sel_hi:[0,0]
	v_pk_add_f32 v[2:3], v[2:3], v[6:7]
	v_pk_fma_f32 v[6:7], v[16:17], v[254:255], v[4:5] neg_lo:[0,0,1] neg_hi:[0,0,1]
	v_pk_fma_f32 v[4:5], v[16:17], v[254:255], v[4:5] op_sel_hi:[1,0,1]
	s_nop 0
	v_mov_b32_e32 v7, v5
	scratch_load_dwordx2 v[4:5], off, off offset:72
	v_pk_add_f32 v[2:3], v[2:3], v[6:7]
	s_waitcnt vmcnt(0)
	v_pk_add_f32 v[2:3], v[4:5], v[2:3] neg_lo:[0,1] neg_hi:[0,1]
	scratch_store_dwordx2 off, v[2:3], off offset:72
	s_and_saveexec_b64 s[0:1], vcc
	s_cbranch_execz .LBB115_309
; %bb.308:
	scratch_load_dwordx2 v[2:3], off, off offset:64
	v_mov_b32_e32 v4, 0
	v_mov_b32_e32 v5, v4
	scratch_store_dwordx2 off, v[4:5], off offset:64
	s_waitcnt vmcnt(1)
	ds_write_b64 v1, v[2:3]
.LBB115_309:
	s_or_b64 exec, exec, s[0:1]
	s_waitcnt lgkmcnt(0)
	; wave barrier
	scratch_load_dwordx4 v[6:9], off, off offset:72
	scratch_load_dwordx4 v[14:17], off, off offset:88
	;; [unrolled: 1-line block ×10, first 2 shown]
	v_mov_b32_e32 v102, 0
	ds_read2_b64 v[2:5], v102 offset0:61 offset1:62
	scratch_load_dwordx4 v[86:89], off, off offset:232
	scratch_load_dwordx4 v[94:97], off, off offset:248
	;; [unrolled: 1-line block ×8, first 2 shown]
	v_cmp_lt_u32_e32 vcc, 7, v0
	s_waitcnt vmcnt(17) lgkmcnt(0)
	v_mul_f32_e32 v10, v2, v7
	v_fmac_f32_e32 v10, v3, v6
	v_mul_f32_e32 v11, v4, v9
	v_add_f32_e32 v10, 0, v10
	v_fmac_f32_e32 v11, v5, v8
	v_add_f32_e32 v18, v10, v11
	ds_read2_b64 v[10:13], v102 offset0:63 offset1:64
	v_mul_f32_e32 v3, v3, v7
	v_fma_f32 v2, v2, v6, -v3
	v_mul_f32_e32 v3, v5, v9
	v_add_f32_e32 v2, 0, v2
	s_waitcnt vmcnt(16) lgkmcnt(0)
	v_mul_f32_e32 v19, v10, v15
	v_fmac_f32_e32 v19, v11, v14
	v_add_f32_e32 v18, v18, v19
	v_mul_f32_e32 v19, v12, v17
	v_fmac_f32_e32 v19, v13, v16
	v_add_f32_e32 v26, v18, v19
	ds_read2_b64 v[18:21], v102 offset0:65 offset1:66
	v_fma_f32 v3, v4, v8, -v3
	v_add_f32_e32 v2, v2, v3
	v_mul_f32_e32 v3, v11, v15
	v_fma_f32 v3, v10, v14, -v3
	s_waitcnt vmcnt(15) lgkmcnt(0)
	v_mul_f32_e32 v27, v18, v23
	v_fmac_f32_e32 v27, v19, v22
	v_add_f32_e32 v26, v26, v27
	v_mul_f32_e32 v27, v20, v25
	v_fmac_f32_e32 v27, v21, v24
	v_add_f32_e32 v34, v26, v27
	ds_read2_b64 v[26:29], v102 offset0:67 offset1:68
	v_add_f32_e32 v2, v2, v3
	v_mul_f32_e32 v3, v13, v17
	v_fma_f32 v3, v12, v16, -v3
	v_add_f32_e32 v2, v2, v3
	s_waitcnt vmcnt(14) lgkmcnt(0)
	v_mul_f32_e32 v35, v26, v31
	v_fmac_f32_e32 v35, v27, v30
	v_add_f32_e32 v34, v34, v35
	v_mul_f32_e32 v35, v28, v33
	v_fmac_f32_e32 v35, v29, v32
	v_add_f32_e32 v42, v34, v35
	ds_read2_b64 v[34:37], v102 offset0:69 offset1:70
	v_mul_f32_e32 v3, v19, v23
	v_fma_f32 v3, v18, v22, -v3
	v_add_f32_e32 v2, v2, v3
	v_mul_f32_e32 v3, v21, v25
	s_waitcnt vmcnt(13) lgkmcnt(0)
	v_mul_f32_e32 v43, v34, v39
	v_fmac_f32_e32 v43, v35, v38
	v_add_f32_e32 v42, v42, v43
	v_mul_f32_e32 v43, v36, v41
	v_fmac_f32_e32 v43, v37, v40
	v_add_f32_e32 v50, v42, v43
	ds_read2_b64 v[42:45], v102 offset0:71 offset1:72
	v_fma_f32 v3, v20, v24, -v3
	v_add_f32_e32 v2, v2, v3
	v_mul_f32_e32 v3, v27, v31
	v_fma_f32 v3, v26, v30, -v3
	s_waitcnt vmcnt(12) lgkmcnt(0)
	v_mul_f32_e32 v51, v42, v47
	v_fmac_f32_e32 v51, v43, v46
	v_add_f32_e32 v50, v50, v51
	v_mul_f32_e32 v51, v44, v49
	v_fmac_f32_e32 v51, v45, v48
	v_add_f32_e32 v58, v50, v51
	ds_read2_b64 v[50:53], v102 offset0:73 offset1:74
	v_add_f32_e32 v2, v2, v3
	v_mul_f32_e32 v3, v29, v33
	v_fma_f32 v3, v28, v32, -v3
	v_add_f32_e32 v2, v2, v3
	s_waitcnt vmcnt(11) lgkmcnt(0)
	v_mul_f32_e32 v59, v50, v55
	v_fmac_f32_e32 v59, v51, v54
	v_add_f32_e32 v58, v58, v59
	v_mul_f32_e32 v59, v52, v57
	v_fmac_f32_e32 v59, v53, v56
	v_add_f32_e32 v66, v58, v59
	ds_read2_b64 v[58:61], v102 offset0:75 offset1:76
	v_mul_f32_e32 v3, v35, v39
	v_fma_f32 v3, v34, v38, -v3
	v_add_f32_e32 v2, v2, v3
	v_mul_f32_e32 v3, v37, v41
	;; [unrolled: 36-line block ×5, first 2 shown]
	s_waitcnt vmcnt(1) lgkmcnt(0)
	v_mul_f32_e32 v142, v132, v137
	v_fmac_f32_e32 v142, v133, v136
	v_add_f32_e32 v151, v103, v142
	ds_read2_b64 v[142:145], v102 offset0:95 offset1:96
	scratch_load_dwordx4 v[248:251], off, off offset:360
	scratch_load_dwordx4 v[252:255], off, off offset:376
	;; [unrolled: 1-line block ×3, first 2 shown]
	scratch_load_dwordx2 v[156:157], off, off offset:408
	v_fma_f32 v3, v84, v88, -v3
	v_add_f32_e32 v2, v2, v3
	v_mul_f32_e32 v3, v91, v95
	v_fma_f32 v3, v90, v94, -v3
	v_add_f32_e32 v2, v2, v3
	v_mul_f32_e32 v3, v93, v97
	;; [unrolled: 3-line block ×12, first 2 shown]
	v_mul_f32_e32 v153, v134, v139
	v_fma_f32 v152, v134, v138, -v2
	s_waitcnt vmcnt(4) lgkmcnt(0)
	v_mul_f32_e32 v2, v143, v245
	v_mov_b32_e32 v18, v247
	v_fmac_f32_e32 v153, v135, v138
	v_mul_f32_e32 v155, v142, v245
	v_fma_f32 v154, v142, v244, -v2
	ds_read2_b64 v[2:5], v102 offset0:97 offset1:98
	ds_read2_b64 v[6:9], v102 offset0:99 offset1:100
	;; [unrolled: 1-line block ×3, first 2 shown]
	ds_read_b64 v[14:15], v102 offset:824
	v_pk_mul_f32 v[18:19], v[144:145], v[18:19] op_sel:[1,0] op_sel_hi:[0,0]
	v_fmac_f32_e32 v155, v143, v244
	v_pk_add_f32 v[16:17], v[150:151], v[152:153]
	v_pk_fma_f32 v[20:21], v[144:145], v[246:247], v[18:19] neg_lo:[0,0,1] neg_hi:[0,0,1]
	v_pk_fma_f32 v[18:19], v[144:145], v[246:247], v[18:19] op_sel_hi:[1,0,1]
	v_pk_add_f32 v[16:17], v[16:17], v[154:155]
	v_mov_b32_e32 v21, v19
	v_pk_add_f32 v[16:17], v[16:17], v[20:21]
	s_waitcnt vmcnt(3) lgkmcnt(3)
	v_pk_mul_f32 v[18:19], v[2:3], v[248:249] op_sel:[1,1] op_sel_hi:[0,1]
	v_pk_fma_f32 v[20:21], v[2:3], v[248:249], v[18:19] neg_lo:[0,0,1] neg_hi:[0,0,1]
	v_pk_fma_f32 v[2:3], v[2:3], v[248:249], v[18:19] op_sel_hi:[1,0,1]
	s_nop 0
	v_mov_b32_e32 v21, v3
	v_pk_add_f32 v[2:3], v[16:17], v[20:21]
	v_mov_b32_e32 v16, v251
	v_pk_mul_f32 v[16:17], v[4:5], v[16:17] op_sel:[1,0] op_sel_hi:[0,0]
	v_pk_fma_f32 v[18:19], v[4:5], v[250:251], v[16:17] neg_lo:[0,0,1] neg_hi:[0,0,1]
	v_pk_fma_f32 v[4:5], v[4:5], v[250:251], v[16:17] op_sel_hi:[1,0,1]
	s_nop 0
	v_mov_b32_e32 v19, v5
	s_waitcnt vmcnt(2) lgkmcnt(2)
	v_pk_mul_f32 v[4:5], v[6:7], v[252:253] op_sel:[1,1] op_sel_hi:[0,1]
	v_pk_fma_f32 v[16:17], v[6:7], v[252:253], v[4:5] neg_lo:[0,0,1] neg_hi:[0,0,1]
	v_pk_fma_f32 v[4:5], v[6:7], v[252:253], v[4:5] op_sel_hi:[1,0,1]
	v_pk_add_f32 v[2:3], v[2:3], v[18:19]
	v_mov_b32_e32 v4, v255
	v_mov_b32_e32 v17, v5
	v_pk_mul_f32 v[4:5], v[8:9], v[4:5] op_sel:[1,0] op_sel_hi:[0,0]
	v_pk_fma_f32 v[6:7], v[8:9], v[254:255], v[4:5] neg_lo:[0,0,1] neg_hi:[0,0,1]
	v_pk_fma_f32 v[4:5], v[8:9], v[254:255], v[4:5] op_sel_hi:[1,0,1]
	v_pk_add_f32 v[2:3], v[2:3], v[16:17]
	v_mov_b32_e32 v7, v5
	s_waitcnt vmcnt(1) lgkmcnt(1)
	v_pk_mul_f32 v[4:5], v[10:11], v[146:147] op_sel:[1,1] op_sel_hi:[0,1]
	v_pk_add_f32 v[2:3], v[2:3], v[6:7]
	v_pk_fma_f32 v[6:7], v[10:11], v[146:147], v[4:5] neg_lo:[0,0,1] neg_hi:[0,0,1]
	v_pk_fma_f32 v[4:5], v[10:11], v[146:147], v[4:5] op_sel_hi:[1,0,1]
	s_nop 0
	v_mov_b32_e32 v4, v149
	v_mov_b32_e32 v7, v5
	v_pk_mul_f32 v[4:5], v[12:13], v[4:5] op_sel:[1,0] op_sel_hi:[0,0]
	v_pk_add_f32 v[2:3], v[2:3], v[6:7]
	v_pk_fma_f32 v[6:7], v[12:13], v[148:149], v[4:5] neg_lo:[0,0,1] neg_hi:[0,0,1]
	v_pk_fma_f32 v[4:5], v[12:13], v[148:149], v[4:5] op_sel_hi:[1,0,1]
	s_nop 0
	v_mov_b32_e32 v7, v5
	s_waitcnt vmcnt(0) lgkmcnt(0)
	v_pk_mul_f32 v[4:5], v[14:15], v[156:157] op_sel:[1,1] op_sel_hi:[0,1]
	v_pk_add_f32 v[2:3], v[2:3], v[6:7]
	v_pk_fma_f32 v[6:7], v[14:15], v[156:157], v[4:5] neg_lo:[0,0,1] neg_hi:[0,0,1]
	v_pk_fma_f32 v[4:5], v[14:15], v[156:157], v[4:5] op_sel_hi:[1,0,1]
	s_nop 0
	v_mov_b32_e32 v7, v5
	scratch_load_dwordx2 v[4:5], off, off offset:64
	v_pk_add_f32 v[2:3], v[2:3], v[6:7]
	s_waitcnt vmcnt(0)
	v_pk_add_f32 v[2:3], v[4:5], v[2:3] neg_lo:[0,1] neg_hi:[0,1]
	scratch_store_dwordx2 off, v[2:3], off offset:64
	s_and_saveexec_b64 s[0:1], vcc
	s_cbranch_execz .LBB115_311
; %bb.310:
	scratch_load_dwordx2 v[2:3], off, off offset:56
	v_mov_b32_e32 v103, v102
	scratch_store_dwordx2 off, v[102:103], off offset:56
	s_waitcnt vmcnt(1)
	ds_write_b64 v1, v[2:3]
.LBB115_311:
	s_or_b64 exec, exec, s[0:1]
	s_waitcnt lgkmcnt(0)
	; wave barrier
	ds_read_b128 v[14:17], v102 offset:480
	ds_read_b128 v[10:13], v102 offset:496
	;; [unrolled: 1-line block ×4, first 2 shown]
	scratch_load_dwordx4 v[18:21], off, off offset:64
	scratch_load_dwordx4 v[38:41], off, off offset:128
	scratch_load_dwordx4 v[70:73], off, off offset:192
	scratch_load_dwordx4 v[78:81], off, off offset:208
	scratch_load_dwordx4 v[86:89], off, off offset:224
	scratch_load_dwordx4 v[94:97], off, off offset:240
	scratch_load_dwordx4 v[104:107], off, off offset:256
	scratch_load_dwordx4 v[112:115], off, off offset:272
	scratch_load_dwordx4 v[120:123], off, off offset:288
	scratch_load_dwordx4 v[128:131], off, off offset:304
	scratch_load_dwordx4 v[136:139], off, off offset:320
	scratch_load_dwordx4 v[146:149], off, off offset:336
	v_cmp_lt_u32_e32 vcc, 6, v0
	scratch_load_dwordx4 v[46:49], off, off offset:144
	scratch_load_dwordx4 v[54:57], off, off offset:160
	;; [unrolled: 1-line block ×3, first 2 shown]
	s_waitcnt vmcnt(14) lgkmcnt(3)
	v_mul_f32_e32 v22, v14, v19
	v_fmac_f32_e32 v22, v15, v18
	v_mul_f32_e32 v23, v16, v21
	v_add_f32_e32 v22, 0, v22
	v_fmac_f32_e32 v23, v17, v20
	v_add_f32_e32 v26, v22, v23
	scratch_load_dwordx4 v[22:25], off, off offset:80
	v_mul_f32_e32 v15, v15, v19
	v_fma_f32 v14, v14, v18, -v15
	v_mul_f32_e32 v15, v17, v21
	v_add_f32_e32 v14, 0, v14
	v_fma_f32 v15, v16, v20, -v15
	v_add_f32_e32 v14, v14, v15
	s_waitcnt vmcnt(0) lgkmcnt(2)
	v_mul_f32_e32 v27, v10, v23
	v_fmac_f32_e32 v27, v11, v22
	v_add_f32_e32 v26, v26, v27
	v_mul_f32_e32 v27, v12, v25
	v_fmac_f32_e32 v27, v13, v24
	v_add_f32_e32 v30, v26, v27
	scratch_load_dwordx4 v[26:29], off, off offset:96
	v_mul_f32_e32 v11, v11, v23
	v_fma_f32 v10, v10, v22, -v11
	v_mul_f32_e32 v11, v13, v25
	v_add_f32_e32 v10, v14, v10
	v_fma_f32 v11, v12, v24, -v11
	v_add_f32_e32 v10, v10, v11
	s_waitcnt vmcnt(0) lgkmcnt(1)
	v_mul_f32_e32 v31, v6, v27
	v_fmac_f32_e32 v31, v7, v26
	v_add_f32_e32 v30, v30, v31
	v_mul_f32_e32 v31, v8, v29
	;; [unrolled: 14-line block ×3, first 2 shown]
	v_fmac_f32_e32 v35, v5, v32
	v_add_f32_e32 v42, v34, v35
	ds_read_b128 v[34:37], v102 offset:544
	v_mul_f32_e32 v3, v3, v31
	v_fma_f32 v2, v2, v30, -v3
	v_mul_f32_e32 v3, v5, v33
	v_add_f32_e32 v2, v6, v2
	s_waitcnt lgkmcnt(0)
	v_mul_f32_e32 v43, v34, v39
	v_fmac_f32_e32 v43, v35, v38
	v_add_f32_e32 v42, v42, v43
	v_mul_f32_e32 v43, v36, v41
	v_fmac_f32_e32 v43, v37, v40
	v_add_f32_e32 v50, v42, v43
	ds_read_b128 v[42:45], v102 offset:560
	v_fma_f32 v3, v4, v32, -v3
	v_add_f32_e32 v2, v2, v3
	v_mul_f32_e32 v3, v35, v39
	v_fma_f32 v3, v34, v38, -v3
	s_waitcnt lgkmcnt(0)
	v_mul_f32_e32 v51, v42, v47
	v_fmac_f32_e32 v51, v43, v46
	v_add_f32_e32 v50, v50, v51
	v_mul_f32_e32 v51, v44, v49
	v_fmac_f32_e32 v51, v45, v48
	v_add_f32_e32 v58, v50, v51
	ds_read_b128 v[50:53], v102 offset:576
	v_add_f32_e32 v2, v2, v3
	v_mul_f32_e32 v3, v37, v41
	v_fma_f32 v3, v36, v40, -v3
	v_add_f32_e32 v2, v2, v3
	s_waitcnt lgkmcnt(0)
	v_mul_f32_e32 v59, v50, v55
	v_fmac_f32_e32 v59, v51, v54
	v_add_f32_e32 v58, v58, v59
	v_mul_f32_e32 v59, v52, v57
	v_fmac_f32_e32 v59, v53, v56
	v_add_f32_e32 v66, v58, v59
	ds_read_b128 v[58:61], v102 offset:592
	v_mul_f32_e32 v3, v43, v47
	v_fma_f32 v3, v42, v46, -v3
	v_add_f32_e32 v2, v2, v3
	v_mul_f32_e32 v3, v45, v49
	s_waitcnt lgkmcnt(0)
	v_mul_f32_e32 v67, v58, v63
	v_fmac_f32_e32 v67, v59, v62
	v_add_f32_e32 v66, v66, v67
	v_mul_f32_e32 v67, v60, v65
	v_fmac_f32_e32 v67, v61, v64
	v_add_f32_e32 v74, v66, v67
	ds_read_b128 v[66:69], v102 offset:608
	v_fma_f32 v3, v44, v48, -v3
	v_add_f32_e32 v2, v2, v3
	v_mul_f32_e32 v3, v51, v55
	v_fma_f32 v3, v50, v54, -v3
	s_waitcnt lgkmcnt(0)
	v_mul_f32_e32 v75, v66, v71
	v_fmac_f32_e32 v75, v67, v70
	v_add_f32_e32 v74, v74, v75
	v_mul_f32_e32 v75, v68, v73
	v_fmac_f32_e32 v75, v69, v72
	v_add_f32_e32 v82, v74, v75
	ds_read_b128 v[74:77], v102 offset:624
	v_add_f32_e32 v2, v2, v3
	v_mul_f32_e32 v3, v53, v57
	v_fma_f32 v3, v52, v56, -v3
	v_add_f32_e32 v2, v2, v3
	s_waitcnt lgkmcnt(0)
	v_mul_f32_e32 v83, v74, v79
	v_fmac_f32_e32 v83, v75, v78
	v_add_f32_e32 v82, v82, v83
	v_mul_f32_e32 v83, v76, v81
	v_fmac_f32_e32 v83, v77, v80
	v_add_f32_e32 v90, v82, v83
	ds_read_b128 v[82:85], v102 offset:640
	v_mul_f32_e32 v3, v59, v63
	v_fma_f32 v3, v58, v62, -v3
	v_add_f32_e32 v2, v2, v3
	v_mul_f32_e32 v3, v61, v65
	;; [unrolled: 36-line block ×4, first 2 shown]
	s_waitcnt lgkmcnt(0)
	v_mul_f32_e32 v142, v132, v137
	v_fmac_f32_e32 v142, v133, v136
	v_add_f32_e32 v103, v103, v142
	v_mul_f32_e32 v142, v134, v139
	v_fmac_f32_e32 v142, v135, v138
	v_add_f32_e32 v155, v103, v142
	ds_read_b128 v[142:145], v102 offset:752
	scratch_load_dwordx4 v[244:247], off, off offset:352
	scratch_load_dwordx4 v[248:251], off, off offset:368
	scratch_load_dwordx4 v[252:255], off, off offset:384
	scratch_load_dwordx4 v[150:153], off, off offset:400
	v_fma_f32 v3, v92, v96, -v3
	v_add_f32_e32 v2, v2, v3
	v_mul_f32_e32 v3, v99, v105
	v_fma_f32 v3, v98, v104, -v3
	v_add_f32_e32 v2, v2, v3
	v_mul_f32_e32 v3, v101, v107
	;; [unrolled: 3-line block ×10, first 2 shown]
	v_fma_f32 v3, v134, v138, -v3
	v_add_f32_e32 v154, v2, v3
	s_waitcnt lgkmcnt(0)
	v_mul_f32_e32 v2, v143, v147
	v_fma_f32 v156, v142, v146, -v2
	v_mul_f32_e32 v2, v145, v149
	v_fma_f32 v158, v144, v148, -v2
	ds_read_b128 v[2:5], v102 offset:768
	ds_read_b128 v[6:9], v102 offset:784
	;; [unrolled: 1-line block ×4, first 2 shown]
	v_mul_f32_e32 v157, v142, v147
	v_fmac_f32_e32 v157, v143, v146
	v_mul_f32_e32 v159, v144, v149
	v_fmac_f32_e32 v159, v145, v148
	v_pk_add_f32 v[18:19], v[154:155], v[156:157]
	s_waitcnt vmcnt(3) lgkmcnt(3)
	v_pk_mul_f32 v[20:21], v[2:3], v[244:245] op_sel:[1,1] op_sel_hi:[0,1]
	v_pk_fma_f32 v[22:23], v[2:3], v[244:245], v[20:21] neg_lo:[0,0,1] neg_hi:[0,0,1]
	v_pk_fma_f32 v[2:3], v[2:3], v[244:245], v[20:21] op_sel_hi:[1,0,1]
	v_pk_add_f32 v[18:19], v[18:19], v[158:159]
	v_mov_b32_e32 v23, v3
	v_pk_add_f32 v[2:3], v[18:19], v[22:23]
	v_mov_b32_e32 v18, v247
	v_pk_mul_f32 v[18:19], v[4:5], v[18:19] op_sel:[1,0] op_sel_hi:[0,0]
	v_pk_fma_f32 v[20:21], v[4:5], v[246:247], v[18:19] neg_lo:[0,0,1] neg_hi:[0,0,1]
	v_pk_fma_f32 v[4:5], v[4:5], v[246:247], v[18:19] op_sel_hi:[1,0,1]
	s_nop 0
	v_mov_b32_e32 v21, v5
	s_waitcnt vmcnt(2) lgkmcnt(2)
	v_pk_mul_f32 v[4:5], v[6:7], v[248:249] op_sel:[1,1] op_sel_hi:[0,1]
	v_pk_fma_f32 v[18:19], v[6:7], v[248:249], v[4:5] neg_lo:[0,0,1] neg_hi:[0,0,1]
	v_pk_fma_f32 v[4:5], v[6:7], v[248:249], v[4:5] op_sel_hi:[1,0,1]
	v_pk_add_f32 v[2:3], v[2:3], v[20:21]
	v_mov_b32_e32 v4, v251
	v_mov_b32_e32 v19, v5
	v_pk_mul_f32 v[4:5], v[8:9], v[4:5] op_sel:[1,0] op_sel_hi:[0,0]
	v_pk_fma_f32 v[6:7], v[8:9], v[250:251], v[4:5] neg_lo:[0,0,1] neg_hi:[0,0,1]
	v_pk_fma_f32 v[4:5], v[8:9], v[250:251], v[4:5] op_sel_hi:[1,0,1]
	v_pk_add_f32 v[2:3], v[2:3], v[18:19]
	v_mov_b32_e32 v7, v5
	s_waitcnt vmcnt(1) lgkmcnt(1)
	v_pk_mul_f32 v[4:5], v[10:11], v[252:253] op_sel:[1,1] op_sel_hi:[0,1]
	v_pk_add_f32 v[2:3], v[2:3], v[6:7]
	v_pk_fma_f32 v[6:7], v[10:11], v[252:253], v[4:5] neg_lo:[0,0,1] neg_hi:[0,0,1]
	v_pk_fma_f32 v[4:5], v[10:11], v[252:253], v[4:5] op_sel_hi:[1,0,1]
	s_nop 0
	v_mov_b32_e32 v4, v255
	v_mov_b32_e32 v7, v5
	v_pk_mul_f32 v[4:5], v[12:13], v[4:5] op_sel:[1,0] op_sel_hi:[0,0]
	v_pk_add_f32 v[2:3], v[2:3], v[6:7]
	v_pk_fma_f32 v[6:7], v[12:13], v[254:255], v[4:5] neg_lo:[0,0,1] neg_hi:[0,0,1]
	v_pk_fma_f32 v[4:5], v[12:13], v[254:255], v[4:5] op_sel_hi:[1,0,1]
	s_nop 0
	v_mov_b32_e32 v7, v5
	s_waitcnt vmcnt(0) lgkmcnt(0)
	v_pk_mul_f32 v[4:5], v[14:15], v[150:151] op_sel:[1,1] op_sel_hi:[0,1]
	v_pk_add_f32 v[2:3], v[2:3], v[6:7]
	v_pk_fma_f32 v[6:7], v[14:15], v[150:151], v[4:5] neg_lo:[0,0,1] neg_hi:[0,0,1]
	v_pk_fma_f32 v[4:5], v[14:15], v[150:151], v[4:5] op_sel_hi:[1,0,1]
	s_nop 0
	v_mov_b32_e32 v4, v153
	v_mov_b32_e32 v7, v5
	v_pk_mul_f32 v[4:5], v[16:17], v[4:5] op_sel:[1,0] op_sel_hi:[0,0]
	v_pk_add_f32 v[2:3], v[2:3], v[6:7]
	v_pk_fma_f32 v[6:7], v[16:17], v[152:153], v[4:5] neg_lo:[0,0,1] neg_hi:[0,0,1]
	v_pk_fma_f32 v[4:5], v[16:17], v[152:153], v[4:5] op_sel_hi:[1,0,1]
	s_nop 0
	v_mov_b32_e32 v7, v5
	scratch_load_dwordx2 v[4:5], off, off offset:56
	v_pk_add_f32 v[2:3], v[2:3], v[6:7]
	s_waitcnt vmcnt(0)
	v_pk_add_f32 v[2:3], v[4:5], v[2:3] neg_lo:[0,1] neg_hi:[0,1]
	scratch_store_dwordx2 off, v[2:3], off offset:56
	s_and_saveexec_b64 s[0:1], vcc
	s_cbranch_execz .LBB115_313
; %bb.312:
	scratch_load_dwordx2 v[2:3], off, off offset:48
	v_mov_b32_e32 v4, 0
	v_mov_b32_e32 v5, v4
	scratch_store_dwordx2 off, v[4:5], off offset:48
	s_waitcnt vmcnt(1)
	ds_write_b64 v1, v[2:3]
.LBB115_313:
	s_or_b64 exec, exec, s[0:1]
	s_waitcnt lgkmcnt(0)
	; wave barrier
	scratch_load_dwordx4 v[6:9], off, off offset:56
	scratch_load_dwordx4 v[14:17], off, off offset:72
	scratch_load_dwordx4 v[22:25], off, off offset:88
	scratch_load_dwordx4 v[30:33], off, off offset:104
	scratch_load_dwordx4 v[38:41], off, off offset:120
	scratch_load_dwordx4 v[46:49], off, off offset:136
	scratch_load_dwordx4 v[54:57], off, off offset:152
	scratch_load_dwordx4 v[62:65], off, off offset:168
	scratch_load_dwordx4 v[70:73], off, off offset:184
	scratch_load_dwordx4 v[78:81], off, off offset:200
	v_mov_b32_e32 v110, 0
	ds_read2_b64 v[2:5], v110 offset0:59 offset1:60
	scratch_load_dwordx4 v[86:89], off, off offset:216
	scratch_load_dwordx4 v[94:97], off, off offset:232
	;; [unrolled: 1-line block ×9, first 2 shown]
	v_cmp_lt_u32_e32 vcc, 5, v0
	s_waitcnt vmcnt(18) lgkmcnt(0)
	v_mul_f32_e32 v10, v2, v7
	v_fmac_f32_e32 v10, v3, v6
	v_mul_f32_e32 v11, v4, v9
	v_add_f32_e32 v10, 0, v10
	v_fmac_f32_e32 v11, v5, v8
	v_add_f32_e32 v18, v10, v11
	ds_read2_b64 v[10:13], v110 offset0:61 offset1:62
	v_mul_f32_e32 v3, v3, v7
	v_fma_f32 v2, v2, v6, -v3
	v_mul_f32_e32 v3, v5, v9
	v_add_f32_e32 v2, 0, v2
	s_waitcnt vmcnt(17) lgkmcnt(0)
	v_mul_f32_e32 v19, v10, v15
	v_fmac_f32_e32 v19, v11, v14
	v_add_f32_e32 v18, v18, v19
	v_mul_f32_e32 v19, v12, v17
	v_fmac_f32_e32 v19, v13, v16
	v_add_f32_e32 v26, v18, v19
	ds_read2_b64 v[18:21], v110 offset0:63 offset1:64
	v_fma_f32 v3, v4, v8, -v3
	v_add_f32_e32 v2, v2, v3
	v_mul_f32_e32 v3, v11, v15
	v_fma_f32 v3, v10, v14, -v3
	s_waitcnt vmcnt(16) lgkmcnt(0)
	v_mul_f32_e32 v27, v18, v23
	v_fmac_f32_e32 v27, v19, v22
	v_add_f32_e32 v26, v26, v27
	v_mul_f32_e32 v27, v20, v25
	v_fmac_f32_e32 v27, v21, v24
	v_add_f32_e32 v34, v26, v27
	ds_read2_b64 v[26:29], v110 offset0:65 offset1:66
	v_add_f32_e32 v2, v2, v3
	v_mul_f32_e32 v3, v13, v17
	v_fma_f32 v3, v12, v16, -v3
	v_add_f32_e32 v2, v2, v3
	s_waitcnt vmcnt(15) lgkmcnt(0)
	v_mul_f32_e32 v35, v26, v31
	v_fmac_f32_e32 v35, v27, v30
	v_add_f32_e32 v34, v34, v35
	v_mul_f32_e32 v35, v28, v33
	v_fmac_f32_e32 v35, v29, v32
	v_add_f32_e32 v42, v34, v35
	ds_read2_b64 v[34:37], v110 offset0:67 offset1:68
	v_mul_f32_e32 v3, v19, v23
	v_fma_f32 v3, v18, v22, -v3
	v_add_f32_e32 v2, v2, v3
	v_mul_f32_e32 v3, v21, v25
	s_waitcnt vmcnt(14) lgkmcnt(0)
	v_mul_f32_e32 v43, v34, v39
	v_fmac_f32_e32 v43, v35, v38
	v_add_f32_e32 v42, v42, v43
	v_mul_f32_e32 v43, v36, v41
	v_fmac_f32_e32 v43, v37, v40
	v_add_f32_e32 v50, v42, v43
	ds_read2_b64 v[42:45], v110 offset0:69 offset1:70
	v_fma_f32 v3, v20, v24, -v3
	v_add_f32_e32 v2, v2, v3
	v_mul_f32_e32 v3, v27, v31
	v_fma_f32 v3, v26, v30, -v3
	s_waitcnt vmcnt(13) lgkmcnt(0)
	v_mul_f32_e32 v51, v42, v47
	v_fmac_f32_e32 v51, v43, v46
	v_add_f32_e32 v50, v50, v51
	v_mul_f32_e32 v51, v44, v49
	v_fmac_f32_e32 v51, v45, v48
	v_add_f32_e32 v58, v50, v51
	ds_read2_b64 v[50:53], v110 offset0:71 offset1:72
	v_add_f32_e32 v2, v2, v3
	v_mul_f32_e32 v3, v29, v33
	v_fma_f32 v3, v28, v32, -v3
	v_add_f32_e32 v2, v2, v3
	s_waitcnt vmcnt(12) lgkmcnt(0)
	v_mul_f32_e32 v59, v50, v55
	v_fmac_f32_e32 v59, v51, v54
	v_add_f32_e32 v58, v58, v59
	v_mul_f32_e32 v59, v52, v57
	v_fmac_f32_e32 v59, v53, v56
	v_add_f32_e32 v66, v58, v59
	ds_read2_b64 v[58:61], v110 offset0:73 offset1:74
	v_mul_f32_e32 v3, v35, v39
	v_fma_f32 v3, v34, v38, -v3
	v_add_f32_e32 v2, v2, v3
	v_mul_f32_e32 v3, v37, v41
	;; [unrolled: 36-line block ×5, first 2 shown]
	s_waitcnt vmcnt(2) lgkmcnt(0)
	v_mul_f32_e32 v142, v132, v137
	v_fmac_f32_e32 v142, v133, v136
	v_add_f32_e32 v111, v111, v142
	v_mul_f32_e32 v142, v134, v139
	v_fmac_f32_e32 v142, v135, v138
	v_add_f32_e32 v111, v111, v142
	ds_read2_b64 v[142:145], v110 offset0:93 offset1:94
	v_fma_f32 v3, v84, v88, -v3
	v_add_f32_e32 v2, v2, v3
	v_mul_f32_e32 v3, v91, v95
	v_fma_f32 v3, v90, v94, -v3
	s_waitcnt vmcnt(1) lgkmcnt(0)
	v_mul_f32_e32 v150, v142, v147
	v_fmac_f32_e32 v150, v143, v146
	v_add_f32_e32 v159, v111, v150
	ds_read2_b64 v[150:153], v110 offset0:95 offset1:96
	scratch_load_dwordx4 v[248:251], off, off offset:360
	scratch_load_dwordx4 v[252:255], off, off offset:376
	scratch_load_dwordx4 v[154:157], off, off offset:392
	scratch_load_dwordx2 v[164:165], off, off offset:408
	v_add_f32_e32 v2, v2, v3
	v_mul_f32_e32 v3, v93, v97
	v_fma_f32 v3, v92, v96, -v3
	v_add_f32_e32 v2, v2, v3
	v_mul_f32_e32 v3, v99, v103
	v_fma_f32 v3, v98, v102, -v3
	;; [unrolled: 3-line block ×12, first 2 shown]
	v_add_f32_e32 v158, v2, v3
	v_mul_f32_e32 v2, v145, v149
	v_mul_f32_e32 v161, v144, v149
	v_fma_f32 v160, v144, v148, -v2
	s_waitcnt vmcnt(4) lgkmcnt(0)
	v_mul_f32_e32 v2, v151, v245
	v_mov_b32_e32 v18, v247
	v_fmac_f32_e32 v161, v145, v148
	v_mul_f32_e32 v163, v150, v245
	v_fma_f32 v162, v150, v244, -v2
	ds_read2_b64 v[2:5], v110 offset0:97 offset1:98
	ds_read2_b64 v[6:9], v110 offset0:99 offset1:100
	ds_read2_b64 v[10:13], v110 offset0:101 offset1:102
	ds_read_b64 v[14:15], v110 offset:824
	v_pk_mul_f32 v[18:19], v[152:153], v[18:19] op_sel:[1,0] op_sel_hi:[0,0]
	v_fmac_f32_e32 v163, v151, v244
	v_pk_add_f32 v[16:17], v[158:159], v[160:161]
	v_pk_fma_f32 v[20:21], v[152:153], v[246:247], v[18:19] neg_lo:[0,0,1] neg_hi:[0,0,1]
	v_pk_fma_f32 v[18:19], v[152:153], v[246:247], v[18:19] op_sel_hi:[1,0,1]
	v_pk_add_f32 v[16:17], v[16:17], v[162:163]
	v_mov_b32_e32 v21, v19
	v_pk_add_f32 v[16:17], v[16:17], v[20:21]
	s_waitcnt vmcnt(3) lgkmcnt(3)
	v_pk_mul_f32 v[18:19], v[2:3], v[248:249] op_sel:[1,1] op_sel_hi:[0,1]
	v_pk_fma_f32 v[20:21], v[2:3], v[248:249], v[18:19] neg_lo:[0,0,1] neg_hi:[0,0,1]
	v_pk_fma_f32 v[2:3], v[2:3], v[248:249], v[18:19] op_sel_hi:[1,0,1]
	s_nop 0
	v_mov_b32_e32 v21, v3
	v_pk_add_f32 v[2:3], v[16:17], v[20:21]
	v_mov_b32_e32 v16, v251
	v_pk_mul_f32 v[16:17], v[4:5], v[16:17] op_sel:[1,0] op_sel_hi:[0,0]
	v_pk_fma_f32 v[18:19], v[4:5], v[250:251], v[16:17] neg_lo:[0,0,1] neg_hi:[0,0,1]
	v_pk_fma_f32 v[4:5], v[4:5], v[250:251], v[16:17] op_sel_hi:[1,0,1]
	s_nop 0
	v_mov_b32_e32 v19, v5
	s_waitcnt vmcnt(2) lgkmcnt(2)
	v_pk_mul_f32 v[4:5], v[6:7], v[252:253] op_sel:[1,1] op_sel_hi:[0,1]
	v_pk_fma_f32 v[16:17], v[6:7], v[252:253], v[4:5] neg_lo:[0,0,1] neg_hi:[0,0,1]
	v_pk_fma_f32 v[4:5], v[6:7], v[252:253], v[4:5] op_sel_hi:[1,0,1]
	v_pk_add_f32 v[2:3], v[2:3], v[18:19]
	v_mov_b32_e32 v4, v255
	v_mov_b32_e32 v17, v5
	v_pk_mul_f32 v[4:5], v[8:9], v[4:5] op_sel:[1,0] op_sel_hi:[0,0]
	v_pk_fma_f32 v[6:7], v[8:9], v[254:255], v[4:5] neg_lo:[0,0,1] neg_hi:[0,0,1]
	v_pk_fma_f32 v[4:5], v[8:9], v[254:255], v[4:5] op_sel_hi:[1,0,1]
	v_pk_add_f32 v[2:3], v[2:3], v[16:17]
	v_mov_b32_e32 v7, v5
	s_waitcnt vmcnt(1) lgkmcnt(1)
	v_pk_mul_f32 v[4:5], v[10:11], v[154:155] op_sel:[1,1] op_sel_hi:[0,1]
	v_pk_add_f32 v[2:3], v[2:3], v[6:7]
	v_pk_fma_f32 v[6:7], v[10:11], v[154:155], v[4:5] neg_lo:[0,0,1] neg_hi:[0,0,1]
	v_pk_fma_f32 v[4:5], v[10:11], v[154:155], v[4:5] op_sel_hi:[1,0,1]
	s_nop 0
	v_mov_b32_e32 v4, v157
	v_mov_b32_e32 v7, v5
	v_pk_mul_f32 v[4:5], v[12:13], v[4:5] op_sel:[1,0] op_sel_hi:[0,0]
	v_pk_add_f32 v[2:3], v[2:3], v[6:7]
	v_pk_fma_f32 v[6:7], v[12:13], v[156:157], v[4:5] neg_lo:[0,0,1] neg_hi:[0,0,1]
	v_pk_fma_f32 v[4:5], v[12:13], v[156:157], v[4:5] op_sel_hi:[1,0,1]
	s_nop 0
	v_mov_b32_e32 v7, v5
	s_waitcnt vmcnt(0) lgkmcnt(0)
	v_pk_mul_f32 v[4:5], v[14:15], v[164:165] op_sel:[1,1] op_sel_hi:[0,1]
	v_pk_add_f32 v[2:3], v[2:3], v[6:7]
	v_pk_fma_f32 v[6:7], v[14:15], v[164:165], v[4:5] neg_lo:[0,0,1] neg_hi:[0,0,1]
	v_pk_fma_f32 v[4:5], v[14:15], v[164:165], v[4:5] op_sel_hi:[1,0,1]
	s_nop 0
	v_mov_b32_e32 v7, v5
	scratch_load_dwordx2 v[4:5], off, off offset:48
	v_pk_add_f32 v[2:3], v[2:3], v[6:7]
	s_waitcnt vmcnt(0)
	v_pk_add_f32 v[2:3], v[4:5], v[2:3] neg_lo:[0,1] neg_hi:[0,1]
	scratch_store_dwordx2 off, v[2:3], off offset:48
	s_and_saveexec_b64 s[0:1], vcc
	s_cbranch_execz .LBB115_315
; %bb.314:
	scratch_load_dwordx2 v[2:3], off, off offset:40
	v_mov_b32_e32 v111, v110
	scratch_store_dwordx2 off, v[110:111], off offset:40
	s_waitcnt vmcnt(1)
	ds_write_b64 v1, v[2:3]
.LBB115_315:
	s_or_b64 exec, exec, s[0:1]
	s_waitcnt lgkmcnt(0)
	; wave barrier
	ds_read_b128 v[14:17], v110 offset:464
	ds_read_b128 v[10:13], v110 offset:480
	ds_read_b128 v[6:9], v110 offset:496
	ds_read_b128 v[2:5], v110 offset:512
	scratch_load_dwordx4 v[18:21], off, off offset:48
	scratch_load_dwordx4 v[38:41], off, off offset:112
	;; [unrolled: 1-line block ×13, first 2 shown]
	v_cmp_lt_u32_e32 vcc, 4, v0
	scratch_load_dwordx4 v[46:49], off, off offset:128
	scratch_load_dwordx4 v[54:57], off, off offset:144
	;; [unrolled: 1-line block ×3, first 2 shown]
	s_waitcnt vmcnt(15) lgkmcnt(3)
	v_mul_f32_e32 v22, v14, v19
	v_fmac_f32_e32 v22, v15, v18
	v_mul_f32_e32 v23, v16, v21
	v_add_f32_e32 v22, 0, v22
	v_fmac_f32_e32 v23, v17, v20
	v_add_f32_e32 v26, v22, v23
	scratch_load_dwordx4 v[22:25], off, off offset:64
	v_mul_f32_e32 v15, v15, v19
	v_fma_f32 v14, v14, v18, -v15
	v_mul_f32_e32 v15, v17, v21
	v_add_f32_e32 v14, 0, v14
	v_fma_f32 v15, v16, v20, -v15
	v_add_f32_e32 v14, v14, v15
	s_waitcnt vmcnt(0) lgkmcnt(2)
	v_mul_f32_e32 v27, v10, v23
	v_fmac_f32_e32 v27, v11, v22
	v_add_f32_e32 v26, v26, v27
	v_mul_f32_e32 v27, v12, v25
	v_fmac_f32_e32 v27, v13, v24
	v_add_f32_e32 v30, v26, v27
	scratch_load_dwordx4 v[26:29], off, off offset:80
	v_mul_f32_e32 v11, v11, v23
	v_fma_f32 v10, v10, v22, -v11
	v_mul_f32_e32 v11, v13, v25
	v_add_f32_e32 v10, v14, v10
	v_fma_f32 v11, v12, v24, -v11
	v_add_f32_e32 v10, v10, v11
	s_waitcnt vmcnt(0) lgkmcnt(1)
	v_mul_f32_e32 v31, v6, v27
	v_fmac_f32_e32 v31, v7, v26
	v_add_f32_e32 v30, v30, v31
	v_mul_f32_e32 v31, v8, v29
	;; [unrolled: 14-line block ×3, first 2 shown]
	v_fmac_f32_e32 v35, v5, v32
	v_add_f32_e32 v42, v34, v35
	ds_read_b128 v[34:37], v110 offset:528
	v_mul_f32_e32 v3, v3, v31
	v_fma_f32 v2, v2, v30, -v3
	v_mul_f32_e32 v3, v5, v33
	v_add_f32_e32 v2, v6, v2
	s_waitcnt lgkmcnt(0)
	v_mul_f32_e32 v43, v34, v39
	v_fmac_f32_e32 v43, v35, v38
	v_add_f32_e32 v42, v42, v43
	v_mul_f32_e32 v43, v36, v41
	v_fmac_f32_e32 v43, v37, v40
	v_add_f32_e32 v50, v42, v43
	ds_read_b128 v[42:45], v110 offset:544
	v_fma_f32 v3, v4, v32, -v3
	v_add_f32_e32 v2, v2, v3
	v_mul_f32_e32 v3, v35, v39
	v_fma_f32 v3, v34, v38, -v3
	s_waitcnt lgkmcnt(0)
	v_mul_f32_e32 v51, v42, v47
	v_fmac_f32_e32 v51, v43, v46
	v_add_f32_e32 v50, v50, v51
	v_mul_f32_e32 v51, v44, v49
	v_fmac_f32_e32 v51, v45, v48
	v_add_f32_e32 v58, v50, v51
	ds_read_b128 v[50:53], v110 offset:560
	v_add_f32_e32 v2, v2, v3
	v_mul_f32_e32 v3, v37, v41
	v_fma_f32 v3, v36, v40, -v3
	v_add_f32_e32 v2, v2, v3
	s_waitcnt lgkmcnt(0)
	v_mul_f32_e32 v59, v50, v55
	v_fmac_f32_e32 v59, v51, v54
	v_add_f32_e32 v58, v58, v59
	v_mul_f32_e32 v59, v52, v57
	v_fmac_f32_e32 v59, v53, v56
	v_add_f32_e32 v66, v58, v59
	ds_read_b128 v[58:61], v110 offset:576
	v_mul_f32_e32 v3, v43, v47
	v_fma_f32 v3, v42, v46, -v3
	v_add_f32_e32 v2, v2, v3
	v_mul_f32_e32 v3, v45, v49
	s_waitcnt lgkmcnt(0)
	v_mul_f32_e32 v67, v58, v63
	v_fmac_f32_e32 v67, v59, v62
	v_add_f32_e32 v66, v66, v67
	v_mul_f32_e32 v67, v60, v65
	v_fmac_f32_e32 v67, v61, v64
	v_add_f32_e32 v74, v66, v67
	ds_read_b128 v[66:69], v110 offset:592
	v_fma_f32 v3, v44, v48, -v3
	v_add_f32_e32 v2, v2, v3
	v_mul_f32_e32 v3, v51, v55
	v_fma_f32 v3, v50, v54, -v3
	s_waitcnt lgkmcnt(0)
	v_mul_f32_e32 v75, v66, v71
	v_fmac_f32_e32 v75, v67, v70
	v_add_f32_e32 v74, v74, v75
	v_mul_f32_e32 v75, v68, v73
	v_fmac_f32_e32 v75, v69, v72
	v_add_f32_e32 v82, v74, v75
	ds_read_b128 v[74:77], v110 offset:608
	v_add_f32_e32 v2, v2, v3
	v_mul_f32_e32 v3, v53, v57
	v_fma_f32 v3, v52, v56, -v3
	v_add_f32_e32 v2, v2, v3
	s_waitcnt lgkmcnt(0)
	v_mul_f32_e32 v83, v74, v79
	v_fmac_f32_e32 v83, v75, v78
	v_add_f32_e32 v82, v82, v83
	v_mul_f32_e32 v83, v76, v81
	v_fmac_f32_e32 v83, v77, v80
	v_add_f32_e32 v90, v82, v83
	ds_read_b128 v[82:85], v110 offset:624
	v_mul_f32_e32 v3, v59, v63
	v_fma_f32 v3, v58, v62, -v3
	v_add_f32_e32 v2, v2, v3
	v_mul_f32_e32 v3, v61, v65
	;; [unrolled: 36-line block ×4, first 2 shown]
	s_waitcnt lgkmcnt(0)
	v_mul_f32_e32 v142, v132, v137
	v_fmac_f32_e32 v142, v133, v136
	v_add_f32_e32 v111, v111, v142
	v_mul_f32_e32 v142, v134, v139
	v_fmac_f32_e32 v142, v135, v138
	v_add_f32_e32 v111, v111, v142
	ds_read_b128 v[142:145], v110 offset:736
	v_fma_f32 v3, v92, v96, -v3
	v_add_f32_e32 v2, v2, v3
	v_mul_f32_e32 v3, v99, v103
	v_fma_f32 v3, v98, v102, -v3
	s_waitcnt lgkmcnt(0)
	v_mul_f32_e32 v150, v142, v147
	v_fmac_f32_e32 v150, v143, v146
	v_add_f32_e32 v111, v111, v150
	v_mul_f32_e32 v150, v144, v149
	v_fmac_f32_e32 v150, v145, v148
	v_add_f32_e32 v163, v111, v150
	ds_read_b128 v[150:153], v110 offset:752
	scratch_load_dwordx4 v[244:247], off, off offset:352
	scratch_load_dwordx4 v[248:251], off, off offset:368
	;; [unrolled: 1-line block ×4, first 2 shown]
	v_add_f32_e32 v2, v2, v3
	v_mul_f32_e32 v3, v101, v105
	v_fma_f32 v3, v100, v104, -v3
	v_add_f32_e32 v2, v2, v3
	v_mul_f32_e32 v3, v107, v113
	v_fma_f32 v3, v106, v112, -v3
	;; [unrolled: 3-line block ×11, first 2 shown]
	v_add_f32_e32 v162, v2, v3
	s_waitcnt lgkmcnt(0)
	v_mul_f32_e32 v2, v151, v155
	v_fma_f32 v164, v150, v154, -v2
	v_mul_f32_e32 v2, v153, v157
	v_fma_f32 v166, v152, v156, -v2
	ds_read_b128 v[2:5], v110 offset:768
	ds_read_b128 v[6:9], v110 offset:784
	;; [unrolled: 1-line block ×4, first 2 shown]
	v_mul_f32_e32 v165, v150, v155
	v_fmac_f32_e32 v165, v151, v154
	v_mul_f32_e32 v167, v152, v157
	v_fmac_f32_e32 v167, v153, v156
	v_pk_add_f32 v[18:19], v[162:163], v[164:165]
	s_waitcnt vmcnt(3) lgkmcnt(3)
	v_pk_mul_f32 v[20:21], v[2:3], v[244:245] op_sel:[1,1] op_sel_hi:[0,1]
	v_pk_fma_f32 v[22:23], v[2:3], v[244:245], v[20:21] neg_lo:[0,0,1] neg_hi:[0,0,1]
	v_pk_fma_f32 v[2:3], v[2:3], v[244:245], v[20:21] op_sel_hi:[1,0,1]
	v_pk_add_f32 v[18:19], v[18:19], v[166:167]
	v_mov_b32_e32 v23, v3
	v_pk_add_f32 v[2:3], v[18:19], v[22:23]
	v_mov_b32_e32 v18, v247
	v_pk_mul_f32 v[18:19], v[4:5], v[18:19] op_sel:[1,0] op_sel_hi:[0,0]
	v_pk_fma_f32 v[20:21], v[4:5], v[246:247], v[18:19] neg_lo:[0,0,1] neg_hi:[0,0,1]
	v_pk_fma_f32 v[4:5], v[4:5], v[246:247], v[18:19] op_sel_hi:[1,0,1]
	s_nop 0
	v_mov_b32_e32 v21, v5
	s_waitcnt vmcnt(2) lgkmcnt(2)
	v_pk_mul_f32 v[4:5], v[6:7], v[248:249] op_sel:[1,1] op_sel_hi:[0,1]
	v_pk_fma_f32 v[18:19], v[6:7], v[248:249], v[4:5] neg_lo:[0,0,1] neg_hi:[0,0,1]
	v_pk_fma_f32 v[4:5], v[6:7], v[248:249], v[4:5] op_sel_hi:[1,0,1]
	v_pk_add_f32 v[2:3], v[2:3], v[20:21]
	v_mov_b32_e32 v4, v251
	v_mov_b32_e32 v19, v5
	v_pk_mul_f32 v[4:5], v[8:9], v[4:5] op_sel:[1,0] op_sel_hi:[0,0]
	v_pk_fma_f32 v[6:7], v[8:9], v[250:251], v[4:5] neg_lo:[0,0,1] neg_hi:[0,0,1]
	v_pk_fma_f32 v[4:5], v[8:9], v[250:251], v[4:5] op_sel_hi:[1,0,1]
	v_pk_add_f32 v[2:3], v[2:3], v[18:19]
	v_mov_b32_e32 v7, v5
	s_waitcnt vmcnt(1) lgkmcnt(1)
	v_pk_mul_f32 v[4:5], v[10:11], v[252:253] op_sel:[1,1] op_sel_hi:[0,1]
	v_pk_add_f32 v[2:3], v[2:3], v[6:7]
	v_pk_fma_f32 v[6:7], v[10:11], v[252:253], v[4:5] neg_lo:[0,0,1] neg_hi:[0,0,1]
	v_pk_fma_f32 v[4:5], v[10:11], v[252:253], v[4:5] op_sel_hi:[1,0,1]
	s_nop 0
	v_mov_b32_e32 v4, v255
	v_mov_b32_e32 v7, v5
	v_pk_mul_f32 v[4:5], v[12:13], v[4:5] op_sel:[1,0] op_sel_hi:[0,0]
	v_pk_add_f32 v[2:3], v[2:3], v[6:7]
	v_pk_fma_f32 v[6:7], v[12:13], v[254:255], v[4:5] neg_lo:[0,0,1] neg_hi:[0,0,1]
	v_pk_fma_f32 v[4:5], v[12:13], v[254:255], v[4:5] op_sel_hi:[1,0,1]
	s_nop 0
	v_mov_b32_e32 v7, v5
	s_waitcnt vmcnt(0) lgkmcnt(0)
	v_pk_mul_f32 v[4:5], v[14:15], v[158:159] op_sel:[1,1] op_sel_hi:[0,1]
	v_pk_add_f32 v[2:3], v[2:3], v[6:7]
	v_pk_fma_f32 v[6:7], v[14:15], v[158:159], v[4:5] neg_lo:[0,0,1] neg_hi:[0,0,1]
	v_pk_fma_f32 v[4:5], v[14:15], v[158:159], v[4:5] op_sel_hi:[1,0,1]
	s_nop 0
	v_mov_b32_e32 v4, v161
	v_mov_b32_e32 v7, v5
	v_pk_mul_f32 v[4:5], v[16:17], v[4:5] op_sel:[1,0] op_sel_hi:[0,0]
	v_pk_add_f32 v[2:3], v[2:3], v[6:7]
	v_pk_fma_f32 v[6:7], v[16:17], v[160:161], v[4:5] neg_lo:[0,0,1] neg_hi:[0,0,1]
	v_pk_fma_f32 v[4:5], v[16:17], v[160:161], v[4:5] op_sel_hi:[1,0,1]
	s_nop 0
	v_mov_b32_e32 v7, v5
	scratch_load_dwordx2 v[4:5], off, off offset:40
	v_pk_add_f32 v[2:3], v[2:3], v[6:7]
	s_waitcnt vmcnt(0)
	v_pk_add_f32 v[2:3], v[4:5], v[2:3] neg_lo:[0,1] neg_hi:[0,1]
	scratch_store_dwordx2 off, v[2:3], off offset:40
	s_and_saveexec_b64 s[0:1], vcc
	s_cbranch_execz .LBB115_317
; %bb.316:
	scratch_load_dwordx2 v[2:3], off, off offset:32
	v_mov_b32_e32 v4, 0
	v_mov_b32_e32 v5, v4
	scratch_store_dwordx2 off, v[4:5], off offset:32
	s_waitcnt vmcnt(1)
	ds_write_b64 v1, v[2:3]
.LBB115_317:
	s_or_b64 exec, exec, s[0:1]
	s_waitcnt lgkmcnt(0)
	; wave barrier
	scratch_load_dwordx4 v[6:9], off, off offset:40
	scratch_load_dwordx4 v[14:17], off, off offset:56
	;; [unrolled: 1-line block ×10, first 2 shown]
	v_mov_b32_e32 v118, 0
	ds_read2_b64 v[2:5], v118 offset0:57 offset1:58
	scratch_load_dwordx4 v[86:89], off, off offset:200
	scratch_load_dwordx4 v[94:97], off, off offset:216
	;; [unrolled: 1-line block ×10, first 2 shown]
	v_cmp_lt_u32_e32 vcc, 3, v0
	s_waitcnt vmcnt(19) lgkmcnt(0)
	v_mul_f32_e32 v10, v2, v7
	v_fmac_f32_e32 v10, v3, v6
	v_mul_f32_e32 v11, v4, v9
	v_add_f32_e32 v10, 0, v10
	v_fmac_f32_e32 v11, v5, v8
	v_add_f32_e32 v18, v10, v11
	ds_read2_b64 v[10:13], v118 offset0:59 offset1:60
	v_mul_f32_e32 v3, v3, v7
	v_fma_f32 v2, v2, v6, -v3
	v_mul_f32_e32 v3, v5, v9
	v_add_f32_e32 v2, 0, v2
	s_waitcnt vmcnt(18) lgkmcnt(0)
	v_mul_f32_e32 v19, v10, v15
	v_fmac_f32_e32 v19, v11, v14
	v_add_f32_e32 v18, v18, v19
	v_mul_f32_e32 v19, v12, v17
	v_fmac_f32_e32 v19, v13, v16
	v_add_f32_e32 v26, v18, v19
	ds_read2_b64 v[18:21], v118 offset0:61 offset1:62
	v_fma_f32 v3, v4, v8, -v3
	v_add_f32_e32 v2, v2, v3
	v_mul_f32_e32 v3, v11, v15
	v_fma_f32 v3, v10, v14, -v3
	s_waitcnt vmcnt(17) lgkmcnt(0)
	v_mul_f32_e32 v27, v18, v23
	v_fmac_f32_e32 v27, v19, v22
	v_add_f32_e32 v26, v26, v27
	v_mul_f32_e32 v27, v20, v25
	v_fmac_f32_e32 v27, v21, v24
	v_add_f32_e32 v34, v26, v27
	ds_read2_b64 v[26:29], v118 offset0:63 offset1:64
	v_add_f32_e32 v2, v2, v3
	v_mul_f32_e32 v3, v13, v17
	v_fma_f32 v3, v12, v16, -v3
	v_add_f32_e32 v2, v2, v3
	s_waitcnt vmcnt(16) lgkmcnt(0)
	v_mul_f32_e32 v35, v26, v31
	v_fmac_f32_e32 v35, v27, v30
	v_add_f32_e32 v34, v34, v35
	v_mul_f32_e32 v35, v28, v33
	v_fmac_f32_e32 v35, v29, v32
	v_add_f32_e32 v42, v34, v35
	ds_read2_b64 v[34:37], v118 offset0:65 offset1:66
	v_mul_f32_e32 v3, v19, v23
	v_fma_f32 v3, v18, v22, -v3
	v_add_f32_e32 v2, v2, v3
	v_mul_f32_e32 v3, v21, v25
	s_waitcnt vmcnt(15) lgkmcnt(0)
	v_mul_f32_e32 v43, v34, v39
	v_fmac_f32_e32 v43, v35, v38
	v_add_f32_e32 v42, v42, v43
	v_mul_f32_e32 v43, v36, v41
	v_fmac_f32_e32 v43, v37, v40
	v_add_f32_e32 v50, v42, v43
	ds_read2_b64 v[42:45], v118 offset0:67 offset1:68
	v_fma_f32 v3, v20, v24, -v3
	v_add_f32_e32 v2, v2, v3
	v_mul_f32_e32 v3, v27, v31
	v_fma_f32 v3, v26, v30, -v3
	s_waitcnt vmcnt(14) lgkmcnt(0)
	v_mul_f32_e32 v51, v42, v47
	v_fmac_f32_e32 v51, v43, v46
	v_add_f32_e32 v50, v50, v51
	v_mul_f32_e32 v51, v44, v49
	v_fmac_f32_e32 v51, v45, v48
	v_add_f32_e32 v58, v50, v51
	ds_read2_b64 v[50:53], v118 offset0:69 offset1:70
	v_add_f32_e32 v2, v2, v3
	v_mul_f32_e32 v3, v29, v33
	v_fma_f32 v3, v28, v32, -v3
	v_add_f32_e32 v2, v2, v3
	s_waitcnt vmcnt(13) lgkmcnt(0)
	v_mul_f32_e32 v59, v50, v55
	v_fmac_f32_e32 v59, v51, v54
	v_add_f32_e32 v58, v58, v59
	v_mul_f32_e32 v59, v52, v57
	v_fmac_f32_e32 v59, v53, v56
	v_add_f32_e32 v66, v58, v59
	ds_read2_b64 v[58:61], v118 offset0:71 offset1:72
	v_mul_f32_e32 v3, v35, v39
	v_fma_f32 v3, v34, v38, -v3
	v_add_f32_e32 v2, v2, v3
	v_mul_f32_e32 v3, v37, v41
	;; [unrolled: 36-line block ×5, first 2 shown]
	s_waitcnt vmcnt(3) lgkmcnt(0)
	v_mul_f32_e32 v142, v132, v137
	v_fmac_f32_e32 v142, v133, v136
	v_add_f32_e32 v119, v119, v142
	v_mul_f32_e32 v142, v134, v139
	v_fmac_f32_e32 v142, v135, v138
	v_add_f32_e32 v119, v119, v142
	ds_read2_b64 v[142:145], v118 offset0:91 offset1:92
	v_fma_f32 v3, v84, v88, -v3
	v_add_f32_e32 v2, v2, v3
	v_mul_f32_e32 v3, v91, v95
	v_fma_f32 v3, v90, v94, -v3
	s_waitcnt vmcnt(2) lgkmcnt(0)
	v_mul_f32_e32 v150, v142, v147
	v_fmac_f32_e32 v150, v143, v146
	v_add_f32_e32 v119, v119, v150
	v_mul_f32_e32 v150, v144, v149
	v_fmac_f32_e32 v150, v145, v148
	v_add_f32_e32 v119, v119, v150
	ds_read2_b64 v[150:153], v118 offset0:93 offset1:94
	v_add_f32_e32 v2, v2, v3
	v_mul_f32_e32 v3, v93, v97
	v_fma_f32 v3, v92, v96, -v3
	v_add_f32_e32 v2, v2, v3
	s_waitcnt vmcnt(1) lgkmcnt(0)
	v_mul_f32_e32 v158, v150, v155
	v_fmac_f32_e32 v158, v151, v154
	v_add_f32_e32 v167, v119, v158
	ds_read2_b64 v[158:161], v118 offset0:95 offset1:96
	scratch_load_dwordx4 v[248:251], off, off offset:360
	scratch_load_dwordx4 v[252:255], off, off offset:376
	;; [unrolled: 1-line block ×3, first 2 shown]
	scratch_load_dwordx2 v[172:173], off, off offset:408
	v_mul_f32_e32 v3, v99, v103
	v_fma_f32 v3, v98, v102, -v3
	v_add_f32_e32 v2, v2, v3
	v_mul_f32_e32 v3, v101, v105
	v_fma_f32 v3, v100, v104, -v3
	v_add_f32_e32 v2, v2, v3
	;; [unrolled: 3-line block ×13, first 2 shown]
	v_mul_f32_e32 v2, v153, v157
	v_mul_f32_e32 v169, v152, v157
	v_fma_f32 v168, v152, v156, -v2
	s_waitcnt vmcnt(4) lgkmcnt(0)
	v_mul_f32_e32 v2, v159, v245
	v_mov_b32_e32 v18, v247
	v_fmac_f32_e32 v169, v153, v156
	v_mul_f32_e32 v171, v158, v245
	v_fma_f32 v170, v158, v244, -v2
	ds_read2_b64 v[2:5], v118 offset0:97 offset1:98
	ds_read2_b64 v[6:9], v118 offset0:99 offset1:100
	;; [unrolled: 1-line block ×3, first 2 shown]
	ds_read_b64 v[14:15], v118 offset:824
	v_pk_mul_f32 v[18:19], v[160:161], v[18:19] op_sel:[1,0] op_sel_hi:[0,0]
	v_fmac_f32_e32 v171, v159, v244
	v_pk_add_f32 v[16:17], v[166:167], v[168:169]
	v_pk_fma_f32 v[20:21], v[160:161], v[246:247], v[18:19] neg_lo:[0,0,1] neg_hi:[0,0,1]
	v_pk_fma_f32 v[18:19], v[160:161], v[246:247], v[18:19] op_sel_hi:[1,0,1]
	v_pk_add_f32 v[16:17], v[16:17], v[170:171]
	v_mov_b32_e32 v21, v19
	v_pk_add_f32 v[16:17], v[16:17], v[20:21]
	s_waitcnt vmcnt(3) lgkmcnt(3)
	v_pk_mul_f32 v[18:19], v[2:3], v[248:249] op_sel:[1,1] op_sel_hi:[0,1]
	v_pk_fma_f32 v[20:21], v[2:3], v[248:249], v[18:19] neg_lo:[0,0,1] neg_hi:[0,0,1]
	v_pk_fma_f32 v[2:3], v[2:3], v[248:249], v[18:19] op_sel_hi:[1,0,1]
	s_nop 0
	v_mov_b32_e32 v21, v3
	v_pk_add_f32 v[2:3], v[16:17], v[20:21]
	v_mov_b32_e32 v16, v251
	v_pk_mul_f32 v[16:17], v[4:5], v[16:17] op_sel:[1,0] op_sel_hi:[0,0]
	v_pk_fma_f32 v[18:19], v[4:5], v[250:251], v[16:17] neg_lo:[0,0,1] neg_hi:[0,0,1]
	v_pk_fma_f32 v[4:5], v[4:5], v[250:251], v[16:17] op_sel_hi:[1,0,1]
	s_nop 0
	v_mov_b32_e32 v19, v5
	s_waitcnt vmcnt(2) lgkmcnt(2)
	v_pk_mul_f32 v[4:5], v[6:7], v[252:253] op_sel:[1,1] op_sel_hi:[0,1]
	v_pk_fma_f32 v[16:17], v[6:7], v[252:253], v[4:5] neg_lo:[0,0,1] neg_hi:[0,0,1]
	v_pk_fma_f32 v[4:5], v[6:7], v[252:253], v[4:5] op_sel_hi:[1,0,1]
	v_pk_add_f32 v[2:3], v[2:3], v[18:19]
	v_mov_b32_e32 v4, v255
	v_mov_b32_e32 v17, v5
	v_pk_mul_f32 v[4:5], v[8:9], v[4:5] op_sel:[1,0] op_sel_hi:[0,0]
	v_pk_fma_f32 v[6:7], v[8:9], v[254:255], v[4:5] neg_lo:[0,0,1] neg_hi:[0,0,1]
	v_pk_fma_f32 v[4:5], v[8:9], v[254:255], v[4:5] op_sel_hi:[1,0,1]
	v_pk_add_f32 v[2:3], v[2:3], v[16:17]
	v_mov_b32_e32 v7, v5
	s_waitcnt vmcnt(1) lgkmcnt(1)
	v_pk_mul_f32 v[4:5], v[10:11], v[162:163] op_sel:[1,1] op_sel_hi:[0,1]
	v_pk_add_f32 v[2:3], v[2:3], v[6:7]
	v_pk_fma_f32 v[6:7], v[10:11], v[162:163], v[4:5] neg_lo:[0,0,1] neg_hi:[0,0,1]
	v_pk_fma_f32 v[4:5], v[10:11], v[162:163], v[4:5] op_sel_hi:[1,0,1]
	s_nop 0
	v_mov_b32_e32 v4, v165
	v_mov_b32_e32 v7, v5
	v_pk_mul_f32 v[4:5], v[12:13], v[4:5] op_sel:[1,0] op_sel_hi:[0,0]
	v_pk_add_f32 v[2:3], v[2:3], v[6:7]
	v_pk_fma_f32 v[6:7], v[12:13], v[164:165], v[4:5] neg_lo:[0,0,1] neg_hi:[0,0,1]
	v_pk_fma_f32 v[4:5], v[12:13], v[164:165], v[4:5] op_sel_hi:[1,0,1]
	s_nop 0
	v_mov_b32_e32 v7, v5
	s_waitcnt vmcnt(0) lgkmcnt(0)
	v_pk_mul_f32 v[4:5], v[14:15], v[172:173] op_sel:[1,1] op_sel_hi:[0,1]
	v_pk_add_f32 v[2:3], v[2:3], v[6:7]
	v_pk_fma_f32 v[6:7], v[14:15], v[172:173], v[4:5] neg_lo:[0,0,1] neg_hi:[0,0,1]
	v_pk_fma_f32 v[4:5], v[14:15], v[172:173], v[4:5] op_sel_hi:[1,0,1]
	s_nop 0
	v_mov_b32_e32 v7, v5
	scratch_load_dwordx2 v[4:5], off, off offset:32
	v_pk_add_f32 v[2:3], v[2:3], v[6:7]
	s_waitcnt vmcnt(0)
	v_pk_add_f32 v[2:3], v[4:5], v[2:3] neg_lo:[0,1] neg_hi:[0,1]
	scratch_store_dwordx2 off, v[2:3], off offset:32
	s_and_saveexec_b64 s[0:1], vcc
	s_cbranch_execz .LBB115_319
; %bb.318:
	scratch_load_dwordx2 v[2:3], off, off offset:24
	v_mov_b32_e32 v119, v118
	scratch_store_dwordx2 off, v[118:119], off offset:24
	s_waitcnt vmcnt(1)
	ds_write_b64 v1, v[2:3]
.LBB115_319:
	s_or_b64 exec, exec, s[0:1]
	s_waitcnt lgkmcnt(0)
	; wave barrier
	ds_read_b128 v[14:17], v118 offset:448
	ds_read_b128 v[10:13], v118 offset:464
	;; [unrolled: 1-line block ×4, first 2 shown]
	scratch_load_dwordx4 v[18:21], off, off offset:32
	scratch_load_dwordx4 v[38:41], off, off offset:96
	scratch_load_dwordx4 v[70:73], off, off offset:160
	scratch_load_dwordx4 v[78:81], off, off offset:176
	scratch_load_dwordx4 v[86:89], off, off offset:192
	scratch_load_dwordx4 v[94:97], off, off offset:208
	scratch_load_dwordx4 v[102:105], off, off offset:224
	scratch_load_dwordx4 v[110:113], off, off offset:240
	scratch_load_dwordx4 v[120:123], off, off offset:256
	scratch_load_dwordx4 v[128:131], off, off offset:272
	scratch_load_dwordx4 v[136:139], off, off offset:288
	scratch_load_dwordx4 v[146:149], off, off offset:304
	scratch_load_dwordx4 v[154:157], off, off offset:320
	scratch_load_dwordx4 v[162:165], off, off offset:336
	v_cmp_lt_u32_e32 vcc, 2, v0
	scratch_load_dwordx4 v[46:49], off, off offset:112
	scratch_load_dwordx4 v[54:57], off, off offset:128
	;; [unrolled: 1-line block ×3, first 2 shown]
	s_waitcnt vmcnt(16) lgkmcnt(3)
	v_mul_f32_e32 v22, v14, v19
	v_fmac_f32_e32 v22, v15, v18
	v_mul_f32_e32 v23, v16, v21
	v_add_f32_e32 v22, 0, v22
	v_fmac_f32_e32 v23, v17, v20
	v_add_f32_e32 v26, v22, v23
	scratch_load_dwordx4 v[22:25], off, off offset:48
	v_mul_f32_e32 v15, v15, v19
	v_fma_f32 v14, v14, v18, -v15
	v_mul_f32_e32 v15, v17, v21
	v_add_f32_e32 v14, 0, v14
	v_fma_f32 v15, v16, v20, -v15
	v_add_f32_e32 v14, v14, v15
	s_waitcnt vmcnt(0) lgkmcnt(2)
	v_mul_f32_e32 v27, v10, v23
	v_fmac_f32_e32 v27, v11, v22
	v_add_f32_e32 v26, v26, v27
	v_mul_f32_e32 v27, v12, v25
	v_fmac_f32_e32 v27, v13, v24
	v_add_f32_e32 v30, v26, v27
	scratch_load_dwordx4 v[26:29], off, off offset:64
	v_mul_f32_e32 v11, v11, v23
	v_fma_f32 v10, v10, v22, -v11
	v_mul_f32_e32 v11, v13, v25
	v_add_f32_e32 v10, v14, v10
	v_fma_f32 v11, v12, v24, -v11
	v_add_f32_e32 v10, v10, v11
	s_waitcnt vmcnt(0) lgkmcnt(1)
	v_mul_f32_e32 v31, v6, v27
	v_fmac_f32_e32 v31, v7, v26
	v_add_f32_e32 v30, v30, v31
	v_mul_f32_e32 v31, v8, v29
	;; [unrolled: 14-line block ×3, first 2 shown]
	v_fmac_f32_e32 v35, v5, v32
	v_add_f32_e32 v42, v34, v35
	ds_read_b128 v[34:37], v118 offset:512
	v_mul_f32_e32 v3, v3, v31
	v_fma_f32 v2, v2, v30, -v3
	v_mul_f32_e32 v3, v5, v33
	v_add_f32_e32 v2, v6, v2
	s_waitcnt lgkmcnt(0)
	v_mul_f32_e32 v43, v34, v39
	v_fmac_f32_e32 v43, v35, v38
	v_add_f32_e32 v42, v42, v43
	v_mul_f32_e32 v43, v36, v41
	v_fmac_f32_e32 v43, v37, v40
	v_add_f32_e32 v50, v42, v43
	ds_read_b128 v[42:45], v118 offset:528
	v_fma_f32 v3, v4, v32, -v3
	v_add_f32_e32 v2, v2, v3
	v_mul_f32_e32 v3, v35, v39
	v_fma_f32 v3, v34, v38, -v3
	s_waitcnt lgkmcnt(0)
	v_mul_f32_e32 v51, v42, v47
	v_fmac_f32_e32 v51, v43, v46
	v_add_f32_e32 v50, v50, v51
	v_mul_f32_e32 v51, v44, v49
	v_fmac_f32_e32 v51, v45, v48
	v_add_f32_e32 v58, v50, v51
	ds_read_b128 v[50:53], v118 offset:544
	v_add_f32_e32 v2, v2, v3
	v_mul_f32_e32 v3, v37, v41
	v_fma_f32 v3, v36, v40, -v3
	v_add_f32_e32 v2, v2, v3
	s_waitcnt lgkmcnt(0)
	v_mul_f32_e32 v59, v50, v55
	v_fmac_f32_e32 v59, v51, v54
	v_add_f32_e32 v58, v58, v59
	v_mul_f32_e32 v59, v52, v57
	v_fmac_f32_e32 v59, v53, v56
	v_add_f32_e32 v66, v58, v59
	ds_read_b128 v[58:61], v118 offset:560
	v_mul_f32_e32 v3, v43, v47
	v_fma_f32 v3, v42, v46, -v3
	v_add_f32_e32 v2, v2, v3
	v_mul_f32_e32 v3, v45, v49
	s_waitcnt lgkmcnt(0)
	v_mul_f32_e32 v67, v58, v63
	v_fmac_f32_e32 v67, v59, v62
	v_add_f32_e32 v66, v66, v67
	v_mul_f32_e32 v67, v60, v65
	v_fmac_f32_e32 v67, v61, v64
	v_add_f32_e32 v74, v66, v67
	ds_read_b128 v[66:69], v118 offset:576
	v_fma_f32 v3, v44, v48, -v3
	v_add_f32_e32 v2, v2, v3
	v_mul_f32_e32 v3, v51, v55
	v_fma_f32 v3, v50, v54, -v3
	s_waitcnt lgkmcnt(0)
	v_mul_f32_e32 v75, v66, v71
	v_fmac_f32_e32 v75, v67, v70
	v_add_f32_e32 v74, v74, v75
	v_mul_f32_e32 v75, v68, v73
	v_fmac_f32_e32 v75, v69, v72
	v_add_f32_e32 v82, v74, v75
	ds_read_b128 v[74:77], v118 offset:592
	v_add_f32_e32 v2, v2, v3
	v_mul_f32_e32 v3, v53, v57
	v_fma_f32 v3, v52, v56, -v3
	v_add_f32_e32 v2, v2, v3
	s_waitcnt lgkmcnt(0)
	v_mul_f32_e32 v83, v74, v79
	v_fmac_f32_e32 v83, v75, v78
	v_add_f32_e32 v82, v82, v83
	v_mul_f32_e32 v83, v76, v81
	v_fmac_f32_e32 v83, v77, v80
	v_add_f32_e32 v90, v82, v83
	ds_read_b128 v[82:85], v118 offset:608
	v_mul_f32_e32 v3, v59, v63
	v_fma_f32 v3, v58, v62, -v3
	v_add_f32_e32 v2, v2, v3
	v_mul_f32_e32 v3, v61, v65
	s_waitcnt lgkmcnt(0)
	v_mul_f32_e32 v91, v82, v87
	v_fmac_f32_e32 v91, v83, v86
	v_add_f32_e32 v90, v90, v91
	v_mul_f32_e32 v91, v84, v89
	v_fmac_f32_e32 v91, v85, v88
	v_add_f32_e32 v98, v90, v91
	ds_read_b128 v[90:93], v118 offset:624
	v_fma_f32 v3, v60, v64, -v3
	v_add_f32_e32 v2, v2, v3
	v_mul_f32_e32 v3, v67, v71
	v_fma_f32 v3, v66, v70, -v3
	s_waitcnt lgkmcnt(0)
	v_mul_f32_e32 v99, v90, v95
	v_fmac_f32_e32 v99, v91, v94
	v_add_f32_e32 v98, v98, v99
	v_mul_f32_e32 v99, v92, v97
	v_fmac_f32_e32 v99, v93, v96
	v_add_f32_e32 v106, v98, v99
	ds_read_b128 v[98:101], v118 offset:640
	v_add_f32_e32 v2, v2, v3
	v_mul_f32_e32 v3, v69, v73
	v_fma_f32 v3, v68, v72, -v3
	v_add_f32_e32 v2, v2, v3
	s_waitcnt lgkmcnt(0)
	v_mul_f32_e32 v107, v98, v103
	v_fmac_f32_e32 v107, v99, v102
	v_add_f32_e32 v106, v106, v107
	v_mul_f32_e32 v107, v100, v105
	v_fmac_f32_e32 v107, v101, v104
	v_add_f32_e32 v114, v106, v107
	ds_read_b128 v[106:109], v118 offset:656
	v_mul_f32_e32 v3, v75, v79
	v_fma_f32 v3, v74, v78, -v3
	v_add_f32_e32 v2, v2, v3
	v_mul_f32_e32 v3, v77, v81
	s_waitcnt lgkmcnt(0)
	v_mul_f32_e32 v115, v106, v111
	v_fmac_f32_e32 v115, v107, v110
	v_add_f32_e32 v114, v114, v115
	v_mul_f32_e32 v115, v108, v113
	v_fmac_f32_e32 v115, v109, v112
	v_add_f32_e32 v119, v114, v115
	ds_read_b128 v[114:117], v118 offset:672
	v_fma_f32 v3, v76, v80, -v3
	v_add_f32_e32 v2, v2, v3
	v_mul_f32_e32 v3, v83, v87
	v_fma_f32 v3, v82, v86, -v3
	s_waitcnt lgkmcnt(0)
	v_mul_f32_e32 v124, v114, v121
	v_fmac_f32_e32 v124, v115, v120
	v_add_f32_e32 v119, v119, v124
	v_mul_f32_e32 v124, v116, v123
	v_fmac_f32_e32 v124, v117, v122
	v_add_f32_e32 v119, v119, v124
	ds_read_b128 v[124:127], v118 offset:688
	v_add_f32_e32 v2, v2, v3
	v_mul_f32_e32 v3, v85, v89
	v_fma_f32 v3, v84, v88, -v3
	v_add_f32_e32 v2, v2, v3
	s_waitcnt lgkmcnt(0)
	v_mul_f32_e32 v132, v124, v129
	v_fmac_f32_e32 v132, v125, v128
	v_add_f32_e32 v119, v119, v132
	v_mul_f32_e32 v132, v126, v131
	v_fmac_f32_e32 v132, v127, v130
	v_add_f32_e32 v119, v119, v132
	ds_read_b128 v[132:135], v118 offset:704
	v_mul_f32_e32 v3, v91, v95
	v_fma_f32 v3, v90, v94, -v3
	v_add_f32_e32 v2, v2, v3
	v_mul_f32_e32 v3, v93, v97
	s_waitcnt lgkmcnt(0)
	v_mul_f32_e32 v142, v132, v137
	v_fmac_f32_e32 v142, v133, v136
	v_add_f32_e32 v119, v119, v142
	v_mul_f32_e32 v142, v134, v139
	v_fmac_f32_e32 v142, v135, v138
	v_add_f32_e32 v119, v119, v142
	ds_read_b128 v[142:145], v118 offset:720
	v_fma_f32 v3, v92, v96, -v3
	v_add_f32_e32 v2, v2, v3
	v_mul_f32_e32 v3, v99, v103
	v_fma_f32 v3, v98, v102, -v3
	s_waitcnt lgkmcnt(0)
	v_mul_f32_e32 v150, v142, v147
	v_fmac_f32_e32 v150, v143, v146
	v_add_f32_e32 v119, v119, v150
	v_mul_f32_e32 v150, v144, v149
	v_fmac_f32_e32 v150, v145, v148
	v_add_f32_e32 v119, v119, v150
	ds_read_b128 v[150:153], v118 offset:736
	v_add_f32_e32 v2, v2, v3
	v_mul_f32_e32 v3, v101, v105
	v_fma_f32 v3, v100, v104, -v3
	v_add_f32_e32 v2, v2, v3
	s_waitcnt lgkmcnt(0)
	v_mul_f32_e32 v158, v150, v155
	v_fmac_f32_e32 v158, v151, v154
	v_add_f32_e32 v119, v119, v158
	v_mul_f32_e32 v158, v152, v157
	v_fmac_f32_e32 v158, v153, v156
	v_add_f32_e32 v171, v119, v158
	ds_read_b128 v[158:161], v118 offset:752
	scratch_load_dwordx4 v[244:247], off, off offset:352
	scratch_load_dwordx4 v[248:251], off, off offset:368
	;; [unrolled: 1-line block ×4, first 2 shown]
	v_mul_f32_e32 v3, v107, v111
	v_fma_f32 v3, v106, v110, -v3
	v_add_f32_e32 v2, v2, v3
	v_mul_f32_e32 v3, v109, v113
	v_fma_f32 v3, v108, v112, -v3
	v_add_f32_e32 v2, v2, v3
	;; [unrolled: 3-line block ×12, first 2 shown]
	s_waitcnt lgkmcnt(0)
	v_mul_f32_e32 v2, v159, v163
	v_fma_f32 v172, v158, v162, -v2
	v_mul_f32_e32 v2, v161, v165
	v_fma_f32 v174, v160, v164, -v2
	ds_read_b128 v[2:5], v118 offset:768
	ds_read_b128 v[6:9], v118 offset:784
	;; [unrolled: 1-line block ×4, first 2 shown]
	v_mul_f32_e32 v173, v158, v163
	v_fmac_f32_e32 v173, v159, v162
	v_mul_f32_e32 v175, v160, v165
	v_fmac_f32_e32 v175, v161, v164
	v_pk_add_f32 v[18:19], v[170:171], v[172:173]
	s_waitcnt vmcnt(3) lgkmcnt(3)
	v_pk_mul_f32 v[20:21], v[2:3], v[244:245] op_sel:[1,1] op_sel_hi:[0,1]
	v_pk_fma_f32 v[22:23], v[2:3], v[244:245], v[20:21] neg_lo:[0,0,1] neg_hi:[0,0,1]
	v_pk_fma_f32 v[2:3], v[2:3], v[244:245], v[20:21] op_sel_hi:[1,0,1]
	v_pk_add_f32 v[18:19], v[18:19], v[174:175]
	v_mov_b32_e32 v23, v3
	v_pk_add_f32 v[2:3], v[18:19], v[22:23]
	v_mov_b32_e32 v18, v247
	v_pk_mul_f32 v[18:19], v[4:5], v[18:19] op_sel:[1,0] op_sel_hi:[0,0]
	v_pk_fma_f32 v[20:21], v[4:5], v[246:247], v[18:19] neg_lo:[0,0,1] neg_hi:[0,0,1]
	v_pk_fma_f32 v[4:5], v[4:5], v[246:247], v[18:19] op_sel_hi:[1,0,1]
	s_nop 0
	v_mov_b32_e32 v21, v5
	s_waitcnt vmcnt(2) lgkmcnt(2)
	v_pk_mul_f32 v[4:5], v[6:7], v[248:249] op_sel:[1,1] op_sel_hi:[0,1]
	v_pk_fma_f32 v[18:19], v[6:7], v[248:249], v[4:5] neg_lo:[0,0,1] neg_hi:[0,0,1]
	v_pk_fma_f32 v[4:5], v[6:7], v[248:249], v[4:5] op_sel_hi:[1,0,1]
	v_pk_add_f32 v[2:3], v[2:3], v[20:21]
	v_mov_b32_e32 v4, v251
	v_mov_b32_e32 v19, v5
	v_pk_mul_f32 v[4:5], v[8:9], v[4:5] op_sel:[1,0] op_sel_hi:[0,0]
	v_pk_fma_f32 v[6:7], v[8:9], v[250:251], v[4:5] neg_lo:[0,0,1] neg_hi:[0,0,1]
	v_pk_fma_f32 v[4:5], v[8:9], v[250:251], v[4:5] op_sel_hi:[1,0,1]
	v_pk_add_f32 v[2:3], v[2:3], v[18:19]
	v_mov_b32_e32 v7, v5
	s_waitcnt vmcnt(1) lgkmcnt(1)
	v_pk_mul_f32 v[4:5], v[10:11], v[252:253] op_sel:[1,1] op_sel_hi:[0,1]
	v_pk_add_f32 v[2:3], v[2:3], v[6:7]
	v_pk_fma_f32 v[6:7], v[10:11], v[252:253], v[4:5] neg_lo:[0,0,1] neg_hi:[0,0,1]
	v_pk_fma_f32 v[4:5], v[10:11], v[252:253], v[4:5] op_sel_hi:[1,0,1]
	s_nop 0
	v_mov_b32_e32 v4, v255
	v_mov_b32_e32 v7, v5
	v_pk_mul_f32 v[4:5], v[12:13], v[4:5] op_sel:[1,0] op_sel_hi:[0,0]
	v_pk_add_f32 v[2:3], v[2:3], v[6:7]
	v_pk_fma_f32 v[6:7], v[12:13], v[254:255], v[4:5] neg_lo:[0,0,1] neg_hi:[0,0,1]
	v_pk_fma_f32 v[4:5], v[12:13], v[254:255], v[4:5] op_sel_hi:[1,0,1]
	s_nop 0
	v_mov_b32_e32 v7, v5
	s_waitcnt vmcnt(0) lgkmcnt(0)
	v_pk_mul_f32 v[4:5], v[14:15], v[166:167] op_sel:[1,1] op_sel_hi:[0,1]
	v_pk_add_f32 v[2:3], v[2:3], v[6:7]
	v_pk_fma_f32 v[6:7], v[14:15], v[166:167], v[4:5] neg_lo:[0,0,1] neg_hi:[0,0,1]
	v_pk_fma_f32 v[4:5], v[14:15], v[166:167], v[4:5] op_sel_hi:[1,0,1]
	s_nop 0
	v_mov_b32_e32 v4, v169
	v_mov_b32_e32 v7, v5
	v_pk_mul_f32 v[4:5], v[16:17], v[4:5] op_sel:[1,0] op_sel_hi:[0,0]
	v_pk_add_f32 v[2:3], v[2:3], v[6:7]
	v_pk_fma_f32 v[6:7], v[16:17], v[168:169], v[4:5] neg_lo:[0,0,1] neg_hi:[0,0,1]
	v_pk_fma_f32 v[4:5], v[16:17], v[168:169], v[4:5] op_sel_hi:[1,0,1]
	s_nop 0
	v_mov_b32_e32 v7, v5
	scratch_load_dwordx2 v[4:5], off, off offset:24
	v_pk_add_f32 v[2:3], v[2:3], v[6:7]
	s_waitcnt vmcnt(0)
	v_pk_add_f32 v[2:3], v[4:5], v[2:3] neg_lo:[0,1] neg_hi:[0,1]
	scratch_store_dwordx2 off, v[2:3], off offset:24
	s_and_saveexec_b64 s[0:1], vcc
	s_cbranch_execz .LBB115_321
; %bb.320:
	scratch_load_dwordx2 v[2:3], off, off offset:16
	v_mov_b32_e32 v4, 0
	v_mov_b32_e32 v5, v4
	scratch_store_dwordx2 off, v[4:5], off offset:16
	s_waitcnt vmcnt(1)
	ds_write_b64 v1, v[2:3]
.LBB115_321:
	s_or_b64 exec, exec, s[0:1]
	s_waitcnt lgkmcnt(0)
	; wave barrier
	scratch_load_dwordx4 v[6:9], off, off offset:24
	scratch_load_dwordx4 v[14:17], off, off offset:40
	;; [unrolled: 1-line block ×10, first 2 shown]
	v_mov_b32_e32 v134, 0
	ds_read2_b64 v[2:5], v134 offset0:55 offset1:56
	scratch_load_dwordx4 v[86:89], off, off offset:184
	scratch_load_dwordx4 v[94:97], off, off offset:200
	;; [unrolled: 1-line block ×11, first 2 shown]
	v_cmp_lt_u32_e32 vcc, 1, v0
	s_waitcnt vmcnt(20) lgkmcnt(0)
	v_mul_f32_e32 v10, v2, v7
	v_fmac_f32_e32 v10, v3, v6
	v_mul_f32_e32 v11, v4, v9
	v_add_f32_e32 v10, 0, v10
	v_fmac_f32_e32 v11, v5, v8
	v_add_f32_e32 v18, v10, v11
	ds_read2_b64 v[10:13], v134 offset0:57 offset1:58
	v_mul_f32_e32 v3, v3, v7
	v_fma_f32 v2, v2, v6, -v3
	v_mul_f32_e32 v3, v5, v9
	v_add_f32_e32 v2, 0, v2
	s_waitcnt vmcnt(19) lgkmcnt(0)
	v_mul_f32_e32 v19, v10, v15
	v_fmac_f32_e32 v19, v11, v14
	v_add_f32_e32 v18, v18, v19
	v_mul_f32_e32 v19, v12, v17
	v_fmac_f32_e32 v19, v13, v16
	v_add_f32_e32 v26, v18, v19
	ds_read2_b64 v[18:21], v134 offset0:59 offset1:60
	v_fma_f32 v3, v4, v8, -v3
	v_add_f32_e32 v2, v2, v3
	v_mul_f32_e32 v3, v11, v15
	v_fma_f32 v3, v10, v14, -v3
	s_waitcnt vmcnt(18) lgkmcnt(0)
	v_mul_f32_e32 v27, v18, v23
	v_fmac_f32_e32 v27, v19, v22
	v_add_f32_e32 v26, v26, v27
	v_mul_f32_e32 v27, v20, v25
	v_fmac_f32_e32 v27, v21, v24
	v_add_f32_e32 v34, v26, v27
	ds_read2_b64 v[26:29], v134 offset0:61 offset1:62
	v_add_f32_e32 v2, v2, v3
	v_mul_f32_e32 v3, v13, v17
	v_fma_f32 v3, v12, v16, -v3
	v_add_f32_e32 v2, v2, v3
	s_waitcnt vmcnt(17) lgkmcnt(0)
	v_mul_f32_e32 v35, v26, v31
	v_fmac_f32_e32 v35, v27, v30
	v_add_f32_e32 v34, v34, v35
	v_mul_f32_e32 v35, v28, v33
	v_fmac_f32_e32 v35, v29, v32
	v_add_f32_e32 v42, v34, v35
	ds_read2_b64 v[34:37], v134 offset0:63 offset1:64
	v_mul_f32_e32 v3, v19, v23
	v_fma_f32 v3, v18, v22, -v3
	v_add_f32_e32 v2, v2, v3
	v_mul_f32_e32 v3, v21, v25
	s_waitcnt vmcnt(16) lgkmcnt(0)
	v_mul_f32_e32 v43, v34, v39
	v_fmac_f32_e32 v43, v35, v38
	v_add_f32_e32 v42, v42, v43
	v_mul_f32_e32 v43, v36, v41
	v_fmac_f32_e32 v43, v37, v40
	v_add_f32_e32 v50, v42, v43
	ds_read2_b64 v[42:45], v134 offset0:65 offset1:66
	v_fma_f32 v3, v20, v24, -v3
	v_add_f32_e32 v2, v2, v3
	v_mul_f32_e32 v3, v27, v31
	v_fma_f32 v3, v26, v30, -v3
	s_waitcnt vmcnt(15) lgkmcnt(0)
	v_mul_f32_e32 v51, v42, v47
	v_fmac_f32_e32 v51, v43, v46
	v_add_f32_e32 v50, v50, v51
	v_mul_f32_e32 v51, v44, v49
	v_fmac_f32_e32 v51, v45, v48
	v_add_f32_e32 v58, v50, v51
	ds_read2_b64 v[50:53], v134 offset0:67 offset1:68
	v_add_f32_e32 v2, v2, v3
	v_mul_f32_e32 v3, v29, v33
	v_fma_f32 v3, v28, v32, -v3
	v_add_f32_e32 v2, v2, v3
	s_waitcnt vmcnt(14) lgkmcnt(0)
	v_mul_f32_e32 v59, v50, v55
	v_fmac_f32_e32 v59, v51, v54
	v_add_f32_e32 v58, v58, v59
	v_mul_f32_e32 v59, v52, v57
	v_fmac_f32_e32 v59, v53, v56
	v_add_f32_e32 v66, v58, v59
	ds_read2_b64 v[58:61], v134 offset0:69 offset1:70
	v_mul_f32_e32 v3, v35, v39
	v_fma_f32 v3, v34, v38, -v3
	v_add_f32_e32 v2, v2, v3
	v_mul_f32_e32 v3, v37, v41
	s_waitcnt vmcnt(13) lgkmcnt(0)
	v_mul_f32_e32 v67, v58, v63
	v_fmac_f32_e32 v67, v59, v62
	v_add_f32_e32 v66, v66, v67
	v_mul_f32_e32 v67, v60, v65
	v_fmac_f32_e32 v67, v61, v64
	v_add_f32_e32 v74, v66, v67
	ds_read2_b64 v[66:69], v134 offset0:71 offset1:72
	v_fma_f32 v3, v36, v40, -v3
	v_add_f32_e32 v2, v2, v3
	v_mul_f32_e32 v3, v43, v47
	v_fma_f32 v3, v42, v46, -v3
	s_waitcnt vmcnt(12) lgkmcnt(0)
	v_mul_f32_e32 v75, v66, v71
	v_fmac_f32_e32 v75, v67, v70
	v_add_f32_e32 v74, v74, v75
	v_mul_f32_e32 v75, v68, v73
	v_fmac_f32_e32 v75, v69, v72
	v_add_f32_e32 v82, v74, v75
	ds_read2_b64 v[74:77], v134 offset0:73 offset1:74
	v_add_f32_e32 v2, v2, v3
	v_mul_f32_e32 v3, v45, v49
	v_fma_f32 v3, v44, v48, -v3
	v_add_f32_e32 v2, v2, v3
	s_waitcnt vmcnt(11) lgkmcnt(0)
	v_mul_f32_e32 v83, v74, v79
	v_fmac_f32_e32 v83, v75, v78
	v_add_f32_e32 v82, v82, v83
	v_mul_f32_e32 v83, v76, v81
	v_fmac_f32_e32 v83, v77, v80
	v_add_f32_e32 v90, v82, v83
	ds_read2_b64 v[82:85], v134 offset0:75 offset1:76
	v_mul_f32_e32 v3, v51, v55
	v_fma_f32 v3, v50, v54, -v3
	v_add_f32_e32 v2, v2, v3
	v_mul_f32_e32 v3, v53, v57
	s_waitcnt vmcnt(10) lgkmcnt(0)
	v_mul_f32_e32 v91, v82, v87
	v_fmac_f32_e32 v91, v83, v86
	v_add_f32_e32 v90, v90, v91
	v_mul_f32_e32 v91, v84, v89
	v_fmac_f32_e32 v91, v85, v88
	v_add_f32_e32 v98, v90, v91
	ds_read2_b64 v[90:93], v134 offset0:77 offset1:78
	v_fma_f32 v3, v52, v56, -v3
	v_add_f32_e32 v2, v2, v3
	v_mul_f32_e32 v3, v59, v63
	v_fma_f32 v3, v58, v62, -v3
	s_waitcnt vmcnt(9) lgkmcnt(0)
	v_mul_f32_e32 v99, v90, v95
	v_fmac_f32_e32 v99, v91, v94
	v_add_f32_e32 v98, v98, v99
	v_mul_f32_e32 v99, v92, v97
	v_fmac_f32_e32 v99, v93, v96
	v_add_f32_e32 v106, v98, v99
	ds_read2_b64 v[98:101], v134 offset0:79 offset1:80
	v_add_f32_e32 v2, v2, v3
	v_mul_f32_e32 v3, v61, v65
	v_fma_f32 v3, v60, v64, -v3
	v_add_f32_e32 v2, v2, v3
	s_waitcnt vmcnt(8) lgkmcnt(0)
	v_mul_f32_e32 v107, v98, v103
	v_fmac_f32_e32 v107, v99, v102
	v_add_f32_e32 v106, v106, v107
	v_mul_f32_e32 v107, v100, v105
	v_fmac_f32_e32 v107, v101, v104
	v_add_f32_e32 v114, v106, v107
	ds_read2_b64 v[106:109], v134 offset0:81 offset1:82
	v_mul_f32_e32 v3, v67, v71
	v_fma_f32 v3, v66, v70, -v3
	v_add_f32_e32 v2, v2, v3
	v_mul_f32_e32 v3, v69, v73
	s_waitcnt vmcnt(7) lgkmcnt(0)
	v_mul_f32_e32 v115, v106, v111
	v_fmac_f32_e32 v115, v107, v110
	v_add_f32_e32 v114, v114, v115
	v_mul_f32_e32 v115, v108, v113
	v_fmac_f32_e32 v115, v109, v112
	v_add_f32_e32 v122, v114, v115
	ds_read2_b64 v[114:117], v134 offset0:83 offset1:84
	v_fma_f32 v3, v68, v72, -v3
	v_add_f32_e32 v2, v2, v3
	v_mul_f32_e32 v3, v75, v79
	v_fma_f32 v3, v74, v78, -v3
	s_waitcnt vmcnt(6) lgkmcnt(0)
	v_mul_f32_e32 v123, v114, v119
	v_fmac_f32_e32 v123, v115, v118
	v_add_f32_e32 v122, v122, v123
	v_mul_f32_e32 v123, v116, v121
	v_fmac_f32_e32 v123, v117, v120
	v_add_f32_e32 v130, v122, v123
	ds_read2_b64 v[122:125], v134 offset0:85 offset1:86
	v_add_f32_e32 v2, v2, v3
	v_mul_f32_e32 v3, v77, v81
	v_fma_f32 v3, v76, v80, -v3
	v_add_f32_e32 v2, v2, v3
	s_waitcnt vmcnt(5) lgkmcnt(0)
	v_mul_f32_e32 v131, v122, v127
	v_fmac_f32_e32 v131, v123, v126
	v_add_f32_e32 v130, v130, v131
	v_mul_f32_e32 v131, v124, v129
	v_fmac_f32_e32 v131, v125, v128
	v_add_f32_e32 v135, v130, v131
	ds_read2_b64 v[130:133], v134 offset0:87 offset1:88
	v_mul_f32_e32 v3, v83, v87
	v_fma_f32 v3, v82, v86, -v3
	v_add_f32_e32 v2, v2, v3
	v_mul_f32_e32 v3, v85, v89
	s_waitcnt vmcnt(4) lgkmcnt(0)
	v_mul_f32_e32 v142, v130, v137
	v_fmac_f32_e32 v142, v131, v136
	v_add_f32_e32 v135, v135, v142
	v_mul_f32_e32 v142, v132, v139
	v_fmac_f32_e32 v142, v133, v138
	v_add_f32_e32 v135, v135, v142
	ds_read2_b64 v[142:145], v134 offset0:89 offset1:90
	v_fma_f32 v3, v84, v88, -v3
	v_add_f32_e32 v2, v2, v3
	v_mul_f32_e32 v3, v91, v95
	v_fma_f32 v3, v90, v94, -v3
	s_waitcnt vmcnt(3) lgkmcnt(0)
	v_mul_f32_e32 v150, v142, v147
	v_fmac_f32_e32 v150, v143, v146
	v_add_f32_e32 v135, v135, v150
	v_mul_f32_e32 v150, v144, v149
	v_fmac_f32_e32 v150, v145, v148
	v_add_f32_e32 v135, v135, v150
	ds_read2_b64 v[150:153], v134 offset0:91 offset1:92
	v_add_f32_e32 v2, v2, v3
	v_mul_f32_e32 v3, v93, v97
	v_fma_f32 v3, v92, v96, -v3
	v_add_f32_e32 v2, v2, v3
	s_waitcnt vmcnt(2) lgkmcnt(0)
	v_mul_f32_e32 v158, v150, v155
	v_fmac_f32_e32 v158, v151, v154
	v_add_f32_e32 v135, v135, v158
	v_mul_f32_e32 v158, v152, v157
	v_fmac_f32_e32 v158, v153, v156
	v_add_f32_e32 v135, v135, v158
	ds_read2_b64 v[158:161], v134 offset0:93 offset1:94
	v_mul_f32_e32 v3, v99, v103
	v_fma_f32 v3, v98, v102, -v3
	v_add_f32_e32 v2, v2, v3
	v_mul_f32_e32 v3, v101, v105
	s_waitcnt vmcnt(1) lgkmcnt(0)
	v_mul_f32_e32 v166, v158, v163
	v_fmac_f32_e32 v166, v159, v162
	v_add_f32_e32 v175, v135, v166
	ds_read2_b64 v[166:169], v134 offset0:95 offset1:96
	scratch_load_dwordx4 v[248:251], off, off offset:360
	scratch_load_dwordx4 v[252:255], off, off offset:376
	;; [unrolled: 1-line block ×3, first 2 shown]
	scratch_load_dwordx2 v[180:181], off, off offset:408
	v_fma_f32 v3, v100, v104, -v3
	v_add_f32_e32 v2, v2, v3
	v_mul_f32_e32 v3, v107, v111
	v_fma_f32 v3, v106, v110, -v3
	v_add_f32_e32 v2, v2, v3
	v_mul_f32_e32 v3, v109, v113
	;; [unrolled: 3-line block ×14, first 2 shown]
	v_mul_f32_e32 v177, v160, v165
	v_fma_f32 v176, v160, v164, -v2
	s_waitcnt vmcnt(4) lgkmcnt(0)
	v_mul_f32_e32 v2, v167, v245
	v_mov_b32_e32 v18, v247
	v_fmac_f32_e32 v177, v161, v164
	v_mul_f32_e32 v179, v166, v245
	v_fma_f32 v178, v166, v244, -v2
	ds_read2_b64 v[2:5], v134 offset0:97 offset1:98
	ds_read2_b64 v[6:9], v134 offset0:99 offset1:100
	;; [unrolled: 1-line block ×3, first 2 shown]
	ds_read_b64 v[14:15], v134 offset:824
	v_pk_mul_f32 v[18:19], v[168:169], v[18:19] op_sel:[1,0] op_sel_hi:[0,0]
	v_fmac_f32_e32 v179, v167, v244
	v_pk_add_f32 v[16:17], v[174:175], v[176:177]
	v_pk_fma_f32 v[20:21], v[168:169], v[246:247], v[18:19] neg_lo:[0,0,1] neg_hi:[0,0,1]
	v_pk_fma_f32 v[18:19], v[168:169], v[246:247], v[18:19] op_sel_hi:[1,0,1]
	v_pk_add_f32 v[16:17], v[16:17], v[178:179]
	v_mov_b32_e32 v21, v19
	v_pk_add_f32 v[16:17], v[16:17], v[20:21]
	s_waitcnt vmcnt(3) lgkmcnt(3)
	v_pk_mul_f32 v[18:19], v[2:3], v[248:249] op_sel:[1,1] op_sel_hi:[0,1]
	v_pk_fma_f32 v[20:21], v[2:3], v[248:249], v[18:19] neg_lo:[0,0,1] neg_hi:[0,0,1]
	v_pk_fma_f32 v[2:3], v[2:3], v[248:249], v[18:19] op_sel_hi:[1,0,1]
	s_nop 0
	v_mov_b32_e32 v21, v3
	v_pk_add_f32 v[2:3], v[16:17], v[20:21]
	v_mov_b32_e32 v16, v251
	v_pk_mul_f32 v[16:17], v[4:5], v[16:17] op_sel:[1,0] op_sel_hi:[0,0]
	v_pk_fma_f32 v[18:19], v[4:5], v[250:251], v[16:17] neg_lo:[0,0,1] neg_hi:[0,0,1]
	v_pk_fma_f32 v[4:5], v[4:5], v[250:251], v[16:17] op_sel_hi:[1,0,1]
	s_nop 0
	v_mov_b32_e32 v19, v5
	s_waitcnt vmcnt(2) lgkmcnt(2)
	v_pk_mul_f32 v[4:5], v[6:7], v[252:253] op_sel:[1,1] op_sel_hi:[0,1]
	v_pk_fma_f32 v[16:17], v[6:7], v[252:253], v[4:5] neg_lo:[0,0,1] neg_hi:[0,0,1]
	v_pk_fma_f32 v[4:5], v[6:7], v[252:253], v[4:5] op_sel_hi:[1,0,1]
	v_pk_add_f32 v[2:3], v[2:3], v[18:19]
	v_mov_b32_e32 v4, v255
	v_mov_b32_e32 v17, v5
	v_pk_mul_f32 v[4:5], v[8:9], v[4:5] op_sel:[1,0] op_sel_hi:[0,0]
	v_pk_fma_f32 v[6:7], v[8:9], v[254:255], v[4:5] neg_lo:[0,0,1] neg_hi:[0,0,1]
	v_pk_fma_f32 v[4:5], v[8:9], v[254:255], v[4:5] op_sel_hi:[1,0,1]
	v_pk_add_f32 v[2:3], v[2:3], v[16:17]
	v_mov_b32_e32 v7, v5
	s_waitcnt vmcnt(1) lgkmcnt(1)
	v_pk_mul_f32 v[4:5], v[10:11], v[170:171] op_sel:[1,1] op_sel_hi:[0,1]
	v_pk_add_f32 v[2:3], v[2:3], v[6:7]
	v_pk_fma_f32 v[6:7], v[10:11], v[170:171], v[4:5] neg_lo:[0,0,1] neg_hi:[0,0,1]
	v_pk_fma_f32 v[4:5], v[10:11], v[170:171], v[4:5] op_sel_hi:[1,0,1]
	s_nop 0
	v_mov_b32_e32 v4, v173
	v_mov_b32_e32 v7, v5
	v_pk_mul_f32 v[4:5], v[12:13], v[4:5] op_sel:[1,0] op_sel_hi:[0,0]
	v_pk_add_f32 v[2:3], v[2:3], v[6:7]
	v_pk_fma_f32 v[6:7], v[12:13], v[172:173], v[4:5] neg_lo:[0,0,1] neg_hi:[0,0,1]
	v_pk_fma_f32 v[4:5], v[12:13], v[172:173], v[4:5] op_sel_hi:[1,0,1]
	s_nop 0
	v_mov_b32_e32 v7, v5
	s_waitcnt vmcnt(0) lgkmcnt(0)
	v_pk_mul_f32 v[4:5], v[14:15], v[180:181] op_sel:[1,1] op_sel_hi:[0,1]
	v_pk_add_f32 v[2:3], v[2:3], v[6:7]
	v_pk_fma_f32 v[6:7], v[14:15], v[180:181], v[4:5] neg_lo:[0,0,1] neg_hi:[0,0,1]
	v_pk_fma_f32 v[4:5], v[14:15], v[180:181], v[4:5] op_sel_hi:[1,0,1]
	s_nop 0
	v_mov_b32_e32 v7, v5
	scratch_load_dwordx2 v[4:5], off, off offset:16
	v_pk_add_f32 v[2:3], v[2:3], v[6:7]
	s_waitcnt vmcnt(0)
	v_pk_add_f32 v[2:3], v[4:5], v[2:3] neg_lo:[0,1] neg_hi:[0,1]
	scratch_store_dwordx2 off, v[2:3], off offset:16
	s_and_saveexec_b64 s[0:1], vcc
	s_cbranch_execz .LBB115_323
; %bb.322:
	scratch_load_dwordx2 v[2:3], off, off offset:8
	v_mov_b32_e32 v135, v134
	scratch_store_dwordx2 off, v[134:135], off offset:8
	s_waitcnt vmcnt(1)
	ds_write_b64 v1, v[2:3]
.LBB115_323:
	s_or_b64 exec, exec, s[0:1]
	s_waitcnt lgkmcnt(0)
	; wave barrier
	ds_read_b128 v[14:17], v134 offset:432
	ds_read_b128 v[10:13], v134 offset:448
	ds_read_b128 v[6:9], v134 offset:464
	ds_read_b128 v[2:5], v134 offset:480
	scratch_load_dwordx4 v[18:21], off, off offset:16
	scratch_load_dwordx4 v[38:41], off, off offset:80
	;; [unrolled: 1-line block ×15, first 2 shown]
	v_cmp_ne_u32_e32 vcc, 0, v0
	scratch_load_dwordx4 v[46:49], off, off offset:96
	scratch_load_dwordx4 v[54:57], off, off offset:112
	;; [unrolled: 1-line block ×3, first 2 shown]
	s_waitcnt vmcnt(17) lgkmcnt(3)
	v_mul_f32_e32 v22, v14, v19
	v_fmac_f32_e32 v22, v15, v18
	v_mul_f32_e32 v23, v16, v21
	v_add_f32_e32 v22, 0, v22
	v_fmac_f32_e32 v23, v17, v20
	v_add_f32_e32 v26, v22, v23
	scratch_load_dwordx4 v[22:25], off, off offset:32
	v_mul_f32_e32 v15, v15, v19
	v_fma_f32 v14, v14, v18, -v15
	v_mul_f32_e32 v15, v17, v21
	v_add_f32_e32 v14, 0, v14
	v_fma_f32 v15, v16, v20, -v15
	v_add_f32_e32 v14, v14, v15
	s_waitcnt vmcnt(0) lgkmcnt(2)
	v_mul_f32_e32 v27, v10, v23
	v_fmac_f32_e32 v27, v11, v22
	v_add_f32_e32 v26, v26, v27
	v_mul_f32_e32 v27, v12, v25
	v_fmac_f32_e32 v27, v13, v24
	v_add_f32_e32 v30, v26, v27
	scratch_load_dwordx4 v[26:29], off, off offset:48
	v_mul_f32_e32 v11, v11, v23
	v_fma_f32 v10, v10, v22, -v11
	v_mul_f32_e32 v11, v13, v25
	v_add_f32_e32 v10, v14, v10
	v_fma_f32 v11, v12, v24, -v11
	v_add_f32_e32 v10, v10, v11
	s_waitcnt vmcnt(0) lgkmcnt(1)
	v_mul_f32_e32 v31, v6, v27
	v_fmac_f32_e32 v31, v7, v26
	v_add_f32_e32 v30, v30, v31
	v_mul_f32_e32 v31, v8, v29
	;; [unrolled: 14-line block ×3, first 2 shown]
	v_fmac_f32_e32 v35, v5, v32
	v_add_f32_e32 v42, v34, v35
	ds_read_b128 v[34:37], v134 offset:496
	v_mul_f32_e32 v3, v3, v31
	v_fma_f32 v2, v2, v30, -v3
	v_mul_f32_e32 v3, v5, v33
	v_add_f32_e32 v2, v6, v2
	s_waitcnt lgkmcnt(0)
	v_mul_f32_e32 v43, v34, v39
	v_fmac_f32_e32 v43, v35, v38
	v_add_f32_e32 v42, v42, v43
	v_mul_f32_e32 v43, v36, v41
	v_fmac_f32_e32 v43, v37, v40
	v_add_f32_e32 v50, v42, v43
	ds_read_b128 v[42:45], v134 offset:512
	v_fma_f32 v3, v4, v32, -v3
	v_add_f32_e32 v2, v2, v3
	v_mul_f32_e32 v3, v35, v39
	v_fma_f32 v3, v34, v38, -v3
	s_waitcnt lgkmcnt(0)
	v_mul_f32_e32 v51, v42, v47
	v_fmac_f32_e32 v51, v43, v46
	v_add_f32_e32 v50, v50, v51
	v_mul_f32_e32 v51, v44, v49
	v_fmac_f32_e32 v51, v45, v48
	v_add_f32_e32 v58, v50, v51
	ds_read_b128 v[50:53], v134 offset:528
	v_add_f32_e32 v2, v2, v3
	v_mul_f32_e32 v3, v37, v41
	v_fma_f32 v3, v36, v40, -v3
	v_add_f32_e32 v2, v2, v3
	s_waitcnt lgkmcnt(0)
	v_mul_f32_e32 v59, v50, v55
	v_fmac_f32_e32 v59, v51, v54
	v_add_f32_e32 v58, v58, v59
	v_mul_f32_e32 v59, v52, v57
	v_fmac_f32_e32 v59, v53, v56
	v_add_f32_e32 v66, v58, v59
	ds_read_b128 v[58:61], v134 offset:544
	v_mul_f32_e32 v3, v43, v47
	v_fma_f32 v3, v42, v46, -v3
	v_add_f32_e32 v2, v2, v3
	v_mul_f32_e32 v3, v45, v49
	s_waitcnt lgkmcnt(0)
	v_mul_f32_e32 v67, v58, v63
	v_fmac_f32_e32 v67, v59, v62
	v_add_f32_e32 v66, v66, v67
	v_mul_f32_e32 v67, v60, v65
	v_fmac_f32_e32 v67, v61, v64
	v_add_f32_e32 v74, v66, v67
	ds_read_b128 v[66:69], v134 offset:560
	v_fma_f32 v3, v44, v48, -v3
	v_add_f32_e32 v2, v2, v3
	v_mul_f32_e32 v3, v51, v55
	v_fma_f32 v3, v50, v54, -v3
	s_waitcnt lgkmcnt(0)
	v_mul_f32_e32 v75, v66, v71
	v_fmac_f32_e32 v75, v67, v70
	v_add_f32_e32 v74, v74, v75
	v_mul_f32_e32 v75, v68, v73
	v_fmac_f32_e32 v75, v69, v72
	v_add_f32_e32 v82, v74, v75
	ds_read_b128 v[74:77], v134 offset:576
	v_add_f32_e32 v2, v2, v3
	v_mul_f32_e32 v3, v53, v57
	v_fma_f32 v3, v52, v56, -v3
	v_add_f32_e32 v2, v2, v3
	s_waitcnt lgkmcnt(0)
	v_mul_f32_e32 v83, v74, v79
	v_fmac_f32_e32 v83, v75, v78
	v_add_f32_e32 v82, v82, v83
	v_mul_f32_e32 v83, v76, v81
	v_fmac_f32_e32 v83, v77, v80
	v_add_f32_e32 v90, v82, v83
	ds_read_b128 v[82:85], v134 offset:592
	v_mul_f32_e32 v3, v59, v63
	v_fma_f32 v3, v58, v62, -v3
	v_add_f32_e32 v2, v2, v3
	v_mul_f32_e32 v3, v61, v65
	s_waitcnt lgkmcnt(0)
	v_mul_f32_e32 v91, v82, v87
	v_fmac_f32_e32 v91, v83, v86
	v_add_f32_e32 v90, v90, v91
	v_mul_f32_e32 v91, v84, v89
	v_fmac_f32_e32 v91, v85, v88
	v_add_f32_e32 v98, v90, v91
	ds_read_b128 v[90:93], v134 offset:608
	v_fma_f32 v3, v60, v64, -v3
	v_add_f32_e32 v2, v2, v3
	v_mul_f32_e32 v3, v67, v71
	v_fma_f32 v3, v66, v70, -v3
	s_waitcnt lgkmcnt(0)
	v_mul_f32_e32 v99, v90, v95
	v_fmac_f32_e32 v99, v91, v94
	v_add_f32_e32 v98, v98, v99
	v_mul_f32_e32 v99, v92, v97
	v_fmac_f32_e32 v99, v93, v96
	v_add_f32_e32 v106, v98, v99
	ds_read_b128 v[98:101], v134 offset:624
	v_add_f32_e32 v2, v2, v3
	v_mul_f32_e32 v3, v69, v73
	v_fma_f32 v3, v68, v72, -v3
	v_add_f32_e32 v2, v2, v3
	s_waitcnt lgkmcnt(0)
	v_mul_f32_e32 v107, v98, v103
	v_fmac_f32_e32 v107, v99, v102
	v_add_f32_e32 v106, v106, v107
	v_mul_f32_e32 v107, v100, v105
	v_fmac_f32_e32 v107, v101, v104
	v_add_f32_e32 v114, v106, v107
	ds_read_b128 v[106:109], v134 offset:640
	v_mul_f32_e32 v3, v75, v79
	v_fma_f32 v3, v74, v78, -v3
	v_add_f32_e32 v2, v2, v3
	v_mul_f32_e32 v3, v77, v81
	s_waitcnt lgkmcnt(0)
	v_mul_f32_e32 v115, v106, v111
	v_fmac_f32_e32 v115, v107, v110
	v_add_f32_e32 v114, v114, v115
	v_mul_f32_e32 v115, v108, v113
	v_fmac_f32_e32 v115, v109, v112
	v_add_f32_e32 v122, v114, v115
	ds_read_b128 v[114:117], v134 offset:656
	v_fma_f32 v3, v76, v80, -v3
	v_add_f32_e32 v2, v2, v3
	v_mul_f32_e32 v3, v83, v87
	v_fma_f32 v3, v82, v86, -v3
	s_waitcnt lgkmcnt(0)
	v_mul_f32_e32 v123, v114, v119
	v_fmac_f32_e32 v123, v115, v118
	v_add_f32_e32 v122, v122, v123
	v_mul_f32_e32 v123, v116, v121
	v_fmac_f32_e32 v123, v117, v120
	v_add_f32_e32 v130, v122, v123
	ds_read_b128 v[122:125], v134 offset:672
	v_add_f32_e32 v2, v2, v3
	v_mul_f32_e32 v3, v85, v89
	v_fma_f32 v3, v84, v88, -v3
	v_add_f32_e32 v2, v2, v3
	s_waitcnt lgkmcnt(0)
	v_mul_f32_e32 v131, v122, v127
	v_fmac_f32_e32 v131, v123, v126
	v_add_f32_e32 v130, v130, v131
	v_mul_f32_e32 v131, v124, v129
	v_fmac_f32_e32 v131, v125, v128
	v_add_f32_e32 v135, v130, v131
	ds_read_b128 v[130:133], v134 offset:688
	v_mul_f32_e32 v3, v91, v95
	v_fma_f32 v3, v90, v94, -v3
	v_add_f32_e32 v2, v2, v3
	v_mul_f32_e32 v3, v93, v97
	s_waitcnt lgkmcnt(0)
	v_mul_f32_e32 v142, v130, v137
	v_fmac_f32_e32 v142, v131, v136
	v_add_f32_e32 v135, v135, v142
	v_mul_f32_e32 v142, v132, v139
	v_fmac_f32_e32 v142, v133, v138
	v_add_f32_e32 v135, v135, v142
	ds_read_b128 v[142:145], v134 offset:704
	v_fma_f32 v3, v92, v96, -v3
	v_add_f32_e32 v2, v2, v3
	v_mul_f32_e32 v3, v99, v103
	v_fma_f32 v3, v98, v102, -v3
	s_waitcnt lgkmcnt(0)
	v_mul_f32_e32 v150, v142, v147
	v_fmac_f32_e32 v150, v143, v146
	v_add_f32_e32 v135, v135, v150
	v_mul_f32_e32 v150, v144, v149
	v_fmac_f32_e32 v150, v145, v148
	v_add_f32_e32 v135, v135, v150
	ds_read_b128 v[150:153], v134 offset:720
	v_add_f32_e32 v2, v2, v3
	v_mul_f32_e32 v3, v101, v105
	v_fma_f32 v3, v100, v104, -v3
	v_add_f32_e32 v2, v2, v3
	s_waitcnt lgkmcnt(0)
	v_mul_f32_e32 v158, v150, v155
	v_fmac_f32_e32 v158, v151, v154
	v_add_f32_e32 v135, v135, v158
	v_mul_f32_e32 v158, v152, v157
	v_fmac_f32_e32 v158, v153, v156
	v_add_f32_e32 v135, v135, v158
	ds_read_b128 v[158:161], v134 offset:736
	v_mul_f32_e32 v3, v107, v111
	v_fma_f32 v3, v106, v110, -v3
	v_add_f32_e32 v2, v2, v3
	v_mul_f32_e32 v3, v109, v113
	s_waitcnt lgkmcnt(0)
	v_mul_f32_e32 v166, v158, v163
	v_fmac_f32_e32 v166, v159, v162
	v_add_f32_e32 v135, v135, v166
	v_mul_f32_e32 v166, v160, v165
	v_fmac_f32_e32 v166, v161, v164
	v_add_f32_e32 v179, v135, v166
	ds_read_b128 v[166:169], v134 offset:752
	scratch_load_dwordx4 v[244:247], off, off offset:352
	scratch_load_dwordx4 v[248:251], off, off offset:368
	;; [unrolled: 1-line block ×4, first 2 shown]
	v_fma_f32 v3, v108, v112, -v3
	v_add_f32_e32 v2, v2, v3
	v_mul_f32_e32 v3, v115, v119
	v_fma_f32 v3, v114, v118, -v3
	v_add_f32_e32 v2, v2, v3
	v_mul_f32_e32 v3, v117, v121
	;; [unrolled: 3-line block ×12, first 2 shown]
	v_fma_f32 v3, v160, v164, -v3
	v_add_f32_e32 v178, v2, v3
	s_waitcnt lgkmcnt(0)
	v_mul_f32_e32 v2, v167, v171
	v_fma_f32 v180, v166, v170, -v2
	v_mul_f32_e32 v2, v169, v173
	v_fma_f32 v182, v168, v172, -v2
	ds_read_b128 v[2:5], v134 offset:768
	ds_read_b128 v[6:9], v134 offset:784
	;; [unrolled: 1-line block ×4, first 2 shown]
	v_mul_f32_e32 v181, v166, v171
	v_fmac_f32_e32 v181, v167, v170
	v_mul_f32_e32 v183, v168, v173
	v_fmac_f32_e32 v183, v169, v172
	v_pk_add_f32 v[18:19], v[178:179], v[180:181]
	s_waitcnt vmcnt(3) lgkmcnt(3)
	v_pk_mul_f32 v[20:21], v[2:3], v[244:245] op_sel:[1,1] op_sel_hi:[0,1]
	v_pk_fma_f32 v[22:23], v[2:3], v[244:245], v[20:21] neg_lo:[0,0,1] neg_hi:[0,0,1]
	v_pk_fma_f32 v[2:3], v[2:3], v[244:245], v[20:21] op_sel_hi:[1,0,1]
	v_pk_add_f32 v[18:19], v[18:19], v[182:183]
	v_mov_b32_e32 v23, v3
	v_pk_add_f32 v[2:3], v[18:19], v[22:23]
	v_mov_b32_e32 v18, v247
	v_pk_mul_f32 v[18:19], v[4:5], v[18:19] op_sel:[1,0] op_sel_hi:[0,0]
	v_pk_fma_f32 v[20:21], v[4:5], v[246:247], v[18:19] neg_lo:[0,0,1] neg_hi:[0,0,1]
	v_pk_fma_f32 v[4:5], v[4:5], v[246:247], v[18:19] op_sel_hi:[1,0,1]
	s_nop 0
	v_mov_b32_e32 v21, v5
	s_waitcnt vmcnt(2) lgkmcnt(2)
	v_pk_mul_f32 v[4:5], v[6:7], v[248:249] op_sel:[1,1] op_sel_hi:[0,1]
	v_pk_fma_f32 v[18:19], v[6:7], v[248:249], v[4:5] neg_lo:[0,0,1] neg_hi:[0,0,1]
	v_pk_fma_f32 v[4:5], v[6:7], v[248:249], v[4:5] op_sel_hi:[1,0,1]
	v_pk_add_f32 v[2:3], v[2:3], v[20:21]
	v_mov_b32_e32 v4, v251
	v_mov_b32_e32 v19, v5
	v_pk_mul_f32 v[4:5], v[8:9], v[4:5] op_sel:[1,0] op_sel_hi:[0,0]
	v_pk_fma_f32 v[6:7], v[8:9], v[250:251], v[4:5] neg_lo:[0,0,1] neg_hi:[0,0,1]
	v_pk_fma_f32 v[4:5], v[8:9], v[250:251], v[4:5] op_sel_hi:[1,0,1]
	v_pk_add_f32 v[2:3], v[2:3], v[18:19]
	v_mov_b32_e32 v7, v5
	s_waitcnt vmcnt(1) lgkmcnt(1)
	v_pk_mul_f32 v[4:5], v[10:11], v[252:253] op_sel:[1,1] op_sel_hi:[0,1]
	v_pk_add_f32 v[2:3], v[2:3], v[6:7]
	v_pk_fma_f32 v[6:7], v[10:11], v[252:253], v[4:5] neg_lo:[0,0,1] neg_hi:[0,0,1]
	v_pk_fma_f32 v[4:5], v[10:11], v[252:253], v[4:5] op_sel_hi:[1,0,1]
	s_nop 0
	v_mov_b32_e32 v4, v255
	v_mov_b32_e32 v7, v5
	v_pk_mul_f32 v[4:5], v[12:13], v[4:5] op_sel:[1,0] op_sel_hi:[0,0]
	v_pk_add_f32 v[2:3], v[2:3], v[6:7]
	v_pk_fma_f32 v[6:7], v[12:13], v[254:255], v[4:5] neg_lo:[0,0,1] neg_hi:[0,0,1]
	v_pk_fma_f32 v[4:5], v[12:13], v[254:255], v[4:5] op_sel_hi:[1,0,1]
	s_nop 0
	v_mov_b32_e32 v7, v5
	s_waitcnt vmcnt(0) lgkmcnt(0)
	v_pk_mul_f32 v[4:5], v[14:15], v[174:175] op_sel:[1,1] op_sel_hi:[0,1]
	v_pk_add_f32 v[2:3], v[2:3], v[6:7]
	v_pk_fma_f32 v[6:7], v[14:15], v[174:175], v[4:5] neg_lo:[0,0,1] neg_hi:[0,0,1]
	v_pk_fma_f32 v[4:5], v[14:15], v[174:175], v[4:5] op_sel_hi:[1,0,1]
	s_nop 0
	v_mov_b32_e32 v4, v177
	v_mov_b32_e32 v7, v5
	v_pk_mul_f32 v[4:5], v[16:17], v[4:5] op_sel:[1,0] op_sel_hi:[0,0]
	v_pk_add_f32 v[2:3], v[2:3], v[6:7]
	v_pk_fma_f32 v[6:7], v[16:17], v[176:177], v[4:5] neg_lo:[0,0,1] neg_hi:[0,0,1]
	v_pk_fma_f32 v[4:5], v[16:17], v[176:177], v[4:5] op_sel_hi:[1,0,1]
	s_nop 0
	v_mov_b32_e32 v7, v5
	scratch_load_dwordx2 v[4:5], off, off offset:8
	v_pk_add_f32 v[2:3], v[2:3], v[6:7]
	s_waitcnt vmcnt(0)
	v_pk_add_f32 v[2:3], v[4:5], v[2:3] neg_lo:[0,1] neg_hi:[0,1]
	scratch_store_dwordx2 off, v[2:3], off offset:8
	s_and_saveexec_b64 s[0:1], vcc
	s_cbranch_execz .LBB115_325
; %bb.324:
	scratch_load_dwordx2 v[2:3], off, off
	v_mov_b32_e32 v4, 0
	v_mov_b32_e32 v5, v4
	scratch_store_dwordx2 off, v[4:5], off
	s_waitcnt vmcnt(1)
	ds_write_b64 v1, v[2:3]
.LBB115_325:
	s_or_b64 exec, exec, s[0:1]
	s_waitcnt lgkmcnt(0)
	; wave barrier
	scratch_load_dwordx4 v[4:7], off, off offset:8
	scratch_load_dwordx4 v[12:15], off, off offset:24
	scratch_load_dwordx4 v[20:23], off, off offset:40
	scratch_load_dwordx4 v[28:31], off, off offset:56
	scratch_load_dwordx4 v[36:39], off, off offset:72
	scratch_load_dwordx4 v[44:47], off, off offset:88
	scratch_load_dwordx4 v[52:55], off, off offset:104
	scratch_load_dwordx4 v[60:63], off, off offset:120
	scratch_load_dwordx4 v[68:71], off, off offset:136
	scratch_load_dwordx4 v[76:79], off, off offset:152
	v_mov_b32_e32 v244, 0
	ds_read2_b64 v[0:3], v244 offset0:53 offset1:54
	scratch_load_dwordx4 v[84:87], off, off offset:168
	scratch_load_dwordx4 v[92:95], off, off offset:184
	;; [unrolled: 1-line block ×12, first 2 shown]
	s_and_b64 vcc, exec, s[10:11]
	s_waitcnt vmcnt(21) lgkmcnt(0)
	v_mul_f32_e32 v8, v0, v5
	v_fmac_f32_e32 v8, v1, v4
	v_mul_f32_e32 v9, v2, v7
	v_add_f32_e32 v8, 0, v8
	v_fmac_f32_e32 v9, v3, v6
	v_add_f32_e32 v16, v8, v9
	ds_read2_b64 v[8:11], v244 offset0:55 offset1:56
	v_mul_f32_e32 v1, v1, v5
	v_fma_f32 v0, v0, v4, -v1
	v_mul_f32_e32 v1, v3, v7
	v_add_f32_e32 v0, 0, v0
	s_waitcnt vmcnt(20) lgkmcnt(0)
	v_mul_f32_e32 v17, v8, v13
	v_fmac_f32_e32 v17, v9, v12
	v_add_f32_e32 v16, v16, v17
	v_mul_f32_e32 v17, v10, v15
	v_fmac_f32_e32 v17, v11, v14
	v_add_f32_e32 v24, v16, v17
	ds_read2_b64 v[16:19], v244 offset0:57 offset1:58
	v_fma_f32 v1, v2, v6, -v1
	v_add_f32_e32 v0, v0, v1
	v_mul_f32_e32 v1, v9, v13
	v_fma_f32 v1, v8, v12, -v1
	s_waitcnt vmcnt(19) lgkmcnt(0)
	v_mul_f32_e32 v25, v16, v21
	v_fmac_f32_e32 v25, v17, v20
	v_add_f32_e32 v24, v24, v25
	v_mul_f32_e32 v25, v18, v23
	v_fmac_f32_e32 v25, v19, v22
	v_add_f32_e32 v32, v24, v25
	ds_read2_b64 v[24:27], v244 offset0:59 offset1:60
	v_add_f32_e32 v0, v0, v1
	v_mul_f32_e32 v1, v11, v15
	v_fma_f32 v1, v10, v14, -v1
	v_add_f32_e32 v0, v0, v1
	s_waitcnt vmcnt(18) lgkmcnt(0)
	v_mul_f32_e32 v33, v24, v29
	v_fmac_f32_e32 v33, v25, v28
	v_add_f32_e32 v32, v32, v33
	v_mul_f32_e32 v33, v26, v31
	v_fmac_f32_e32 v33, v27, v30
	v_add_f32_e32 v40, v32, v33
	ds_read2_b64 v[32:35], v244 offset0:61 offset1:62
	v_mul_f32_e32 v1, v17, v21
	v_fma_f32 v1, v16, v20, -v1
	v_add_f32_e32 v0, v0, v1
	v_mul_f32_e32 v1, v19, v23
	s_waitcnt vmcnt(17) lgkmcnt(0)
	v_mul_f32_e32 v41, v32, v37
	v_fmac_f32_e32 v41, v33, v36
	v_add_f32_e32 v40, v40, v41
	v_mul_f32_e32 v41, v34, v39
	v_fmac_f32_e32 v41, v35, v38
	v_add_f32_e32 v48, v40, v41
	ds_read2_b64 v[40:43], v244 offset0:63 offset1:64
	v_fma_f32 v1, v18, v22, -v1
	v_add_f32_e32 v0, v0, v1
	v_mul_f32_e32 v1, v25, v29
	v_fma_f32 v1, v24, v28, -v1
	s_waitcnt vmcnt(16) lgkmcnt(0)
	v_mul_f32_e32 v49, v40, v45
	v_fmac_f32_e32 v49, v41, v44
	v_add_f32_e32 v48, v48, v49
	v_mul_f32_e32 v49, v42, v47
	v_fmac_f32_e32 v49, v43, v46
	v_add_f32_e32 v56, v48, v49
	ds_read2_b64 v[48:51], v244 offset0:65 offset1:66
	v_add_f32_e32 v0, v0, v1
	v_mul_f32_e32 v1, v27, v31
	v_fma_f32 v1, v26, v30, -v1
	v_add_f32_e32 v0, v0, v1
	s_waitcnt vmcnt(15) lgkmcnt(0)
	v_mul_f32_e32 v57, v48, v53
	v_fmac_f32_e32 v57, v49, v52
	v_add_f32_e32 v56, v56, v57
	v_mul_f32_e32 v57, v50, v55
	v_fmac_f32_e32 v57, v51, v54
	v_add_f32_e32 v64, v56, v57
	ds_read2_b64 v[56:59], v244 offset0:67 offset1:68
	v_mul_f32_e32 v1, v33, v37
	v_fma_f32 v1, v32, v36, -v1
	v_add_f32_e32 v0, v0, v1
	v_mul_f32_e32 v1, v35, v39
	;; [unrolled: 36-line block ×6, first 2 shown]
	s_waitcnt vmcnt(2) lgkmcnt(0)
	v_mul_f32_e32 v163, v154, v159
	v_fmac_f32_e32 v163, v155, v158
	v_add_f32_e32 v162, v162, v163
	v_mul_f32_e32 v163, v156, v161
	v_fmac_f32_e32 v163, v157, v160
	v_add_f32_e32 v170, v162, v163
	ds_read2_b64 v[162:165], v244 offset0:93 offset1:94
	v_fma_f32 v1, v98, v102, -v1
	v_add_f32_e32 v0, v0, v1
	v_mul_f32_e32 v1, v105, v109
	v_fma_f32 v1, v104, v108, -v1
	s_waitcnt vmcnt(1) lgkmcnt(0)
	v_mul_f32_e32 v171, v162, v167
	v_fmac_f32_e32 v171, v163, v166
	v_add_f32_e32 v183, v170, v171
	ds_read2_b64 v[170:173], v244 offset0:95 offset1:96
	scratch_load_dwordx4 v[246:249], off, off offset:360
	scratch_load_dwordx4 v[250:253], off, off offset:376
	;; [unrolled: 1-line block ×3, first 2 shown]
	scratch_load_dwordx2 v[186:187], off, off offset:408
	v_add_f32_e32 v0, v0, v1
	v_mul_f32_e32 v1, v107, v111
	v_fma_f32 v1, v106, v110, -v1
	v_add_f32_e32 v0, v0, v1
	v_mul_f32_e32 v1, v113, v117
	v_fma_f32 v1, v112, v116, -v1
	;; [unrolled: 3-line block ×14, first 2 shown]
	v_add_f32_e32 v182, v0, v1
	v_mul_f32_e32 v0, v165, v169
	v_mul_f32_e32 v255, v164, v169
	v_fma_f32 v254, v164, v168, -v0
	s_waitcnt vmcnt(4) lgkmcnt(0)
	v_mul_f32_e32 v0, v171, v175
	v_mov_b32_e32 v16, v177
	v_fmac_f32_e32 v255, v165, v168
	v_mul_f32_e32 v185, v170, v175
	v_fma_f32 v184, v170, v174, -v0
	ds_read2_b64 v[0:3], v244 offset0:97 offset1:98
	ds_read2_b64 v[4:7], v244 offset0:99 offset1:100
	ds_read2_b64 v[8:11], v244 offset0:101 offset1:102
	ds_read_b64 v[12:13], v244 offset:824
	v_pk_mul_f32 v[16:17], v[172:173], v[16:17] op_sel:[1,0] op_sel_hi:[0,0]
	v_fmac_f32_e32 v185, v171, v174
	v_pk_add_f32 v[14:15], v[182:183], v[254:255]
	v_pk_fma_f32 v[18:19], v[172:173], v[176:177], v[16:17] neg_lo:[0,0,1] neg_hi:[0,0,1]
	v_pk_fma_f32 v[16:17], v[172:173], v[176:177], v[16:17] op_sel_hi:[1,0,1]
	v_pk_add_f32 v[14:15], v[14:15], v[184:185]
	v_mov_b32_e32 v19, v17
	v_pk_add_f32 v[14:15], v[14:15], v[18:19]
	s_waitcnt vmcnt(3) lgkmcnt(3)
	v_pk_mul_f32 v[16:17], v[0:1], v[246:247] op_sel:[1,1] op_sel_hi:[0,1]
	v_pk_fma_f32 v[18:19], v[0:1], v[246:247], v[16:17] neg_lo:[0,0,1] neg_hi:[0,0,1]
	v_pk_fma_f32 v[0:1], v[0:1], v[246:247], v[16:17] op_sel_hi:[1,0,1]
	s_nop 0
	v_mov_b32_e32 v19, v1
	v_pk_add_f32 v[0:1], v[14:15], v[18:19]
	v_mov_b32_e32 v14, v249
	v_pk_mul_f32 v[14:15], v[2:3], v[14:15] op_sel:[1,0] op_sel_hi:[0,0]
	v_pk_fma_f32 v[16:17], v[2:3], v[248:249], v[14:15] neg_lo:[0,0,1] neg_hi:[0,0,1]
	v_pk_fma_f32 v[2:3], v[2:3], v[248:249], v[14:15] op_sel_hi:[1,0,1]
	s_nop 0
	v_mov_b32_e32 v17, v3
	s_waitcnt vmcnt(2) lgkmcnt(2)
	v_pk_mul_f32 v[2:3], v[4:5], v[250:251] op_sel:[1,1] op_sel_hi:[0,1]
	v_pk_fma_f32 v[14:15], v[4:5], v[250:251], v[2:3] neg_lo:[0,0,1] neg_hi:[0,0,1]
	v_pk_fma_f32 v[2:3], v[4:5], v[250:251], v[2:3] op_sel_hi:[1,0,1]
	v_pk_add_f32 v[0:1], v[0:1], v[16:17]
	v_mov_b32_e32 v2, v253
	v_mov_b32_e32 v15, v3
	v_pk_mul_f32 v[2:3], v[6:7], v[2:3] op_sel:[1,0] op_sel_hi:[0,0]
	v_pk_fma_f32 v[4:5], v[6:7], v[252:253], v[2:3] neg_lo:[0,0,1] neg_hi:[0,0,1]
	v_pk_fma_f32 v[2:3], v[6:7], v[252:253], v[2:3] op_sel_hi:[1,0,1]
	v_pk_add_f32 v[0:1], v[0:1], v[14:15]
	v_mov_b32_e32 v5, v3
	s_waitcnt vmcnt(1) lgkmcnt(1)
	v_pk_mul_f32 v[2:3], v[8:9], v[178:179] op_sel:[1,1] op_sel_hi:[0,1]
	v_pk_add_f32 v[0:1], v[0:1], v[4:5]
	v_pk_fma_f32 v[4:5], v[8:9], v[178:179], v[2:3] neg_lo:[0,0,1] neg_hi:[0,0,1]
	v_pk_fma_f32 v[2:3], v[8:9], v[178:179], v[2:3] op_sel_hi:[1,0,1]
	s_nop 0
	v_mov_b32_e32 v2, v181
	v_mov_b32_e32 v5, v3
	v_pk_mul_f32 v[2:3], v[10:11], v[2:3] op_sel:[1,0] op_sel_hi:[0,0]
	v_pk_add_f32 v[0:1], v[0:1], v[4:5]
	v_pk_fma_f32 v[4:5], v[10:11], v[180:181], v[2:3] neg_lo:[0,0,1] neg_hi:[0,0,1]
	v_pk_fma_f32 v[2:3], v[10:11], v[180:181], v[2:3] op_sel_hi:[1,0,1]
	s_nop 0
	v_mov_b32_e32 v5, v3
	s_waitcnt vmcnt(0) lgkmcnt(0)
	v_pk_mul_f32 v[2:3], v[12:13], v[186:187] op_sel:[1,1] op_sel_hi:[0,1]
	v_pk_add_f32 v[0:1], v[0:1], v[4:5]
	v_pk_fma_f32 v[4:5], v[12:13], v[186:187], v[2:3] neg_lo:[0,0,1] neg_hi:[0,0,1]
	v_pk_fma_f32 v[2:3], v[12:13], v[186:187], v[2:3] op_sel_hi:[1,0,1]
	s_nop 0
	v_mov_b32_e32 v5, v3
	scratch_load_dwordx2 v[2:3], off, off
	v_pk_add_f32 v[0:1], v[0:1], v[4:5]
	s_waitcnt vmcnt(0)
	v_pk_add_f32 v[0:1], v[2:3], v[0:1] neg_lo:[0,1] neg_hi:[0,1]
	scratch_store_dwordx2 off, v[0:1], off
	s_cbranch_vccz .LBB115_428
; %bb.326:
	global_load_dword v0, v244, s[8:9] offset:200
	s_waitcnt vmcnt(0)
	v_readfirstlane_b32 s0, v0
	s_add_i32 s0, s0, -1
	s_cmp_lg_u32 s0, 50
	s_cbranch_scc0 .LBB115_328
; %bb.327:
	s_lshl_b32 s0, s0, 3
	s_nop 0
	scratch_load_dwordx2 v[0:1], off, s0
	scratch_load_dwordx2 v[2:3], off, off offset:400
	s_waitcnt vmcnt(1)
	scratch_store_dwordx2 off, v[0:1], off offset:400
	s_waitcnt vmcnt(1)
	scratch_store_dwordx2 off, v[2:3], s0
.LBB115_328:
	v_mov_b32_e32 v0, 0
	global_load_dword v1, v0, s[8:9] offset:196
	s_waitcnt vmcnt(0)
	v_readfirstlane_b32 s0, v1
	s_add_i32 s0, s0, -1
	s_cmp_eq_u32 s0, 49
	s_cbranch_scc1 .LBB115_330
; %bb.329:
	s_lshl_b32 s0, s0, 3
	s_nop 0
	scratch_load_dwordx2 v[2:3], off, s0
	scratch_load_dwordx2 v[4:5], off, off offset:392
	s_waitcnt vmcnt(1)
	scratch_store_dwordx2 off, v[2:3], off offset:392
	s_waitcnt vmcnt(1)
	scratch_store_dwordx2 off, v[4:5], s0
.LBB115_330:
	global_load_dword v0, v0, s[8:9] offset:192
	s_waitcnt vmcnt(0)
	v_readfirstlane_b32 s0, v0
	s_add_i32 s0, s0, -1
	s_cmp_eq_u32 s0, 48
	s_cbranch_scc1 .LBB115_332
; %bb.331:
	s_lshl_b32 s0, s0, 3
	s_nop 0
	scratch_load_dwordx2 v[0:1], off, s0
	scratch_load_dwordx2 v[2:3], off, off offset:384
	s_waitcnt vmcnt(1)
	scratch_store_dwordx2 off, v[0:1], off offset:384
	s_waitcnt vmcnt(1)
	scratch_store_dwordx2 off, v[2:3], s0
.LBB115_332:
	v_mov_b32_e32 v0, 0
	global_load_dword v1, v0, s[8:9] offset:188
	s_waitcnt vmcnt(0)
	v_readfirstlane_b32 s0, v1
	s_add_i32 s0, s0, -1
	s_cmp_eq_u32 s0, 47
	s_cbranch_scc1 .LBB115_334
; %bb.333:
	s_lshl_b32 s0, s0, 3
	s_nop 0
	scratch_load_dwordx2 v[2:3], off, s0
	scratch_load_dwordx2 v[4:5], off, off offset:376
	s_waitcnt vmcnt(1)
	scratch_store_dwordx2 off, v[2:3], off offset:376
	s_waitcnt vmcnt(1)
	scratch_store_dwordx2 off, v[4:5], s0
.LBB115_334:
	global_load_dword v0, v0, s[8:9] offset:184
	s_waitcnt vmcnt(0)
	v_readfirstlane_b32 s0, v0
	s_add_i32 s0, s0, -1
	s_cmp_eq_u32 s0, 46
	s_cbranch_scc1 .LBB115_336
; %bb.335:
	s_lshl_b32 s0, s0, 3
	s_nop 0
	scratch_load_dwordx2 v[0:1], off, s0
	scratch_load_dwordx2 v[2:3], off, off offset:368
	s_waitcnt vmcnt(1)
	scratch_store_dwordx2 off, v[0:1], off offset:368
	s_waitcnt vmcnt(1)
	scratch_store_dwordx2 off, v[2:3], s0
.LBB115_336:
	;; [unrolled: 33-line block ×24, first 2 shown]
	v_mov_b32_e32 v0, 0
	global_load_dword v1, v0, s[8:9] offset:4
	s_waitcnt vmcnt(0)
	v_readfirstlane_b32 s0, v1
	s_add_i32 s0, s0, -1
	s_cmp_eq_u32 s0, 1
	s_cbranch_scc1 .LBB115_426
; %bb.425:
	s_lshl_b32 s0, s0, 3
	s_nop 0
	scratch_load_dwordx2 v[2:3], off, s0
	scratch_load_dwordx2 v[4:5], off, off offset:8
	s_waitcnt vmcnt(1)
	scratch_store_dwordx2 off, v[2:3], off offset:8
	s_waitcnt vmcnt(1)
	scratch_store_dwordx2 off, v[4:5], s0
.LBB115_426:
	global_load_dword v2, v0, s[8:9]
	s_nop 0
	scratch_load_dwordx2 v[0:1], off, off
	s_waitcnt vmcnt(1)
	v_readfirstlane_b32 s0, v2
	s_add_i32 s0, s0, -1
	s_cmp_eq_u32 s0, 0
	s_cbranch_scc1 .LBB115_428
; %bb.427:
	s_lshl_b32 s0, s0, 3
	s_nop 0
	scratch_load_dwordx2 v[2:3], off, s0
	s_waitcnt vmcnt(0)
	scratch_store_dwordx2 off, v[2:3], off
	scratch_store_dwordx2 off, v[0:1], s0
	scratch_load_dwordx2 v[0:1], off, off
.LBB115_428:
	s_waitcnt vmcnt(0)
	flat_store_dwordx2 v[140:141], v[0:1]
	scratch_load_dwordx2 v[0:1], off, off offset:8
	v_accvgpr_read_b32 v3, a1
	v_accvgpr_read_b32 v2, a0
	s_waitcnt vmcnt(0)
	flat_store_dwordx2 v[2:3], v[0:1]
	scratch_load_dwordx2 v[0:1], off, off offset:16
	v_accvgpr_read_b32 v2, a2
	v_accvgpr_read_b32 v3, a3
	;; [unrolled: 5-line block ×23, first 2 shown]
	s_waitcnt vmcnt(0)
	flat_store_dwordx2 v[2:3], v[0:1]
	scratch_load_dwordx2 v[0:1], off, off offset:192
	s_waitcnt vmcnt(0)
	flat_store_dwordx2 v[188:189], v[0:1]
	scratch_load_dwordx2 v[0:1], off, off offset:200
	;; [unrolled: 3-line block ×28, first 2 shown]
	s_waitcnt vmcnt(0)
	flat_store_dwordx2 v[242:243], v[0:1]
	s_endpgm
	.section	.rodata,"a",@progbits
	.p2align	6, 0x0
	.amdhsa_kernel _ZN9rocsolver6v33100L18getri_kernel_smallILi52E19rocblas_complex_numIfEPKPS3_EEvT1_iilPiilS8_bb
		.amdhsa_group_segment_fixed_size 836
		.amdhsa_private_segment_fixed_size 432
		.amdhsa_kernarg_size 60
		.amdhsa_user_sgpr_count 2
		.amdhsa_user_sgpr_dispatch_ptr 0
		.amdhsa_user_sgpr_queue_ptr 0
		.amdhsa_user_sgpr_kernarg_segment_ptr 1
		.amdhsa_user_sgpr_dispatch_id 0
		.amdhsa_user_sgpr_kernarg_preload_length 0
		.amdhsa_user_sgpr_kernarg_preload_offset 0
		.amdhsa_user_sgpr_private_segment_size 0
		.amdhsa_uses_dynamic_stack 0
		.amdhsa_enable_private_segment 1
		.amdhsa_system_sgpr_workgroup_id_x 1
		.amdhsa_system_sgpr_workgroup_id_y 0
		.amdhsa_system_sgpr_workgroup_id_z 0
		.amdhsa_system_sgpr_workgroup_info 0
		.amdhsa_system_vgpr_workitem_id 0
		.amdhsa_next_free_vgpr 302
		.amdhsa_next_free_sgpr 17
		.amdhsa_accum_offset 256
		.amdhsa_reserve_vcc 1
		.amdhsa_float_round_mode_32 0
		.amdhsa_float_round_mode_16_64 0
		.amdhsa_float_denorm_mode_32 3
		.amdhsa_float_denorm_mode_16_64 3
		.amdhsa_dx10_clamp 1
		.amdhsa_ieee_mode 1
		.amdhsa_fp16_overflow 0
		.amdhsa_tg_split 0
		.amdhsa_exception_fp_ieee_invalid_op 0
		.amdhsa_exception_fp_denorm_src 0
		.amdhsa_exception_fp_ieee_div_zero 0
		.amdhsa_exception_fp_ieee_overflow 0
		.amdhsa_exception_fp_ieee_underflow 0
		.amdhsa_exception_fp_ieee_inexact 0
		.amdhsa_exception_int_div_zero 0
	.end_amdhsa_kernel
	.section	.text._ZN9rocsolver6v33100L18getri_kernel_smallILi52E19rocblas_complex_numIfEPKPS3_EEvT1_iilPiilS8_bb,"axG",@progbits,_ZN9rocsolver6v33100L18getri_kernel_smallILi52E19rocblas_complex_numIfEPKPS3_EEvT1_iilPiilS8_bb,comdat
.Lfunc_end115:
	.size	_ZN9rocsolver6v33100L18getri_kernel_smallILi52E19rocblas_complex_numIfEPKPS3_EEvT1_iilPiilS8_bb, .Lfunc_end115-_ZN9rocsolver6v33100L18getri_kernel_smallILi52E19rocblas_complex_numIfEPKPS3_EEvT1_iilPiilS8_bb
                                        ; -- End function
	.set _ZN9rocsolver6v33100L18getri_kernel_smallILi52E19rocblas_complex_numIfEPKPS3_EEvT1_iilPiilS8_bb.num_vgpr, 256
	.set _ZN9rocsolver6v33100L18getri_kernel_smallILi52E19rocblas_complex_numIfEPKPS3_EEvT1_iilPiilS8_bb.num_agpr, 46
	.set _ZN9rocsolver6v33100L18getri_kernel_smallILi52E19rocblas_complex_numIfEPKPS3_EEvT1_iilPiilS8_bb.numbered_sgpr, 17
	.set _ZN9rocsolver6v33100L18getri_kernel_smallILi52E19rocblas_complex_numIfEPKPS3_EEvT1_iilPiilS8_bb.num_named_barrier, 0
	.set _ZN9rocsolver6v33100L18getri_kernel_smallILi52E19rocblas_complex_numIfEPKPS3_EEvT1_iilPiilS8_bb.private_seg_size, 432
	.set _ZN9rocsolver6v33100L18getri_kernel_smallILi52E19rocblas_complex_numIfEPKPS3_EEvT1_iilPiilS8_bb.uses_vcc, 1
	.set _ZN9rocsolver6v33100L18getri_kernel_smallILi52E19rocblas_complex_numIfEPKPS3_EEvT1_iilPiilS8_bb.uses_flat_scratch, 0
	.set _ZN9rocsolver6v33100L18getri_kernel_smallILi52E19rocblas_complex_numIfEPKPS3_EEvT1_iilPiilS8_bb.has_dyn_sized_stack, 0
	.set _ZN9rocsolver6v33100L18getri_kernel_smallILi52E19rocblas_complex_numIfEPKPS3_EEvT1_iilPiilS8_bb.has_recursion, 0
	.set _ZN9rocsolver6v33100L18getri_kernel_smallILi52E19rocblas_complex_numIfEPKPS3_EEvT1_iilPiilS8_bb.has_indirect_call, 0
	.section	.AMDGPU.csdata,"",@progbits
; Kernel info:
; codeLenInByte = 79036
; TotalNumSgprs: 23
; NumVgprs: 256
; NumAgprs: 46
; TotalNumVgprs: 302
; ScratchSize: 432
; MemoryBound: 0
; FloatMode: 240
; IeeeMode: 1
; LDSByteSize: 836 bytes/workgroup (compile time only)
; SGPRBlocks: 2
; VGPRBlocks: 37
; NumSGPRsForWavesPerEU: 23
; NumVGPRsForWavesPerEU: 302
; AccumOffset: 256
; Occupancy: 1
; WaveLimiterHint : 1
; COMPUTE_PGM_RSRC2:SCRATCH_EN: 1
; COMPUTE_PGM_RSRC2:USER_SGPR: 2
; COMPUTE_PGM_RSRC2:TRAP_HANDLER: 0
; COMPUTE_PGM_RSRC2:TGID_X_EN: 1
; COMPUTE_PGM_RSRC2:TGID_Y_EN: 0
; COMPUTE_PGM_RSRC2:TGID_Z_EN: 0
; COMPUTE_PGM_RSRC2:TIDIG_COMP_CNT: 0
; COMPUTE_PGM_RSRC3_GFX90A:ACCUM_OFFSET: 63
; COMPUTE_PGM_RSRC3_GFX90A:TG_SPLIT: 0
	.section	.text._ZN9rocsolver6v33100L18getri_kernel_smallILi53E19rocblas_complex_numIfEPKPS3_EEvT1_iilPiilS8_bb,"axG",@progbits,_ZN9rocsolver6v33100L18getri_kernel_smallILi53E19rocblas_complex_numIfEPKPS3_EEvT1_iilPiilS8_bb,comdat
	.globl	_ZN9rocsolver6v33100L18getri_kernel_smallILi53E19rocblas_complex_numIfEPKPS3_EEvT1_iilPiilS8_bb ; -- Begin function _ZN9rocsolver6v33100L18getri_kernel_smallILi53E19rocblas_complex_numIfEPKPS3_EEvT1_iilPiilS8_bb
	.p2align	8
	.type	_ZN9rocsolver6v33100L18getri_kernel_smallILi53E19rocblas_complex_numIfEPKPS3_EEvT1_iilPiilS8_bb,@function
_ZN9rocsolver6v33100L18getri_kernel_smallILi53E19rocblas_complex_numIfEPKPS3_EEvT1_iilPiilS8_bb: ; @_ZN9rocsolver6v33100L18getri_kernel_smallILi53E19rocblas_complex_numIfEPKPS3_EEvT1_iilPiilS8_bb
; %bb.0:
	v_cmp_gt_u32_e32 vcc, 53, v0
	s_and_saveexec_b64 s[4:5], vcc
	s_cbranch_execz .LBB116_226
; %bb.1:
	s_load_dword s14, s[0:1], 0x38
	s_load_dwordx2 s[8:9], s[0:1], 0x0
	s_load_dwordx4 s[4:7], s[0:1], 0x28
	s_waitcnt lgkmcnt(0)
	s_bitcmp1_b32 s14, 8
	s_cselect_b64 s[10:11], -1, 0
	s_ashr_i32 s3, s2, 31
	s_lshl_b64 s[12:13], s[2:3], 3
	s_add_u32 s8, s8, s12
	s_addc_u32 s9, s9, s13
	s_load_dwordx2 s[12:13], s[8:9], 0x0
	s_bfe_u32 s8, s14, 0x10008
	s_cmp_eq_u32 s8, 0
                                        ; implicit-def: $sgpr8_sgpr9
	s_cbranch_scc1 .LBB116_3
; %bb.2:
	s_load_dword s8, s[0:1], 0x20
	s_load_dwordx2 s[14:15], s[0:1], 0x18
	s_mul_i32 s9, s4, s3
	s_mul_hi_u32 s16, s4, s2
	s_add_i32 s16, s16, s9
	s_mul_i32 s5, s5, s2
	s_add_i32 s5, s16, s5
	s_mul_i32 s4, s4, s2
	s_waitcnt lgkmcnt(0)
	s_ashr_i32 s9, s8, 31
	s_lshl_b64 s[4:5], s[4:5], 2
	s_add_u32 s14, s14, s4
	s_addc_u32 s15, s15, s5
	s_lshl_b64 s[4:5], s[8:9], 2
	s_add_u32 s8, s14, s4
	s_addc_u32 s9, s15, s5
.LBB116_3:
	s_load_dwordx2 s[4:5], s[0:1], 0x8
	s_load_dword s14, s[0:1], 0x38
	v_lshlrev_b32_e32 v2, 3, v0
	v_mov_b32_e32 v3, 0
	s_waitcnt lgkmcnt(0)
	s_ashr_i32 s1, s4, 31
	s_mov_b32 s0, s4
	s_lshl_b64 s[0:1], s[0:1], 3
	s_add_u32 s0, s12, s0
	s_addc_u32 s1, s13, s1
	v_lshl_add_u64 v[142:143], s[0:1], 0, v[2:3]
	flat_load_dwordx2 v[4:5], v[142:143]
	s_mov_b32 s12, s5
	s_ashr_i32 s13, s5, 31
	v_lshl_add_u64 v[6:7], s[12:13], 3, v[142:143]
	v_accvgpr_write_b32 a0, v6
	s_add_i32 s4, s5, s5
	v_accvgpr_write_b32 a1, v7
	s_bitcmp0_b32 s14, 0
	s_waitcnt vmcnt(0) lgkmcnt(0)
	scratch_store_dwordx2 off, v[4:5], off
	flat_load_dwordx2 v[4:5], v[6:7]
	v_add_u32_e32 v6, s4, v0
	v_ashrrev_i32_e32 v7, 31, v6
	v_lshl_add_u64 v[8:9], v[6:7], 3, s[0:1]
	v_add_u32_e32 v6, s5, v6
	v_accvgpr_write_b32 a2, v8
	v_ashrrev_i32_e32 v7, 31, v6
	v_accvgpr_write_b32 a3, v9
	s_waitcnt vmcnt(0) lgkmcnt(0)
	scratch_store_dwordx2 off, v[4:5], off offset:8
	flat_load_dwordx2 v[4:5], v[8:9]
	v_lshl_add_u64 v[8:9], v[6:7], 3, s[0:1]
	v_add_u32_e32 v6, s5, v6
	v_accvgpr_write_b32 a4, v8
	v_ashrrev_i32_e32 v7, 31, v6
	v_accvgpr_write_b32 a5, v9
	s_waitcnt vmcnt(0) lgkmcnt(0)
	scratch_store_dwordx2 off, v[4:5], off offset:16
	flat_load_dwordx2 v[4:5], v[8:9]
	;; [unrolled: 8-line block ×23, first 2 shown]
	v_lshl_add_u64 v[8:9], v[6:7], 3, s[0:1]
	v_add_u32_e32 v6, s5, v6
	v_ashrrev_i32_e32 v7, 31, v6
	v_lshl_add_u64 v[194:195], v[6:7], 3, s[0:1]
	v_add_u32_e32 v6, s5, v6
	v_ashrrev_i32_e32 v7, 31, v6
	;; [unrolled: 3-line block ×26, first 2 shown]
	v_lshl_add_u64 v[244:245], v[6:7], 3, s[0:1]
	s_waitcnt vmcnt(0) lgkmcnt(0)
	scratch_store_dwordx2 off, v[4:5], off offset:192
	flat_load_dwordx2 v[4:5], v[8:9]
	v_add_u32_e32 v6, s5, v6
	v_ashrrev_i32_e32 v7, 31, v6
	v_lshl_add_u64 v[246:247], v[6:7], 3, s[0:1]
	v_accvgpr_write_b32 a49, v9
	v_accvgpr_write_b32 a48, v8
	s_mov_b64 s[4:5], -1
	s_waitcnt vmcnt(0) lgkmcnt(0)
	scratch_store_dwordx2 off, v[4:5], off offset:200
	flat_load_dwordx2 v[4:5], v[194:195]
	s_waitcnt vmcnt(0) lgkmcnt(0)
	scratch_store_dwordx2 off, v[4:5], off offset:208
	flat_load_dwordx2 v[4:5], v[196:197]
	s_waitcnt vmcnt(0) lgkmcnt(0)
	scratch_store_dwordx2 off, v[4:5], off offset:216
	flat_load_dwordx2 v[4:5], v[198:199]
	s_waitcnt vmcnt(0) lgkmcnt(0)
	scratch_store_dwordx2 off, v[4:5], off offset:224
	flat_load_dwordx2 v[4:5], v[200:201]
	s_waitcnt vmcnt(0) lgkmcnt(0)
	scratch_store_dwordx2 off, v[4:5], off offset:232
	flat_load_dwordx2 v[4:5], v[202:203]
	s_waitcnt vmcnt(0) lgkmcnt(0)
	scratch_store_dwordx2 off, v[4:5], off offset:240
	flat_load_dwordx2 v[4:5], v[204:205]
	s_waitcnt vmcnt(0) lgkmcnt(0)
	scratch_store_dwordx2 off, v[4:5], off offset:248
	flat_load_dwordx2 v[4:5], v[206:207]
	s_waitcnt vmcnt(0) lgkmcnt(0)
	scratch_store_dwordx2 off, v[4:5], off offset:256
	flat_load_dwordx2 v[4:5], v[208:209]
	s_waitcnt vmcnt(0) lgkmcnt(0)
	scratch_store_dwordx2 off, v[4:5], off offset:264
	flat_load_dwordx2 v[4:5], v[210:211]
	s_waitcnt vmcnt(0) lgkmcnt(0)
	scratch_store_dwordx2 off, v[4:5], off offset:272
	flat_load_dwordx2 v[4:5], v[212:213]
	s_waitcnt vmcnt(0) lgkmcnt(0)
	scratch_store_dwordx2 off, v[4:5], off offset:280
	flat_load_dwordx2 v[4:5], v[214:215]
	s_waitcnt vmcnt(0) lgkmcnt(0)
	scratch_store_dwordx2 off, v[4:5], off offset:288
	flat_load_dwordx2 v[4:5], v[216:217]
	s_waitcnt vmcnt(0) lgkmcnt(0)
	scratch_store_dwordx2 off, v[4:5], off offset:296
	flat_load_dwordx2 v[4:5], v[218:219]
	s_waitcnt vmcnt(0) lgkmcnt(0)
	scratch_store_dwordx2 off, v[4:5], off offset:304
	flat_load_dwordx2 v[4:5], v[220:221]
	s_waitcnt vmcnt(0) lgkmcnt(0)
	scratch_store_dwordx2 off, v[4:5], off offset:312
	flat_load_dwordx2 v[4:5], v[222:223]
	s_waitcnt vmcnt(0) lgkmcnt(0)
	scratch_store_dwordx2 off, v[4:5], off offset:320
	flat_load_dwordx2 v[4:5], v[224:225]
	s_waitcnt vmcnt(0) lgkmcnt(0)
	scratch_store_dwordx2 off, v[4:5], off offset:328
	flat_load_dwordx2 v[4:5], v[226:227]
	s_waitcnt vmcnt(0) lgkmcnt(0)
	scratch_store_dwordx2 off, v[4:5], off offset:336
	flat_load_dwordx2 v[4:5], v[228:229]
	s_waitcnt vmcnt(0) lgkmcnt(0)
	scratch_store_dwordx2 off, v[4:5], off offset:344
	flat_load_dwordx2 v[4:5], v[230:231]
	s_waitcnt vmcnt(0) lgkmcnt(0)
	scratch_store_dwordx2 off, v[4:5], off offset:352
	flat_load_dwordx2 v[4:5], v[232:233]
	s_waitcnt vmcnt(0) lgkmcnt(0)
	scratch_store_dwordx2 off, v[4:5], off offset:360
	flat_load_dwordx2 v[4:5], v[234:235]
	s_waitcnt vmcnt(0) lgkmcnt(0)
	scratch_store_dwordx2 off, v[4:5], off offset:368
	flat_load_dwordx2 v[4:5], v[236:237]
	s_waitcnt vmcnt(0) lgkmcnt(0)
	scratch_store_dwordx2 off, v[4:5], off offset:376
	flat_load_dwordx2 v[4:5], v[238:239]
	s_waitcnt vmcnt(0) lgkmcnt(0)
	scratch_store_dwordx2 off, v[4:5], off offset:384
	flat_load_dwordx2 v[4:5], v[240:241]
	s_waitcnt vmcnt(0) lgkmcnt(0)
	scratch_store_dwordx2 off, v[4:5], off offset:392
	flat_load_dwordx2 v[4:5], v[242:243]
	s_waitcnt vmcnt(0) lgkmcnt(0)
	scratch_store_dwordx2 off, v[4:5], off offset:400
	flat_load_dwordx2 v[4:5], v[244:245]
	s_waitcnt vmcnt(0) lgkmcnt(0)
	scratch_store_dwordx2 off, v[4:5], off offset:408
	flat_load_dwordx2 v[4:5], v[246:247]
	s_waitcnt vmcnt(0) lgkmcnt(0)
	scratch_store_dwordx2 off, v[4:5], off offset:416
	s_cbranch_scc1 .LBB116_224
; %bb.4:
	v_cmp_eq_u32_e64 s[0:1], 0, v0
	s_and_saveexec_b64 s[4:5], s[0:1]
; %bb.5:
	v_mov_b32_e32 v1, 0
	ds_write_b32 v1, v1 offset:424
; %bb.6:
	s_or_b64 exec, exec, s[4:5]
	s_waitcnt lgkmcnt(0)
	; wave barrier
	scratch_load_dwordx2 v[4:5], v2, off
	s_waitcnt vmcnt(0)
	v_cmp_eq_f32_e32 vcc, 0, v4
	v_cmp_eq_f32_e64 s[4:5], 0, v5
	s_and_b64 s[4:5], vcc, s[4:5]
	s_and_saveexec_b64 s[12:13], s[4:5]
	s_cbranch_execz .LBB116_10
; %bb.7:
	v_mov_b32_e32 v1, 0
	ds_read_b32 v4, v1 offset:424
	v_add_u32_e32 v3, 1, v0
	s_waitcnt lgkmcnt(0)
	v_readfirstlane_b32 s4, v4
	s_cmp_eq_u32 s4, 0
	s_cselect_b64 s[14:15], -1, 0
	v_cmp_gt_i32_e32 vcc, s4, v3
	s_or_b64 s[14:15], s[14:15], vcc
	s_and_b64 exec, exec, s[14:15]
	s_cbranch_execz .LBB116_10
; %bb.8:
	s_mov_b64 s[14:15], 0
	v_mov_b32_e32 v4, s4
.LBB116_9:                              ; =>This Inner Loop Header: Depth=1
	ds_cmpst_rtn_b32 v4, v1, v4, v3 offset:424
	s_waitcnt lgkmcnt(0)
	v_cmp_ne_u32_e32 vcc, 0, v4
	v_cmp_le_i32_e64 s[4:5], v4, v3
	s_and_b64 s[4:5], vcc, s[4:5]
	s_and_b64 s[4:5], exec, s[4:5]
	s_or_b64 s[14:15], s[4:5], s[14:15]
	s_andn2_b64 exec, exec, s[14:15]
	s_cbranch_execnz .LBB116_9
.LBB116_10:
	s_or_b64 exec, exec, s[12:13]
	v_mov_b32_e32 v3, 0
	; wave barrier
	ds_read_b32 v1, v3 offset:424
	s_and_saveexec_b64 s[4:5], s[0:1]
	s_cbranch_execz .LBB116_12
; %bb.11:
	s_lshl_b64 s[12:13], s[2:3], 2
	s_add_u32 s12, s6, s12
	s_addc_u32 s13, s7, s13
	s_waitcnt lgkmcnt(0)
	global_store_dword v3, v1, s[12:13]
.LBB116_12:
	s_or_b64 exec, exec, s[4:5]
	s_waitcnt lgkmcnt(0)
	v_cmp_ne_u32_e32 vcc, 0, v1
	s_mov_b64 s[4:5], 0
	s_cbranch_vccnz .LBB116_224
; %bb.13:
	v_mov_b32_e32 v3, v2
	scratch_load_dwordx2 v[4:5], v3, off
                                        ; implicit-def: $vgpr7
                                        ; implicit-def: $vgpr8
	s_waitcnt vmcnt(0)
	v_cmp_ngt_f32_e64 s[4:5], |v4|, |v5|
	s_and_saveexec_b64 s[12:13], s[4:5]
	s_xor_b64 s[4:5], exec, s[12:13]
	s_cbranch_execz .LBB116_15
; %bb.14:
	v_div_scale_f32 v1, s[12:13], v5, v5, v4
	v_rcp_f32_e32 v6, v1
	v_div_scale_f32 v7, vcc, v4, v5, v4
	v_fma_f32 v8, -v1, v6, 1.0
	v_fmac_f32_e32 v6, v8, v6
	v_mul_f32_e32 v8, v7, v6
	v_fma_f32 v9, -v1, v8, v7
	v_fmac_f32_e32 v8, v9, v6
	v_fma_f32 v1, -v1, v8, v7
	v_div_fmas_f32 v1, v1, v6, v8
	v_div_fixup_f32 v1, v1, v5, v4
	v_fmac_f32_e32 v5, v4, v1
	v_div_scale_f32 v4, s[12:13], v5, v5, -1.0
	v_rcp_f32_e32 v6, v4
	s_nop 0
	v_fma_f32 v7, -v4, v6, 1.0
	v_fmac_f32_e32 v6, v7, v6
	v_div_scale_f32 v7, vcc, -1.0, v5, -1.0
	v_mul_f32_e32 v8, v7, v6
	v_fma_f32 v9, -v4, v8, v7
	v_fmac_f32_e32 v8, v9, v6
	v_fma_f32 v4, -v4, v8, v7
	v_div_fmas_f32 v4, v4, v6, v8
	v_div_fixup_f32 v7, v4, v5, -1.0
	v_mul_f32_e32 v8, v1, v7
	v_xor_b32_e32 v6, 0x80000000, v8
                                        ; implicit-def: $vgpr4_vgpr5
.LBB116_15:
	s_andn2_saveexec_b64 s[4:5], s[4:5]
	s_cbranch_execz .LBB116_17
; %bb.16:
	v_div_scale_f32 v1, s[12:13], v4, v4, v5
	v_rcp_f32_e32 v6, v1
	v_div_scale_f32 v7, vcc, v5, v4, v5
	v_fma_f32 v8, -v1, v6, 1.0
	v_fmac_f32_e32 v6, v8, v6
	v_mul_f32_e32 v8, v7, v6
	v_fma_f32 v9, -v1, v8, v7
	v_fmac_f32_e32 v8, v9, v6
	v_fma_f32 v1, -v1, v8, v7
	v_div_fmas_f32 v1, v1, v6, v8
	v_div_fixup_f32 v1, v1, v4, v5
	v_fmac_f32_e32 v4, v5, v1
	v_div_scale_f32 v5, s[12:13], v4, v4, 1.0
	v_rcp_f32_e32 v6, v5
	s_nop 0
	v_fma_f32 v7, -v5, v6, 1.0
	v_fmac_f32_e32 v6, v7, v6
	v_div_scale_f32 v7, vcc, 1.0, v4, 1.0
	v_mul_f32_e32 v8, v7, v6
	v_fma_f32 v9, -v5, v8, v7
	v_fmac_f32_e32 v8, v9, v6
	v_fma_f32 v5, -v5, v8, v7
	v_div_fmas_f32 v5, v5, v6, v8
	v_div_fixup_f32 v6, v5, v4, 1.0
	v_xor_b32_e32 v8, 0x80000000, v6
	v_mul_f32_e64 v7, v1, -v6
.LBB116_17:
	s_or_b64 exec, exec, s[4:5]
	scratch_store_dwordx2 v3, v[6:7], off
	scratch_load_dwordx2 v[4:5], off, off offset:8
	v_xor_b32_e32 v9, 0x80000000, v7
	v_add_u32_e32 v1, 0x1b0, v2
	s_waitcnt vmcnt(0)
	ds_write2_b64 v2, v[8:9], v[4:5] offset1:54
	s_waitcnt lgkmcnt(0)
	; wave barrier
	s_and_saveexec_b64 s[4:5], s[0:1]
	s_cbranch_execz .LBB116_19
; %bb.18:
	scratch_load_dwordx2 v[4:5], v3, off
	ds_read_b64 v[6:7], v1
	v_mov_b32_e32 v8, 0
	ds_read_b64 v[8:9], v8 offset:8
	s_waitcnt vmcnt(0) lgkmcnt(1)
	v_pk_mul_f32 v[10:11], v[6:7], v[4:5] op_sel:[1,1] op_sel_hi:[0,1]
	v_pk_fma_f32 v[12:13], v[6:7], v[4:5], v[10:11] neg_lo:[0,0,1] neg_hi:[0,0,1]
	v_pk_fma_f32 v[4:5], v[6:7], v[4:5], v[10:11] op_sel_hi:[1,0,1]
	s_nop 0
	v_mov_b32_e32 v13, v5
	v_pk_add_f32 v[4:5], v[12:13], 0 op_sel_hi:[1,0]
	s_waitcnt lgkmcnt(0)
	v_pk_mul_f32 v[6:7], v[4:5], v[8:9] op_sel:[1,1] op_sel_hi:[0,1]
	v_pk_fma_f32 v[10:11], v[4:5], v[8:9], v[6:7] neg_lo:[0,0,1] neg_hi:[0,0,1]
	v_pk_fma_f32 v[4:5], v[4:5], v[8:9], v[6:7] op_sel_hi:[1,0,1]
	s_nop 0
	v_mov_b32_e32 v11, v5
	scratch_store_dwordx2 off, v[10:11], off offset:8
.LBB116_19:
	s_or_b64 exec, exec, s[4:5]
	; wave barrier
	scratch_load_dwordx2 v[4:5], off, off offset:16
	v_cmp_gt_u32_e32 vcc, 2, v0
	s_waitcnt vmcnt(0)
	ds_write_b64 v1, v[4:5]
	s_waitcnt lgkmcnt(0)
	; wave barrier
	s_and_saveexec_b64 s[4:5], vcc
	s_cbranch_execz .LBB116_23
; %bb.20:
	scratch_load_dwordx2 v[4:5], v3, off
	ds_read_b64 v[6:7], v1
	s_waitcnt vmcnt(0) lgkmcnt(0)
	v_pk_mul_f32 v[8:9], v[6:7], v[4:5] op_sel:[1,1] op_sel_hi:[0,1]
	v_pk_fma_f32 v[10:11], v[6:7], v[4:5], v[8:9] neg_lo:[0,0,1] neg_hi:[0,0,1]
	v_pk_fma_f32 v[4:5], v[6:7], v[4:5], v[8:9] op_sel_hi:[1,0,1]
	s_nop 0
	v_mov_b32_e32 v11, v5
	v_pk_add_f32 v[4:5], v[10:11], 0 op_sel_hi:[1,0]
	s_and_saveexec_b64 s[12:13], s[0:1]
	s_cbranch_execz .LBB116_22
; %bb.21:
	scratch_load_dwordx2 v[6:7], off, off offset:8
	v_mov_b32_e32 v3, 0
	ds_read_b64 v[8:9], v3 offset:440
	s_waitcnt vmcnt(0) lgkmcnt(0)
	v_pk_mul_f32 v[10:11], v[8:9], v[6:7] op_sel:[1,1] op_sel_hi:[0,1]
	v_pk_fma_f32 v[12:13], v[8:9], v[6:7], v[10:11] neg_lo:[0,0,1] neg_hi:[0,0,1]
	v_pk_fma_f32 v[6:7], v[8:9], v[6:7], v[10:11] op_sel_hi:[1,0,1]
	s_nop 0
	v_mov_b32_e32 v13, v7
	v_pk_add_f32 v[4:5], v[4:5], v[12:13]
.LBB116_22:
	s_or_b64 exec, exec, s[12:13]
	v_mov_b32_e32 v3, 0
	ds_read_b64 v[6:7], v3 offset:16
	s_waitcnt lgkmcnt(0)
	v_pk_mul_f32 v[8:9], v[4:5], v[6:7] op_sel:[1,1] op_sel_hi:[0,1]
	v_pk_fma_f32 v[10:11], v[4:5], v[6:7], v[8:9] neg_lo:[0,0,1] neg_hi:[0,0,1]
	v_pk_fma_f32 v[4:5], v[4:5], v[6:7], v[8:9] op_sel_hi:[1,0,1]
	s_nop 0
	v_mov_b32_e32 v11, v5
	scratch_store_dwordx2 off, v[10:11], off offset:16
.LBB116_23:
	s_or_b64 exec, exec, s[4:5]
	; wave barrier
	scratch_load_dwordx2 v[4:5], off, off offset:24
	v_cmp_gt_u32_e32 vcc, 3, v0
	v_add_u32_e32 v6, -1, v0
	s_waitcnt vmcnt(0)
	ds_write_b64 v1, v[4:5]
	s_waitcnt lgkmcnt(0)
	; wave barrier
	s_and_saveexec_b64 s[0:1], vcc
	s_cbranch_execz .LBB116_27
; %bb.24:
	v_mov_b32_e32 v4, 0
	v_add_u32_e32 v3, -1, v0
	v_add_u32_e32 v7, 0x1b0, v2
	v_mov_b32_e32 v8, v2
	s_mov_b64 s[4:5], 0
	v_mov_b32_e32 v5, v4
.LBB116_25:                             ; =>This Inner Loop Header: Depth=1
	scratch_load_dwordx2 v[10:11], v8, off
	ds_read_b64 v[12:13], v7
	v_add_u32_e32 v3, 1, v3
	v_cmp_lt_u32_e32 vcc, 1, v3
	v_add_u32_e32 v7, 8, v7
	v_add_u32_e32 v8, 8, v8
	s_or_b64 s[4:5], vcc, s[4:5]
	s_waitcnt vmcnt(0) lgkmcnt(0)
	v_pk_mul_f32 v[14:15], v[12:13], v[10:11] op_sel:[1,1] op_sel_hi:[0,1]
	v_pk_fma_f32 v[16:17], v[12:13], v[10:11], v[14:15] neg_lo:[0,0,1] neg_hi:[0,0,1]
	v_pk_fma_f32 v[10:11], v[12:13], v[10:11], v[14:15] op_sel_hi:[1,0,1]
	s_nop 0
	v_mov_b32_e32 v17, v11
	v_pk_add_f32 v[4:5], v[4:5], v[16:17]
	s_andn2_b64 exec, exec, s[4:5]
	s_cbranch_execnz .LBB116_25
; %bb.26:
	s_or_b64 exec, exec, s[4:5]
	v_mov_b32_e32 v3, 0
	ds_read_b64 v[8:9], v3 offset:24
	s_waitcnt lgkmcnt(0)
	v_pk_mul_f32 v[10:11], v[4:5], v[8:9] op_sel:[1,1] op_sel_hi:[0,1]
	v_pk_fma_f32 v[12:13], v[4:5], v[8:9], v[10:11] neg_lo:[0,0,1] neg_hi:[0,0,1]
	v_pk_fma_f32 v[4:5], v[4:5], v[8:9], v[10:11] op_sel_hi:[1,0,1]
	s_nop 0
	v_mov_b32_e32 v13, v5
	scratch_store_dwordx2 off, v[12:13], off offset:24
.LBB116_27:
	s_or_b64 exec, exec, s[0:1]
	; wave barrier
	scratch_load_dwordx2 v[4:5], off, off offset:32
	v_cmp_gt_u32_e32 vcc, 4, v0
	s_waitcnt vmcnt(0)
	ds_write_b64 v1, v[4:5]
	s_waitcnt lgkmcnt(0)
	; wave barrier
	s_and_saveexec_b64 s[0:1], vcc
	s_cbranch_execz .LBB116_31
; %bb.28:
	v_mov_b32_e32 v4, 0
	v_add_u32_e32 v3, -1, v0
	v_add_u32_e32 v7, 0x1b0, v2
	v_mov_b32_e32 v8, v2
	s_mov_b64 s[4:5], 0
	v_mov_b32_e32 v5, v4
.LBB116_29:                             ; =>This Inner Loop Header: Depth=1
	scratch_load_dwordx2 v[10:11], v8, off
	ds_read_b64 v[12:13], v7
	v_add_u32_e32 v3, 1, v3
	v_cmp_lt_u32_e32 vcc, 2, v3
	v_add_u32_e32 v7, 8, v7
	v_add_u32_e32 v8, 8, v8
	s_or_b64 s[4:5], vcc, s[4:5]
	s_waitcnt vmcnt(0) lgkmcnt(0)
	v_pk_mul_f32 v[14:15], v[12:13], v[10:11] op_sel:[1,1] op_sel_hi:[0,1]
	v_pk_fma_f32 v[16:17], v[12:13], v[10:11], v[14:15] neg_lo:[0,0,1] neg_hi:[0,0,1]
	v_pk_fma_f32 v[10:11], v[12:13], v[10:11], v[14:15] op_sel_hi:[1,0,1]
	s_nop 0
	v_mov_b32_e32 v17, v11
	v_pk_add_f32 v[4:5], v[4:5], v[16:17]
	s_andn2_b64 exec, exec, s[4:5]
	s_cbranch_execnz .LBB116_29
; %bb.30:
	s_or_b64 exec, exec, s[4:5]
	v_mov_b32_e32 v3, 0
	ds_read_b64 v[8:9], v3 offset:32
	s_waitcnt lgkmcnt(0)
	v_pk_mul_f32 v[10:11], v[4:5], v[8:9] op_sel:[1,1] op_sel_hi:[0,1]
	v_pk_fma_f32 v[12:13], v[4:5], v[8:9], v[10:11] neg_lo:[0,0,1] neg_hi:[0,0,1]
	v_pk_fma_f32 v[4:5], v[4:5], v[8:9], v[10:11] op_sel_hi:[1,0,1]
	s_nop 0
	v_mov_b32_e32 v13, v5
	scratch_store_dwordx2 off, v[12:13], off offset:32
.LBB116_31:
	s_or_b64 exec, exec, s[0:1]
	; wave barrier
	scratch_load_dwordx2 v[4:5], off, off offset:40
	v_cmp_gt_u32_e32 vcc, 5, v0
	;; [unrolled: 46-line block ×19, first 2 shown]
	s_waitcnt vmcnt(0)
	ds_write_b64 v1, v[4:5]
	s_waitcnt lgkmcnt(0)
	; wave barrier
	s_and_saveexec_b64 s[0:1], vcc
	s_cbranch_execz .LBB116_103
; %bb.100:
	v_mov_b32_e32 v4, 0
	v_add_u32_e32 v3, -1, v0
	v_add_u32_e32 v7, 0x1b0, v2
	v_mov_b32_e32 v8, v2
	s_mov_b64 s[4:5], 0
	v_mov_b32_e32 v5, v4
.LBB116_101:                            ; =>This Inner Loop Header: Depth=1
	scratch_load_dwordx2 v[10:11], v8, off
	ds_read_b64 v[12:13], v7
	v_add_u32_e32 v3, 1, v3
	v_cmp_lt_u32_e32 vcc, 20, v3
	v_add_u32_e32 v7, 8, v7
	v_add_u32_e32 v8, 8, v8
	s_or_b64 s[4:5], vcc, s[4:5]
	s_waitcnt vmcnt(0) lgkmcnt(0)
	v_pk_mul_f32 v[14:15], v[12:13], v[10:11] op_sel:[1,1] op_sel_hi:[0,1]
	v_pk_fma_f32 v[16:17], v[12:13], v[10:11], v[14:15] neg_lo:[0,0,1] neg_hi:[0,0,1]
	v_pk_fma_f32 v[10:11], v[12:13], v[10:11], v[14:15] op_sel_hi:[1,0,1]
	s_nop 0
	v_mov_b32_e32 v17, v11
	v_pk_add_f32 v[4:5], v[4:5], v[16:17]
	s_andn2_b64 exec, exec, s[4:5]
	s_cbranch_execnz .LBB116_101
; %bb.102:
	s_or_b64 exec, exec, s[4:5]
	v_mov_b32_e32 v3, 0
	ds_read_b64 v[8:9], v3 offset:176
	s_waitcnt lgkmcnt(0)
	v_pk_mul_f32 v[10:11], v[4:5], v[8:9] op_sel:[1,1] op_sel_hi:[0,1]
	v_pk_fma_f32 v[12:13], v[4:5], v[8:9], v[10:11] neg_lo:[0,0,1] neg_hi:[0,0,1]
	v_pk_fma_f32 v[4:5], v[4:5], v[8:9], v[10:11] op_sel_hi:[1,0,1]
	s_nop 0
	v_mov_b32_e32 v13, v5
	scratch_store_dwordx2 off, v[12:13], off offset:176
.LBB116_103:
	s_or_b64 exec, exec, s[0:1]
	; wave barrier
	scratch_load_dwordx2 v[4:5], off, off offset:184
	v_cmp_gt_u32_e32 vcc, 23, v0
	s_waitcnt vmcnt(0)
	ds_write_b64 v1, v[4:5]
	s_waitcnt lgkmcnt(0)
	; wave barrier
	s_and_saveexec_b64 s[0:1], vcc
	s_cbranch_execz .LBB116_107
; %bb.104:
	v_mov_b32_e32 v4, 0
	v_add_u32_e32 v3, -1, v0
	v_add_u32_e32 v7, 0x1b0, v2
	v_mov_b32_e32 v8, v2
	s_mov_b64 s[4:5], 0
	v_mov_b32_e32 v5, v4
.LBB116_105:                            ; =>This Inner Loop Header: Depth=1
	scratch_load_dwordx2 v[10:11], v8, off
	ds_read_b64 v[12:13], v7
	v_add_u32_e32 v3, 1, v3
	v_cmp_lt_u32_e32 vcc, 21, v3
	v_add_u32_e32 v7, 8, v7
	v_add_u32_e32 v8, 8, v8
	s_or_b64 s[4:5], vcc, s[4:5]
	s_waitcnt vmcnt(0) lgkmcnt(0)
	v_pk_mul_f32 v[14:15], v[12:13], v[10:11] op_sel:[1,1] op_sel_hi:[0,1]
	v_pk_fma_f32 v[16:17], v[12:13], v[10:11], v[14:15] neg_lo:[0,0,1] neg_hi:[0,0,1]
	v_pk_fma_f32 v[10:11], v[12:13], v[10:11], v[14:15] op_sel_hi:[1,0,1]
	s_nop 0
	v_mov_b32_e32 v17, v11
	v_pk_add_f32 v[4:5], v[4:5], v[16:17]
	s_andn2_b64 exec, exec, s[4:5]
	s_cbranch_execnz .LBB116_105
; %bb.106:
	s_or_b64 exec, exec, s[4:5]
	v_mov_b32_e32 v3, 0
	ds_read_b64 v[8:9], v3 offset:184
	s_waitcnt lgkmcnt(0)
	v_pk_mul_f32 v[10:11], v[4:5], v[8:9] op_sel:[1,1] op_sel_hi:[0,1]
	v_pk_fma_f32 v[12:13], v[4:5], v[8:9], v[10:11] neg_lo:[0,0,1] neg_hi:[0,0,1]
	v_pk_fma_f32 v[4:5], v[4:5], v[8:9], v[10:11] op_sel_hi:[1,0,1]
	s_nop 0
	v_mov_b32_e32 v13, v5
	scratch_store_dwordx2 off, v[12:13], off offset:184
.LBB116_107:
	s_or_b64 exec, exec, s[0:1]
	; wave barrier
	scratch_load_dwordx2 v[4:5], off, off offset:192
	v_cmp_gt_u32_e32 vcc, 24, v0
	;; [unrolled: 46-line block ×29, first 2 shown]
	s_waitcnt vmcnt(0)
	ds_write_b64 v1, v[4:5]
	s_waitcnt lgkmcnt(0)
	; wave barrier
	s_and_saveexec_b64 s[0:1], vcc
	s_cbranch_execz .LBB116_219
; %bb.216:
	v_mov_b32_e32 v4, 0
	v_add_u32_e32 v3, -1, v0
	v_add_u32_e32 v7, 0x1b0, v2
	v_mov_b32_e32 v8, v2
	s_mov_b64 s[4:5], 0
	v_mov_b32_e32 v5, v4
.LBB116_217:                            ; =>This Inner Loop Header: Depth=1
	scratch_load_dwordx2 v[10:11], v8, off
	ds_read_b64 v[12:13], v7
	v_add_u32_e32 v3, 1, v3
	v_cmp_lt_u32_e32 vcc, 49, v3
	v_add_u32_e32 v7, 8, v7
	v_add_u32_e32 v8, 8, v8
	s_or_b64 s[4:5], vcc, s[4:5]
	s_waitcnt vmcnt(0) lgkmcnt(0)
	v_pk_mul_f32 v[14:15], v[12:13], v[10:11] op_sel:[1,1] op_sel_hi:[0,1]
	v_pk_fma_f32 v[16:17], v[12:13], v[10:11], v[14:15] neg_lo:[0,0,1] neg_hi:[0,0,1]
	v_pk_fma_f32 v[10:11], v[12:13], v[10:11], v[14:15] op_sel_hi:[1,0,1]
	s_nop 0
	v_mov_b32_e32 v17, v11
	v_pk_add_f32 v[4:5], v[4:5], v[16:17]
	s_andn2_b64 exec, exec, s[4:5]
	s_cbranch_execnz .LBB116_217
; %bb.218:
	s_or_b64 exec, exec, s[4:5]
	v_mov_b32_e32 v3, 0
	ds_read_b64 v[8:9], v3 offset:408
	s_waitcnt lgkmcnt(0)
	v_pk_mul_f32 v[10:11], v[4:5], v[8:9] op_sel:[1,1] op_sel_hi:[0,1]
	v_pk_fma_f32 v[12:13], v[4:5], v[8:9], v[10:11] neg_lo:[0,0,1] neg_hi:[0,0,1]
	v_pk_fma_f32 v[4:5], v[4:5], v[8:9], v[10:11] op_sel_hi:[1,0,1]
	s_nop 0
	v_mov_b32_e32 v13, v5
	scratch_store_dwordx2 off, v[12:13], off offset:408
.LBB116_219:
	s_or_b64 exec, exec, s[0:1]
	; wave barrier
	scratch_load_dwordx2 v[4:5], off, off offset:416
	v_cmp_ne_u32_e32 vcc, 52, v0
	s_waitcnt vmcnt(0)
	ds_write_b64 v1, v[4:5]
	s_waitcnt lgkmcnt(0)
	; wave barrier
	s_and_saveexec_b64 s[0:1], vcc
	s_cbranch_execz .LBB116_223
; %bb.220:
	v_add_u32_e32 v1, 0x1b0, v2
	v_mov_b32_e32 v4, v2
	v_mov_b32_e32 v2, 0
	s_mov_b64 s[4:5], 0
	v_mov_b32_e32 v3, v2
.LBB116_221:                            ; =>This Inner Loop Header: Depth=1
	scratch_load_dwordx2 v[8:9], v4, off
	ds_read_b64 v[10:11], v1
	v_add_u32_e32 v6, 1, v6
	v_cmp_lt_u32_e32 vcc, 50, v6
	v_add_u32_e32 v1, 8, v1
	v_add_u32_e32 v4, 8, v4
	s_or_b64 s[4:5], vcc, s[4:5]
	s_waitcnt vmcnt(0) lgkmcnt(0)
	v_pk_mul_f32 v[12:13], v[10:11], v[8:9] op_sel:[1,1] op_sel_hi:[0,1]
	v_pk_fma_f32 v[14:15], v[10:11], v[8:9], v[12:13] neg_lo:[0,0,1] neg_hi:[0,0,1]
	v_pk_fma_f32 v[8:9], v[10:11], v[8:9], v[12:13] op_sel_hi:[1,0,1]
	s_nop 0
	v_mov_b32_e32 v15, v9
	v_pk_add_f32 v[2:3], v[2:3], v[14:15]
	s_andn2_b64 exec, exec, s[4:5]
	s_cbranch_execnz .LBB116_221
; %bb.222:
	s_or_b64 exec, exec, s[4:5]
	v_mov_b32_e32 v1, 0
	ds_read_b64 v[4:5], v1 offset:416
	s_waitcnt lgkmcnt(0)
	v_pk_mul_f32 v[6:7], v[2:3], v[4:5] op_sel:[1,1] op_sel_hi:[0,1]
	v_pk_fma_f32 v[8:9], v[2:3], v[4:5], v[6:7] neg_lo:[0,0,1] neg_hi:[0,0,1]
	v_pk_fma_f32 v[2:3], v[2:3], v[4:5], v[6:7] op_sel_hi:[1,0,1]
	s_nop 0
	v_mov_b32_e32 v9, v3
	scratch_store_dwordx2 off, v[8:9], off offset:416
.LBB116_223:
	s_or_b64 exec, exec, s[0:1]
	s_mov_b64 s[4:5], -1
	; wave barrier
.LBB116_224:
	s_and_b64 vcc, exec, s[4:5]
	s_cbranch_vccz .LBB116_226
; %bb.225:
	s_lshl_b64 s[0:1], s[2:3], 2
	s_add_u32 s0, s6, s0
	s_addc_u32 s1, s7, s1
	v_mov_b32_e32 v1, 0
	global_load_dword v1, v1, s[0:1]
	s_waitcnt vmcnt(0)
	v_cmp_ne_u32_e32 vcc, 0, v1
	s_cbranch_vccz .LBB116_227
.LBB116_226:
	s_endpgm
.LBB116_227:
	v_mov_b32_e32 v1, 0x1b0
	v_lshl_add_u32 v1, v0, 3, v1
	v_cmp_eq_u32_e32 vcc, 52, v0
	s_and_saveexec_b64 s[0:1], vcc
	s_cbranch_execz .LBB116_229
; %bb.228:
	scratch_load_dwordx2 v[2:3], off, off offset:408
	v_mov_b32_e32 v4, 0
	v_mov_b32_e32 v5, v4
	scratch_store_dwordx2 off, v[4:5], off offset:408
	s_waitcnt vmcnt(1)
	ds_write_b64 v1, v[2:3]
.LBB116_229:
	s_or_b64 exec, exec, s[0:1]
	s_waitcnt lgkmcnt(0)
	; wave barrier
	scratch_load_dwordx2 v[4:5], off, off offset:416
	scratch_load_dwordx2 v[6:7], off, off offset:408
	v_mov_b32_e32 v2, 0
	ds_read_b64 v[8:9], v2 offset:848
	v_cmp_lt_u32_e32 vcc, 50, v0
	s_waitcnt vmcnt(1) lgkmcnt(0)
	v_pk_mul_f32 v[10:11], v[8:9], v[4:5] op_sel:[1,1] op_sel_hi:[0,1]
	v_pk_fma_f32 v[12:13], v[8:9], v[4:5], v[10:11] neg_lo:[0,0,1] neg_hi:[0,0,1]
	v_pk_fma_f32 v[4:5], v[8:9], v[4:5], v[10:11] op_sel_hi:[1,0,1]
	s_nop 0
	v_mov_b32_e32 v13, v5
	v_pk_add_f32 v[4:5], v[12:13], 0 op_sel_hi:[1,0]
	s_waitcnt vmcnt(0)
	v_pk_add_f32 v[4:5], v[6:7], v[4:5] neg_lo:[0,1] neg_hi:[0,1]
	scratch_store_dwordx2 off, v[4:5], off offset:408
	s_and_saveexec_b64 s[0:1], vcc
	s_cbranch_execz .LBB116_231
; %bb.230:
	scratch_load_dwordx2 v[4:5], off, off offset:400
	v_mov_b32_e32 v3, v2
	scratch_store_dwordx2 off, v[2:3], off offset:400
	s_waitcnt vmcnt(1)
	ds_write_b64 v1, v[4:5]
.LBB116_231:
	s_or_b64 exec, exec, s[0:1]
	s_waitcnt lgkmcnt(0)
	; wave barrier
	scratch_load_dwordx4 v[4:7], off, off offset:408
	scratch_load_dwordx2 v[12:13], off, off offset:400
	ds_read2_b64 v[8:11], v2 offset0:105 offset1:106
	v_cmp_lt_u32_e32 vcc, 49, v0
	s_waitcnt vmcnt(1) lgkmcnt(0)
	v_pk_mul_f32 v[2:3], v[8:9], v[4:5] op_sel:[1,1] op_sel_hi:[0,1]
	v_mov_b32_e32 v14, v7
	v_pk_fma_f32 v[16:17], v[8:9], v[4:5], v[2:3] neg_lo:[0,0,1] neg_hi:[0,0,1]
	v_pk_fma_f32 v[2:3], v[8:9], v[4:5], v[2:3] op_sel_hi:[1,0,1]
	v_pk_mul_f32 v[4:5], v[10:11], v[14:15] op_sel:[1,0] op_sel_hi:[0,0]
	v_mov_b32_e32 v17, v3
	v_pk_fma_f32 v[2:3], v[10:11], v[6:7], v[4:5] neg_lo:[0,0,1] neg_hi:[0,0,1]
	v_pk_fma_f32 v[4:5], v[10:11], v[6:7], v[4:5] op_sel_hi:[1,0,1]
	v_pk_add_f32 v[6:7], v[16:17], 0 op_sel_hi:[1,0]
	v_mov_b32_e32 v3, v5
	v_pk_add_f32 v[2:3], v[6:7], v[2:3]
	s_waitcnt vmcnt(0)
	v_pk_add_f32 v[2:3], v[12:13], v[2:3] neg_lo:[0,1] neg_hi:[0,1]
	scratch_store_dwordx2 off, v[2:3], off offset:400
	s_and_saveexec_b64 s[0:1], vcc
	s_cbranch_execz .LBB116_233
; %bb.232:
	scratch_load_dwordx2 v[2:3], off, off offset:392
	v_mov_b32_e32 v4, 0
	v_mov_b32_e32 v5, v4
	scratch_store_dwordx2 off, v[4:5], off offset:392
	s_waitcnt vmcnt(1)
	ds_write_b64 v1, v[2:3]
.LBB116_233:
	s_or_b64 exec, exec, s[0:1]
	s_waitcnt lgkmcnt(0)
	; wave barrier
	scratch_load_dwordx4 v[4:7], off, off offset:400
	scratch_load_dwordx2 v[12:13], off, off offset:416
	v_mov_b32_e32 v2, 0
	ds_read_b128 v[8:11], v2 offset:832
	ds_read_b64 v[14:15], v2 offset:848
	v_cmp_lt_u32_e32 vcc, 48, v0
	s_waitcnt vmcnt(1) lgkmcnt(1)
	v_pk_mul_f32 v[16:17], v[8:9], v[4:5] op_sel:[1,1] op_sel_hi:[0,1]
	v_pk_fma_f32 v[18:19], v[8:9], v[4:5], v[16:17] neg_lo:[0,0,1] neg_hi:[0,0,1]
	v_pk_fma_f32 v[4:5], v[8:9], v[4:5], v[16:17] op_sel_hi:[1,0,1]
	v_mov_b32_e32 v8, v7
	v_pk_mul_f32 v[8:9], v[10:11], v[8:9] op_sel:[1,0] op_sel_hi:[0,0]
	v_pk_fma_f32 v[16:17], v[10:11], v[6:7], v[8:9] neg_lo:[0,0,1] neg_hi:[0,0,1]
	v_pk_fma_f32 v[6:7], v[10:11], v[6:7], v[8:9] op_sel_hi:[1,0,1]
	v_mov_b32_e32 v19, v5
	v_mov_b32_e32 v17, v7
	s_waitcnt vmcnt(0) lgkmcnt(0)
	v_pk_mul_f32 v[6:7], v[14:15], v[12:13] op_sel:[1,1] op_sel_hi:[0,1]
	v_pk_fma_f32 v[8:9], v[14:15], v[12:13], v[6:7] neg_lo:[0,0,1] neg_hi:[0,0,1]
	v_pk_fma_f32 v[6:7], v[14:15], v[12:13], v[6:7] op_sel_hi:[1,0,1]
	v_pk_add_f32 v[4:5], v[18:19], 0 op_sel_hi:[1,0]
	v_mov_b32_e32 v9, v7
	scratch_load_dwordx2 v[6:7], off, off offset:392
	v_pk_add_f32 v[4:5], v[4:5], v[16:17]
	s_nop 0
	v_pk_add_f32 v[4:5], v[4:5], v[8:9]
	s_waitcnt vmcnt(0)
	v_pk_add_f32 v[4:5], v[6:7], v[4:5] neg_lo:[0,1] neg_hi:[0,1]
	scratch_store_dwordx2 off, v[4:5], off offset:392
	s_and_saveexec_b64 s[0:1], vcc
	s_cbranch_execz .LBB116_235
; %bb.234:
	scratch_load_dwordx2 v[4:5], off, off offset:384
	v_mov_b32_e32 v3, v2
	scratch_store_dwordx2 off, v[2:3], off offset:384
	s_waitcnt vmcnt(1)
	ds_write_b64 v1, v[4:5]
.LBB116_235:
	s_or_b64 exec, exec, s[0:1]
	s_waitcnt lgkmcnt(0)
	; wave barrier
	scratch_load_dwordx4 v[4:7], off, off offset:392
	scratch_load_dwordx4 v[8:11], off, off offset:408
	scratch_load_dwordx2 v[20:21], off, off offset:384
	ds_read2_b64 v[12:15], v2 offset0:103 offset1:104
	ds_read2_b64 v[16:19], v2 offset0:105 offset1:106
	v_cmp_lt_u32_e32 vcc, 47, v0
	s_waitcnt vmcnt(2) lgkmcnt(1)
	v_pk_mul_f32 v[2:3], v[12:13], v[4:5] op_sel:[1,1] op_sel_hi:[0,1]
	v_mov_b32_e32 v22, v7
	s_waitcnt vmcnt(1) lgkmcnt(0)
	v_pk_mul_f32 v[24:25], v[16:17], v[8:9] op_sel:[1,1] op_sel_hi:[0,1]
	v_mov_b32_e32 v26, v11
	v_pk_fma_f32 v[28:29], v[12:13], v[4:5], v[2:3] neg_lo:[0,0,1] neg_hi:[0,0,1]
	v_pk_fma_f32 v[2:3], v[12:13], v[4:5], v[2:3] op_sel_hi:[1,0,1]
	v_pk_mul_f32 v[4:5], v[14:15], v[22:23] op_sel:[1,0] op_sel_hi:[0,0]
	v_pk_fma_f32 v[12:13], v[16:17], v[8:9], v[24:25] neg_lo:[0,0,1] neg_hi:[0,0,1]
	v_pk_fma_f32 v[8:9], v[16:17], v[8:9], v[24:25] op_sel_hi:[1,0,1]
	v_pk_mul_f32 v[16:17], v[18:19], v[26:27] op_sel:[1,0] op_sel_hi:[0,0]
	v_mov_b32_e32 v29, v3
	v_pk_fma_f32 v[2:3], v[14:15], v[6:7], v[4:5] neg_lo:[0,0,1] neg_hi:[0,0,1]
	v_pk_fma_f32 v[4:5], v[14:15], v[6:7], v[4:5] op_sel_hi:[1,0,1]
	v_mov_b32_e32 v13, v9
	v_pk_fma_f32 v[6:7], v[18:19], v[10:11], v[16:17] neg_lo:[0,0,1] neg_hi:[0,0,1]
	v_pk_fma_f32 v[8:9], v[18:19], v[10:11], v[16:17] op_sel_hi:[1,0,1]
	v_pk_add_f32 v[10:11], v[28:29], 0 op_sel_hi:[1,0]
	v_mov_b32_e32 v3, v5
	v_pk_add_f32 v[2:3], v[10:11], v[2:3]
	v_mov_b32_e32 v7, v9
	v_pk_add_f32 v[2:3], v[2:3], v[12:13]
	s_nop 0
	v_pk_add_f32 v[2:3], v[2:3], v[6:7]
	s_waitcnt vmcnt(0)
	v_pk_add_f32 v[2:3], v[20:21], v[2:3] neg_lo:[0,1] neg_hi:[0,1]
	scratch_store_dwordx2 off, v[2:3], off offset:384
	s_and_saveexec_b64 s[0:1], vcc
	s_cbranch_execz .LBB116_237
; %bb.236:
	scratch_load_dwordx2 v[2:3], off, off offset:376
	v_mov_b32_e32 v4, 0
	v_mov_b32_e32 v5, v4
	scratch_store_dwordx2 off, v[4:5], off offset:376
	s_waitcnt vmcnt(1)
	ds_write_b64 v1, v[2:3]
.LBB116_237:
	s_or_b64 exec, exec, s[0:1]
	s_waitcnt lgkmcnt(0)
	; wave barrier
	scratch_load_dwordx4 v[4:7], off, off offset:384
	scratch_load_dwordx4 v[8:11], off, off offset:400
	scratch_load_dwordx2 v[20:21], off, off offset:416
	scratch_load_dwordx2 v[22:23], off, off offset:376
	v_mov_b32_e32 v2, 0
	ds_read_b128 v[12:15], v2 offset:816
	ds_read_b128 v[16:19], v2 offset:832
	ds_read_b64 v[24:25], v2 offset:848
	v_cmp_lt_u32_e32 vcc, 46, v0
	s_waitcnt vmcnt(3) lgkmcnt(2)
	v_pk_mul_f32 v[26:27], v[12:13], v[4:5] op_sel:[1,1] op_sel_hi:[0,1]
	v_mov_b32_e32 v28, v7
	v_pk_fma_f32 v[36:37], v[12:13], v[4:5], v[26:27] neg_lo:[0,0,1] neg_hi:[0,0,1]
	v_pk_fma_f32 v[4:5], v[12:13], v[4:5], v[26:27] op_sel_hi:[1,0,1]
	v_pk_mul_f32 v[12:13], v[14:15], v[28:29] op_sel:[1,0] op_sel_hi:[0,0]
	s_waitcnt vmcnt(2) lgkmcnt(1)
	v_pk_mul_f32 v[30:31], v[16:17], v[8:9] op_sel:[1,1] op_sel_hi:[0,1]
	v_mov_b32_e32 v32, v11
	v_mov_b32_e32 v37, v5
	v_pk_fma_f32 v[4:5], v[14:15], v[6:7], v[12:13] neg_lo:[0,0,1] neg_hi:[0,0,1]
	v_pk_fma_f32 v[6:7], v[14:15], v[6:7], v[12:13] op_sel_hi:[1,0,1]
	v_pk_fma_f32 v[26:27], v[16:17], v[8:9], v[30:31] neg_lo:[0,0,1] neg_hi:[0,0,1]
	v_pk_fma_f32 v[8:9], v[16:17], v[8:9], v[30:31] op_sel_hi:[1,0,1]
	v_pk_mul_f32 v[16:17], v[18:19], v[32:33] op_sel:[1,0] op_sel_hi:[0,0]
	v_pk_add_f32 v[12:13], v[36:37], 0 op_sel_hi:[1,0]
	v_mov_b32_e32 v5, v7
	s_waitcnt vmcnt(1) lgkmcnt(0)
	v_pk_mul_f32 v[34:35], v[24:25], v[20:21] op_sel:[1,1] op_sel_hi:[0,1]
	v_mov_b32_e32 v27, v9
	v_pk_fma_f32 v[8:9], v[18:19], v[10:11], v[16:17] neg_lo:[0,0,1] neg_hi:[0,0,1]
	v_pk_fma_f32 v[10:11], v[18:19], v[10:11], v[16:17] op_sel_hi:[1,0,1]
	v_pk_add_f32 v[4:5], v[12:13], v[4:5]
	v_pk_fma_f32 v[28:29], v[24:25], v[20:21], v[34:35] neg_lo:[0,0,1] neg_hi:[0,0,1]
	v_pk_fma_f32 v[20:21], v[24:25], v[20:21], v[34:35] op_sel_hi:[1,0,1]
	v_mov_b32_e32 v9, v11
	v_pk_add_f32 v[4:5], v[4:5], v[26:27]
	v_mov_b32_e32 v29, v21
	v_pk_add_f32 v[4:5], v[4:5], v[8:9]
	s_nop 0
	v_pk_add_f32 v[4:5], v[4:5], v[28:29]
	s_waitcnt vmcnt(0)
	v_pk_add_f32 v[4:5], v[22:23], v[4:5] neg_lo:[0,1] neg_hi:[0,1]
	scratch_store_dwordx2 off, v[4:5], off offset:376
	s_and_saveexec_b64 s[0:1], vcc
	s_cbranch_execz .LBB116_239
; %bb.238:
	scratch_load_dwordx2 v[4:5], off, off offset:368
	v_mov_b32_e32 v3, v2
	scratch_store_dwordx2 off, v[2:3], off offset:368
	s_waitcnt vmcnt(1)
	ds_write_b64 v1, v[4:5]
.LBB116_239:
	s_or_b64 exec, exec, s[0:1]
	s_waitcnt lgkmcnt(0)
	; wave barrier
	scratch_load_dwordx4 v[4:7], off, off offset:376
	scratch_load_dwordx4 v[8:11], off, off offset:392
	;; [unrolled: 1-line block ×3, first 2 shown]
	scratch_load_dwordx2 v[28:29], off, off offset:368
	ds_read2_b64 v[16:19], v2 offset0:101 offset1:102
	ds_read2_b64 v[20:23], v2 offset0:103 offset1:104
	;; [unrolled: 1-line block ×3, first 2 shown]
	v_cmp_lt_u32_e32 vcc, 45, v0
	s_waitcnt vmcnt(3) lgkmcnt(2)
	v_pk_mul_f32 v[2:3], v[16:17], v[4:5] op_sel:[1,1] op_sel_hi:[0,1]
	v_mov_b32_e32 v30, v7
	s_waitcnt vmcnt(2) lgkmcnt(1)
	v_pk_mul_f32 v[32:33], v[20:21], v[8:9] op_sel:[1,1] op_sel_hi:[0,1]
	v_mov_b32_e32 v34, v11
	;; [unrolled: 3-line block ×3, first 2 shown]
	v_pk_fma_f32 v[40:41], v[16:17], v[4:5], v[2:3] neg_lo:[0,0,1] neg_hi:[0,0,1]
	v_pk_fma_f32 v[2:3], v[16:17], v[4:5], v[2:3] op_sel_hi:[1,0,1]
	v_pk_mul_f32 v[4:5], v[18:19], v[30:31] op_sel:[1,0] op_sel_hi:[0,0]
	v_pk_fma_f32 v[16:17], v[20:21], v[8:9], v[32:33] neg_lo:[0,0,1] neg_hi:[0,0,1]
	v_pk_fma_f32 v[8:9], v[20:21], v[8:9], v[32:33] op_sel_hi:[1,0,1]
	v_pk_mul_f32 v[20:21], v[22:23], v[34:35] op_sel:[1,0] op_sel_hi:[0,0]
	;; [unrolled: 3-line block ×3, first 2 shown]
	v_mov_b32_e32 v41, v3
	v_pk_fma_f32 v[2:3], v[18:19], v[6:7], v[4:5] neg_lo:[0,0,1] neg_hi:[0,0,1]
	v_pk_fma_f32 v[4:5], v[18:19], v[6:7], v[4:5] op_sel_hi:[1,0,1]
	v_mov_b32_e32 v17, v9
	v_pk_fma_f32 v[6:7], v[22:23], v[10:11], v[20:21] neg_lo:[0,0,1] neg_hi:[0,0,1]
	v_pk_fma_f32 v[8:9], v[22:23], v[10:11], v[20:21] op_sel_hi:[1,0,1]
	;; [unrolled: 3-line block ×3, first 2 shown]
	v_pk_add_f32 v[14:15], v[40:41], 0 op_sel_hi:[1,0]
	v_mov_b32_e32 v3, v5
	v_pk_add_f32 v[2:3], v[14:15], v[2:3]
	v_mov_b32_e32 v7, v9
	v_pk_add_f32 v[2:3], v[2:3], v[16:17]
	;; [unrolled: 2-line block ×3, first 2 shown]
	s_nop 0
	v_pk_add_f32 v[2:3], v[2:3], v[30:31]
	s_nop 0
	v_pk_add_f32 v[2:3], v[2:3], v[10:11]
	s_waitcnt vmcnt(0)
	v_pk_add_f32 v[2:3], v[28:29], v[2:3] neg_lo:[0,1] neg_hi:[0,1]
	scratch_store_dwordx2 off, v[2:3], off offset:368
	s_and_saveexec_b64 s[0:1], vcc
	s_cbranch_execz .LBB116_241
; %bb.240:
	scratch_load_dwordx2 v[2:3], off, off offset:360
	v_mov_b32_e32 v4, 0
	v_mov_b32_e32 v5, v4
	scratch_store_dwordx2 off, v[4:5], off offset:360
	s_waitcnt vmcnt(1)
	ds_write_b64 v1, v[2:3]
.LBB116_241:
	s_or_b64 exec, exec, s[0:1]
	s_waitcnt lgkmcnt(0)
	; wave barrier
	scratch_load_dwordx4 v[4:7], off, off offset:368
	scratch_load_dwordx4 v[8:11], off, off offset:384
	;; [unrolled: 1-line block ×3, first 2 shown]
	scratch_load_dwordx2 v[28:29], off, off offset:416
	scratch_load_dwordx2 v[30:31], off, off offset:360
	v_mov_b32_e32 v2, 0
	ds_read_b128 v[16:19], v2 offset:800
	ds_read_b128 v[20:23], v2 offset:816
	ds_read_b128 v[24:27], v2 offset:832
	ds_read_b64 v[32:33], v2 offset:848
	v_cmp_lt_u32_e32 vcc, 44, v0
	s_waitcnt vmcnt(4) lgkmcnt(3)
	v_pk_mul_f32 v[34:35], v[16:17], v[4:5] op_sel:[1,1] op_sel_hi:[0,1]
	v_mov_b32_e32 v36, v7
	v_pk_fma_f32 v[48:49], v[16:17], v[4:5], v[34:35] neg_lo:[0,0,1] neg_hi:[0,0,1]
	v_pk_fma_f32 v[4:5], v[16:17], v[4:5], v[34:35] op_sel_hi:[1,0,1]
	v_pk_mul_f32 v[16:17], v[18:19], v[36:37] op_sel:[1,0] op_sel_hi:[0,0]
	s_waitcnt vmcnt(3) lgkmcnt(2)
	v_pk_mul_f32 v[38:39], v[20:21], v[8:9] op_sel:[1,1] op_sel_hi:[0,1]
	v_mov_b32_e32 v40, v11
	v_mov_b32_e32 v49, v5
	v_pk_fma_f32 v[4:5], v[18:19], v[6:7], v[16:17] neg_lo:[0,0,1] neg_hi:[0,0,1]
	v_pk_fma_f32 v[6:7], v[18:19], v[6:7], v[16:17] op_sel_hi:[1,0,1]
	v_pk_fma_f32 v[34:35], v[20:21], v[8:9], v[38:39] neg_lo:[0,0,1] neg_hi:[0,0,1]
	v_pk_fma_f32 v[8:9], v[20:21], v[8:9], v[38:39] op_sel_hi:[1,0,1]
	v_pk_mul_f32 v[20:21], v[22:23], v[40:41] op_sel:[1,0] op_sel_hi:[0,0]
	v_pk_add_f32 v[16:17], v[48:49], 0 op_sel_hi:[1,0]
	v_mov_b32_e32 v5, v7
	s_waitcnt vmcnt(2) lgkmcnt(1)
	v_pk_mul_f32 v[42:43], v[24:25], v[12:13] op_sel:[1,1] op_sel_hi:[0,1]
	v_mov_b32_e32 v44, v15
	v_mov_b32_e32 v35, v9
	v_pk_fma_f32 v[8:9], v[22:23], v[10:11], v[20:21] neg_lo:[0,0,1] neg_hi:[0,0,1]
	v_pk_fma_f32 v[10:11], v[22:23], v[10:11], v[20:21] op_sel_hi:[1,0,1]
	v_pk_add_f32 v[4:5], v[16:17], v[4:5]
	v_pk_fma_f32 v[36:37], v[24:25], v[12:13], v[42:43] neg_lo:[0,0,1] neg_hi:[0,0,1]
	v_pk_fma_f32 v[12:13], v[24:25], v[12:13], v[42:43] op_sel_hi:[1,0,1]
	v_pk_mul_f32 v[24:25], v[26:27], v[44:45] op_sel:[1,0] op_sel_hi:[0,0]
	v_mov_b32_e32 v9, v11
	v_pk_add_f32 v[4:5], v[4:5], v[34:35]
	s_waitcnt vmcnt(1) lgkmcnt(0)
	v_pk_mul_f32 v[46:47], v[32:33], v[28:29] op_sel:[1,1] op_sel_hi:[0,1]
	v_mov_b32_e32 v37, v13
	v_pk_fma_f32 v[12:13], v[26:27], v[14:15], v[24:25] neg_lo:[0,0,1] neg_hi:[0,0,1]
	v_pk_fma_f32 v[14:15], v[26:27], v[14:15], v[24:25] op_sel_hi:[1,0,1]
	v_pk_add_f32 v[4:5], v[4:5], v[8:9]
	v_pk_fma_f32 v[38:39], v[32:33], v[28:29], v[46:47] neg_lo:[0,0,1] neg_hi:[0,0,1]
	v_pk_fma_f32 v[28:29], v[32:33], v[28:29], v[46:47] op_sel_hi:[1,0,1]
	v_mov_b32_e32 v13, v15
	v_pk_add_f32 v[4:5], v[4:5], v[36:37]
	v_mov_b32_e32 v39, v29
	v_pk_add_f32 v[4:5], v[4:5], v[12:13]
	s_nop 0
	v_pk_add_f32 v[4:5], v[4:5], v[38:39]
	s_waitcnt vmcnt(0)
	v_pk_add_f32 v[4:5], v[30:31], v[4:5] neg_lo:[0,1] neg_hi:[0,1]
	scratch_store_dwordx2 off, v[4:5], off offset:360
	s_and_saveexec_b64 s[0:1], vcc
	s_cbranch_execz .LBB116_243
; %bb.242:
	scratch_load_dwordx2 v[4:5], off, off offset:352
	v_mov_b32_e32 v3, v2
	scratch_store_dwordx2 off, v[2:3], off offset:352
	s_waitcnt vmcnt(1)
	ds_write_b64 v1, v[4:5]
.LBB116_243:
	s_or_b64 exec, exec, s[0:1]
	s_waitcnt lgkmcnt(0)
	; wave barrier
	scratch_load_dwordx4 v[4:7], off, off offset:360
	scratch_load_dwordx4 v[8:11], off, off offset:376
	;; [unrolled: 1-line block ×4, first 2 shown]
	scratch_load_dwordx2 v[36:37], off, off offset:352
	ds_read2_b64 v[20:23], v2 offset0:99 offset1:100
	ds_read2_b64 v[24:27], v2 offset0:101 offset1:102
	;; [unrolled: 1-line block ×4, first 2 shown]
	v_cmp_lt_u32_e32 vcc, 43, v0
	s_waitcnt vmcnt(4) lgkmcnt(3)
	v_pk_mul_f32 v[2:3], v[20:21], v[4:5] op_sel:[1,1] op_sel_hi:[0,1]
	v_mov_b32_e32 v38, v7
	s_waitcnt vmcnt(3) lgkmcnt(2)
	v_pk_mul_f32 v[40:41], v[24:25], v[8:9] op_sel:[1,1] op_sel_hi:[0,1]
	v_mov_b32_e32 v42, v11
	;; [unrolled: 3-line block ×4, first 2 shown]
	v_pk_fma_f32 v[52:53], v[20:21], v[4:5], v[2:3] neg_lo:[0,0,1] neg_hi:[0,0,1]
	v_pk_fma_f32 v[2:3], v[20:21], v[4:5], v[2:3] op_sel_hi:[1,0,1]
	v_pk_mul_f32 v[4:5], v[22:23], v[38:39] op_sel:[1,0] op_sel_hi:[0,0]
	v_pk_fma_f32 v[20:21], v[24:25], v[8:9], v[40:41] neg_lo:[0,0,1] neg_hi:[0,0,1]
	v_pk_fma_f32 v[8:9], v[24:25], v[8:9], v[40:41] op_sel_hi:[1,0,1]
	v_pk_mul_f32 v[24:25], v[26:27], v[42:43] op_sel:[1,0] op_sel_hi:[0,0]
	;; [unrolled: 3-line block ×4, first 2 shown]
	v_mov_b32_e32 v53, v3
	v_pk_fma_f32 v[2:3], v[22:23], v[6:7], v[4:5] neg_lo:[0,0,1] neg_hi:[0,0,1]
	v_pk_fma_f32 v[4:5], v[22:23], v[6:7], v[4:5] op_sel_hi:[1,0,1]
	v_mov_b32_e32 v21, v9
	v_pk_fma_f32 v[6:7], v[26:27], v[10:11], v[24:25] neg_lo:[0,0,1] neg_hi:[0,0,1]
	v_pk_fma_f32 v[8:9], v[26:27], v[10:11], v[24:25] op_sel_hi:[1,0,1]
	;; [unrolled: 3-line block ×4, first 2 shown]
	v_pk_add_f32 v[18:19], v[52:53], 0 op_sel_hi:[1,0]
	v_mov_b32_e32 v3, v5
	v_pk_add_f32 v[2:3], v[18:19], v[2:3]
	v_mov_b32_e32 v7, v9
	v_pk_add_f32 v[2:3], v[2:3], v[20:21]
	;; [unrolled: 2-line block ×4, first 2 shown]
	s_nop 0
	v_pk_add_f32 v[2:3], v[2:3], v[10:11]
	s_nop 0
	v_pk_add_f32 v[2:3], v[2:3], v[40:41]
	;; [unrolled: 2-line block ×3, first 2 shown]
	s_waitcnt vmcnt(0)
	v_pk_add_f32 v[2:3], v[36:37], v[2:3] neg_lo:[0,1] neg_hi:[0,1]
	scratch_store_dwordx2 off, v[2:3], off offset:352
	s_and_saveexec_b64 s[0:1], vcc
	s_cbranch_execz .LBB116_245
; %bb.244:
	scratch_load_dwordx2 v[2:3], off, off offset:344
	v_mov_b32_e32 v4, 0
	v_mov_b32_e32 v5, v4
	scratch_store_dwordx2 off, v[4:5], off offset:344
	s_waitcnt vmcnt(1)
	ds_write_b64 v1, v[2:3]
.LBB116_245:
	s_or_b64 exec, exec, s[0:1]
	s_waitcnt lgkmcnt(0)
	; wave barrier
	scratch_load_dwordx4 v[4:7], off, off offset:352
	scratch_load_dwordx4 v[8:11], off, off offset:368
	;; [unrolled: 1-line block ×4, first 2 shown]
	scratch_load_dwordx2 v[36:37], off, off offset:416
	scratch_load_dwordx2 v[38:39], off, off offset:344
	v_mov_b32_e32 v2, 0
	ds_read_b128 v[20:23], v2 offset:784
	ds_read_b128 v[24:27], v2 offset:800
	;; [unrolled: 1-line block ×4, first 2 shown]
	ds_read_b64 v[40:41], v2 offset:848
	v_cmp_lt_u32_e32 vcc, 42, v0
	s_waitcnt vmcnt(5) lgkmcnt(4)
	v_mul_f32_e32 v43, v20, v5
	v_mul_f32_e32 v3, v21, v5
	v_mov_b32_e32 v44, v7
	s_waitcnt vmcnt(4) lgkmcnt(3)
	v_pk_mul_f32 v[46:47], v[24:25], v[8:9] op_sel:[1,1] op_sel_hi:[0,1]
	v_mov_b32_e32 v48, v11
	s_waitcnt vmcnt(1) lgkmcnt(0)
	v_pk_mul_f32 v[58:59], v[40:41], v[36:37] op_sel:[1,1] op_sel_hi:[0,1]
	v_fmac_f32_e32 v43, v21, v4
	v_fma_f32 v42, v20, v4, -v3
	v_pk_mul_f32 v[4:5], v[22:23], v[44:45] op_sel:[1,0] op_sel_hi:[0,0]
	v_pk_fma_f32 v[20:21], v[24:25], v[8:9], v[46:47] neg_lo:[0,0,1] neg_hi:[0,0,1]
	v_pk_fma_f32 v[8:9], v[24:25], v[8:9], v[46:47] op_sel_hi:[1,0,1]
	v_pk_mul_f32 v[24:25], v[26:27], v[48:49] op_sel:[1,0] op_sel_hi:[0,0]
	v_pk_fma_f32 v[48:49], v[40:41], v[36:37], v[58:59] neg_lo:[0,0,1] neg_hi:[0,0,1]
	v_pk_fma_f32 v[36:37], v[40:41], v[36:37], v[58:59] op_sel_hi:[1,0,1]
	v_pk_add_f32 v[40:41], v[42:43], 0 op_sel_hi:[1,0]
	v_pk_fma_f32 v[42:43], v[22:23], v[6:7], v[4:5] neg_lo:[0,0,1] neg_hi:[0,0,1]
	v_pk_fma_f32 v[4:5], v[22:23], v[6:7], v[4:5] op_sel_hi:[1,0,1]
	v_pk_mul_f32 v[50:51], v[28:29], v[12:13] op_sel:[1,1] op_sel_hi:[0,1]
	v_mov_b32_e32 v43, v5
	v_mov_b32_e32 v52, v15
	;; [unrolled: 1-line block ×3, first 2 shown]
	v_pk_fma_f32 v[6:7], v[26:27], v[10:11], v[24:25] neg_lo:[0,0,1] neg_hi:[0,0,1]
	v_pk_fma_f32 v[8:9], v[26:27], v[10:11], v[24:25] op_sel_hi:[1,0,1]
	v_pk_add_f32 v[4:5], v[40:41], v[42:43]
	v_pk_fma_f32 v[44:45], v[28:29], v[12:13], v[50:51] neg_lo:[0,0,1] neg_hi:[0,0,1]
	v_pk_fma_f32 v[12:13], v[28:29], v[12:13], v[50:51] op_sel_hi:[1,0,1]
	v_pk_mul_f32 v[28:29], v[30:31], v[52:53] op_sel:[1,0] op_sel_hi:[0,0]
	v_mov_b32_e32 v7, v9
	v_pk_add_f32 v[4:5], v[4:5], v[20:21]
	v_pk_mul_f32 v[54:55], v[32:33], v[16:17] op_sel:[1,1] op_sel_hi:[0,1]
	v_mov_b32_e32 v56, v19
	v_mov_b32_e32 v45, v13
	v_pk_fma_f32 v[10:11], v[30:31], v[14:15], v[28:29] neg_lo:[0,0,1] neg_hi:[0,0,1]
	v_pk_fma_f32 v[12:13], v[30:31], v[14:15], v[28:29] op_sel_hi:[1,0,1]
	v_pk_add_f32 v[4:5], v[4:5], v[6:7]
	v_pk_fma_f32 v[46:47], v[32:33], v[16:17], v[54:55] neg_lo:[0,0,1] neg_hi:[0,0,1]
	v_pk_fma_f32 v[16:17], v[32:33], v[16:17], v[54:55] op_sel_hi:[1,0,1]
	v_pk_mul_f32 v[32:33], v[34:35], v[56:57] op_sel:[1,0] op_sel_hi:[0,0]
	v_mov_b32_e32 v11, v13
	v_pk_add_f32 v[4:5], v[4:5], v[44:45]
	v_mov_b32_e32 v47, v17
	v_pk_fma_f32 v[14:15], v[34:35], v[18:19], v[32:33] neg_lo:[0,0,1] neg_hi:[0,0,1]
	v_pk_fma_f32 v[16:17], v[34:35], v[18:19], v[32:33] op_sel_hi:[1,0,1]
	v_pk_add_f32 v[4:5], v[4:5], v[10:11]
	v_mov_b32_e32 v15, v17
	v_pk_add_f32 v[4:5], v[4:5], v[46:47]
	v_mov_b32_e32 v49, v37
	v_pk_add_f32 v[4:5], v[4:5], v[14:15]
	s_nop 0
	v_pk_add_f32 v[4:5], v[4:5], v[48:49]
	s_waitcnt vmcnt(0)
	v_pk_add_f32 v[4:5], v[38:39], v[4:5] neg_lo:[0,1] neg_hi:[0,1]
	scratch_store_dwordx2 off, v[4:5], off offset:344
	s_and_saveexec_b64 s[0:1], vcc
	s_cbranch_execz .LBB116_247
; %bb.246:
	scratch_load_dwordx2 v[4:5], off, off offset:336
	v_mov_b32_e32 v3, v2
	scratch_store_dwordx2 off, v[2:3], off offset:336
	s_waitcnt vmcnt(1)
	ds_write_b64 v1, v[4:5]
.LBB116_247:
	s_or_b64 exec, exec, s[0:1]
	s_waitcnt lgkmcnt(0)
	; wave barrier
	scratch_load_dwordx4 v[4:7], off, off offset:344
	scratch_load_dwordx4 v[8:11], off, off offset:360
	;; [unrolled: 1-line block ×5, first 2 shown]
	scratch_load_dwordx2 v[44:45], off, off offset:336
	ds_read2_b64 v[24:27], v2 offset0:97 offset1:98
	ds_read2_b64 v[28:31], v2 offset0:99 offset1:100
	;; [unrolled: 1-line block ×5, first 2 shown]
	v_cmp_lt_u32_e32 vcc, 41, v0
	s_waitcnt vmcnt(5) lgkmcnt(4)
	v_mul_f32_e32 v3, v24, v5
	v_mul_f32_e32 v2, v25, v5
	;; [unrolled: 1-line block ×4, first 2 shown]
	s_waitcnt vmcnt(4) lgkmcnt(3)
	v_pk_mul_f32 v[48:49], v[28:29], v[8:9] op_sel:[1,1] op_sel_hi:[0,1]
	v_mov_b32_e32 v50, v11
	v_fmac_f32_e32 v3, v25, v4
	v_fma_f32 v2, v24, v4, -v2
	v_fmac_f32_e32 v47, v27, v6
	v_fma_f32 v46, v26, v6, -v5
	v_pk_fma_f32 v[4:5], v[28:29], v[8:9], v[48:49] neg_lo:[0,0,1] neg_hi:[0,0,1]
	v_pk_fma_f32 v[6:7], v[28:29], v[8:9], v[48:49] op_sel_hi:[1,0,1]
	v_pk_mul_f32 v[8:9], v[30:31], v[50:51] op_sel:[1,0] op_sel_hi:[0,0]
	v_pk_add_f32 v[2:3], v[2:3], 0 op_sel_hi:[1,0]
	s_waitcnt vmcnt(3) lgkmcnt(2)
	v_pk_mul_f32 v[52:53], v[32:33], v[12:13] op_sel:[1,1] op_sel_hi:[0,1]
	v_mov_b32_e32 v54, v15
	v_mov_b32_e32 v5, v7
	v_pk_fma_f32 v[6:7], v[30:31], v[10:11], v[8:9] neg_lo:[0,0,1] neg_hi:[0,0,1]
	v_pk_fma_f32 v[8:9], v[30:31], v[10:11], v[8:9] op_sel_hi:[1,0,1]
	v_pk_add_f32 v[2:3], v[2:3], v[46:47]
	v_pk_fma_f32 v[24:25], v[32:33], v[12:13], v[52:53] neg_lo:[0,0,1] neg_hi:[0,0,1]
	v_pk_fma_f32 v[12:13], v[32:33], v[12:13], v[52:53] op_sel_hi:[1,0,1]
	v_pk_mul_f32 v[26:27], v[34:35], v[54:55] op_sel:[1,0] op_sel_hi:[0,0]
	v_mov_b32_e32 v7, v9
	v_pk_add_f32 v[2:3], v[2:3], v[4:5]
	s_waitcnt vmcnt(2) lgkmcnt(1)
	v_pk_mul_f32 v[56:57], v[36:37], v[16:17] op_sel:[1,1] op_sel_hi:[0,1]
	v_mov_b32_e32 v58, v19
	v_mov_b32_e32 v25, v13
	v_pk_fma_f32 v[10:11], v[34:35], v[14:15], v[26:27] neg_lo:[0,0,1] neg_hi:[0,0,1]
	v_pk_fma_f32 v[12:13], v[34:35], v[14:15], v[26:27] op_sel_hi:[1,0,1]
	v_pk_add_f32 v[2:3], v[2:3], v[6:7]
	v_pk_fma_f32 v[28:29], v[36:37], v[16:17], v[56:57] neg_lo:[0,0,1] neg_hi:[0,0,1]
	v_pk_fma_f32 v[16:17], v[36:37], v[16:17], v[56:57] op_sel_hi:[1,0,1]
	v_pk_mul_f32 v[32:33], v[38:39], v[58:59] op_sel:[1,0] op_sel_hi:[0,0]
	v_mov_b32_e32 v11, v13
	v_pk_add_f32 v[2:3], v[2:3], v[24:25]
	;; [unrolled: 12-line block ×3, first 2 shown]
	v_mov_b32_e32 v37, v21
	v_pk_fma_f32 v[18:19], v[42:43], v[22:23], v[40:41] neg_lo:[0,0,1] neg_hi:[0,0,1]
	v_pk_fma_f32 v[20:21], v[42:43], v[22:23], v[40:41] op_sel_hi:[1,0,1]
	v_pk_add_f32 v[2:3], v[2:3], v[14:15]
	v_mov_b32_e32 v19, v21
	v_pk_add_f32 v[2:3], v[2:3], v[36:37]
	s_nop 0
	v_pk_add_f32 v[2:3], v[2:3], v[18:19]
	s_waitcnt vmcnt(0)
	v_pk_add_f32 v[2:3], v[44:45], v[2:3] neg_lo:[0,1] neg_hi:[0,1]
	scratch_store_dwordx2 off, v[2:3], off offset:336
	s_and_saveexec_b64 s[0:1], vcc
	s_cbranch_execz .LBB116_249
; %bb.248:
	scratch_load_dwordx2 v[2:3], off, off offset:328
	v_mov_b32_e32 v4, 0
	v_mov_b32_e32 v5, v4
	scratch_store_dwordx2 off, v[4:5], off offset:328
	s_waitcnt vmcnt(1)
	ds_write_b64 v1, v[2:3]
.LBB116_249:
	s_or_b64 exec, exec, s[0:1]
	v_mov_b32_e32 v2, 0
	s_waitcnt lgkmcnt(0)
	; wave barrier
	ds_read_b128 v[4:7], v2 offset:768
	ds_read_b128 v[8:11], v2 offset:784
	;; [unrolled: 1-line block ×4, first 2 shown]
	scratch_load_dwordx4 v[20:23], off, off offset:336
	scratch_load_dwordx4 v[24:27], off, off offset:352
	;; [unrolled: 1-line block ×5, first 2 shown]
	scratch_load_dwordx2 v[46:47], off, off offset:416
	v_cmp_lt_u32_e32 vcc, 40, v0
	s_waitcnt vmcnt(5) lgkmcnt(3)
	v_mul_f32_e32 v3, v4, v21
	v_fmac_f32_e32 v3, v5, v20
	v_add_f32_e32 v41, 0, v3
	v_mul_f32_e32 v3, v5, v21
	v_fma_f32 v3, v4, v20, -v3
	v_mul_f32_e32 v43, v6, v23
	v_add_f32_e32 v40, 0, v3
	v_mul_f32_e32 v3, v7, v23
	v_fmac_f32_e32 v43, v7, v22
	v_fma_f32 v42, v6, v22, -v3
	s_waitcnt vmcnt(4)
	v_mov_b32_e32 v22, v27
	s_waitcnt lgkmcnt(2)
	v_mul_f32_e32 v45, v8, v25
	v_mul_f32_e32 v3, v9, v25
	v_pk_mul_f32 v[22:23], v[10:11], v[22:23] op_sel:[1,0] op_sel_hi:[0,0]
	v_fmac_f32_e32 v45, v9, v24
	v_fma_f32 v44, v8, v24, -v3
	v_pk_add_f32 v[20:21], v[40:41], v[42:43]
	v_pk_fma_f32 v[24:25], v[10:11], v[26:27], v[22:23] neg_lo:[0,0,1] neg_hi:[0,0,1]
	v_pk_fma_f32 v[10:11], v[10:11], v[26:27], v[22:23] op_sel_hi:[1,0,1]
	v_pk_add_f32 v[20:21], v[20:21], v[44:45]
	v_mov_b32_e32 v25, v11
	v_pk_add_f32 v[10:11], v[20:21], v[24:25]
	s_waitcnt vmcnt(3) lgkmcnt(1)
	v_pk_mul_f32 v[20:21], v[12:13], v[28:29] op_sel:[1,1] op_sel_hi:[0,1]
	v_pk_fma_f32 v[22:23], v[12:13], v[28:29], v[20:21] neg_lo:[0,0,1] neg_hi:[0,0,1]
	v_pk_fma_f32 v[12:13], v[12:13], v[28:29], v[20:21] op_sel_hi:[1,0,1]
	ds_read_b128 v[4:7], v2 offset:832
	ds_read_b64 v[8:9], v2 offset:848
	v_mov_b32_e32 v12, v31
	v_mov_b32_e32 v23, v13
	v_pk_mul_f32 v[12:13], v[14:15], v[12:13] op_sel:[1,0] op_sel_hi:[0,0]
	v_pk_fma_f32 v[20:21], v[14:15], v[30:31], v[12:13] neg_lo:[0,0,1] neg_hi:[0,0,1]
	v_pk_fma_f32 v[12:13], v[14:15], v[30:31], v[12:13] op_sel_hi:[1,0,1]
	v_pk_add_f32 v[10:11], v[10:11], v[22:23]
	v_mov_b32_e32 v21, v13
	s_waitcnt vmcnt(2) lgkmcnt(2)
	v_pk_mul_f32 v[12:13], v[16:17], v[32:33] op_sel:[1,1] op_sel_hi:[0,1]
	v_pk_fma_f32 v[14:15], v[16:17], v[32:33], v[12:13] neg_lo:[0,0,1] neg_hi:[0,0,1]
	v_pk_fma_f32 v[12:13], v[16:17], v[32:33], v[12:13] op_sel_hi:[1,0,1]
	v_pk_add_f32 v[10:11], v[10:11], v[20:21]
	v_mov_b32_e32 v12, v35
	v_mov_b32_e32 v15, v13
	v_pk_mul_f32 v[12:13], v[18:19], v[12:13] op_sel:[1,0] op_sel_hi:[0,0]
	v_pk_add_f32 v[10:11], v[10:11], v[14:15]
	v_pk_fma_f32 v[14:15], v[18:19], v[34:35], v[12:13] neg_lo:[0,0,1] neg_hi:[0,0,1]
	v_pk_fma_f32 v[12:13], v[18:19], v[34:35], v[12:13] op_sel_hi:[1,0,1]
	s_nop 0
	v_mov_b32_e32 v15, v13
	s_waitcnt vmcnt(1) lgkmcnt(1)
	v_pk_mul_f32 v[12:13], v[4:5], v[36:37] op_sel:[1,1] op_sel_hi:[0,1]
	v_pk_add_f32 v[10:11], v[10:11], v[14:15]
	v_pk_fma_f32 v[14:15], v[4:5], v[36:37], v[12:13] neg_lo:[0,0,1] neg_hi:[0,0,1]
	v_pk_fma_f32 v[4:5], v[4:5], v[36:37], v[12:13] op_sel_hi:[1,0,1]
	s_nop 0
	v_mov_b32_e32 v15, v5
	v_pk_add_f32 v[4:5], v[10:11], v[14:15]
	v_mov_b32_e32 v10, v39
	v_pk_mul_f32 v[10:11], v[6:7], v[10:11] op_sel:[1,0] op_sel_hi:[0,0]
	v_pk_fma_f32 v[12:13], v[6:7], v[38:39], v[10:11] neg_lo:[0,0,1] neg_hi:[0,0,1]
	v_pk_fma_f32 v[6:7], v[6:7], v[38:39], v[10:11] op_sel_hi:[1,0,1]
	s_nop 0
	v_mov_b32_e32 v13, v7
	s_waitcnt vmcnt(0) lgkmcnt(0)
	v_pk_mul_f32 v[6:7], v[8:9], v[46:47] op_sel:[1,1] op_sel_hi:[0,1]
	v_pk_fma_f32 v[10:11], v[8:9], v[46:47], v[6:7] neg_lo:[0,0,1] neg_hi:[0,0,1]
	v_pk_fma_f32 v[6:7], v[8:9], v[46:47], v[6:7] op_sel_hi:[1,0,1]
	v_pk_add_f32 v[4:5], v[4:5], v[12:13]
	v_mov_b32_e32 v11, v7
	scratch_load_dwordx2 v[6:7], off, off offset:328
	v_pk_add_f32 v[4:5], v[4:5], v[10:11]
	s_waitcnt vmcnt(0)
	v_pk_add_f32 v[4:5], v[6:7], v[4:5] neg_lo:[0,1] neg_hi:[0,1]
	scratch_store_dwordx2 off, v[4:5], off offset:328
	s_and_saveexec_b64 s[0:1], vcc
	s_cbranch_execz .LBB116_251
; %bb.250:
	scratch_load_dwordx2 v[4:5], off, off offset:320
	v_mov_b32_e32 v3, v2
	scratch_store_dwordx2 off, v[2:3], off offset:320
	s_waitcnt vmcnt(1)
	ds_write_b64 v1, v[4:5]
.LBB116_251:
	s_or_b64 exec, exec, s[0:1]
	s_waitcnt lgkmcnt(0)
	; wave barrier
	scratch_load_dwordx4 v[8:11], off, off offset:328
	scratch_load_dwordx4 v[16:19], off, off offset:344
	ds_read2_b64 v[4:7], v2 offset0:95 offset1:96
	v_cmp_lt_u32_e32 vcc, 39, v0
	s_waitcnt vmcnt(1) lgkmcnt(0)
	v_mul_f32_e32 v3, v4, v9
	v_fmac_f32_e32 v3, v5, v8
	v_mul_f32_e32 v12, v6, v11
	v_add_f32_e32 v3, 0, v3
	v_fmac_f32_e32 v12, v7, v10
	v_add_f32_e32 v37, v3, v12
	ds_read2_b64 v[12:15], v2 offset0:97 offset1:98
	scratch_load_dwordx4 v[20:23], off, off offset:360
	scratch_load_dwordx4 v[24:27], off, off offset:376
	;; [unrolled: 1-line block ×4, first 2 shown]
	v_mul_f32_e32 v3, v5, v9
	v_fma_f32 v3, v4, v8, -v3
	v_mul_f32_e32 v4, v7, v11
	v_add_f32_e32 v3, 0, v3
	v_fma_f32 v4, v6, v10, -v4
	v_add_f32_e32 v36, v3, v4
	s_waitcnt vmcnt(4) lgkmcnt(0)
	v_mul_f32_e32 v3, v13, v17
	v_mul_f32_e32 v39, v12, v17
	;; [unrolled: 1-line block ×3, first 2 shown]
	v_fma_f32 v38, v12, v16, -v3
	v_mul_f32_e32 v3, v15, v19
	v_fmac_f32_e32 v39, v13, v16
	v_fmac_f32_e32 v41, v15, v18
	v_fma_f32 v40, v14, v18, -v3
	ds_read2_b64 v[4:7], v2 offset0:99 offset1:100
	ds_read2_b64 v[8:11], v2 offset0:101 offset1:102
	;; [unrolled: 1-line block ×4, first 2 shown]
	v_pk_add_f32 v[2:3], v[36:37], v[38:39]
	s_waitcnt vmcnt(3) lgkmcnt(3)
	v_pk_mul_f32 v[36:37], v[4:5], v[20:21] op_sel:[1,1] op_sel_hi:[0,1]
	v_pk_fma_f32 v[38:39], v[4:5], v[20:21], v[36:37] neg_lo:[0,0,1] neg_hi:[0,0,1]
	v_pk_fma_f32 v[4:5], v[4:5], v[20:21], v[36:37] op_sel_hi:[1,0,1]
	v_pk_add_f32 v[2:3], v[2:3], v[40:41]
	v_mov_b32_e32 v4, v23
	v_mov_b32_e32 v39, v5
	v_pk_mul_f32 v[4:5], v[6:7], v[4:5] op_sel:[1,0] op_sel_hi:[0,0]
	v_pk_fma_f32 v[20:21], v[6:7], v[22:23], v[4:5] neg_lo:[0,0,1] neg_hi:[0,0,1]
	v_pk_fma_f32 v[4:5], v[6:7], v[22:23], v[4:5] op_sel_hi:[1,0,1]
	v_pk_add_f32 v[2:3], v[2:3], v[38:39]
	v_mov_b32_e32 v21, v5
	s_waitcnt vmcnt(2) lgkmcnt(2)
	v_pk_mul_f32 v[4:5], v[8:9], v[24:25] op_sel:[1,1] op_sel_hi:[0,1]
	v_pk_fma_f32 v[6:7], v[8:9], v[24:25], v[4:5] neg_lo:[0,0,1] neg_hi:[0,0,1]
	v_pk_fma_f32 v[4:5], v[8:9], v[24:25], v[4:5] op_sel_hi:[1,0,1]
	v_pk_add_f32 v[2:3], v[2:3], v[20:21]
	v_mov_b32_e32 v4, v27
	v_mov_b32_e32 v7, v5
	v_pk_mul_f32 v[4:5], v[10:11], v[4:5] op_sel:[1,0] op_sel_hi:[0,0]
	v_pk_add_f32 v[2:3], v[2:3], v[6:7]
	v_pk_fma_f32 v[6:7], v[10:11], v[26:27], v[4:5] neg_lo:[0,0,1] neg_hi:[0,0,1]
	v_pk_fma_f32 v[4:5], v[10:11], v[26:27], v[4:5] op_sel_hi:[1,0,1]
	s_nop 0
	v_mov_b32_e32 v7, v5
	s_waitcnt vmcnt(1) lgkmcnt(1)
	v_pk_mul_f32 v[4:5], v[12:13], v[28:29] op_sel:[1,1] op_sel_hi:[0,1]
	v_pk_add_f32 v[2:3], v[2:3], v[6:7]
	v_pk_fma_f32 v[6:7], v[12:13], v[28:29], v[4:5] neg_lo:[0,0,1] neg_hi:[0,0,1]
	v_pk_fma_f32 v[4:5], v[12:13], v[28:29], v[4:5] op_sel_hi:[1,0,1]
	s_nop 0
	v_mov_b32_e32 v4, v31
	v_mov_b32_e32 v7, v5
	v_pk_mul_f32 v[4:5], v[14:15], v[4:5] op_sel:[1,0] op_sel_hi:[0,0]
	v_pk_add_f32 v[2:3], v[2:3], v[6:7]
	v_pk_fma_f32 v[6:7], v[14:15], v[30:31], v[4:5] neg_lo:[0,0,1] neg_hi:[0,0,1]
	v_pk_fma_f32 v[4:5], v[14:15], v[30:31], v[4:5] op_sel_hi:[1,0,1]
	s_nop 0
	v_mov_b32_e32 v7, v5
	s_waitcnt vmcnt(0) lgkmcnt(0)
	v_pk_mul_f32 v[4:5], v[16:17], v[32:33] op_sel:[1,1] op_sel_hi:[0,1]
	v_pk_add_f32 v[2:3], v[2:3], v[6:7]
	v_pk_fma_f32 v[6:7], v[16:17], v[32:33], v[4:5] neg_lo:[0,0,1] neg_hi:[0,0,1]
	v_pk_fma_f32 v[4:5], v[16:17], v[32:33], v[4:5] op_sel_hi:[1,0,1]
	s_nop 0
	v_mov_b32_e32 v4, v35
	v_mov_b32_e32 v7, v5
	v_pk_mul_f32 v[4:5], v[18:19], v[4:5] op_sel:[1,0] op_sel_hi:[0,0]
	v_pk_add_f32 v[2:3], v[2:3], v[6:7]
	v_pk_fma_f32 v[6:7], v[18:19], v[34:35], v[4:5] neg_lo:[0,0,1] neg_hi:[0,0,1]
	v_pk_fma_f32 v[4:5], v[18:19], v[34:35], v[4:5] op_sel_hi:[1,0,1]
	s_nop 0
	v_mov_b32_e32 v7, v5
	scratch_load_dwordx2 v[4:5], off, off offset:320
	v_pk_add_f32 v[2:3], v[2:3], v[6:7]
	s_waitcnt vmcnt(0)
	v_pk_add_f32 v[2:3], v[4:5], v[2:3] neg_lo:[0,1] neg_hi:[0,1]
	scratch_store_dwordx2 off, v[2:3], off offset:320
	s_and_saveexec_b64 s[0:1], vcc
	s_cbranch_execz .LBB116_253
; %bb.252:
	scratch_load_dwordx2 v[2:3], off, off offset:312
	v_mov_b32_e32 v4, 0
	v_mov_b32_e32 v5, v4
	scratch_store_dwordx2 off, v[4:5], off offset:312
	s_waitcnt vmcnt(1)
	ds_write_b64 v1, v[2:3]
.LBB116_253:
	s_or_b64 exec, exec, s[0:1]
	v_mov_b32_e32 v2, 0
	s_waitcnt lgkmcnt(0)
	; wave barrier
	ds_read_b128 v[4:7], v2 offset:752
	ds_read_b128 v[8:11], v2 offset:768
	;; [unrolled: 1-line block ×4, first 2 shown]
	scratch_load_dwordx4 v[20:23], off, off offset:320
	v_cmp_lt_u32_e32 vcc, 38, v0
	s_waitcnt vmcnt(0) lgkmcnt(3)
	v_mul_f32_e32 v3, v4, v21
	v_fmac_f32_e32 v3, v5, v20
	v_mul_f32_e32 v24, v6, v23
	v_add_f32_e32 v3, 0, v3
	v_fmac_f32_e32 v24, v7, v22
	v_add_f32_e32 v3, v3, v24
	scratch_load_dwordx4 v[24:27], off, off offset:336
	s_waitcnt vmcnt(0) lgkmcnt(2)
	v_mul_f32_e32 v28, v8, v25
	v_fmac_f32_e32 v28, v9, v24
	v_add_f32_e32 v45, v3, v28
	scratch_load_dwordx4 v[28:31], off, off offset:352
	scratch_load_dwordx4 v[32:35], off, off offset:368
	;; [unrolled: 1-line block ×4, first 2 shown]
	scratch_load_dwordx2 v[50:51], off, off offset:416
	v_mul_f32_e32 v3, v5, v21
	v_fma_f32 v3, v4, v20, -v3
	v_mul_f32_e32 v4, v7, v23
	v_add_f32_e32 v3, 0, v3
	v_fma_f32 v4, v6, v22, -v4
	v_add_f32_e32 v3, v3, v4
	v_mul_f32_e32 v4, v9, v25
	v_fma_f32 v4, v8, v24, -v4
	v_mul_f32_e32 v47, v10, v27
	v_add_f32_e32 v44, v3, v4
	v_mul_f32_e32 v3, v11, v27
	v_fmac_f32_e32 v47, v11, v26
	v_fma_f32 v46, v10, v26, -v3
	v_pk_add_f32 v[20:21], v[44:45], v[46:47]
	s_waitcnt vmcnt(4)
	v_mov_b32_e32 v22, v31
	s_waitcnt lgkmcnt(1)
	v_mul_f32_e32 v49, v12, v29
	v_mul_f32_e32 v3, v13, v29
	v_pk_mul_f32 v[22:23], v[14:15], v[22:23] op_sel:[1,0] op_sel_hi:[0,0]
	v_fmac_f32_e32 v49, v13, v28
	v_fma_f32 v48, v12, v28, -v3
	v_pk_fma_f32 v[24:25], v[14:15], v[30:31], v[22:23] neg_lo:[0,0,1] neg_hi:[0,0,1]
	v_pk_fma_f32 v[14:15], v[14:15], v[30:31], v[22:23] op_sel_hi:[1,0,1]
	v_pk_add_f32 v[20:21], v[20:21], v[48:49]
	v_mov_b32_e32 v25, v15
	v_pk_add_f32 v[14:15], v[20:21], v[24:25]
	s_waitcnt vmcnt(3) lgkmcnt(0)
	v_pk_mul_f32 v[20:21], v[16:17], v[32:33] op_sel:[1,1] op_sel_hi:[0,1]
	v_pk_fma_f32 v[22:23], v[16:17], v[32:33], v[20:21] neg_lo:[0,0,1] neg_hi:[0,0,1]
	v_pk_fma_f32 v[16:17], v[16:17], v[32:33], v[20:21] op_sel_hi:[1,0,1]
	ds_read_b128 v[4:7], v2 offset:816
	ds_read_b128 v[8:11], v2 offset:832
	ds_read_b64 v[12:13], v2 offset:848
	v_mov_b32_e32 v16, v35
	v_mov_b32_e32 v23, v17
	v_pk_mul_f32 v[16:17], v[18:19], v[16:17] op_sel:[1,0] op_sel_hi:[0,0]
	v_pk_fma_f32 v[20:21], v[18:19], v[34:35], v[16:17] neg_lo:[0,0,1] neg_hi:[0,0,1]
	v_pk_fma_f32 v[16:17], v[18:19], v[34:35], v[16:17] op_sel_hi:[1,0,1]
	v_pk_add_f32 v[14:15], v[14:15], v[22:23]
	v_mov_b32_e32 v21, v17
	s_waitcnt vmcnt(2) lgkmcnt(2)
	v_pk_mul_f32 v[16:17], v[4:5], v[36:37] op_sel:[1,1] op_sel_hi:[0,1]
	v_pk_fma_f32 v[18:19], v[4:5], v[36:37], v[16:17] neg_lo:[0,0,1] neg_hi:[0,0,1]
	v_pk_fma_f32 v[4:5], v[4:5], v[36:37], v[16:17] op_sel_hi:[1,0,1]
	v_pk_add_f32 v[14:15], v[14:15], v[20:21]
	v_mov_b32_e32 v19, v5
	v_pk_add_f32 v[4:5], v[14:15], v[18:19]
	v_mov_b32_e32 v14, v39
	v_pk_mul_f32 v[14:15], v[6:7], v[14:15] op_sel:[1,0] op_sel_hi:[0,0]
	v_pk_fma_f32 v[16:17], v[6:7], v[38:39], v[14:15] neg_lo:[0,0,1] neg_hi:[0,0,1]
	v_pk_fma_f32 v[6:7], v[6:7], v[38:39], v[14:15] op_sel_hi:[1,0,1]
	s_nop 0
	v_mov_b32_e32 v17, v7
	s_waitcnt vmcnt(1) lgkmcnt(1)
	v_pk_mul_f32 v[6:7], v[8:9], v[40:41] op_sel:[1,1] op_sel_hi:[0,1]
	v_pk_fma_f32 v[14:15], v[8:9], v[40:41], v[6:7] neg_lo:[0,0,1] neg_hi:[0,0,1]
	v_pk_fma_f32 v[6:7], v[8:9], v[40:41], v[6:7] op_sel_hi:[1,0,1]
	v_pk_add_f32 v[4:5], v[4:5], v[16:17]
	v_mov_b32_e32 v6, v43
	v_mov_b32_e32 v15, v7
	v_pk_mul_f32 v[6:7], v[10:11], v[6:7] op_sel:[1,0] op_sel_hi:[0,0]
	v_pk_fma_f32 v[8:9], v[10:11], v[42:43], v[6:7] neg_lo:[0,0,1] neg_hi:[0,0,1]
	v_pk_fma_f32 v[6:7], v[10:11], v[42:43], v[6:7] op_sel_hi:[1,0,1]
	v_pk_add_f32 v[4:5], v[4:5], v[14:15]
	v_mov_b32_e32 v9, v7
	s_waitcnt vmcnt(0) lgkmcnt(0)
	v_pk_mul_f32 v[6:7], v[12:13], v[50:51] op_sel:[1,1] op_sel_hi:[0,1]
	v_pk_add_f32 v[4:5], v[4:5], v[8:9]
	v_pk_fma_f32 v[8:9], v[12:13], v[50:51], v[6:7] neg_lo:[0,0,1] neg_hi:[0,0,1]
	v_pk_fma_f32 v[6:7], v[12:13], v[50:51], v[6:7] op_sel_hi:[1,0,1]
	s_nop 0
	v_mov_b32_e32 v9, v7
	scratch_load_dwordx2 v[6:7], off, off offset:312
	v_pk_add_f32 v[4:5], v[4:5], v[8:9]
	s_waitcnt vmcnt(0)
	v_pk_add_f32 v[4:5], v[6:7], v[4:5] neg_lo:[0,1] neg_hi:[0,1]
	scratch_store_dwordx2 off, v[4:5], off offset:312
	s_and_saveexec_b64 s[0:1], vcc
	s_cbranch_execz .LBB116_255
; %bb.254:
	scratch_load_dwordx2 v[4:5], off, off offset:304
	v_mov_b32_e32 v3, v2
	scratch_store_dwordx2 off, v[2:3], off offset:304
	s_waitcnt vmcnt(1)
	ds_write_b64 v1, v[4:5]
.LBB116_255:
	s_or_b64 exec, exec, s[0:1]
	s_waitcnt lgkmcnt(0)
	; wave barrier
	scratch_load_dwordx4 v[8:11], off, off offset:312
	scratch_load_dwordx4 v[16:19], off, off offset:328
	ds_read2_b64 v[4:7], v2 offset0:93 offset1:94
	scratch_load_dwordx4 v[24:27], off, off offset:344
	v_cmp_lt_u32_e32 vcc, 37, v0
	s_waitcnt vmcnt(2) lgkmcnt(0)
	v_mul_f32_e32 v3, v4, v9
	v_fmac_f32_e32 v3, v5, v8
	v_mul_f32_e32 v12, v6, v11
	v_add_f32_e32 v3, 0, v3
	v_fmac_f32_e32 v12, v7, v10
	v_add_f32_e32 v3, v3, v12
	ds_read2_b64 v[12:15], v2 offset0:95 offset1:96
	s_waitcnt vmcnt(1) lgkmcnt(0)
	v_mul_f32_e32 v20, v12, v17
	v_fmac_f32_e32 v20, v13, v16
	v_add_f32_e32 v3, v3, v20
	v_mul_f32_e32 v20, v14, v19
	v_fmac_f32_e32 v20, v15, v18
	v_add_f32_e32 v45, v3, v20
	ds_read2_b64 v[20:23], v2 offset0:97 offset1:98
	scratch_load_dwordx4 v[28:31], off, off offset:360
	scratch_load_dwordx4 v[32:35], off, off offset:376
	;; [unrolled: 1-line block ×4, first 2 shown]
	v_mul_f32_e32 v3, v5, v9
	v_fma_f32 v3, v4, v8, -v3
	v_mul_f32_e32 v4, v7, v11
	v_add_f32_e32 v3, 0, v3
	v_fma_f32 v4, v6, v10, -v4
	v_add_f32_e32 v3, v3, v4
	v_mul_f32_e32 v4, v13, v17
	v_fma_f32 v4, v12, v16, -v4
	v_add_f32_e32 v3, v3, v4
	v_mul_f32_e32 v4, v15, v19
	v_fma_f32 v4, v14, v18, -v4
	v_add_f32_e32 v44, v3, v4
	ds_read2_b64 v[4:7], v2 offset0:99 offset1:100
	ds_read2_b64 v[8:11], v2 offset0:101 offset1:102
	;; [unrolled: 1-line block ×4, first 2 shown]
	s_waitcnt vmcnt(4) lgkmcnt(4)
	v_mul_f32_e32 v47, v20, v25
	v_mul_f32_e32 v3, v21, v25
	v_fmac_f32_e32 v47, v21, v24
	v_mul_f32_e32 v49, v22, v27
	v_fma_f32 v46, v20, v24, -v3
	v_mul_f32_e32 v3, v23, v27
	v_fmac_f32_e32 v49, v23, v26
	v_fma_f32 v48, v22, v26, -v3
	v_pk_add_f32 v[2:3], v[44:45], v[46:47]
	s_waitcnt vmcnt(3) lgkmcnt(3)
	v_pk_mul_f32 v[20:21], v[4:5], v[28:29] op_sel:[1,1] op_sel_hi:[0,1]
	v_pk_fma_f32 v[22:23], v[4:5], v[28:29], v[20:21] neg_lo:[0,0,1] neg_hi:[0,0,1]
	v_pk_fma_f32 v[4:5], v[4:5], v[28:29], v[20:21] op_sel_hi:[1,0,1]
	v_pk_add_f32 v[2:3], v[2:3], v[48:49]
	v_mov_b32_e32 v4, v31
	v_mov_b32_e32 v23, v5
	v_pk_mul_f32 v[4:5], v[6:7], v[4:5] op_sel:[1,0] op_sel_hi:[0,0]
	v_pk_fma_f32 v[20:21], v[6:7], v[30:31], v[4:5] neg_lo:[0,0,1] neg_hi:[0,0,1]
	v_pk_fma_f32 v[4:5], v[6:7], v[30:31], v[4:5] op_sel_hi:[1,0,1]
	v_pk_add_f32 v[2:3], v[2:3], v[22:23]
	v_mov_b32_e32 v21, v5
	s_waitcnt vmcnt(2) lgkmcnt(2)
	v_pk_mul_f32 v[4:5], v[8:9], v[32:33] op_sel:[1,1] op_sel_hi:[0,1]
	v_pk_fma_f32 v[6:7], v[8:9], v[32:33], v[4:5] neg_lo:[0,0,1] neg_hi:[0,0,1]
	v_pk_fma_f32 v[4:5], v[8:9], v[32:33], v[4:5] op_sel_hi:[1,0,1]
	v_pk_add_f32 v[2:3], v[2:3], v[20:21]
	v_mov_b32_e32 v4, v35
	v_mov_b32_e32 v7, v5
	v_pk_mul_f32 v[4:5], v[10:11], v[4:5] op_sel:[1,0] op_sel_hi:[0,0]
	v_pk_add_f32 v[2:3], v[2:3], v[6:7]
	v_pk_fma_f32 v[6:7], v[10:11], v[34:35], v[4:5] neg_lo:[0,0,1] neg_hi:[0,0,1]
	v_pk_fma_f32 v[4:5], v[10:11], v[34:35], v[4:5] op_sel_hi:[1,0,1]
	s_nop 0
	v_mov_b32_e32 v7, v5
	s_waitcnt vmcnt(1) lgkmcnt(1)
	v_pk_mul_f32 v[4:5], v[12:13], v[36:37] op_sel:[1,1] op_sel_hi:[0,1]
	v_pk_add_f32 v[2:3], v[2:3], v[6:7]
	v_pk_fma_f32 v[6:7], v[12:13], v[36:37], v[4:5] neg_lo:[0,0,1] neg_hi:[0,0,1]
	v_pk_fma_f32 v[4:5], v[12:13], v[36:37], v[4:5] op_sel_hi:[1,0,1]
	s_nop 0
	v_mov_b32_e32 v4, v39
	v_mov_b32_e32 v7, v5
	v_pk_mul_f32 v[4:5], v[14:15], v[4:5] op_sel:[1,0] op_sel_hi:[0,0]
	v_pk_add_f32 v[2:3], v[2:3], v[6:7]
	v_pk_fma_f32 v[6:7], v[14:15], v[38:39], v[4:5] neg_lo:[0,0,1] neg_hi:[0,0,1]
	v_pk_fma_f32 v[4:5], v[14:15], v[38:39], v[4:5] op_sel_hi:[1,0,1]
	s_nop 0
	v_mov_b32_e32 v7, v5
	s_waitcnt vmcnt(0) lgkmcnt(0)
	v_pk_mul_f32 v[4:5], v[16:17], v[40:41] op_sel:[1,1] op_sel_hi:[0,1]
	v_pk_add_f32 v[2:3], v[2:3], v[6:7]
	v_pk_fma_f32 v[6:7], v[16:17], v[40:41], v[4:5] neg_lo:[0,0,1] neg_hi:[0,0,1]
	v_pk_fma_f32 v[4:5], v[16:17], v[40:41], v[4:5] op_sel_hi:[1,0,1]
	s_nop 0
	v_mov_b32_e32 v4, v43
	v_mov_b32_e32 v7, v5
	v_pk_mul_f32 v[4:5], v[18:19], v[4:5] op_sel:[1,0] op_sel_hi:[0,0]
	v_pk_add_f32 v[2:3], v[2:3], v[6:7]
	v_pk_fma_f32 v[6:7], v[18:19], v[42:43], v[4:5] neg_lo:[0,0,1] neg_hi:[0,0,1]
	v_pk_fma_f32 v[4:5], v[18:19], v[42:43], v[4:5] op_sel_hi:[1,0,1]
	s_nop 0
	v_mov_b32_e32 v7, v5
	scratch_load_dwordx2 v[4:5], off, off offset:304
	v_pk_add_f32 v[2:3], v[2:3], v[6:7]
	s_waitcnt vmcnt(0)
	v_pk_add_f32 v[2:3], v[4:5], v[2:3] neg_lo:[0,1] neg_hi:[0,1]
	scratch_store_dwordx2 off, v[2:3], off offset:304
	s_and_saveexec_b64 s[0:1], vcc
	s_cbranch_execz .LBB116_257
; %bb.256:
	scratch_load_dwordx2 v[2:3], off, off offset:296
	v_mov_b32_e32 v4, 0
	v_mov_b32_e32 v5, v4
	scratch_store_dwordx2 off, v[4:5], off offset:296
	s_waitcnt vmcnt(1)
	ds_write_b64 v1, v[2:3]
.LBB116_257:
	s_or_b64 exec, exec, s[0:1]
	v_mov_b32_e32 v2, 0
	s_waitcnt lgkmcnt(0)
	; wave barrier
	ds_read_b128 v[4:7], v2 offset:736
	ds_read_b128 v[8:11], v2 offset:752
	;; [unrolled: 1-line block ×4, first 2 shown]
	scratch_load_dwordx4 v[20:23], off, off offset:304
	v_cmp_lt_u32_e32 vcc, 36, v0
	s_waitcnt vmcnt(0) lgkmcnt(3)
	v_mul_f32_e32 v3, v4, v21
	v_fmac_f32_e32 v3, v5, v20
	v_mul_f32_e32 v24, v6, v23
	v_add_f32_e32 v3, 0, v3
	v_fmac_f32_e32 v24, v7, v22
	v_add_f32_e32 v3, v3, v24
	scratch_load_dwordx4 v[24:27], off, off offset:320
	s_waitcnt vmcnt(0) lgkmcnt(2)
	v_mul_f32_e32 v28, v8, v25
	v_fmac_f32_e32 v28, v9, v24
	v_add_f32_e32 v3, v3, v28
	v_mul_f32_e32 v28, v10, v27
	v_fmac_f32_e32 v28, v11, v26
	v_add_f32_e32 v3, v3, v28
	scratch_load_dwordx4 v[28:31], off, off offset:336
	s_waitcnt vmcnt(0) lgkmcnt(1)
	v_mul_f32_e32 v32, v12, v29
	v_fmac_f32_e32 v32, v13, v28
	v_add_f32_e32 v49, v3, v32
	scratch_load_dwordx4 v[32:35], off, off offset:352
	scratch_load_dwordx4 v[36:39], off, off offset:368
	scratch_load_dwordx4 v[40:43], off, off offset:384
	scratch_load_dwordx4 v[44:47], off, off offset:400
	scratch_load_dwordx2 v[54:55], off, off offset:416
	v_mul_f32_e32 v3, v5, v21
	v_fma_f32 v3, v4, v20, -v3
	v_mul_f32_e32 v4, v7, v23
	v_add_f32_e32 v3, 0, v3
	v_fma_f32 v4, v6, v22, -v4
	v_add_f32_e32 v3, v3, v4
	v_mul_f32_e32 v4, v9, v25
	v_fma_f32 v4, v8, v24, -v4
	v_add_f32_e32 v3, v3, v4
	v_mul_f32_e32 v4, v11, v27
	;; [unrolled: 3-line block ×3, first 2 shown]
	v_fma_f32 v4, v12, v28, -v4
	v_mul_f32_e32 v51, v14, v31
	v_add_f32_e32 v48, v3, v4
	v_mul_f32_e32 v3, v15, v31
	v_fmac_f32_e32 v51, v15, v30
	v_fma_f32 v50, v14, v30, -v3
	v_pk_add_f32 v[20:21], v[48:49], v[50:51]
	s_waitcnt vmcnt(4)
	v_mov_b32_e32 v22, v35
	s_waitcnt lgkmcnt(0)
	v_mul_f32_e32 v53, v16, v33
	v_mul_f32_e32 v3, v17, v33
	v_pk_mul_f32 v[22:23], v[18:19], v[22:23] op_sel:[1,0] op_sel_hi:[0,0]
	v_fmac_f32_e32 v53, v17, v32
	v_fma_f32 v52, v16, v32, -v3
	ds_read_b128 v[4:7], v2 offset:800
	ds_read_b128 v[8:11], v2 offset:816
	;; [unrolled: 1-line block ×3, first 2 shown]
	ds_read_b64 v[16:17], v2 offset:848
	v_pk_fma_f32 v[24:25], v[18:19], v[34:35], v[22:23] neg_lo:[0,0,1] neg_hi:[0,0,1]
	v_pk_fma_f32 v[18:19], v[18:19], v[34:35], v[22:23] op_sel_hi:[1,0,1]
	v_pk_add_f32 v[20:21], v[20:21], v[52:53]
	v_mov_b32_e32 v25, v19
	v_pk_add_f32 v[18:19], v[20:21], v[24:25]
	s_waitcnt vmcnt(3) lgkmcnt(3)
	v_pk_mul_f32 v[20:21], v[4:5], v[36:37] op_sel:[1,1] op_sel_hi:[0,1]
	v_pk_fma_f32 v[22:23], v[4:5], v[36:37], v[20:21] neg_lo:[0,0,1] neg_hi:[0,0,1]
	v_pk_fma_f32 v[4:5], v[4:5], v[36:37], v[20:21] op_sel_hi:[1,0,1]
	s_nop 0
	v_mov_b32_e32 v23, v5
	v_pk_add_f32 v[4:5], v[18:19], v[22:23]
	v_mov_b32_e32 v18, v39
	v_pk_mul_f32 v[18:19], v[6:7], v[18:19] op_sel:[1,0] op_sel_hi:[0,0]
	v_pk_fma_f32 v[20:21], v[6:7], v[38:39], v[18:19] neg_lo:[0,0,1] neg_hi:[0,0,1]
	v_pk_fma_f32 v[6:7], v[6:7], v[38:39], v[18:19] op_sel_hi:[1,0,1]
	s_nop 0
	v_mov_b32_e32 v21, v7
	s_waitcnt vmcnt(2) lgkmcnt(2)
	v_pk_mul_f32 v[6:7], v[8:9], v[40:41] op_sel:[1,1] op_sel_hi:[0,1]
	v_pk_fma_f32 v[18:19], v[8:9], v[40:41], v[6:7] neg_lo:[0,0,1] neg_hi:[0,0,1]
	v_pk_fma_f32 v[6:7], v[8:9], v[40:41], v[6:7] op_sel_hi:[1,0,1]
	v_pk_add_f32 v[4:5], v[4:5], v[20:21]
	v_mov_b32_e32 v6, v43
	v_mov_b32_e32 v19, v7
	v_pk_mul_f32 v[6:7], v[10:11], v[6:7] op_sel:[1,0] op_sel_hi:[0,0]
	v_pk_fma_f32 v[8:9], v[10:11], v[42:43], v[6:7] neg_lo:[0,0,1] neg_hi:[0,0,1]
	v_pk_fma_f32 v[6:7], v[10:11], v[42:43], v[6:7] op_sel_hi:[1,0,1]
	v_pk_add_f32 v[4:5], v[4:5], v[18:19]
	v_mov_b32_e32 v9, v7
	s_waitcnt vmcnt(1) lgkmcnt(1)
	v_pk_mul_f32 v[6:7], v[12:13], v[44:45] op_sel:[1,1] op_sel_hi:[0,1]
	v_pk_add_f32 v[4:5], v[4:5], v[8:9]
	v_pk_fma_f32 v[8:9], v[12:13], v[44:45], v[6:7] neg_lo:[0,0,1] neg_hi:[0,0,1]
	v_pk_fma_f32 v[6:7], v[12:13], v[44:45], v[6:7] op_sel_hi:[1,0,1]
	s_nop 0
	v_mov_b32_e32 v6, v47
	v_mov_b32_e32 v9, v7
	v_pk_mul_f32 v[6:7], v[14:15], v[6:7] op_sel:[1,0] op_sel_hi:[0,0]
	v_pk_add_f32 v[4:5], v[4:5], v[8:9]
	v_pk_fma_f32 v[8:9], v[14:15], v[46:47], v[6:7] neg_lo:[0,0,1] neg_hi:[0,0,1]
	v_pk_fma_f32 v[6:7], v[14:15], v[46:47], v[6:7] op_sel_hi:[1,0,1]
	s_nop 0
	v_mov_b32_e32 v9, v7
	s_waitcnt vmcnt(0) lgkmcnt(0)
	v_pk_mul_f32 v[6:7], v[16:17], v[54:55] op_sel:[1,1] op_sel_hi:[0,1]
	v_pk_add_f32 v[4:5], v[4:5], v[8:9]
	v_pk_fma_f32 v[8:9], v[16:17], v[54:55], v[6:7] neg_lo:[0,0,1] neg_hi:[0,0,1]
	v_pk_fma_f32 v[6:7], v[16:17], v[54:55], v[6:7] op_sel_hi:[1,0,1]
	s_nop 0
	v_mov_b32_e32 v9, v7
	scratch_load_dwordx2 v[6:7], off, off offset:296
	v_pk_add_f32 v[4:5], v[4:5], v[8:9]
	s_waitcnt vmcnt(0)
	v_pk_add_f32 v[4:5], v[6:7], v[4:5] neg_lo:[0,1] neg_hi:[0,1]
	scratch_store_dwordx2 off, v[4:5], off offset:296
	s_and_saveexec_b64 s[0:1], vcc
	s_cbranch_execz .LBB116_259
; %bb.258:
	scratch_load_dwordx2 v[4:5], off, off offset:288
	v_mov_b32_e32 v3, v2
	scratch_store_dwordx2 off, v[2:3], off offset:288
	s_waitcnt vmcnt(1)
	ds_write_b64 v1, v[4:5]
.LBB116_259:
	s_or_b64 exec, exec, s[0:1]
	s_waitcnt lgkmcnt(0)
	; wave barrier
	scratch_load_dwordx4 v[8:11], off, off offset:296
	scratch_load_dwordx4 v[16:19], off, off offset:312
	;; [unrolled: 1-line block ×4, first 2 shown]
	ds_read2_b64 v[4:7], v2 offset0:91 offset1:92
	v_cmp_lt_u32_e32 vcc, 35, v0
	s_waitcnt vmcnt(3) lgkmcnt(0)
	v_mul_f32_e32 v3, v4, v9
	v_fmac_f32_e32 v3, v5, v8
	v_mul_f32_e32 v12, v6, v11
	v_add_f32_e32 v3, 0, v3
	v_fmac_f32_e32 v12, v7, v10
	v_add_f32_e32 v3, v3, v12
	ds_read2_b64 v[12:15], v2 offset0:93 offset1:94
	s_waitcnt vmcnt(2) lgkmcnt(0)
	v_mul_f32_e32 v20, v12, v17
	v_fmac_f32_e32 v20, v13, v16
	v_add_f32_e32 v3, v3, v20
	v_mul_f32_e32 v20, v14, v19
	v_fmac_f32_e32 v20, v15, v18
	v_add_f32_e32 v3, v3, v20
	ds_read2_b64 v[20:23], v2 offset0:95 offset1:96
	s_waitcnt vmcnt(1) lgkmcnt(0)
	v_mul_f32_e32 v28, v20, v25
	v_fmac_f32_e32 v28, v21, v24
	v_add_f32_e32 v3, v3, v28
	v_mul_f32_e32 v28, v22, v27
	v_fmac_f32_e32 v28, v23, v26
	v_add_f32_e32 v53, v3, v28
	ds_read2_b64 v[28:31], v2 offset0:97 offset1:98
	scratch_load_dwordx4 v[36:39], off, off offset:360
	scratch_load_dwordx4 v[40:43], off, off offset:376
	;; [unrolled: 1-line block ×4, first 2 shown]
	v_mul_f32_e32 v3, v5, v9
	v_fma_f32 v3, v4, v8, -v3
	v_mul_f32_e32 v4, v7, v11
	v_add_f32_e32 v3, 0, v3
	v_fma_f32 v4, v6, v10, -v4
	v_add_f32_e32 v3, v3, v4
	v_mul_f32_e32 v4, v13, v17
	v_fma_f32 v4, v12, v16, -v4
	v_add_f32_e32 v3, v3, v4
	v_mul_f32_e32 v4, v15, v19
	;; [unrolled: 3-line block ×4, first 2 shown]
	v_fma_f32 v4, v22, v26, -v4
	v_add_f32_e32 v52, v3, v4
	ds_read2_b64 v[4:7], v2 offset0:99 offset1:100
	ds_read2_b64 v[8:11], v2 offset0:101 offset1:102
	;; [unrolled: 1-line block ×4, first 2 shown]
	s_waitcnt vmcnt(4) lgkmcnt(4)
	v_mul_f32_e32 v55, v28, v33
	v_mul_f32_e32 v3, v29, v33
	v_fmac_f32_e32 v55, v29, v32
	v_mul_f32_e32 v57, v30, v35
	v_fma_f32 v54, v28, v32, -v3
	v_mul_f32_e32 v3, v31, v35
	v_fmac_f32_e32 v57, v31, v34
	v_fma_f32 v56, v30, v34, -v3
	v_pk_add_f32 v[2:3], v[52:53], v[54:55]
	s_waitcnt vmcnt(3) lgkmcnt(3)
	v_pk_mul_f32 v[20:21], v[4:5], v[36:37] op_sel:[1,1] op_sel_hi:[0,1]
	v_pk_fma_f32 v[22:23], v[4:5], v[36:37], v[20:21] neg_lo:[0,0,1] neg_hi:[0,0,1]
	v_pk_fma_f32 v[4:5], v[4:5], v[36:37], v[20:21] op_sel_hi:[1,0,1]
	v_pk_add_f32 v[2:3], v[2:3], v[56:57]
	v_mov_b32_e32 v4, v39
	v_mov_b32_e32 v23, v5
	v_pk_mul_f32 v[4:5], v[6:7], v[4:5] op_sel:[1,0] op_sel_hi:[0,0]
	v_pk_fma_f32 v[20:21], v[6:7], v[38:39], v[4:5] neg_lo:[0,0,1] neg_hi:[0,0,1]
	v_pk_fma_f32 v[4:5], v[6:7], v[38:39], v[4:5] op_sel_hi:[1,0,1]
	v_pk_add_f32 v[2:3], v[2:3], v[22:23]
	v_mov_b32_e32 v21, v5
	s_waitcnt vmcnt(2) lgkmcnt(2)
	v_pk_mul_f32 v[4:5], v[8:9], v[40:41] op_sel:[1,1] op_sel_hi:[0,1]
	v_pk_fma_f32 v[6:7], v[8:9], v[40:41], v[4:5] neg_lo:[0,0,1] neg_hi:[0,0,1]
	v_pk_fma_f32 v[4:5], v[8:9], v[40:41], v[4:5] op_sel_hi:[1,0,1]
	v_pk_add_f32 v[2:3], v[2:3], v[20:21]
	v_mov_b32_e32 v4, v43
	v_mov_b32_e32 v7, v5
	v_pk_mul_f32 v[4:5], v[10:11], v[4:5] op_sel:[1,0] op_sel_hi:[0,0]
	v_pk_add_f32 v[2:3], v[2:3], v[6:7]
	v_pk_fma_f32 v[6:7], v[10:11], v[42:43], v[4:5] neg_lo:[0,0,1] neg_hi:[0,0,1]
	v_pk_fma_f32 v[4:5], v[10:11], v[42:43], v[4:5] op_sel_hi:[1,0,1]
	s_nop 0
	v_mov_b32_e32 v7, v5
	s_waitcnt vmcnt(1) lgkmcnt(1)
	v_pk_mul_f32 v[4:5], v[12:13], v[44:45] op_sel:[1,1] op_sel_hi:[0,1]
	v_pk_add_f32 v[2:3], v[2:3], v[6:7]
	v_pk_fma_f32 v[6:7], v[12:13], v[44:45], v[4:5] neg_lo:[0,0,1] neg_hi:[0,0,1]
	v_pk_fma_f32 v[4:5], v[12:13], v[44:45], v[4:5] op_sel_hi:[1,0,1]
	s_nop 0
	v_mov_b32_e32 v4, v47
	v_mov_b32_e32 v7, v5
	v_pk_mul_f32 v[4:5], v[14:15], v[4:5] op_sel:[1,0] op_sel_hi:[0,0]
	v_pk_add_f32 v[2:3], v[2:3], v[6:7]
	v_pk_fma_f32 v[6:7], v[14:15], v[46:47], v[4:5] neg_lo:[0,0,1] neg_hi:[0,0,1]
	v_pk_fma_f32 v[4:5], v[14:15], v[46:47], v[4:5] op_sel_hi:[1,0,1]
	s_nop 0
	v_mov_b32_e32 v7, v5
	s_waitcnt vmcnt(0) lgkmcnt(0)
	v_pk_mul_f32 v[4:5], v[16:17], v[48:49] op_sel:[1,1] op_sel_hi:[0,1]
	v_pk_add_f32 v[2:3], v[2:3], v[6:7]
	v_pk_fma_f32 v[6:7], v[16:17], v[48:49], v[4:5] neg_lo:[0,0,1] neg_hi:[0,0,1]
	v_pk_fma_f32 v[4:5], v[16:17], v[48:49], v[4:5] op_sel_hi:[1,0,1]
	s_nop 0
	v_mov_b32_e32 v4, v51
	v_mov_b32_e32 v7, v5
	v_pk_mul_f32 v[4:5], v[18:19], v[4:5] op_sel:[1,0] op_sel_hi:[0,0]
	v_pk_add_f32 v[2:3], v[2:3], v[6:7]
	v_pk_fma_f32 v[6:7], v[18:19], v[50:51], v[4:5] neg_lo:[0,0,1] neg_hi:[0,0,1]
	v_pk_fma_f32 v[4:5], v[18:19], v[50:51], v[4:5] op_sel_hi:[1,0,1]
	s_nop 0
	v_mov_b32_e32 v7, v5
	scratch_load_dwordx2 v[4:5], off, off offset:288
	v_pk_add_f32 v[2:3], v[2:3], v[6:7]
	s_waitcnt vmcnt(0)
	v_pk_add_f32 v[2:3], v[4:5], v[2:3] neg_lo:[0,1] neg_hi:[0,1]
	scratch_store_dwordx2 off, v[2:3], off offset:288
	s_and_saveexec_b64 s[0:1], vcc
	s_cbranch_execz .LBB116_261
; %bb.260:
	scratch_load_dwordx2 v[2:3], off, off offset:280
	v_mov_b32_e32 v4, 0
	v_mov_b32_e32 v5, v4
	scratch_store_dwordx2 off, v[4:5], off offset:280
	s_waitcnt vmcnt(1)
	ds_write_b64 v1, v[2:3]
.LBB116_261:
	s_or_b64 exec, exec, s[0:1]
	v_mov_b32_e32 v2, 0
	s_waitcnt lgkmcnt(0)
	; wave barrier
	ds_read_b128 v[4:7], v2 offset:720
	ds_read_b128 v[8:11], v2 offset:736
	;; [unrolled: 1-line block ×4, first 2 shown]
	scratch_load_dwordx4 v[20:23], off, off offset:288
	scratch_load_dwordx4 v[40:43], off, off offset:352
	v_cmp_lt_u32_e32 vcc, 34, v0
	s_waitcnt vmcnt(1) lgkmcnt(3)
	v_mul_f32_e32 v3, v4, v21
	v_fmac_f32_e32 v3, v5, v20
	v_mul_f32_e32 v24, v6, v23
	v_add_f32_e32 v3, 0, v3
	v_fmac_f32_e32 v24, v7, v22
	v_add_f32_e32 v3, v3, v24
	scratch_load_dwordx4 v[24:27], off, off offset:304
	s_waitcnt vmcnt(0) lgkmcnt(2)
	v_mul_f32_e32 v28, v8, v25
	v_fmac_f32_e32 v28, v9, v24
	v_add_f32_e32 v3, v3, v28
	v_mul_f32_e32 v28, v10, v27
	v_fmac_f32_e32 v28, v11, v26
	v_add_f32_e32 v3, v3, v28
	scratch_load_dwordx4 v[28:31], off, off offset:320
	s_waitcnt vmcnt(0) lgkmcnt(1)
	v_mul_f32_e32 v32, v12, v29
	v_fmac_f32_e32 v32, v13, v28
	v_add_f32_e32 v3, v3, v32
	v_mul_f32_e32 v32, v14, v31
	v_fmac_f32_e32 v32, v15, v30
	v_add_f32_e32 v3, v3, v32
	scratch_load_dwordx4 v[32:35], off, off offset:336
	s_waitcnt vmcnt(0) lgkmcnt(0)
	v_mul_f32_e32 v36, v16, v33
	v_fmac_f32_e32 v36, v17, v32
	v_add_f32_e32 v57, v3, v36
	ds_read_b128 v[36:39], v2 offset:784
	scratch_load_dwordx4 v[44:47], off, off offset:368
	scratch_load_dwordx4 v[48:51], off, off offset:384
	;; [unrolled: 1-line block ×3, first 2 shown]
	scratch_load_dwordx2 v[62:63], off, off offset:416
	v_mul_f32_e32 v3, v5, v21
	v_fma_f32 v3, v4, v20, -v3
	v_mul_f32_e32 v4, v7, v23
	v_add_f32_e32 v3, 0, v3
	v_fma_f32 v4, v6, v22, -v4
	v_add_f32_e32 v3, v3, v4
	v_mul_f32_e32 v4, v9, v25
	v_fma_f32 v4, v8, v24, -v4
	v_add_f32_e32 v3, v3, v4
	v_mul_f32_e32 v4, v11, v27
	;; [unrolled: 3-line block ×5, first 2 shown]
	v_fma_f32 v4, v16, v32, -v4
	v_mul_f32_e32 v59, v18, v35
	v_add_f32_e32 v56, v3, v4
	v_mul_f32_e32 v3, v19, v35
	v_mov_b32_e32 v20, v43
	v_fmac_f32_e32 v59, v19, v34
	s_waitcnt lgkmcnt(0)
	v_mul_f32_e32 v61, v36, v41
	v_fma_f32 v58, v18, v34, -v3
	v_mul_f32_e32 v3, v37, v41
	ds_read_b128 v[4:7], v2 offset:800
	ds_read_b128 v[8:11], v2 offset:816
	;; [unrolled: 1-line block ×3, first 2 shown]
	ds_read_b64 v[16:17], v2 offset:848
	v_pk_mul_f32 v[20:21], v[38:39], v[20:21] op_sel:[1,0] op_sel_hi:[0,0]
	v_fmac_f32_e32 v61, v37, v40
	v_fma_f32 v60, v36, v40, -v3
	v_pk_add_f32 v[18:19], v[56:57], v[58:59]
	v_pk_fma_f32 v[22:23], v[38:39], v[42:43], v[20:21] neg_lo:[0,0,1] neg_hi:[0,0,1]
	v_pk_fma_f32 v[20:21], v[38:39], v[42:43], v[20:21] op_sel_hi:[1,0,1]
	v_pk_add_f32 v[18:19], v[18:19], v[60:61]
	v_mov_b32_e32 v23, v21
	v_pk_add_f32 v[18:19], v[18:19], v[22:23]
	s_waitcnt vmcnt(3) lgkmcnt(3)
	v_pk_mul_f32 v[20:21], v[4:5], v[44:45] op_sel:[1,1] op_sel_hi:[0,1]
	v_pk_fma_f32 v[22:23], v[4:5], v[44:45], v[20:21] neg_lo:[0,0,1] neg_hi:[0,0,1]
	v_pk_fma_f32 v[4:5], v[4:5], v[44:45], v[20:21] op_sel_hi:[1,0,1]
	s_nop 0
	v_mov_b32_e32 v23, v5
	v_pk_add_f32 v[4:5], v[18:19], v[22:23]
	v_mov_b32_e32 v18, v47
	v_pk_mul_f32 v[18:19], v[6:7], v[18:19] op_sel:[1,0] op_sel_hi:[0,0]
	v_pk_fma_f32 v[20:21], v[6:7], v[46:47], v[18:19] neg_lo:[0,0,1] neg_hi:[0,0,1]
	v_pk_fma_f32 v[6:7], v[6:7], v[46:47], v[18:19] op_sel_hi:[1,0,1]
	s_nop 0
	v_mov_b32_e32 v21, v7
	s_waitcnt vmcnt(2) lgkmcnt(2)
	v_pk_mul_f32 v[6:7], v[8:9], v[48:49] op_sel:[1,1] op_sel_hi:[0,1]
	v_pk_fma_f32 v[18:19], v[8:9], v[48:49], v[6:7] neg_lo:[0,0,1] neg_hi:[0,0,1]
	v_pk_fma_f32 v[6:7], v[8:9], v[48:49], v[6:7] op_sel_hi:[1,0,1]
	v_pk_add_f32 v[4:5], v[4:5], v[20:21]
	v_mov_b32_e32 v6, v51
	v_mov_b32_e32 v19, v7
	v_pk_mul_f32 v[6:7], v[10:11], v[6:7] op_sel:[1,0] op_sel_hi:[0,0]
	v_pk_fma_f32 v[8:9], v[10:11], v[50:51], v[6:7] neg_lo:[0,0,1] neg_hi:[0,0,1]
	v_pk_fma_f32 v[6:7], v[10:11], v[50:51], v[6:7] op_sel_hi:[1,0,1]
	v_pk_add_f32 v[4:5], v[4:5], v[18:19]
	v_mov_b32_e32 v9, v7
	s_waitcnt vmcnt(1) lgkmcnt(1)
	v_pk_mul_f32 v[6:7], v[12:13], v[52:53] op_sel:[1,1] op_sel_hi:[0,1]
	v_pk_add_f32 v[4:5], v[4:5], v[8:9]
	v_pk_fma_f32 v[8:9], v[12:13], v[52:53], v[6:7] neg_lo:[0,0,1] neg_hi:[0,0,1]
	v_pk_fma_f32 v[6:7], v[12:13], v[52:53], v[6:7] op_sel_hi:[1,0,1]
	s_nop 0
	v_mov_b32_e32 v6, v55
	v_mov_b32_e32 v9, v7
	v_pk_mul_f32 v[6:7], v[14:15], v[6:7] op_sel:[1,0] op_sel_hi:[0,0]
	v_pk_add_f32 v[4:5], v[4:5], v[8:9]
	v_pk_fma_f32 v[8:9], v[14:15], v[54:55], v[6:7] neg_lo:[0,0,1] neg_hi:[0,0,1]
	v_pk_fma_f32 v[6:7], v[14:15], v[54:55], v[6:7] op_sel_hi:[1,0,1]
	s_nop 0
	v_mov_b32_e32 v9, v7
	s_waitcnt vmcnt(0) lgkmcnt(0)
	v_pk_mul_f32 v[6:7], v[16:17], v[62:63] op_sel:[1,1] op_sel_hi:[0,1]
	v_pk_add_f32 v[4:5], v[4:5], v[8:9]
	v_pk_fma_f32 v[8:9], v[16:17], v[62:63], v[6:7] neg_lo:[0,0,1] neg_hi:[0,0,1]
	v_pk_fma_f32 v[6:7], v[16:17], v[62:63], v[6:7] op_sel_hi:[1,0,1]
	s_nop 0
	v_mov_b32_e32 v9, v7
	scratch_load_dwordx2 v[6:7], off, off offset:280
	v_pk_add_f32 v[4:5], v[4:5], v[8:9]
	s_waitcnt vmcnt(0)
	v_pk_add_f32 v[4:5], v[6:7], v[4:5] neg_lo:[0,1] neg_hi:[0,1]
	scratch_store_dwordx2 off, v[4:5], off offset:280
	s_and_saveexec_b64 s[0:1], vcc
	s_cbranch_execz .LBB116_263
; %bb.262:
	scratch_load_dwordx2 v[4:5], off, off offset:272
	v_mov_b32_e32 v3, v2
	scratch_store_dwordx2 off, v[2:3], off offset:272
	s_waitcnt vmcnt(1)
	ds_write_b64 v1, v[4:5]
.LBB116_263:
	s_or_b64 exec, exec, s[0:1]
	s_waitcnt lgkmcnt(0)
	; wave barrier
	scratch_load_dwordx4 v[4:7], off, off offset:280
	scratch_load_dwordx4 v[8:11], off, off offset:296
	;; [unrolled: 1-line block ×7, first 2 shown]
	ds_read2_b64 v[32:35], v2 offset0:89 offset1:90
	ds_read2_b64 v[36:39], v2 offset0:91 offset1:92
	ds_read2_b64 v[40:43], v2 offset0:93 offset1:94
	ds_read2_b64 v[44:47], v2 offset0:95 offset1:96
	scratch_load_dwordx4 v[48:51], off, off offset:392
	scratch_load_dwordx4 v[52:55], off, off offset:408
	ds_read2_b64 v[56:59], v2 offset0:97 offset1:98
	ds_read2_b64 v[60:63], v2 offset0:99 offset1:100
	;; [unrolled: 1-line block ×5, first 2 shown]
	scratch_load_dwordx2 v[2:3], off, off offset:272
	v_cmp_lt_u32_e32 vcc, 33, v0
	s_waitcnt vmcnt(9) lgkmcnt(8)
	v_mul_f32_e32 v83, v32, v5
	v_mul_f32_e32 v86, v34, v7
	s_waitcnt vmcnt(8) lgkmcnt(7)
	v_mul_f32_e32 v87, v36, v9
	s_waitcnt vmcnt(7) lgkmcnt(6)
	v_mul_f32_e32 v89, v40, v13
	v_mul_f32_e32 v5, v33, v5
	;; [unrolled: 1-line block ×5, first 2 shown]
	s_waitcnt vmcnt(4) lgkmcnt(3)
	v_pk_mul_f32 v[80:81], v[60:61], v[24:25] op_sel:[1,1] op_sel_hi:[0,1]
	v_mov_b32_e32 v82, v27
	s_waitcnt vmcnt(3) lgkmcnt(2)
	v_pk_mul_f32 v[84:85], v[64:65], v[28:29] op_sel:[1,1] op_sel_hi:[0,1]
	v_fmac_f32_e32 v83, v33, v4
	v_mul_f32_e32 v90, v42, v15
	v_mul_f32_e32 v91, v44, v17
	;; [unrolled: 1-line block ×4, first 2 shown]
	v_fmac_f32_e32 v86, v35, v6
	v_fmac_f32_e32 v87, v37, v8
	;; [unrolled: 1-line block ×3, first 2 shown]
	v_fma_f32 v32, v32, v4, -v5
	v_fma_f32 v33, v34, v6, -v7
	;; [unrolled: 1-line block ×4, first 2 shown]
	v_pk_fma_f32 v[4:5], v[60:61], v[24:25], v[80:81] neg_lo:[0,0,1] neg_hi:[0,0,1]
	v_pk_fma_f32 v[6:7], v[60:61], v[24:25], v[80:81] op_sel_hi:[1,0,1]
	v_pk_mul_f32 v[8:9], v[62:63], v[82:83] op_sel:[1,0] op_sel_hi:[0,0]
	v_pk_fma_f32 v[12:13], v[64:65], v[28:29], v[84:85] op_sel_hi:[1,0,1]
	v_fmac_f32_e32 v90, v43, v14
	v_fma_f32 v14, v42, v14, -v15
	v_fma_f32 v15, v44, v16, -v17
	v_add_f32_e32 v12, 0, v83
	v_add_f32_e32 v17, 0, v32
	v_mov_b32_e32 v5, v7
	v_pk_fma_f32 v[6:7], v[62:63], v[26:27], v[8:9] neg_lo:[0,0,1] neg_hi:[0,0,1]
	v_pk_fma_f32 v[8:9], v[62:63], v[26:27], v[8:9] op_sel_hi:[1,0,1]
	v_mul_f32_e32 v88, v38, v11
	v_mul_f32_e32 v11, v39, v11
	v_add_f32_e32 v8, v12, v86
	v_add_f32_e32 v12, v17, v33
	v_fmac_f32_e32 v88, v39, v10
	v_fma_f32 v35, v38, v10, -v11
	v_mov_b32_e32 v7, v9
	v_add_f32_e32 v8, v8, v87
	v_add_f32_e32 v9, v12, v34
	;; [unrolled: 1-line block ×6, first 2 shown]
	v_mul_f32_e32 v92, v46, v19
	v_mul_f32_e32 v19, v47, v19
	v_fmac_f32_e32 v91, v45, v16
	v_add_f32_e32 v8, v8, v90
	v_add_f32_e32 v9, v9, v14
	v_mul_f32_e32 v77, v56, v21
	v_mul_f32_e32 v21, v57, v21
	v_fmac_f32_e32 v92, v47, v18
	v_fma_f32 v16, v46, v18, -v19
	v_add_f32_e32 v8, v8, v91
	v_add_f32_e32 v12, v9, v15
	v_mul_f32_e32 v79, v58, v23
	v_mul_f32_e32 v23, v59, v23
	v_fmac_f32_e32 v77, v57, v20
	v_fma_f32 v76, v56, v20, -v21
	v_add_f32_e32 v9, v8, v92
	v_add_f32_e32 v8, v12, v16
	v_fmac_f32_e32 v79, v59, v22
	v_fma_f32 v78, v58, v22, -v23
	v_pk_add_f32 v[8:9], v[8:9], v[76:77]
	v_pk_fma_f32 v[10:11], v[64:65], v[28:29], v[84:85] neg_lo:[0,0,1] neg_hi:[0,0,1]
	v_pk_add_f32 v[8:9], v[8:9], v[78:79]
	v_mov_b32_e32 v11, v13
	v_pk_add_f32 v[4:5], v[8:9], v[4:5]
	s_nop 0
	v_pk_add_f32 v[4:5], v[4:5], v[6:7]
	v_mov_b32_e32 v6, v31
	v_pk_mul_f32 v[6:7], v[66:67], v[6:7] op_sel:[1,0] op_sel_hi:[0,0]
	v_pk_fma_f32 v[8:9], v[66:67], v[30:31], v[6:7] neg_lo:[0,0,1] neg_hi:[0,0,1]
	v_pk_fma_f32 v[6:7], v[66:67], v[30:31], v[6:7] op_sel_hi:[1,0,1]
	v_pk_add_f32 v[4:5], v[4:5], v[10:11]
	v_mov_b32_e32 v9, v7
	s_waitcnt vmcnt(2) lgkmcnt(1)
	v_pk_mul_f32 v[6:7], v[68:69], v[48:49] op_sel:[1,1] op_sel_hi:[0,1]
	v_pk_add_f32 v[4:5], v[4:5], v[8:9]
	v_pk_fma_f32 v[8:9], v[68:69], v[48:49], v[6:7] neg_lo:[0,0,1] neg_hi:[0,0,1]
	v_pk_fma_f32 v[6:7], v[68:69], v[48:49], v[6:7] op_sel_hi:[1,0,1]
	s_nop 0
	v_mov_b32_e32 v6, v51
	v_mov_b32_e32 v9, v7
	v_pk_mul_f32 v[6:7], v[70:71], v[6:7] op_sel:[1,0] op_sel_hi:[0,0]
	v_pk_add_f32 v[4:5], v[4:5], v[8:9]
	v_pk_fma_f32 v[8:9], v[70:71], v[50:51], v[6:7] neg_lo:[0,0,1] neg_hi:[0,0,1]
	v_pk_fma_f32 v[6:7], v[70:71], v[50:51], v[6:7] op_sel_hi:[1,0,1]
	s_nop 0
	v_mov_b32_e32 v9, v7
	s_waitcnt vmcnt(1) lgkmcnt(0)
	v_pk_mul_f32 v[6:7], v[72:73], v[52:53] op_sel:[1,1] op_sel_hi:[0,1]
	v_pk_add_f32 v[4:5], v[4:5], v[8:9]
	v_pk_fma_f32 v[8:9], v[72:73], v[52:53], v[6:7] neg_lo:[0,0,1] neg_hi:[0,0,1]
	v_pk_fma_f32 v[6:7], v[72:73], v[52:53], v[6:7] op_sel_hi:[1,0,1]
	s_nop 0
	v_mov_b32_e32 v6, v55
	v_mov_b32_e32 v9, v7
	v_pk_mul_f32 v[6:7], v[74:75], v[6:7] op_sel:[1,0] op_sel_hi:[0,0]
	v_pk_add_f32 v[4:5], v[4:5], v[8:9]
	v_pk_fma_f32 v[8:9], v[74:75], v[54:55], v[6:7] neg_lo:[0,0,1] neg_hi:[0,0,1]
	v_pk_fma_f32 v[6:7], v[74:75], v[54:55], v[6:7] op_sel_hi:[1,0,1]
	s_nop 0
	v_mov_b32_e32 v9, v7
	v_pk_add_f32 v[4:5], v[4:5], v[8:9]
	s_waitcnt vmcnt(0)
	v_pk_add_f32 v[2:3], v[2:3], v[4:5] neg_lo:[0,1] neg_hi:[0,1]
	scratch_store_dwordx2 off, v[2:3], off offset:272
	s_and_saveexec_b64 s[0:1], vcc
	s_cbranch_execz .LBB116_265
; %bb.264:
	scratch_load_dwordx2 v[2:3], off, off offset:264
	v_mov_b32_e32 v4, 0
	v_mov_b32_e32 v5, v4
	scratch_store_dwordx2 off, v[4:5], off offset:264
	s_waitcnt vmcnt(1)
	ds_write_b64 v1, v[2:3]
.LBB116_265:
	s_or_b64 exec, exec, s[0:1]
	s_waitcnt lgkmcnt(0)
	; wave barrier
	scratch_load_dwordx4 v[4:7], off, off offset:272
	scratch_load_dwordx4 v[8:11], off, off offset:288
	;; [unrolled: 1-line block ×9, first 2 shown]
	scratch_load_dwordx2 v[76:77], off, off offset:416
	scratch_load_dwordx2 v[78:79], off, off offset:264
	v_mov_b32_e32 v2, 0
	ds_read_b128 v[40:43], v2 offset:704
	ds_read_b128 v[44:47], v2 offset:720
	;; [unrolled: 1-line block ×9, first 2 shown]
	ds_read_b64 v[80:81], v2 offset:848
	v_cmp_lt_u32_e32 vcc, 32, v0
	s_waitcnt vmcnt(10) lgkmcnt(9)
	v_mul_f32_e32 v87, v42, v7
	v_mul_f32_e32 v3, v40, v5
	;; [unrolled: 1-line block ×3, first 2 shown]
	v_fmac_f32_e32 v87, v43, v6
	s_waitcnt vmcnt(9) lgkmcnt(8)
	v_mul_f32_e32 v88, v44, v9
	s_waitcnt vmcnt(5)
	v_mov_b32_e32 v86, v27
	v_mul_f32_e32 v89, v46, v11
	s_waitcnt lgkmcnt(7)
	v_mul_f32_e32 v91, v50, v15
	v_mul_f32_e32 v7, v43, v7
	;; [unrolled: 1-line block ×5, first 2 shown]
	v_fmac_f32_e32 v3, v41, v4
	v_fma_f32 v40, v40, v4, -v5
	s_waitcnt lgkmcnt(4)
	v_pk_mul_f32 v[4:5], v[62:63], v[86:87] op_sel:[1,0] op_sel_hi:[0,0]
	v_fmac_f32_e32 v88, v45, v8
	v_fma_f32 v41, v42, v6, -v7
	v_fma_f32 v8, v44, v8, -v9
	;; [unrolled: 1-line block ×4, first 2 shown]
	v_add_f32_e32 v3, 0, v3
	v_add_f32_e32 v15, 0, v40
	v_pk_fma_f32 v[6:7], v[62:63], v[26:27], v[4:5] neg_lo:[0,0,1] neg_hi:[0,0,1]
	v_pk_fma_f32 v[4:5], v[62:63], v[26:27], v[4:5] op_sel_hi:[1,0,1]
	v_add_f32_e32 v3, v3, v87
	v_add_f32_e32 v4, v15, v41
	v_mul_f32_e32 v90, v48, v13
	v_mul_f32_e32 v13, v49, v13
	v_fmac_f32_e32 v89, v47, v10
	v_add_f32_e32 v3, v3, v88
	v_add_f32_e32 v4, v4, v8
	v_fmac_f32_e32 v90, v49, v12
	v_fma_f32 v10, v48, v12, -v13
	v_add_f32_e32 v3, v3, v89
	v_add_f32_e32 v4, v4, v9
	v_mul_f32_e32 v92, v52, v17
	v_mul_f32_e32 v17, v53, v17
	v_fmac_f32_e32 v91, v51, v14
	v_add_f32_e32 v3, v3, v90
	v_add_f32_e32 v4, v4, v10
	v_mul_f32_e32 v93, v54, v19
	v_mul_f32_e32 v19, v55, v19
	v_fmac_f32_e32 v92, v53, v16
	v_fma_f32 v12, v52, v16, -v17
	v_add_f32_e32 v3, v3, v91
	v_add_f32_e32 v4, v4, v11
	v_mul_f32_e32 v94, v56, v21
	v_mul_f32_e32 v21, v57, v21
	v_fmac_f32_e32 v93, v55, v18
	v_fma_f32 v13, v54, v18, -v19
	;; [unrolled: 6-line block ×4, first 2 shown]
	v_mov_b32_e32 v7, v5
	v_add_f32_e32 v5, v3, v94
	v_add_f32_e32 v4, v4, v14
	v_fmac_f32_e32 v85, v61, v24
	v_fma_f32 v84, v60, v24, -v25
	v_pk_add_f32 v[4:5], v[4:5], v[82:83]
	s_nop 0
	v_pk_add_f32 v[4:5], v[4:5], v[84:85]
	s_nop 0
	v_pk_add_f32 v[4:5], v[4:5], v[6:7]
	s_waitcnt vmcnt(4) lgkmcnt(3)
	v_pk_mul_f32 v[6:7], v[64:65], v[28:29] op_sel:[1,1] op_sel_hi:[0,1]
	v_pk_fma_f32 v[8:9], v[64:65], v[28:29], v[6:7] neg_lo:[0,0,1] neg_hi:[0,0,1]
	v_pk_fma_f32 v[6:7], v[64:65], v[28:29], v[6:7] op_sel_hi:[1,0,1]
	s_nop 0
	v_mov_b32_e32 v6, v31
	v_mov_b32_e32 v9, v7
	v_pk_mul_f32 v[6:7], v[66:67], v[6:7] op_sel:[1,0] op_sel_hi:[0,0]
	v_pk_add_f32 v[4:5], v[4:5], v[8:9]
	v_pk_fma_f32 v[8:9], v[66:67], v[30:31], v[6:7] neg_lo:[0,0,1] neg_hi:[0,0,1]
	v_pk_fma_f32 v[6:7], v[66:67], v[30:31], v[6:7] op_sel_hi:[1,0,1]
	s_nop 0
	v_mov_b32_e32 v9, v7
	s_waitcnt vmcnt(3) lgkmcnt(2)
	v_pk_mul_f32 v[6:7], v[68:69], v[32:33] op_sel:[1,1] op_sel_hi:[0,1]
	v_pk_add_f32 v[4:5], v[4:5], v[8:9]
	v_pk_fma_f32 v[8:9], v[68:69], v[32:33], v[6:7] neg_lo:[0,0,1] neg_hi:[0,0,1]
	v_pk_fma_f32 v[6:7], v[68:69], v[32:33], v[6:7] op_sel_hi:[1,0,1]
	s_nop 0
	v_mov_b32_e32 v6, v35
	v_mov_b32_e32 v9, v7
	v_pk_mul_f32 v[6:7], v[70:71], v[6:7] op_sel:[1,0] op_sel_hi:[0,0]
	v_pk_add_f32 v[4:5], v[4:5], v[8:9]
	v_pk_fma_f32 v[8:9], v[70:71], v[34:35], v[6:7] neg_lo:[0,0,1] neg_hi:[0,0,1]
	v_pk_fma_f32 v[6:7], v[70:71], v[34:35], v[6:7] op_sel_hi:[1,0,1]
	s_nop 0
	v_mov_b32_e32 v9, v7
	s_waitcnt vmcnt(2) lgkmcnt(1)
	v_pk_mul_f32 v[6:7], v[72:73], v[36:37] op_sel:[1,1] op_sel_hi:[0,1]
	v_pk_add_f32 v[4:5], v[4:5], v[8:9]
	;; [unrolled: 14-line block ×3, first 2 shown]
	v_pk_fma_f32 v[8:9], v[80:81], v[76:77], v[6:7] neg_lo:[0,0,1] neg_hi:[0,0,1]
	v_pk_fma_f32 v[6:7], v[80:81], v[76:77], v[6:7] op_sel_hi:[1,0,1]
	s_nop 0
	v_mov_b32_e32 v9, v7
	v_pk_add_f32 v[4:5], v[4:5], v[8:9]
	s_waitcnt vmcnt(0)
	v_pk_add_f32 v[4:5], v[78:79], v[4:5] neg_lo:[0,1] neg_hi:[0,1]
	scratch_store_dwordx2 off, v[4:5], off offset:264
	s_and_saveexec_b64 s[0:1], vcc
	s_cbranch_execz .LBB116_267
; %bb.266:
	scratch_load_dwordx2 v[4:5], off, off offset:256
	v_mov_b32_e32 v3, v2
	scratch_store_dwordx2 off, v[2:3], off offset:256
	s_waitcnt vmcnt(1)
	ds_write_b64 v1, v[4:5]
.LBB116_267:
	s_or_b64 exec, exec, s[0:1]
	s_waitcnt lgkmcnt(0)
	; wave barrier
	scratch_load_dwordx4 v[4:7], off, off offset:264
	scratch_load_dwordx4 v[8:11], off, off offset:280
	;; [unrolled: 1-line block ×7, first 2 shown]
	ds_read2_b64 v[32:35], v2 offset0:87 offset1:88
	ds_read2_b64 v[36:39], v2 offset0:89 offset1:90
	;; [unrolled: 1-line block ×6, first 2 shown]
	scratch_load_dwordx4 v[56:59], off, off offset:376
	scratch_load_dwordx4 v[60:63], off, off offset:392
	;; [unrolled: 1-line block ×3, first 2 shown]
	ds_read2_b64 v[68:71], v2 offset0:99 offset1:100
	ds_read2_b64 v[72:75], v2 offset0:101 offset1:102
	;; [unrolled: 1-line block ×4, first 2 shown]
	scratch_load_dwordx2 v[2:3], off, off offset:256
	v_cmp_lt_u32_e32 vcc, 31, v0
	s_waitcnt vmcnt(10) lgkmcnt(9)
	v_mul_f32_e32 v90, v32, v5
	v_mul_f32_e32 v5, v33, v5
	;; [unrolled: 1-line block ×3, first 2 shown]
	s_waitcnt vmcnt(9) lgkmcnt(8)
	v_mul_f32_e32 v92, v36, v9
	s_waitcnt vmcnt(8) lgkmcnt(7)
	v_mul_f32_e32 v95, v42, v15
	v_mul_f32_e32 v7, v35, v7
	;; [unrolled: 1-line block ×4, first 2 shown]
	v_fmac_f32_e32 v90, v33, v4
	v_fma_f32 v4, v32, v4, -v5
	v_fmac_f32_e32 v91, v35, v6
	v_fmac_f32_e32 v95, v43, v14
	v_fma_f32 v5, v34, v6, -v7
	v_fma_f32 v6, v36, v8, -v9
	;; [unrolled: 1-line block ×3, first 2 shown]
	v_add_f32_e32 v14, 0, v90
	v_add_f32_e32 v4, 0, v4
	v_mul_f32_e32 v93, v38, v11
	v_mul_f32_e32 v11, v39, v11
	v_fmac_f32_e32 v92, v37, v8
	v_add_f32_e32 v14, v14, v91
	v_add_f32_e32 v4, v4, v5
	v_mul_f32_e32 v94, v40, v13
	v_mul_f32_e32 v13, v41, v13
	v_fmac_f32_e32 v93, v39, v10
	v_fma_f32 v7, v38, v10, -v11
	v_add_f32_e32 v5, v14, v92
	v_add_f32_e32 v4, v4, v6
	v_fmac_f32_e32 v94, v41, v12
	v_fma_f32 v8, v40, v12, -v13
	v_add_f32_e32 v5, v5, v93
	v_add_f32_e32 v4, v4, v7
	s_waitcnt vmcnt(7) lgkmcnt(6)
	v_mul_f32_e32 v96, v44, v17
	v_mul_f32_e32 v17, v45, v17
	v_add_f32_e32 v5, v5, v94
	v_add_f32_e32 v4, v4, v8
	v_mul_f32_e32 v97, v46, v19
	v_mul_f32_e32 v19, v47, v19
	v_fmac_f32_e32 v96, v45, v16
	v_fma_f32 v10, v44, v16, -v17
	v_add_f32_e32 v5, v5, v95
	v_add_f32_e32 v4, v4, v9
	s_waitcnt vmcnt(6) lgkmcnt(5)
	v_mul_f32_e32 v98, v48, v21
	v_mul_f32_e32 v21, v49, v21
	v_fmac_f32_e32 v97, v47, v18
	v_fma_f32 v11, v46, v18, -v19
	v_add_f32_e32 v5, v5, v96
	v_add_f32_e32 v4, v4, v10
	v_mul_f32_e32 v99, v50, v23
	v_mul_f32_e32 v23, v51, v23
	v_fmac_f32_e32 v98, v49, v20
	v_fma_f32 v12, v48, v20, -v21
	v_add_f32_e32 v5, v5, v97
	v_add_f32_e32 v4, v4, v11
	s_waitcnt vmcnt(5) lgkmcnt(4)
	v_mul_f32_e32 v85, v52, v25
	v_mul_f32_e32 v25, v53, v25
	v_fmac_f32_e32 v99, v51, v22
	v_fma_f32 v13, v50, v22, -v23
	v_add_f32_e32 v5, v5, v98
	v_add_f32_e32 v4, v4, v12
	v_mul_f32_e32 v87, v54, v27
	v_mul_f32_e32 v27, v55, v27
	s_waitcnt vmcnt(4) lgkmcnt(3)
	v_pk_mul_f32 v[88:89], v[68:69], v[28:29] op_sel:[1,1] op_sel_hi:[0,1]
	v_fmac_f32_e32 v85, v53, v24
	v_fma_f32 v84, v52, v24, -v25
	v_add_f32_e32 v5, v5, v99
	v_add_f32_e32 v4, v4, v13
	v_fmac_f32_e32 v87, v55, v26
	v_fma_f32 v86, v54, v26, -v27
	v_pk_add_f32 v[4:5], v[4:5], v[84:85]
	v_pk_fma_f32 v[6:7], v[68:69], v[28:29], v[88:89] neg_lo:[0,0,1] neg_hi:[0,0,1]
	v_pk_fma_f32 v[8:9], v[68:69], v[28:29], v[88:89] op_sel_hi:[1,0,1]
	v_pk_add_f32 v[4:5], v[4:5], v[86:87]
	v_mov_b32_e32 v7, v9
	v_pk_add_f32 v[4:5], v[4:5], v[6:7]
	v_mov_b32_e32 v6, v31
	v_pk_mul_f32 v[6:7], v[70:71], v[6:7] op_sel:[1,0] op_sel_hi:[0,0]
	v_pk_fma_f32 v[8:9], v[70:71], v[30:31], v[6:7] neg_lo:[0,0,1] neg_hi:[0,0,1]
	v_pk_fma_f32 v[6:7], v[70:71], v[30:31], v[6:7] op_sel_hi:[1,0,1]
	s_nop 0
	v_mov_b32_e32 v9, v7
	s_waitcnt vmcnt(3) lgkmcnt(2)
	v_pk_mul_f32 v[6:7], v[72:73], v[56:57] op_sel:[1,1] op_sel_hi:[0,1]
	v_pk_add_f32 v[4:5], v[4:5], v[8:9]
	v_pk_fma_f32 v[8:9], v[72:73], v[56:57], v[6:7] neg_lo:[0,0,1] neg_hi:[0,0,1]
	v_pk_fma_f32 v[6:7], v[72:73], v[56:57], v[6:7] op_sel_hi:[1,0,1]
	s_nop 0
	v_mov_b32_e32 v6, v59
	v_mov_b32_e32 v9, v7
	v_pk_mul_f32 v[6:7], v[74:75], v[6:7] op_sel:[1,0] op_sel_hi:[0,0]
	v_pk_add_f32 v[4:5], v[4:5], v[8:9]
	v_pk_fma_f32 v[8:9], v[74:75], v[58:59], v[6:7] neg_lo:[0,0,1] neg_hi:[0,0,1]
	v_pk_fma_f32 v[6:7], v[74:75], v[58:59], v[6:7] op_sel_hi:[1,0,1]
	s_nop 0
	v_mov_b32_e32 v9, v7
	s_waitcnt vmcnt(2) lgkmcnt(1)
	v_pk_mul_f32 v[6:7], v[76:77], v[60:61] op_sel:[1,1] op_sel_hi:[0,1]
	v_pk_add_f32 v[4:5], v[4:5], v[8:9]
	v_pk_fma_f32 v[8:9], v[76:77], v[60:61], v[6:7] neg_lo:[0,0,1] neg_hi:[0,0,1]
	v_pk_fma_f32 v[6:7], v[76:77], v[60:61], v[6:7] op_sel_hi:[1,0,1]
	s_nop 0
	v_mov_b32_e32 v6, v63
	v_mov_b32_e32 v9, v7
	v_pk_mul_f32 v[6:7], v[78:79], v[6:7] op_sel:[1,0] op_sel_hi:[0,0]
	v_pk_add_f32 v[4:5], v[4:5], v[8:9]
	v_pk_fma_f32 v[8:9], v[78:79], v[62:63], v[6:7] neg_lo:[0,0,1] neg_hi:[0,0,1]
	v_pk_fma_f32 v[6:7], v[78:79], v[62:63], v[6:7] op_sel_hi:[1,0,1]
	s_nop 0
	v_mov_b32_e32 v9, v7
	s_waitcnt vmcnt(1) lgkmcnt(0)
	v_pk_mul_f32 v[6:7], v[80:81], v[64:65] op_sel:[1,1] op_sel_hi:[0,1]
	v_pk_add_f32 v[4:5], v[4:5], v[8:9]
	v_pk_fma_f32 v[8:9], v[80:81], v[64:65], v[6:7] neg_lo:[0,0,1] neg_hi:[0,0,1]
	v_pk_fma_f32 v[6:7], v[80:81], v[64:65], v[6:7] op_sel_hi:[1,0,1]
	s_nop 0
	v_mov_b32_e32 v6, v67
	v_mov_b32_e32 v9, v7
	v_pk_mul_f32 v[6:7], v[82:83], v[6:7] op_sel:[1,0] op_sel_hi:[0,0]
	v_pk_add_f32 v[4:5], v[4:5], v[8:9]
	v_pk_fma_f32 v[8:9], v[82:83], v[66:67], v[6:7] neg_lo:[0,0,1] neg_hi:[0,0,1]
	v_pk_fma_f32 v[6:7], v[82:83], v[66:67], v[6:7] op_sel_hi:[1,0,1]
	s_nop 0
	v_mov_b32_e32 v9, v7
	v_pk_add_f32 v[4:5], v[4:5], v[8:9]
	s_waitcnt vmcnt(0)
	v_pk_add_f32 v[2:3], v[2:3], v[4:5] neg_lo:[0,1] neg_hi:[0,1]
	scratch_store_dwordx2 off, v[2:3], off offset:256
	s_and_saveexec_b64 s[0:1], vcc
	s_cbranch_execz .LBB116_269
; %bb.268:
	scratch_load_dwordx2 v[2:3], off, off offset:248
	v_mov_b32_e32 v4, 0
	v_mov_b32_e32 v5, v4
	scratch_store_dwordx2 off, v[4:5], off offset:248
	s_waitcnt vmcnt(1)
	ds_write_b64 v1, v[2:3]
.LBB116_269:
	s_or_b64 exec, exec, s[0:1]
	s_waitcnt lgkmcnt(0)
	; wave barrier
	scratch_load_dwordx4 v[2:5], off, off offset:256
	scratch_load_dwordx4 v[6:9], off, off offset:272
	;; [unrolled: 1-line block ×10, first 2 shown]
	scratch_load_dwordx2 v[76:77], off, off offset:416
	scratch_load_dwordx2 v[78:79], off, off offset:248
	v_mov_b32_e32 v10, 0
	ds_read_b128 v[44:47], v10 offset:688
	ds_read_b128 v[48:51], v10 offset:704
	;; [unrolled: 1-line block ×8, first 2 shown]
	v_cmp_lt_u32_e32 vcc, 30, v0
	s_waitcnt vmcnt(11) lgkmcnt(7)
	v_mul_f32_e32 v11, v44, v3
	v_mul_f32_e32 v3, v45, v3
	;; [unrolled: 1-line block ×4, first 2 shown]
	v_fmac_f32_e32 v11, v45, v2
	v_fma_f32 v2, v44, v2, -v3
	s_waitcnt vmcnt(10) lgkmcnt(6)
	v_mul_f32_e32 v82, v48, v7
	v_mul_f32_e32 v7, v49, v7
	v_fma_f32 v3, v46, v4, -v5
	v_add_f32_e32 v2, 0, v2
	v_mul_f32_e32 v84, v50, v9
	v_mul_f32_e32 v9, v51, v9
	v_fmac_f32_e32 v80, v47, v4
	v_fma_f32 v4, v48, v6, -v7
	v_add_f32_e32 v11, 0, v11
	v_add_f32_e32 v2, v2, v3
	s_waitcnt vmcnt(9) lgkmcnt(5)
	v_mul_f32_e32 v85, v52, v13
	v_mul_f32_e32 v13, v53, v13
	v_fmac_f32_e32 v82, v49, v6
	v_fma_f32 v5, v50, v8, -v9
	v_add_f32_e32 v11, v11, v80
	v_add_f32_e32 v2, v2, v4
	v_mul_f32_e32 v86, v54, v15
	v_mul_f32_e32 v15, v55, v15
	v_fmac_f32_e32 v84, v51, v8
	v_fma_f32 v6, v52, v12, -v13
	v_add_f32_e32 v3, v11, v82
	v_add_f32_e32 v2, v2, v5
	s_waitcnt vmcnt(8) lgkmcnt(4)
	v_mul_f32_e32 v87, v56, v17
	v_mul_f32_e32 v17, v57, v17
	v_fmac_f32_e32 v85, v53, v12
	v_fma_f32 v7, v54, v14, -v15
	v_add_f32_e32 v3, v3, v84
	v_add_f32_e32 v2, v2, v6
	v_mul_f32_e32 v88, v58, v19
	v_mul_f32_e32 v19, v59, v19
	v_fmac_f32_e32 v86, v55, v14
	v_fma_f32 v8, v56, v16, -v17
	v_add_f32_e32 v3, v3, v85
	v_add_f32_e32 v2, v2, v7
	s_waitcnt vmcnt(7) lgkmcnt(3)
	v_mul_f32_e32 v89, v60, v21
	v_mul_f32_e32 v21, v61, v21
	v_fmac_f32_e32 v87, v57, v16
	v_fma_f32 v9, v58, v18, -v19
	v_add_f32_e32 v3, v3, v86
	v_add_f32_e32 v2, v2, v8
	v_mul_f32_e32 v90, v62, v23
	v_mul_f32_e32 v23, v63, v23
	v_fmac_f32_e32 v88, v59, v18
	v_fma_f32 v12, v60, v20, -v21
	v_add_f32_e32 v3, v3, v87
	v_add_f32_e32 v2, v2, v9
	s_waitcnt vmcnt(6) lgkmcnt(2)
	v_mul_f32_e32 v91, v64, v25
	v_mul_f32_e32 v25, v65, v25
	v_fmac_f32_e32 v89, v61, v20
	v_fma_f32 v13, v62, v22, -v23
	v_add_f32_e32 v3, v3, v88
	v_add_f32_e32 v2, v2, v12
	v_fmac_f32_e32 v90, v63, v22
	v_fma_f32 v14, v64, v24, -v25
	v_add_f32_e32 v3, v3, v89
	v_add_f32_e32 v2, v2, v13
	v_mul_f32_e32 v81, v66, v27
	v_fmac_f32_e32 v91, v65, v24
	v_add_f32_e32 v3, v3, v90
	v_add_f32_e32 v12, v2, v14
	v_mul_f32_e32 v2, v67, v27
	s_waitcnt vmcnt(5)
	v_mov_b32_e32 v16, v31
	s_waitcnt lgkmcnt(1)
	v_mul_f32_e32 v83, v68, v29
	v_fmac_f32_e32 v81, v67, v26
	v_add_f32_e32 v13, v3, v91
	v_fma_f32 v80, v66, v26, -v2
	v_mul_f32_e32 v2, v69, v29
	v_pk_mul_f32 v[16:17], v[70:71], v[16:17] op_sel:[1,0] op_sel_hi:[0,0]
	v_fmac_f32_e32 v83, v69, v28
	v_fma_f32 v82, v68, v28, -v2
	v_pk_add_f32 v[12:13], v[12:13], v[80:81]
	v_pk_fma_f32 v[18:19], v[70:71], v[30:31], v[16:17] neg_lo:[0,0,1] neg_hi:[0,0,1]
	v_pk_fma_f32 v[16:17], v[70:71], v[30:31], v[16:17] op_sel_hi:[1,0,1]
	v_pk_add_f32 v[12:13], v[12:13], v[82:83]
	v_mov_b32_e32 v19, v17
	s_waitcnt vmcnt(4) lgkmcnt(0)
	v_pk_mul_f32 v[16:17], v[72:73], v[32:33] op_sel:[1,1] op_sel_hi:[0,1]
	v_pk_add_f32 v[12:13], v[12:13], v[18:19]
	v_pk_fma_f32 v[18:19], v[72:73], v[32:33], v[16:17] neg_lo:[0,0,1] neg_hi:[0,0,1]
	v_pk_fma_f32 v[16:17], v[72:73], v[32:33], v[16:17] op_sel_hi:[1,0,1]
	ds_read_b128 v[2:5], v10 offset:816
	ds_read_b128 v[6:9], v10 offset:832
	ds_read_b64 v[14:15], v10 offset:848
	v_mov_b32_e32 v16, v35
	v_mov_b32_e32 v19, v17
	v_pk_mul_f32 v[16:17], v[74:75], v[16:17] op_sel:[1,0] op_sel_hi:[0,0]
	v_pk_add_f32 v[12:13], v[12:13], v[18:19]
	v_pk_fma_f32 v[18:19], v[74:75], v[34:35], v[16:17] neg_lo:[0,0,1] neg_hi:[0,0,1]
	v_pk_fma_f32 v[16:17], v[74:75], v[34:35], v[16:17] op_sel_hi:[1,0,1]
	s_nop 0
	v_mov_b32_e32 v19, v17
	s_waitcnt vmcnt(3) lgkmcnt(2)
	v_pk_mul_f32 v[16:17], v[2:3], v[36:37] op_sel:[1,1] op_sel_hi:[0,1]
	v_pk_add_f32 v[12:13], v[12:13], v[18:19]
	v_pk_fma_f32 v[18:19], v[2:3], v[36:37], v[16:17] neg_lo:[0,0,1] neg_hi:[0,0,1]
	v_pk_fma_f32 v[2:3], v[2:3], v[36:37], v[16:17] op_sel_hi:[1,0,1]
	s_nop 0
	v_mov_b32_e32 v19, v3
	v_pk_add_f32 v[2:3], v[12:13], v[18:19]
	v_mov_b32_e32 v12, v39
	v_pk_mul_f32 v[12:13], v[4:5], v[12:13] op_sel:[1,0] op_sel_hi:[0,0]
	v_pk_fma_f32 v[16:17], v[4:5], v[38:39], v[12:13] neg_lo:[0,0,1] neg_hi:[0,0,1]
	v_pk_fma_f32 v[4:5], v[4:5], v[38:39], v[12:13] op_sel_hi:[1,0,1]
	s_nop 0
	v_mov_b32_e32 v17, v5
	s_waitcnt vmcnt(2) lgkmcnt(1)
	v_pk_mul_f32 v[4:5], v[6:7], v[40:41] op_sel:[1,1] op_sel_hi:[0,1]
	v_pk_fma_f32 v[12:13], v[6:7], v[40:41], v[4:5] neg_lo:[0,0,1] neg_hi:[0,0,1]
	v_pk_fma_f32 v[4:5], v[6:7], v[40:41], v[4:5] op_sel_hi:[1,0,1]
	v_pk_add_f32 v[2:3], v[2:3], v[16:17]
	v_mov_b32_e32 v4, v43
	v_mov_b32_e32 v13, v5
	v_pk_mul_f32 v[4:5], v[8:9], v[4:5] op_sel:[1,0] op_sel_hi:[0,0]
	v_pk_fma_f32 v[6:7], v[8:9], v[42:43], v[4:5] neg_lo:[0,0,1] neg_hi:[0,0,1]
	v_pk_fma_f32 v[4:5], v[8:9], v[42:43], v[4:5] op_sel_hi:[1,0,1]
	v_pk_add_f32 v[2:3], v[2:3], v[12:13]
	v_mov_b32_e32 v7, v5
	s_waitcnt vmcnt(1) lgkmcnt(0)
	v_pk_mul_f32 v[4:5], v[14:15], v[76:77] op_sel:[1,1] op_sel_hi:[0,1]
	v_pk_add_f32 v[2:3], v[2:3], v[6:7]
	v_pk_fma_f32 v[6:7], v[14:15], v[76:77], v[4:5] neg_lo:[0,0,1] neg_hi:[0,0,1]
	v_pk_fma_f32 v[4:5], v[14:15], v[76:77], v[4:5] op_sel_hi:[1,0,1]
	s_nop 0
	v_mov_b32_e32 v7, v5
	v_pk_add_f32 v[2:3], v[2:3], v[6:7]
	s_waitcnt vmcnt(0)
	v_pk_add_f32 v[2:3], v[78:79], v[2:3] neg_lo:[0,1] neg_hi:[0,1]
	scratch_store_dwordx2 off, v[2:3], off offset:248
	s_and_saveexec_b64 s[0:1], vcc
	s_cbranch_execz .LBB116_271
; %bb.270:
	scratch_load_dwordx2 v[2:3], off, off offset:240
	v_mov_b32_e32 v11, v10
	scratch_store_dwordx2 off, v[10:11], off offset:240
	s_waitcnt vmcnt(1)
	ds_write_b64 v1, v[2:3]
.LBB116_271:
	s_or_b64 exec, exec, s[0:1]
	s_waitcnt lgkmcnt(0)
	; wave barrier
	scratch_load_dwordx4 v[6:9], off, off offset:248
	scratch_load_dwordx4 v[12:15], off, off offset:264
	scratch_load_dwordx4 v[16:19], off, off offset:280
	scratch_load_dwordx4 v[20:23], off, off offset:296
	scratch_load_dwordx4 v[24:27], off, off offset:312
	scratch_load_dwordx4 v[28:31], off, off offset:328
	scratch_load_dwordx4 v[32:35], off, off offset:344
	ds_read2_b64 v[36:39], v10 offset0:85 offset1:86
	ds_read2_b64 v[40:43], v10 offset0:87 offset1:88
	;; [unrolled: 1-line block ×6, first 2 shown]
	scratch_load_dwordx4 v[60:63], off, off offset:360
	scratch_load_dwordx4 v[64:67], off, off offset:376
	;; [unrolled: 1-line block ×4, first 2 shown]
	ds_read2_b64 v[72:75], v10 offset0:97 offset1:98
	ds_read2_b64 v[76:79], v10 offset0:99 offset1:100
	scratch_load_dwordx2 v[80:81], off, off offset:240
	v_cmp_lt_u32_e32 vcc, 29, v0
	s_waitcnt vmcnt(11) lgkmcnt(7)
	v_mul_f32_e32 v11, v36, v7
	v_mul_f32_e32 v82, v38, v9
	;; [unrolled: 1-line block ×3, first 2 shown]
	v_fmac_f32_e32 v11, v37, v6
	s_waitcnt vmcnt(10) lgkmcnt(6)
	v_mul_f32_e32 v84, v40, v13
	v_mul_f32_e32 v9, v39, v9
	v_fmac_f32_e32 v82, v39, v8
	v_fma_f32 v6, v36, v6, -v7
	v_add_f32_e32 v11, 0, v11
	v_mul_f32_e32 v86, v42, v15
	v_fmac_f32_e32 v84, v41, v12
	v_fma_f32 v7, v38, v8, -v9
	v_add_f32_e32 v6, 0, v6
	v_add_f32_e32 v11, v11, v82
	s_waitcnt vmcnt(9) lgkmcnt(5)
	v_mul_f32_e32 v87, v44, v17
	v_mul_f32_e32 v13, v41, v13
	v_fmac_f32_e32 v86, v43, v14
	v_add_f32_e32 v6, v6, v7
	v_add_f32_e32 v7, v11, v84
	v_mul_f32_e32 v88, v46, v19
	v_mul_f32_e32 v15, v43, v15
	v_fmac_f32_e32 v87, v45, v16
	v_fma_f32 v8, v40, v12, -v13
	v_add_f32_e32 v7, v7, v86
	s_waitcnt vmcnt(8) lgkmcnt(4)
	v_mul_f32_e32 v89, v48, v21
	v_mul_f32_e32 v17, v45, v17
	v_fmac_f32_e32 v88, v47, v18
	v_fma_f32 v9, v42, v14, -v15
	v_add_f32_e32 v6, v6, v8
	v_add_f32_e32 v7, v7, v87
	v_mul_f32_e32 v90, v50, v23
	v_mul_f32_e32 v19, v47, v19
	v_fmac_f32_e32 v89, v49, v20
	v_fma_f32 v12, v44, v16, -v17
	v_add_f32_e32 v6, v6, v9
	v_add_f32_e32 v7, v7, v88
	s_waitcnt vmcnt(7) lgkmcnt(3)
	v_mul_f32_e32 v91, v52, v25
	v_mul_f32_e32 v21, v49, v21
	v_fmac_f32_e32 v90, v51, v22
	v_fma_f32 v13, v46, v18, -v19
	v_add_f32_e32 v6, v6, v12
	v_add_f32_e32 v7, v7, v89
	v_mul_f32_e32 v92, v54, v27
	v_mul_f32_e32 v23, v51, v23
	v_fmac_f32_e32 v91, v53, v24
	v_fma_f32 v14, v48, v20, -v21
	v_add_f32_e32 v6, v6, v13
	v_add_f32_e32 v7, v7, v90
	s_waitcnt vmcnt(6) lgkmcnt(2)
	v_mul_f32_e32 v93, v56, v29
	v_mul_f32_e32 v25, v53, v25
	v_fmac_f32_e32 v92, v55, v26
	v_fma_f32 v15, v50, v22, -v23
	v_add_f32_e32 v6, v6, v14
	v_add_f32_e32 v7, v7, v91
	v_mul_f32_e32 v94, v58, v31
	v_mul_f32_e32 v27, v55, v27
	v_fmac_f32_e32 v93, v57, v28
	v_fma_f32 v16, v52, v24, -v25
	v_add_f32_e32 v6, v6, v15
	v_add_f32_e32 v7, v7, v92
	v_mul_f32_e32 v29, v57, v29
	v_fmac_f32_e32 v94, v59, v30
	v_fma_f32 v17, v54, v26, -v27
	v_add_f32_e32 v6, v6, v16
	v_add_f32_e32 v7, v7, v93
	v_fma_f32 v18, v56, v28, -v29
	v_add_f32_e32 v6, v6, v17
	v_add_f32_e32 v21, v7, v94
	v_mul_f32_e32 v7, v59, v31
	v_add_f32_e32 v6, v6, v18
	v_fma_f32 v7, v58, v30, -v7
	s_waitcnt vmcnt(5) lgkmcnt(1)
	v_mul_f32_e32 v83, v72, v33
	v_add_f32_e32 v20, v6, v7
	v_mul_f32_e32 v6, v73, v33
	v_fmac_f32_e32 v83, v73, v32
	v_fma_f32 v82, v72, v32, -v6
	v_mul_f32_e32 v6, v75, v35
	v_fma_f32 v84, v74, v34, -v6
	ds_read2_b64 v[6:9], v10 offset0:101 offset1:102
	ds_read2_b64 v[12:15], v10 offset0:103 offset1:104
	;; [unrolled: 1-line block ×3, first 2 shown]
	v_pk_add_f32 v[10:11], v[20:21], v[82:83]
	s_waitcnt vmcnt(4) lgkmcnt(3)
	v_pk_mul_f32 v[20:21], v[76:77], v[60:61] op_sel:[1,1] op_sel_hi:[0,1]
	v_mul_f32_e32 v85, v74, v35
	v_pk_fma_f32 v[22:23], v[76:77], v[60:61], v[20:21] neg_lo:[0,0,1] neg_hi:[0,0,1]
	v_pk_fma_f32 v[20:21], v[76:77], v[60:61], v[20:21] op_sel_hi:[1,0,1]
	v_fmac_f32_e32 v85, v75, v34
	v_mov_b32_e32 v20, v63
	v_pk_add_f32 v[10:11], v[10:11], v[84:85]
	v_mov_b32_e32 v23, v21
	v_pk_mul_f32 v[20:21], v[78:79], v[20:21] op_sel:[1,0] op_sel_hi:[0,0]
	v_pk_add_f32 v[10:11], v[10:11], v[22:23]
	v_pk_fma_f32 v[22:23], v[78:79], v[62:63], v[20:21] neg_lo:[0,0,1] neg_hi:[0,0,1]
	v_pk_fma_f32 v[20:21], v[78:79], v[62:63], v[20:21] op_sel_hi:[1,0,1]
	s_nop 0
	v_mov_b32_e32 v23, v21
	s_waitcnt vmcnt(3) lgkmcnt(2)
	v_pk_mul_f32 v[20:21], v[6:7], v[64:65] op_sel:[1,1] op_sel_hi:[0,1]
	v_pk_add_f32 v[10:11], v[10:11], v[22:23]
	v_pk_fma_f32 v[22:23], v[6:7], v[64:65], v[20:21] neg_lo:[0,0,1] neg_hi:[0,0,1]
	v_pk_fma_f32 v[6:7], v[6:7], v[64:65], v[20:21] op_sel_hi:[1,0,1]
	s_nop 0
	v_mov_b32_e32 v23, v7
	v_pk_add_f32 v[6:7], v[10:11], v[22:23]
	v_mov_b32_e32 v10, v67
	v_pk_mul_f32 v[10:11], v[8:9], v[10:11] op_sel:[1,0] op_sel_hi:[0,0]
	v_pk_fma_f32 v[20:21], v[8:9], v[66:67], v[10:11] neg_lo:[0,0,1] neg_hi:[0,0,1]
	v_pk_fma_f32 v[8:9], v[8:9], v[66:67], v[10:11] op_sel_hi:[1,0,1]
	s_nop 0
	v_mov_b32_e32 v21, v9
	s_waitcnt vmcnt(2) lgkmcnt(1)
	v_pk_mul_f32 v[8:9], v[12:13], v[68:69] op_sel:[1,1] op_sel_hi:[0,1]
	v_pk_fma_f32 v[10:11], v[12:13], v[68:69], v[8:9] neg_lo:[0,0,1] neg_hi:[0,0,1]
	v_pk_fma_f32 v[8:9], v[12:13], v[68:69], v[8:9] op_sel_hi:[1,0,1]
	v_pk_add_f32 v[6:7], v[6:7], v[20:21]
	v_mov_b32_e32 v8, v71
	v_mov_b32_e32 v11, v9
	v_pk_mul_f32 v[8:9], v[14:15], v[8:9] op_sel:[1,0] op_sel_hi:[0,0]
	v_pk_add_f32 v[6:7], v[6:7], v[10:11]
	v_pk_fma_f32 v[10:11], v[14:15], v[70:71], v[8:9] neg_lo:[0,0,1] neg_hi:[0,0,1]
	v_pk_fma_f32 v[8:9], v[14:15], v[70:71], v[8:9] op_sel_hi:[1,0,1]
	s_nop 0
	v_mov_b32_e32 v11, v9
	s_waitcnt vmcnt(1) lgkmcnt(0)
	v_pk_mul_f32 v[8:9], v[16:17], v[2:3] op_sel:[1,1] op_sel_hi:[0,1]
	v_pk_add_f32 v[6:7], v[6:7], v[10:11]
	v_pk_fma_f32 v[10:11], v[16:17], v[2:3], v[8:9] neg_lo:[0,0,1] neg_hi:[0,0,1]
	v_pk_fma_f32 v[2:3], v[16:17], v[2:3], v[8:9] op_sel_hi:[1,0,1]
	s_nop 0
	v_mov_b32_e32 v11, v3
	v_pk_add_f32 v[2:3], v[6:7], v[10:11]
	v_mov_b32_e32 v6, v5
	v_pk_mul_f32 v[6:7], v[18:19], v[6:7] op_sel:[1,0] op_sel_hi:[0,0]
	v_pk_fma_f32 v[8:9], v[18:19], v[4:5], v[6:7] neg_lo:[0,0,1] neg_hi:[0,0,1]
	v_pk_fma_f32 v[4:5], v[18:19], v[4:5], v[6:7] op_sel_hi:[1,0,1]
	s_nop 0
	v_mov_b32_e32 v9, v5
	v_pk_add_f32 v[2:3], v[2:3], v[8:9]
	s_waitcnt vmcnt(0)
	v_pk_add_f32 v[2:3], v[80:81], v[2:3] neg_lo:[0,1] neg_hi:[0,1]
	scratch_store_dwordx2 off, v[2:3], off offset:240
	s_and_saveexec_b64 s[0:1], vcc
	s_cbranch_execz .LBB116_273
; %bb.272:
	scratch_load_dwordx2 v[2:3], off, off offset:232
	v_mov_b32_e32 v4, 0
	v_mov_b32_e32 v5, v4
	scratch_store_dwordx2 off, v[4:5], off offset:232
	s_waitcnt vmcnt(1)
	ds_write_b64 v1, v[2:3]
.LBB116_273:
	s_or_b64 exec, exec, s[0:1]
	s_waitcnt lgkmcnt(0)
	; wave barrier
	scratch_load_dwordx4 v[6:9], off, off offset:240
	scratch_load_dwordx4 v[14:17], off, off offset:256
	;; [unrolled: 1-line block ×11, first 2 shown]
	scratch_load_dwordx2 v[22:23], off, off offset:416
	scratch_load_dwordx2 v[36:37], off, off offset:232
	v_mov_b32_e32 v38, 0
	ds_read_b128 v[52:55], v38 offset:672
	ds_read_b128 v[56:59], v38 offset:688
	ds_read_b128 v[60:63], v38 offset:704
	ds_read_b128 v[64:67], v38 offset:720
	ds_read_b128 v[68:71], v38 offset:736
	ds_read_b128 v[72:75], v38 offset:752
	ds_read_b128 v[76:79], v38 offset:768
	ds_read_b128 v[80:83], v38 offset:784
	v_cmp_lt_u32_e32 vcc, 28, v0
	s_waitcnt vmcnt(12) lgkmcnt(7)
	v_mul_f32_e32 v39, v52, v7
	v_mul_f32_e32 v84, v54, v9
	;; [unrolled: 1-line block ×3, first 2 shown]
	v_fmac_f32_e32 v39, v53, v6
	s_waitcnt vmcnt(8) lgkmcnt(3)
	v_mul_f32_e32 v93, v68, v19
	v_mul_f32_e32 v19, v69, v19
	;; [unrolled: 1-line block ×4, first 2 shown]
	v_fmac_f32_e32 v84, v55, v8
	v_fmac_f32_e32 v93, v69, v18
	v_fma_f32 v6, v52, v6, -v7
	v_fma_f32 v18, v68, v18, -v19
	v_add_f32_e32 v19, 0, v39
	v_mul_f32_e32 v88, v58, v17
	v_fmac_f32_e32 v86, v57, v14
	v_fma_f32 v7, v54, v8, -v9
	v_add_f32_e32 v6, 0, v6
	v_add_f32_e32 v19, v19, v84
	v_mul_f32_e32 v89, v60, v25
	v_fmac_f32_e32 v88, v59, v16
	v_add_f32_e32 v6, v6, v7
	v_add_f32_e32 v7, v19, v86
	v_mul_f32_e32 v90, v62, v27
	v_fmac_f32_e32 v89, v61, v24
	v_add_f32_e32 v7, v7, v88
	v_mul_f32_e32 v91, v64, v29
	v_mul_f32_e32 v15, v57, v15
	v_fmac_f32_e32 v90, v63, v26
	v_add_f32_e32 v7, v7, v89
	v_mul_f32_e32 v92, v66, v31
	v_mul_f32_e32 v17, v59, v17
	v_fmac_f32_e32 v91, v65, v28
	v_fma_f32 v8, v56, v14, -v15
	v_add_f32_e32 v7, v7, v90
	v_mul_f32_e32 v25, v61, v25
	v_fmac_f32_e32 v92, v67, v30
	v_fma_f32 v9, v58, v16, -v17
	v_add_f32_e32 v6, v6, v8
	v_add_f32_e32 v7, v7, v91
	v_mul_f32_e32 v94, v70, v21
	v_mul_f32_e32 v27, v63, v27
	v_fma_f32 v14, v60, v24, -v25
	v_add_f32_e32 v6, v6, v9
	v_add_f32_e32 v7, v7, v92
	s_waitcnt vmcnt(7) lgkmcnt(2)
	v_mul_f32_e32 v95, v72, v33
	v_mul_f32_e32 v29, v65, v29
	v_fmac_f32_e32 v94, v71, v20
	v_fma_f32 v15, v62, v26, -v27
	v_add_f32_e32 v6, v6, v14
	v_add_f32_e32 v7, v7, v93
	v_mul_f32_e32 v96, v74, v35
	v_mul_f32_e32 v31, v67, v31
	v_fmac_f32_e32 v95, v73, v32
	v_fma_f32 v16, v64, v28, -v29
	v_add_f32_e32 v6, v6, v15
	v_add_f32_e32 v7, v7, v94
	s_waitcnt vmcnt(6) lgkmcnt(1)
	v_mul_f32_e32 v97, v76, v41
	v_fmac_f32_e32 v96, v75, v34
	v_fma_f32 v17, v66, v30, -v31
	v_add_f32_e32 v6, v6, v16
	v_add_f32_e32 v7, v7, v95
	v_mul_f32_e32 v21, v71, v21
	v_fmac_f32_e32 v97, v77, v40
	v_add_f32_e32 v6, v6, v17
	v_add_f32_e32 v7, v7, v96
	;; [unrolled: 1-line block ×4, first 2 shown]
	v_fma_f32 v7, v70, v20, -v21
	v_add_f32_e32 v6, v6, v7
	v_mul_f32_e32 v7, v73, v33
	v_fma_f32 v7, v72, v32, -v7
	v_add_f32_e32 v6, v6, v7
	v_mul_f32_e32 v7, v75, v35
	;; [unrolled: 3-line block ×4, first 2 shown]
	v_mul_f32_e32 v85, v78, v43
	v_fma_f32 v84, v78, v42, -v6
	s_waitcnt vmcnt(5) lgkmcnt(0)
	v_mul_f32_e32 v6, v81, v45
	v_mov_b32_e32 v28, v47
	v_mul_f32_e32 v87, v80, v45
	v_fmac_f32_e32 v85, v79, v42
	v_fma_f32 v86, v80, v44, -v6
	ds_read_b128 v[6:9], v38 offset:800
	ds_read_b128 v[14:17], v38 offset:816
	ds_read_b128 v[18:21], v38 offset:832
	ds_read_b64 v[26:27], v38 offset:848
	v_pk_mul_f32 v[28:29], v[82:83], v[28:29] op_sel:[1,0] op_sel_hi:[0,0]
	v_fmac_f32_e32 v87, v81, v44
	v_pk_add_f32 v[24:25], v[24:25], v[84:85]
	v_pk_fma_f32 v[30:31], v[82:83], v[46:47], v[28:29] neg_lo:[0,0,1] neg_hi:[0,0,1]
	v_pk_fma_f32 v[28:29], v[82:83], v[46:47], v[28:29] op_sel_hi:[1,0,1]
	v_pk_add_f32 v[24:25], v[24:25], v[86:87]
	v_mov_b32_e32 v31, v29
	s_waitcnt vmcnt(4) lgkmcnt(3)
	v_pk_mul_f32 v[28:29], v[6:7], v[48:49] op_sel:[1,1] op_sel_hi:[0,1]
	v_pk_add_f32 v[24:25], v[24:25], v[30:31]
	v_pk_fma_f32 v[30:31], v[6:7], v[48:49], v[28:29] neg_lo:[0,0,1] neg_hi:[0,0,1]
	v_pk_fma_f32 v[6:7], v[6:7], v[48:49], v[28:29] op_sel_hi:[1,0,1]
	s_nop 0
	v_mov_b32_e32 v31, v7
	v_pk_add_f32 v[6:7], v[24:25], v[30:31]
	v_mov_b32_e32 v24, v51
	v_pk_mul_f32 v[24:25], v[8:9], v[24:25] op_sel:[1,0] op_sel_hi:[0,0]
	v_pk_fma_f32 v[28:29], v[8:9], v[50:51], v[24:25] neg_lo:[0,0,1] neg_hi:[0,0,1]
	v_pk_fma_f32 v[8:9], v[8:9], v[50:51], v[24:25] op_sel_hi:[1,0,1]
	s_nop 0
	v_mov_b32_e32 v29, v9
	s_waitcnt vmcnt(3) lgkmcnt(2)
	v_pk_mul_f32 v[8:9], v[14:15], v[10:11] op_sel:[1,1] op_sel_hi:[0,1]
	v_pk_fma_f32 v[24:25], v[14:15], v[10:11], v[8:9] neg_lo:[0,0,1] neg_hi:[0,0,1]
	v_pk_fma_f32 v[8:9], v[14:15], v[10:11], v[8:9] op_sel_hi:[1,0,1]
	v_pk_add_f32 v[6:7], v[6:7], v[28:29]
	v_mov_b32_e32 v8, v13
	v_mov_b32_e32 v25, v9
	v_pk_mul_f32 v[8:9], v[16:17], v[8:9] op_sel:[1,0] op_sel_hi:[0,0]
	v_pk_fma_f32 v[10:11], v[16:17], v[12:13], v[8:9] neg_lo:[0,0,1] neg_hi:[0,0,1]
	v_pk_fma_f32 v[8:9], v[16:17], v[12:13], v[8:9] op_sel_hi:[1,0,1]
	v_pk_add_f32 v[6:7], v[6:7], v[24:25]
	v_mov_b32_e32 v11, v9
	s_waitcnt vmcnt(2) lgkmcnt(1)
	v_pk_mul_f32 v[8:9], v[18:19], v[2:3] op_sel:[1,1] op_sel_hi:[0,1]
	v_pk_add_f32 v[6:7], v[6:7], v[10:11]
	v_pk_fma_f32 v[10:11], v[18:19], v[2:3], v[8:9] neg_lo:[0,0,1] neg_hi:[0,0,1]
	v_pk_fma_f32 v[2:3], v[18:19], v[2:3], v[8:9] op_sel_hi:[1,0,1]
	s_nop 0
	v_mov_b32_e32 v11, v3
	v_pk_add_f32 v[2:3], v[6:7], v[10:11]
	v_mov_b32_e32 v6, v5
	v_pk_mul_f32 v[6:7], v[20:21], v[6:7] op_sel:[1,0] op_sel_hi:[0,0]
	v_pk_fma_f32 v[8:9], v[20:21], v[4:5], v[6:7] neg_lo:[0,0,1] neg_hi:[0,0,1]
	v_pk_fma_f32 v[4:5], v[20:21], v[4:5], v[6:7] op_sel_hi:[1,0,1]
	s_nop 0
	v_mov_b32_e32 v9, v5
	s_waitcnt vmcnt(1) lgkmcnt(0)
	v_pk_mul_f32 v[4:5], v[26:27], v[22:23] op_sel:[1,1] op_sel_hi:[0,1]
	v_pk_fma_f32 v[6:7], v[26:27], v[22:23], v[4:5] neg_lo:[0,0,1] neg_hi:[0,0,1]
	v_pk_fma_f32 v[4:5], v[26:27], v[22:23], v[4:5] op_sel_hi:[1,0,1]
	v_pk_add_f32 v[2:3], v[2:3], v[8:9]
	v_mov_b32_e32 v7, v5
	v_pk_add_f32 v[2:3], v[2:3], v[6:7]
	s_waitcnt vmcnt(0)
	v_pk_add_f32 v[2:3], v[36:37], v[2:3] neg_lo:[0,1] neg_hi:[0,1]
	scratch_store_dwordx2 off, v[2:3], off offset:232
	s_and_saveexec_b64 s[0:1], vcc
	s_cbranch_execz .LBB116_275
; %bb.274:
	scratch_load_dwordx2 v[2:3], off, off offset:224
	v_mov_b32_e32 v39, v38
	scratch_store_dwordx2 off, v[38:39], off offset:224
	s_waitcnt vmcnt(1)
	ds_write_b64 v1, v[2:3]
.LBB116_275:
	s_or_b64 exec, exec, s[0:1]
	s_waitcnt lgkmcnt(0)
	; wave barrier
	scratch_load_dwordx4 v[2:5], off, off offset:232
	scratch_load_dwordx4 v[14:17], off, off offset:248
	;; [unrolled: 1-line block ×8, first 2 shown]
	ds_read2_b64 v[48:51], v38 offset0:83 offset1:84
	ds_read2_b64 v[52:55], v38 offset0:85 offset1:86
	;; [unrolled: 1-line block ×8, first 2 shown]
	scratch_load_dwordx4 v[80:83], off, off offset:360
	scratch_load_dwordx4 v[26:29], off, off offset:376
	;; [unrolled: 1-line block ×4, first 2 shown]
	scratch_load_dwordx2 v[84:85], off, off offset:224
	v_cmp_lt_u32_e32 vcc, 27, v0
	s_waitcnt vmcnt(12) lgkmcnt(7)
	v_mul_f32_e32 v39, v48, v3
	v_mul_f32_e32 v86, v50, v5
	v_mul_f32_e32 v3, v49, v3
	v_fmac_f32_e32 v39, v49, v2
	s_waitcnt vmcnt(8) lgkmcnt(3)
	v_mul_f32_e32 v95, v64, v19
	v_mul_f32_e32 v19, v65, v19
	;; [unrolled: 1-line block ×4, first 2 shown]
	v_fmac_f32_e32 v86, v51, v4
	v_fmac_f32_e32 v95, v65, v18
	v_fma_f32 v2, v48, v2, -v3
	v_fma_f32 v18, v64, v18, -v19
	v_add_f32_e32 v19, 0, v39
	v_mul_f32_e32 v90, v54, v17
	v_fmac_f32_e32 v88, v53, v14
	v_fma_f32 v3, v50, v4, -v5
	v_add_f32_e32 v2, 0, v2
	v_add_f32_e32 v19, v19, v86
	v_mul_f32_e32 v91, v56, v31
	v_fmac_f32_e32 v90, v55, v16
	v_add_f32_e32 v2, v2, v3
	v_add_f32_e32 v3, v19, v88
	v_mul_f32_e32 v92, v58, v33
	v_fmac_f32_e32 v91, v57, v30
	v_add_f32_e32 v3, v3, v90
	v_mul_f32_e32 v93, v60, v41
	v_fmac_f32_e32 v92, v59, v32
	;; [unrolled: 3-line block ×4, first 2 shown]
	v_add_f32_e32 v3, v3, v93
	v_mul_f32_e32 v96, v66, v21
	v_mul_f32_e32 v17, v55, v17
	v_fma_f32 v4, v52, v14, -v15
	v_add_f32_e32 v3, v3, v94
	s_waitcnt vmcnt(7) lgkmcnt(2)
	v_mul_f32_e32 v97, v68, v23
	v_mul_f32_e32 v31, v57, v31
	v_fmac_f32_e32 v96, v67, v20
	v_fma_f32 v5, v54, v16, -v17
	v_add_f32_e32 v2, v2, v4
	v_add_f32_e32 v3, v3, v95
	v_mul_f32_e32 v98, v70, v25
	v_mul_f32_e32 v33, v59, v33
	v_fmac_f32_e32 v97, v69, v22
	v_fma_f32 v14, v56, v30, -v31
	v_add_f32_e32 v2, v2, v5
	v_add_f32_e32 v3, v3, v96
	s_waitcnt vmcnt(6) lgkmcnt(1)
	v_mul_f32_e32 v99, v72, v35
	v_mul_f32_e32 v41, v61, v41
	v_fmac_f32_e32 v98, v71, v24
	v_fma_f32 v15, v58, v32, -v33
	v_add_f32_e32 v2, v2, v14
	v_add_f32_e32 v3, v3, v97
	v_mul_f32_e32 v100, v74, v37
	v_mul_f32_e32 v43, v63, v43
	v_fmac_f32_e32 v99, v73, v34
	v_fma_f32 v16, v60, v40, -v41
	v_add_f32_e32 v2, v2, v15
	v_add_f32_e32 v3, v3, v98
	v_fmac_f32_e32 v100, v75, v36
	v_fma_f32 v17, v62, v42, -v43
	v_add_f32_e32 v2, v2, v16
	v_add_f32_e32 v3, v3, v99
	;; [unrolled: 1-line block ×4, first 2 shown]
	v_mul_f32_e32 v3, v67, v21
	v_add_f32_e32 v2, v2, v18
	v_fma_f32 v3, v66, v20, -v3
	v_add_f32_e32 v2, v2, v3
	v_mul_f32_e32 v3, v69, v23
	v_fma_f32 v3, v68, v22, -v3
	v_add_f32_e32 v2, v2, v3
	v_mul_f32_e32 v3, v71, v25
	;; [unrolled: 3-line block ×4, first 2 shown]
	v_fma_f32 v3, v74, v36, -v3
	v_add_f32_e32 v30, v2, v3
	s_waitcnt vmcnt(5) lgkmcnt(0)
	v_mul_f32_e32 v2, v77, v45
	v_fma_f32 v86, v76, v44, -v2
	v_mul_f32_e32 v2, v79, v47
	v_fma_f32 v88, v78, v46, -v2
	ds_read2_b64 v[2:5], v38 offset0:99 offset1:100
	ds_read2_b64 v[14:17], v38 offset0:101 offset1:102
	;; [unrolled: 1-line block ×4, first 2 shown]
	v_mul_f32_e32 v87, v76, v45
	v_mul_f32_e32 v89, v78, v47
	v_fmac_f32_e32 v87, v77, v44
	s_waitcnt vmcnt(4) lgkmcnt(3)
	v_pk_mul_f32 v[32:33], v[2:3], v[80:81] op_sel:[1,1] op_sel_hi:[0,1]
	v_fmac_f32_e32 v89, v79, v46
	v_pk_add_f32 v[30:31], v[30:31], v[86:87]
	v_pk_fma_f32 v[34:35], v[2:3], v[80:81], v[32:33] neg_lo:[0,0,1] neg_hi:[0,0,1]
	v_pk_fma_f32 v[2:3], v[2:3], v[80:81], v[32:33] op_sel_hi:[1,0,1]
	v_pk_add_f32 v[30:31], v[30:31], v[88:89]
	v_mov_b32_e32 v35, v3
	v_pk_add_f32 v[2:3], v[30:31], v[34:35]
	v_mov_b32_e32 v30, v83
	v_pk_mul_f32 v[30:31], v[4:5], v[30:31] op_sel:[1,0] op_sel_hi:[0,0]
	v_pk_fma_f32 v[32:33], v[4:5], v[82:83], v[30:31] neg_lo:[0,0,1] neg_hi:[0,0,1]
	v_pk_fma_f32 v[4:5], v[4:5], v[82:83], v[30:31] op_sel_hi:[1,0,1]
	s_nop 0
	v_mov_b32_e32 v33, v5
	s_waitcnt vmcnt(3) lgkmcnt(2)
	v_pk_mul_f32 v[4:5], v[14:15], v[26:27] op_sel:[1,1] op_sel_hi:[0,1]
	v_pk_fma_f32 v[30:31], v[14:15], v[26:27], v[4:5] neg_lo:[0,0,1] neg_hi:[0,0,1]
	v_pk_fma_f32 v[4:5], v[14:15], v[26:27], v[4:5] op_sel_hi:[1,0,1]
	v_pk_add_f32 v[2:3], v[2:3], v[32:33]
	v_mov_b32_e32 v4, v29
	v_mov_b32_e32 v31, v5
	v_pk_mul_f32 v[4:5], v[16:17], v[4:5] op_sel:[1,0] op_sel_hi:[0,0]
	v_pk_fma_f32 v[14:15], v[16:17], v[28:29], v[4:5] neg_lo:[0,0,1] neg_hi:[0,0,1]
	v_pk_fma_f32 v[4:5], v[16:17], v[28:29], v[4:5] op_sel_hi:[1,0,1]
	v_pk_add_f32 v[2:3], v[2:3], v[30:31]
	v_mov_b32_e32 v15, v5
	s_waitcnt vmcnt(2) lgkmcnt(1)
	v_pk_mul_f32 v[4:5], v[18:19], v[10:11] op_sel:[1,1] op_sel_hi:[0,1]
	v_pk_add_f32 v[2:3], v[2:3], v[14:15]
	v_pk_fma_f32 v[14:15], v[18:19], v[10:11], v[4:5] neg_lo:[0,0,1] neg_hi:[0,0,1]
	v_pk_fma_f32 v[4:5], v[18:19], v[10:11], v[4:5] op_sel_hi:[1,0,1]
	s_nop 0
	v_mov_b32_e32 v4, v13
	v_mov_b32_e32 v15, v5
	v_pk_mul_f32 v[4:5], v[20:21], v[4:5] op_sel:[1,0] op_sel_hi:[0,0]
	v_pk_fma_f32 v[10:11], v[20:21], v[12:13], v[4:5] neg_lo:[0,0,1] neg_hi:[0,0,1]
	v_pk_fma_f32 v[4:5], v[20:21], v[12:13], v[4:5] op_sel_hi:[1,0,1]
	v_pk_add_f32 v[2:3], v[2:3], v[14:15]
	v_mov_b32_e32 v11, v5
	s_waitcnt vmcnt(1) lgkmcnt(0)
	v_pk_mul_f32 v[4:5], v[22:23], v[6:7] op_sel:[1,1] op_sel_hi:[0,1]
	v_pk_add_f32 v[2:3], v[2:3], v[10:11]
	v_pk_fma_f32 v[10:11], v[22:23], v[6:7], v[4:5] neg_lo:[0,0,1] neg_hi:[0,0,1]
	v_pk_fma_f32 v[4:5], v[22:23], v[6:7], v[4:5] op_sel_hi:[1,0,1]
	s_nop 0
	v_mov_b32_e32 v4, v9
	v_mov_b32_e32 v11, v5
	v_pk_mul_f32 v[4:5], v[24:25], v[4:5] op_sel:[1,0] op_sel_hi:[0,0]
	v_pk_fma_f32 v[6:7], v[24:25], v[8:9], v[4:5] neg_lo:[0,0,1] neg_hi:[0,0,1]
	v_pk_fma_f32 v[4:5], v[24:25], v[8:9], v[4:5] op_sel_hi:[1,0,1]
	v_pk_add_f32 v[2:3], v[2:3], v[10:11]
	v_mov_b32_e32 v7, v5
	v_pk_add_f32 v[2:3], v[2:3], v[6:7]
	s_waitcnt vmcnt(0)
	v_pk_add_f32 v[2:3], v[84:85], v[2:3] neg_lo:[0,1] neg_hi:[0,1]
	scratch_store_dwordx2 off, v[2:3], off offset:224
	s_and_saveexec_b64 s[0:1], vcc
	s_cbranch_execz .LBB116_277
; %bb.276:
	scratch_load_dwordx2 v[2:3], off, off offset:216
	v_mov_b32_e32 v4, 0
	v_mov_b32_e32 v5, v4
	scratch_store_dwordx2 off, v[4:5], off offset:216
	s_waitcnt vmcnt(1)
	ds_write_b64 v1, v[2:3]
.LBB116_277:
	s_or_b64 exec, exec, s[0:1]
	s_waitcnt lgkmcnt(0)
	; wave barrier
	scratch_load_dwordx4 v[10:13], off, off offset:224
	scratch_load_dwordx4 v[26:29], off, off offset:240
	scratch_load_dwordx4 v[38:41], off, off offset:256
	scratch_load_dwordx4 v[6:9], off, off offset:272
	scratch_load_dwordx4 v[14:17], off, off offset:288
	scratch_load_dwordx4 v[22:25], off, off offset:304
	scratch_load_dwordx4 v[30:33], off, off offset:320
	scratch_load_dwordx4 v[42:45], off, off offset:336
	scratch_load_dwordx4 v[46:49], off, off offset:352
	scratch_load_dwordx4 v[34:37], off, off offset:368
	scratch_load_dwordx4 v[18:21], off, off offset:384
	scratch_load_dwordx4 v[2:5], off, off offset:400
	scratch_load_dwordx2 v[50:51], off, off offset:416
	scratch_load_dwordx2 v[56:57], off, off offset:216
	v_mov_b32_e32 v58, 0
	ds_read_b128 v[52:55], v58 offset:656
	ds_read_b128 v[60:63], v58 offset:672
	;; [unrolled: 1-line block ×10, first 2 shown]
	v_cmp_lt_u32_e32 vcc, 26, v0
	s_waitcnt vmcnt(13) lgkmcnt(9)
	v_mul_f32_e32 v59, v52, v11
	v_mul_f32_e32 v96, v54, v13
	v_fmac_f32_e32 v59, v53, v10
	s_waitcnt vmcnt(10) lgkmcnt(6)
	v_mul_f32_e32 v103, v68, v7
	v_mul_f32_e32 v7, v69, v7
	;; [unrolled: 1-line block ×3, first 2 shown]
	v_fmac_f32_e32 v96, v55, v12
	v_fmac_f32_e32 v103, v69, v6
	v_fma_f32 v6, v68, v6, -v7
	v_add_f32_e32 v7, 0, v59
	v_mul_f32_e32 v100, v62, v29
	v_fmac_f32_e32 v98, v61, v26
	v_add_f32_e32 v7, v7, v96
	v_mul_f32_e32 v101, v64, v39
	v_fmac_f32_e32 v100, v63, v28
	;; [unrolled: 3-line block ×3, first 2 shown]
	v_add_f32_e32 v7, v7, v100
	v_fmac_f32_e32 v102, v67, v40
	v_add_f32_e32 v7, v7, v101
	v_mul_f32_e32 v104, v70, v9
	v_add_f32_e32 v7, v7, v102
	s_waitcnt vmcnt(9) lgkmcnt(5)
	v_mul_f32_e32 v105, v72, v15
	v_fmac_f32_e32 v104, v71, v8
	v_add_f32_e32 v7, v7, v103
	v_mul_f32_e32 v106, v74, v17
	v_mul_f32_e32 v11, v53, v11
	v_fmac_f32_e32 v105, v73, v14
	v_add_f32_e32 v7, v7, v104
	s_waitcnt vmcnt(8) lgkmcnt(4)
	v_mul_f32_e32 v107, v76, v23
	v_mul_f32_e32 v13, v55, v13
	v_fmac_f32_e32 v106, v75, v16
	v_fma_f32 v10, v52, v10, -v11
	v_add_f32_e32 v7, v7, v105
	v_mul_f32_e32 v108, v78, v25
	v_mul_f32_e32 v27, v61, v27
	v_fmac_f32_e32 v107, v77, v22
	v_fma_f32 v11, v54, v12, -v13
	v_add_f32_e32 v10, 0, v10
	v_add_f32_e32 v7, v7, v106
	s_waitcnt vmcnt(7) lgkmcnt(3)
	v_mul_f32_e32 v109, v80, v31
	v_mul_f32_e32 v29, v63, v29
	v_fmac_f32_e32 v108, v79, v24
	v_fma_f32 v12, v60, v26, -v27
	v_add_f32_e32 v10, v10, v11
	v_add_f32_e32 v7, v7, v107
	v_mul_f32_e32 v110, v82, v33
	v_mul_f32_e32 v39, v65, v39
	v_fmac_f32_e32 v109, v81, v30
	v_fma_f32 v13, v62, v28, -v29
	v_add_f32_e32 v10, v10, v12
	v_add_f32_e32 v7, v7, v108
	s_waitcnt vmcnt(6) lgkmcnt(2)
	v_mul_f32_e32 v111, v84, v43
	v_mul_f32_e32 v41, v67, v41
	v_fmac_f32_e32 v110, v83, v32
	v_fma_f32 v26, v64, v38, -v39
	v_add_f32_e32 v10, v10, v13
	v_add_f32_e32 v7, v7, v109
	v_fmac_f32_e32 v111, v85, v42
	v_fma_f32 v27, v66, v40, -v41
	v_add_f32_e32 v10, v10, v26
	v_add_f32_e32 v7, v7, v110
	;; [unrolled: 1-line block ×4, first 2 shown]
	v_mul_f32_e32 v7, v71, v9
	v_add_f32_e32 v6, v10, v6
	v_fma_f32 v7, v70, v8, -v7
	v_add_f32_e32 v6, v6, v7
	v_mul_f32_e32 v7, v73, v15
	v_fma_f32 v7, v72, v14, -v7
	v_add_f32_e32 v6, v6, v7
	v_mul_f32_e32 v7, v75, v17
	;; [unrolled: 3-line block ×7, first 2 shown]
	v_fma_f32 v7, v84, v42, -v7
	v_mul_f32_e32 v97, v86, v45
	v_add_f32_e32 v26, v6, v7
	v_mul_f32_e32 v6, v87, v45
	s_waitcnt vmcnt(5)
	v_mov_b32_e32 v22, v49
	s_waitcnt lgkmcnt(1)
	v_mul_f32_e32 v99, v88, v47
	v_fmac_f32_e32 v97, v87, v44
	v_fma_f32 v96, v86, v44, -v6
	v_mul_f32_e32 v6, v89, v47
	v_pk_mul_f32 v[22:23], v[90:91], v[22:23] op_sel:[1,0] op_sel_hi:[0,0]
	v_fmac_f32_e32 v99, v89, v46
	v_fma_f32 v98, v88, v46, -v6
	v_pk_add_f32 v[16:17], v[26:27], v[96:97]
	v_pk_fma_f32 v[24:25], v[90:91], v[48:49], v[22:23] neg_lo:[0,0,1] neg_hi:[0,0,1]
	v_pk_fma_f32 v[22:23], v[90:91], v[48:49], v[22:23] op_sel_hi:[1,0,1]
	v_pk_add_f32 v[16:17], v[16:17], v[98:99]
	v_mov_b32_e32 v25, v23
	s_waitcnt vmcnt(4) lgkmcnt(0)
	v_pk_mul_f32 v[22:23], v[92:93], v[34:35] op_sel:[1,1] op_sel_hi:[0,1]
	v_pk_add_f32 v[16:17], v[16:17], v[24:25]
	v_pk_fma_f32 v[24:25], v[92:93], v[34:35], v[22:23] neg_lo:[0,0,1] neg_hi:[0,0,1]
	v_pk_fma_f32 v[22:23], v[92:93], v[34:35], v[22:23] op_sel_hi:[1,0,1]
	ds_read_b128 v[6:9], v58 offset:816
	ds_read_b128 v[10:13], v58 offset:832
	ds_read_b64 v[14:15], v58 offset:848
	v_mov_b32_e32 v22, v37
	v_mov_b32_e32 v25, v23
	v_pk_mul_f32 v[22:23], v[94:95], v[22:23] op_sel:[1,0] op_sel_hi:[0,0]
	v_pk_add_f32 v[16:17], v[16:17], v[24:25]
	v_pk_fma_f32 v[24:25], v[94:95], v[36:37], v[22:23] neg_lo:[0,0,1] neg_hi:[0,0,1]
	v_pk_fma_f32 v[22:23], v[94:95], v[36:37], v[22:23] op_sel_hi:[1,0,1]
	s_nop 0
	v_mov_b32_e32 v25, v23
	s_waitcnt vmcnt(3) lgkmcnt(2)
	v_pk_mul_f32 v[22:23], v[6:7], v[18:19] op_sel:[1,1] op_sel_hi:[0,1]
	v_pk_add_f32 v[16:17], v[16:17], v[24:25]
	v_pk_fma_f32 v[24:25], v[6:7], v[18:19], v[22:23] neg_lo:[0,0,1] neg_hi:[0,0,1]
	v_pk_fma_f32 v[6:7], v[6:7], v[18:19], v[22:23] op_sel_hi:[1,0,1]
	s_nop 0
	v_mov_b32_e32 v25, v7
	v_pk_add_f32 v[6:7], v[16:17], v[24:25]
	v_mov_b32_e32 v16, v21
	v_pk_mul_f32 v[16:17], v[8:9], v[16:17] op_sel:[1,0] op_sel_hi:[0,0]
	v_pk_fma_f32 v[18:19], v[8:9], v[20:21], v[16:17] neg_lo:[0,0,1] neg_hi:[0,0,1]
	v_pk_fma_f32 v[8:9], v[8:9], v[20:21], v[16:17] op_sel_hi:[1,0,1]
	s_nop 0
	v_mov_b32_e32 v19, v9
	s_waitcnt vmcnt(2) lgkmcnt(1)
	v_pk_mul_f32 v[8:9], v[10:11], v[2:3] op_sel:[1,1] op_sel_hi:[0,1]
	v_pk_fma_f32 v[16:17], v[10:11], v[2:3], v[8:9] neg_lo:[0,0,1] neg_hi:[0,0,1]
	v_pk_fma_f32 v[2:3], v[10:11], v[2:3], v[8:9] op_sel_hi:[1,0,1]
	v_pk_add_f32 v[6:7], v[6:7], v[18:19]
	v_mov_b32_e32 v17, v3
	v_pk_add_f32 v[2:3], v[6:7], v[16:17]
	v_mov_b32_e32 v6, v5
	v_pk_mul_f32 v[6:7], v[12:13], v[6:7] op_sel:[1,0] op_sel_hi:[0,0]
	v_pk_fma_f32 v[8:9], v[12:13], v[4:5], v[6:7] neg_lo:[0,0,1] neg_hi:[0,0,1]
	v_pk_fma_f32 v[4:5], v[12:13], v[4:5], v[6:7] op_sel_hi:[1,0,1]
	s_nop 0
	v_mov_b32_e32 v9, v5
	s_waitcnt vmcnt(1) lgkmcnt(0)
	v_pk_mul_f32 v[4:5], v[14:15], v[50:51] op_sel:[1,1] op_sel_hi:[0,1]
	v_pk_fma_f32 v[6:7], v[14:15], v[50:51], v[4:5] neg_lo:[0,0,1] neg_hi:[0,0,1]
	v_pk_fma_f32 v[4:5], v[14:15], v[50:51], v[4:5] op_sel_hi:[1,0,1]
	v_pk_add_f32 v[2:3], v[2:3], v[8:9]
	v_mov_b32_e32 v7, v5
	v_pk_add_f32 v[2:3], v[2:3], v[6:7]
	s_waitcnt vmcnt(0)
	v_pk_add_f32 v[2:3], v[56:57], v[2:3] neg_lo:[0,1] neg_hi:[0,1]
	scratch_store_dwordx2 off, v[2:3], off offset:216
	s_and_saveexec_b64 s[0:1], vcc
	s_cbranch_execz .LBB116_279
; %bb.278:
	scratch_load_dwordx2 v[2:3], off, off offset:208
	v_mov_b32_e32 v59, v58
	scratch_store_dwordx2 off, v[58:59], off offset:208
	s_waitcnt vmcnt(1)
	ds_write_b64 v1, v[2:3]
.LBB116_279:
	s_or_b64 exec, exec, s[0:1]
	s_waitcnt lgkmcnt(0)
	; wave barrier
	scratch_load_dwordx4 v[2:5], off, off offset:216
	scratch_load_dwordx4 v[18:21], off, off offset:232
	;; [unrolled: 1-line block ×9, first 2 shown]
	ds_read2_b64 v[60:63], v58 offset0:81 offset1:82
	ds_read2_b64 v[64:67], v58 offset0:83 offset1:84
	;; [unrolled: 1-line block ×8, first 2 shown]
	scratch_load_dwordx4 v[50:53], off, off offset:360
	scratch_load_dwordx4 v[34:37], off, off offset:376
	;; [unrolled: 1-line block ×4, first 2 shown]
	ds_read2_b64 v[88:91], v58 offset0:97 offset1:98
	ds_read2_b64 v[92:95], v58 offset0:99 offset1:100
	scratch_load_dwordx2 v[96:97], off, off offset:208
	v_cmp_lt_u32_e32 vcc, 25, v0
	s_waitcnt vmcnt(13) lgkmcnt(9)
	v_mul_f32_e32 v59, v60, v3
	v_mul_f32_e32 v98, v62, v5
	;; [unrolled: 1-line block ×3, first 2 shown]
	s_waitcnt vmcnt(10) lgkmcnt(6)
	v_mul_f32_e32 v105, v72, v7
	v_mul_f32_e32 v7, v73, v7
	v_fmac_f32_e32 v59, v61, v2
	v_mul_f32_e32 v100, v64, v19
	v_mul_f32_e32 v5, v63, v5
	v_fmac_f32_e32 v98, v63, v4
	v_fmac_f32_e32 v105, v73, v6
	v_fma_f32 v2, v60, v2, -v3
	v_fma_f32 v6, v72, v6, -v7
	v_add_f32_e32 v7, 0, v59
	v_mul_f32_e32 v102, v66, v21
	v_fmac_f32_e32 v100, v65, v18
	v_fma_f32 v3, v62, v4, -v5
	v_add_f32_e32 v2, 0, v2
	v_add_f32_e32 v7, v7, v98
	v_mul_f32_e32 v103, v68, v39
	v_fmac_f32_e32 v102, v67, v20
	v_add_f32_e32 v2, v2, v3
	v_add_f32_e32 v3, v7, v100
	v_mul_f32_e32 v104, v70, v41
	v_fmac_f32_e32 v103, v69, v38
	v_add_f32_e32 v3, v3, v102
	v_fmac_f32_e32 v104, v71, v40
	v_add_f32_e32 v3, v3, v103
	v_mul_f32_e32 v106, v74, v9
	v_add_f32_e32 v3, v3, v104
	s_waitcnt vmcnt(9) lgkmcnt(5)
	v_mul_f32_e32 v107, v76, v15
	v_fmac_f32_e32 v106, v75, v8
	v_add_f32_e32 v3, v3, v105
	v_mul_f32_e32 v108, v78, v17
	v_fmac_f32_e32 v107, v77, v14
	v_add_f32_e32 v3, v3, v106
	s_waitcnt vmcnt(8) lgkmcnt(4)
	v_mul_f32_e32 v109, v80, v23
	v_fmac_f32_e32 v108, v79, v16
	v_add_f32_e32 v3, v3, v107
	v_mul_f32_e32 v110, v82, v25
	v_fmac_f32_e32 v109, v81, v22
	v_add_f32_e32 v3, v3, v108
	s_waitcnt vmcnt(7) lgkmcnt(3)
	v_mul_f32_e32 v111, v84, v31
	v_mul_f32_e32 v19, v65, v19
	v_fmac_f32_e32 v110, v83, v24
	v_add_f32_e32 v3, v3, v109
	v_mul_f32_e32 v112, v86, v33
	v_mul_f32_e32 v21, v67, v21
	v_fmac_f32_e32 v111, v85, v30
	v_fma_f32 v4, v64, v18, -v19
	v_add_f32_e32 v3, v3, v110
	s_waitcnt vmcnt(6) lgkmcnt(2)
	v_mul_f32_e32 v113, v54, v43
	v_mul_f32_e32 v39, v69, v39
	v_fmac_f32_e32 v112, v87, v32
	v_fma_f32 v5, v66, v20, -v21
	v_add_f32_e32 v2, v2, v4
	v_add_f32_e32 v3, v3, v111
	v_mul_f32_e32 v114, v56, v45
	v_mul_f32_e32 v41, v71, v41
	v_fmac_f32_e32 v113, v55, v42
	v_fma_f32 v18, v68, v38, -v39
	v_add_f32_e32 v2, v2, v5
	v_add_f32_e32 v3, v3, v112
	v_fmac_f32_e32 v114, v57, v44
	v_fma_f32 v19, v70, v40, -v41
	v_add_f32_e32 v2, v2, v18
	v_add_f32_e32 v3, v3, v113
	;; [unrolled: 1-line block ×4, first 2 shown]
	v_mul_f32_e32 v3, v75, v9
	v_add_f32_e32 v2, v2, v6
	v_fma_f32 v3, v74, v8, -v3
	v_add_f32_e32 v2, v2, v3
	v_mul_f32_e32 v3, v77, v15
	v_fma_f32 v3, v76, v14, -v3
	v_add_f32_e32 v2, v2, v3
	v_mul_f32_e32 v3, v79, v17
	;; [unrolled: 3-line block ×8, first 2 shown]
	v_fma_f32 v3, v56, v44, -v3
	s_waitcnt vmcnt(5) lgkmcnt(1)
	v_mul_f32_e32 v99, v88, v47
	v_add_f32_e32 v18, v2, v3
	v_mul_f32_e32 v2, v89, v47
	s_waitcnt vmcnt(4) lgkmcnt(0)
	v_pk_mul_f32 v[20:21], v[92:93], v[50:51] op_sel:[1,1] op_sel_hi:[0,1]
	v_mul_f32_e32 v101, v90, v49
	v_fmac_f32_e32 v99, v89, v46
	v_fma_f32 v98, v88, v46, -v2
	v_mul_f32_e32 v2, v91, v49
	v_pk_fma_f32 v[22:23], v[92:93], v[50:51], v[20:21] neg_lo:[0,0,1] neg_hi:[0,0,1]
	v_pk_fma_f32 v[20:21], v[92:93], v[50:51], v[20:21] op_sel_hi:[1,0,1]
	v_fmac_f32_e32 v101, v91, v48
	v_fma_f32 v100, v90, v48, -v2
	ds_read2_b64 v[2:5], v58 offset0:101 offset1:102
	ds_read2_b64 v[6:9], v58 offset0:103 offset1:104
	;; [unrolled: 1-line block ×3, first 2 shown]
	v_pk_add_f32 v[18:19], v[18:19], v[98:99]
	v_mov_b32_e32 v20, v53
	v_pk_add_f32 v[18:19], v[18:19], v[100:101]
	v_mov_b32_e32 v23, v21
	v_pk_mul_f32 v[20:21], v[94:95], v[20:21] op_sel:[1,0] op_sel_hi:[0,0]
	v_pk_add_f32 v[18:19], v[18:19], v[22:23]
	v_pk_fma_f32 v[22:23], v[94:95], v[52:53], v[20:21] neg_lo:[0,0,1] neg_hi:[0,0,1]
	v_pk_fma_f32 v[20:21], v[94:95], v[52:53], v[20:21] op_sel_hi:[1,0,1]
	s_nop 0
	v_mov_b32_e32 v23, v21
	s_waitcnt vmcnt(3) lgkmcnt(2)
	v_pk_mul_f32 v[20:21], v[2:3], v[34:35] op_sel:[1,1] op_sel_hi:[0,1]
	v_pk_add_f32 v[18:19], v[18:19], v[22:23]
	v_pk_fma_f32 v[22:23], v[2:3], v[34:35], v[20:21] neg_lo:[0,0,1] neg_hi:[0,0,1]
	v_pk_fma_f32 v[2:3], v[2:3], v[34:35], v[20:21] op_sel_hi:[1,0,1]
	s_nop 0
	v_mov_b32_e32 v23, v3
	v_pk_add_f32 v[2:3], v[18:19], v[22:23]
	v_mov_b32_e32 v18, v37
	v_pk_mul_f32 v[18:19], v[4:5], v[18:19] op_sel:[1,0] op_sel_hi:[0,0]
	v_pk_fma_f32 v[20:21], v[4:5], v[36:37], v[18:19] neg_lo:[0,0,1] neg_hi:[0,0,1]
	v_pk_fma_f32 v[4:5], v[4:5], v[36:37], v[18:19] op_sel_hi:[1,0,1]
	s_nop 0
	v_mov_b32_e32 v21, v5
	s_waitcnt vmcnt(2) lgkmcnt(1)
	v_pk_mul_f32 v[4:5], v[6:7], v[26:27] op_sel:[1,1] op_sel_hi:[0,1]
	v_pk_fma_f32 v[18:19], v[6:7], v[26:27], v[4:5] neg_lo:[0,0,1] neg_hi:[0,0,1]
	v_pk_fma_f32 v[4:5], v[6:7], v[26:27], v[4:5] op_sel_hi:[1,0,1]
	v_pk_add_f32 v[2:3], v[2:3], v[20:21]
	v_mov_b32_e32 v4, v29
	v_mov_b32_e32 v19, v5
	v_pk_mul_f32 v[4:5], v[8:9], v[4:5] op_sel:[1,0] op_sel_hi:[0,0]
	v_pk_fma_f32 v[6:7], v[8:9], v[28:29], v[4:5] neg_lo:[0,0,1] neg_hi:[0,0,1]
	v_pk_fma_f32 v[4:5], v[8:9], v[28:29], v[4:5] op_sel_hi:[1,0,1]
	v_pk_add_f32 v[2:3], v[2:3], v[18:19]
	v_mov_b32_e32 v7, v5
	s_waitcnt vmcnt(1) lgkmcnt(0)
	v_pk_mul_f32 v[4:5], v[14:15], v[10:11] op_sel:[1,1] op_sel_hi:[0,1]
	v_pk_add_f32 v[2:3], v[2:3], v[6:7]
	v_pk_fma_f32 v[6:7], v[14:15], v[10:11], v[4:5] neg_lo:[0,0,1] neg_hi:[0,0,1]
	v_pk_fma_f32 v[4:5], v[14:15], v[10:11], v[4:5] op_sel_hi:[1,0,1]
	s_nop 0
	v_mov_b32_e32 v4, v13
	v_mov_b32_e32 v7, v5
	v_pk_mul_f32 v[4:5], v[16:17], v[4:5] op_sel:[1,0] op_sel_hi:[0,0]
	v_pk_add_f32 v[2:3], v[2:3], v[6:7]
	v_pk_fma_f32 v[6:7], v[16:17], v[12:13], v[4:5] neg_lo:[0,0,1] neg_hi:[0,0,1]
	v_pk_fma_f32 v[4:5], v[16:17], v[12:13], v[4:5] op_sel_hi:[1,0,1]
	s_nop 0
	v_mov_b32_e32 v7, v5
	v_pk_add_f32 v[2:3], v[2:3], v[6:7]
	s_waitcnt vmcnt(0)
	v_pk_add_f32 v[2:3], v[96:97], v[2:3] neg_lo:[0,1] neg_hi:[0,1]
	scratch_store_dwordx2 off, v[2:3], off offset:208
	s_and_saveexec_b64 s[0:1], vcc
	s_cbranch_execz .LBB116_281
; %bb.280:
	scratch_load_dwordx2 v[2:3], off, off offset:200
	v_mov_b32_e32 v4, 0
	v_mov_b32_e32 v5, v4
	scratch_store_dwordx2 off, v[4:5], off offset:200
	s_waitcnt vmcnt(1)
	ds_write_b64 v1, v[2:3]
.LBB116_281:
	s_or_b64 exec, exec, s[0:1]
	s_waitcnt lgkmcnt(0)
	; wave barrier
	scratch_load_dwordx4 v[18:21], off, off offset:208
	scratch_load_dwordx4 v[30:33], off, off offset:224
	;; [unrolled: 1-line block ×13, first 2 shown]
	scratch_load_dwordx2 v[54:55], off, off offset:416
	scratch_load_dwordx2 v[80:81], off, off offset:200
	v_mov_b32_e32 v82, 0
	ds_read_b128 v[56:59], v82 offset:640
	ds_read_b128 v[60:63], v82 offset:656
	;; [unrolled: 1-line block ×10, first 2 shown]
	v_cmp_lt_u32_e32 vcc, 24, v0
	s_waitcnt vmcnt(14) lgkmcnt(9)
	v_mul_f32_e32 v83, v56, v19
	v_mul_f32_e32 v100, v58, v21
	s_waitcnt vmcnt(12) lgkmcnt(7)
	v_mul_f32_e32 v105, v64, v3
	v_mul_f32_e32 v3, v65, v3
	v_fmac_f32_e32 v83, v57, v18
	v_mul_f32_e32 v102, v60, v31
	v_fmac_f32_e32 v100, v59, v20
	v_fmac_f32_e32 v105, v65, v2
	v_fma_f32 v2, v64, v2, -v3
	v_add_f32_e32 v3, 0, v83
	v_mul_f32_e32 v104, v62, v33
	v_fmac_f32_e32 v102, v61, v30
	v_add_f32_e32 v3, v3, v100
	v_fmac_f32_e32 v104, v63, v32
	v_add_f32_e32 v3, v3, v102
	v_mul_f32_e32 v106, v66, v5
	v_add_f32_e32 v3, v3, v104
	s_waitcnt vmcnt(11) lgkmcnt(6)
	v_mul_f32_e32 v107, v68, v7
	v_fmac_f32_e32 v106, v67, v4
	v_add_f32_e32 v3, v3, v105
	v_mul_f32_e32 v108, v70, v9
	v_fmac_f32_e32 v107, v69, v6
	v_add_f32_e32 v3, v3, v106
	s_waitcnt vmcnt(10) lgkmcnt(5)
	v_mul_f32_e32 v109, v72, v15
	v_fmac_f32_e32 v108, v71, v8
	v_add_f32_e32 v3, v3, v107
	v_mul_f32_e32 v110, v74, v17
	v_fmac_f32_e32 v109, v73, v14
	;; [unrolled: 7-line block ×3, first 2 shown]
	v_add_f32_e32 v3, v3, v110
	s_waitcnt vmcnt(8) lgkmcnt(3)
	v_mul_f32_e32 v113, v84, v35
	v_mul_f32_e32 v19, v57, v19
	v_fmac_f32_e32 v112, v79, v24
	v_add_f32_e32 v3, v3, v111
	v_mul_f32_e32 v114, v86, v37
	v_mul_f32_e32 v21, v59, v21
	v_fmac_f32_e32 v113, v85, v34
	v_fma_f32 v18, v56, v18, -v19
	v_add_f32_e32 v3, v3, v112
	s_waitcnt vmcnt(7) lgkmcnt(2)
	v_mul_f32_e32 v115, v88, v39
	v_mul_f32_e32 v31, v61, v31
	v_fmac_f32_e32 v114, v87, v36
	v_fma_f32 v19, v58, v20, -v21
	v_add_f32_e32 v18, 0, v18
	v_add_f32_e32 v3, v3, v113
	v_mul_f32_e32 v116, v90, v41
	v_mul_f32_e32 v33, v63, v33
	v_fmac_f32_e32 v115, v89, v38
	v_fma_f32 v20, v60, v30, -v31
	v_add_f32_e32 v18, v18, v19
	v_add_f32_e32 v3, v3, v114
	s_waitcnt vmcnt(6) lgkmcnt(1)
	v_mul_f32_e32 v117, v92, v51
	v_fmac_f32_e32 v116, v91, v40
	v_fma_f32 v21, v62, v32, -v33
	v_add_f32_e32 v18, v18, v20
	v_add_f32_e32 v3, v3, v115
	v_mul_f32_e32 v5, v67, v5
	v_fmac_f32_e32 v117, v93, v50
	v_add_f32_e32 v18, v18, v21
	v_add_f32_e32 v3, v3, v116
	;; [unrolled: 1-line block ×4, first 2 shown]
	v_fma_f32 v3, v66, v4, -v5
	v_add_f32_e32 v2, v2, v3
	v_mul_f32_e32 v3, v69, v7
	v_fma_f32 v3, v68, v6, -v3
	v_add_f32_e32 v2, v2, v3
	v_mul_f32_e32 v3, v71, v9
	;; [unrolled: 3-line block ×12, first 2 shown]
	v_mul_f32_e32 v101, v94, v53
	v_fma_f32 v100, v94, v52, -v2
	s_waitcnt vmcnt(5) lgkmcnt(0)
	v_mul_f32_e32 v2, v97, v47
	v_mov_b32_e32 v22, v49
	v_mul_f32_e32 v103, v96, v47
	v_fmac_f32_e32 v101, v95, v52
	v_fma_f32 v102, v96, v46, -v2
	ds_read_b128 v[2:5], v82 offset:800
	ds_read_b128 v[6:9], v82 offset:816
	;; [unrolled: 1-line block ×3, first 2 shown]
	ds_read_b64 v[20:21], v82 offset:848
	v_pk_mul_f32 v[22:23], v[98:99], v[22:23] op_sel:[1,0] op_sel_hi:[0,0]
	v_fmac_f32_e32 v103, v97, v46
	v_pk_add_f32 v[18:19], v[18:19], v[100:101]
	v_pk_fma_f32 v[24:25], v[98:99], v[48:49], v[22:23] neg_lo:[0,0,1] neg_hi:[0,0,1]
	v_pk_fma_f32 v[22:23], v[98:99], v[48:49], v[22:23] op_sel_hi:[1,0,1]
	v_pk_add_f32 v[18:19], v[18:19], v[102:103]
	v_mov_b32_e32 v25, v23
	s_waitcnt vmcnt(4) lgkmcnt(3)
	v_pk_mul_f32 v[22:23], v[2:3], v[42:43] op_sel:[1,1] op_sel_hi:[0,1]
	v_pk_add_f32 v[18:19], v[18:19], v[24:25]
	v_pk_fma_f32 v[24:25], v[2:3], v[42:43], v[22:23] neg_lo:[0,0,1] neg_hi:[0,0,1]
	v_pk_fma_f32 v[2:3], v[2:3], v[42:43], v[22:23] op_sel_hi:[1,0,1]
	s_nop 0
	v_mov_b32_e32 v25, v3
	v_pk_add_f32 v[2:3], v[18:19], v[24:25]
	v_mov_b32_e32 v18, v45
	v_pk_mul_f32 v[18:19], v[4:5], v[18:19] op_sel:[1,0] op_sel_hi:[0,0]
	v_pk_fma_f32 v[22:23], v[4:5], v[44:45], v[18:19] neg_lo:[0,0,1] neg_hi:[0,0,1]
	v_pk_fma_f32 v[4:5], v[4:5], v[44:45], v[18:19] op_sel_hi:[1,0,1]
	s_nop 0
	v_mov_b32_e32 v23, v5
	s_waitcnt vmcnt(3) lgkmcnt(2)
	v_pk_mul_f32 v[4:5], v[6:7], v[26:27] op_sel:[1,1] op_sel_hi:[0,1]
	v_pk_fma_f32 v[18:19], v[6:7], v[26:27], v[4:5] neg_lo:[0,0,1] neg_hi:[0,0,1]
	v_pk_fma_f32 v[4:5], v[6:7], v[26:27], v[4:5] op_sel_hi:[1,0,1]
	v_pk_add_f32 v[2:3], v[2:3], v[22:23]
	v_mov_b32_e32 v4, v29
	v_mov_b32_e32 v19, v5
	v_pk_mul_f32 v[4:5], v[8:9], v[4:5] op_sel:[1,0] op_sel_hi:[0,0]
	v_pk_fma_f32 v[6:7], v[8:9], v[28:29], v[4:5] neg_lo:[0,0,1] neg_hi:[0,0,1]
	v_pk_fma_f32 v[4:5], v[8:9], v[28:29], v[4:5] op_sel_hi:[1,0,1]
	v_pk_add_f32 v[2:3], v[2:3], v[18:19]
	v_mov_b32_e32 v7, v5
	s_waitcnt vmcnt(2) lgkmcnt(1)
	v_pk_mul_f32 v[4:5], v[14:15], v[10:11] op_sel:[1,1] op_sel_hi:[0,1]
	v_pk_add_f32 v[2:3], v[2:3], v[6:7]
	v_pk_fma_f32 v[6:7], v[14:15], v[10:11], v[4:5] neg_lo:[0,0,1] neg_hi:[0,0,1]
	v_pk_fma_f32 v[4:5], v[14:15], v[10:11], v[4:5] op_sel_hi:[1,0,1]
	s_nop 0
	v_mov_b32_e32 v4, v13
	v_mov_b32_e32 v7, v5
	v_pk_mul_f32 v[4:5], v[16:17], v[4:5] op_sel:[1,0] op_sel_hi:[0,0]
	v_pk_add_f32 v[2:3], v[2:3], v[6:7]
	v_pk_fma_f32 v[6:7], v[16:17], v[12:13], v[4:5] neg_lo:[0,0,1] neg_hi:[0,0,1]
	v_pk_fma_f32 v[4:5], v[16:17], v[12:13], v[4:5] op_sel_hi:[1,0,1]
	s_nop 0
	v_mov_b32_e32 v7, v5
	s_waitcnt vmcnt(1) lgkmcnt(0)
	v_pk_mul_f32 v[4:5], v[20:21], v[54:55] op_sel:[1,1] op_sel_hi:[0,1]
	v_pk_add_f32 v[2:3], v[2:3], v[6:7]
	v_pk_fma_f32 v[6:7], v[20:21], v[54:55], v[4:5] neg_lo:[0,0,1] neg_hi:[0,0,1]
	v_pk_fma_f32 v[4:5], v[20:21], v[54:55], v[4:5] op_sel_hi:[1,0,1]
	s_nop 0
	v_mov_b32_e32 v7, v5
	v_pk_add_f32 v[2:3], v[2:3], v[6:7]
	s_waitcnt vmcnt(0)
	v_pk_add_f32 v[2:3], v[80:81], v[2:3] neg_lo:[0,1] neg_hi:[0,1]
	scratch_store_dwordx2 off, v[2:3], off offset:200
	s_and_saveexec_b64 s[0:1], vcc
	s_cbranch_execz .LBB116_283
; %bb.282:
	scratch_load_dwordx2 v[2:3], off, off offset:192
	v_mov_b32_e32 v83, v82
	scratch_store_dwordx2 off, v[82:83], off offset:192
	s_waitcnt vmcnt(1)
	ds_write_b64 v1, v[2:3]
.LBB116_283:
	s_or_b64 exec, exec, s[0:1]
	s_waitcnt lgkmcnt(0)
	; wave barrier
	scratch_load_dwordx4 v[10:13], off, off offset:200
	scratch_load_dwordx4 v[26:29], off, off offset:216
	;; [unrolled: 1-line block ×10, first 2 shown]
	ds_read2_b64 v[84:87], v82 offset0:79 offset1:80
	ds_read2_b64 v[88:91], v82 offset0:81 offset1:82
	;; [unrolled: 1-line block ×10, first 2 shown]
	scratch_load_dwordx4 v[54:57], off, off offset:360
	scratch_load_dwordx4 v[46:49], off, off offset:376
	;; [unrolled: 1-line block ×4, first 2 shown]
	scratch_load_dwordx2 v[100:101], off, off offset:192
	v_cmp_lt_u32_e32 vcc, 23, v0
	s_waitcnt vmcnt(14) lgkmcnt(9)
	v_mul_f32_e32 v83, v84, v11
	v_mul_f32_e32 v102, v86, v13
	s_waitcnt vmcnt(12) lgkmcnt(7)
	v_mul_f32_e32 v107, v92, v3
	v_mul_f32_e32 v3, v93, v3
	v_fmac_f32_e32 v83, v85, v10
	v_mul_f32_e32 v104, v88, v27
	v_fmac_f32_e32 v102, v87, v12
	v_fmac_f32_e32 v107, v93, v2
	v_fma_f32 v2, v92, v2, -v3
	v_add_f32_e32 v3, 0, v83
	v_mul_f32_e32 v106, v90, v29
	v_fmac_f32_e32 v104, v89, v26
	v_add_f32_e32 v3, v3, v102
	v_fmac_f32_e32 v106, v91, v28
	v_add_f32_e32 v3, v3, v104
	v_mul_f32_e32 v108, v94, v5
	v_add_f32_e32 v3, v3, v106
	s_waitcnt vmcnt(11) lgkmcnt(6)
	v_mul_f32_e32 v109, v96, v7
	v_fmac_f32_e32 v108, v95, v4
	v_add_f32_e32 v3, v3, v107
	v_mul_f32_e32 v110, v98, v9
	v_fmac_f32_e32 v109, v97, v6
	v_add_f32_e32 v3, v3, v108
	s_waitcnt vmcnt(10) lgkmcnt(5)
	v_mul_f32_e32 v111, v78, v15
	v_fmac_f32_e32 v110, v99, v8
	v_add_f32_e32 v3, v3, v109
	v_mul_f32_e32 v112, v80, v17
	v_fmac_f32_e32 v111, v79, v14
	;; [unrolled: 7-line block ×4, first 2 shown]
	v_add_f32_e32 v3, v3, v114
	s_waitcnt vmcnt(7) lgkmcnt(2)
	v_mul_f32_e32 v117, v66, v39
	v_mul_f32_e32 v11, v85, v11
	v_fmac_f32_e32 v116, v73, v32
	v_add_f32_e32 v3, v3, v115
	v_mul_f32_e32 v118, v68, v41
	v_mul_f32_e32 v13, v87, v13
	v_fmac_f32_e32 v117, v67, v38
	v_fma_f32 v10, v84, v10, -v11
	v_add_f32_e32 v3, v3, v116
	s_waitcnt vmcnt(6) lgkmcnt(1)
	v_mul_f32_e32 v119, v62, v43
	v_mul_f32_e32 v27, v89, v27
	v_fmac_f32_e32 v118, v69, v40
	v_fma_f32 v11, v86, v12, -v13
	v_add_f32_e32 v10, 0, v10
	v_add_f32_e32 v3, v3, v117
	v_mul_f32_e32 v120, v64, v45
	v_mul_f32_e32 v29, v91, v29
	v_fmac_f32_e32 v119, v63, v42
	v_fma_f32 v12, v88, v26, -v27
	v_add_f32_e32 v10, v10, v11
	v_add_f32_e32 v3, v3, v118
	v_fmac_f32_e32 v120, v65, v44
	v_fma_f32 v13, v90, v28, -v29
	v_add_f32_e32 v10, v10, v12
	v_add_f32_e32 v3, v3, v119
	;; [unrolled: 1-line block ×4, first 2 shown]
	v_mul_f32_e32 v3, v95, v5
	v_add_f32_e32 v2, v10, v2
	v_fma_f32 v3, v94, v4, -v3
	v_add_f32_e32 v2, v2, v3
	v_mul_f32_e32 v3, v97, v7
	v_fma_f32 v3, v96, v6, -v3
	v_add_f32_e32 v2, v2, v3
	v_mul_f32_e32 v3, v99, v9
	;; [unrolled: 3-line block ×12, first 2 shown]
	v_fma_f32 v3, v64, v44, -v3
	v_add_f32_e32 v26, v2, v3
	s_waitcnt vmcnt(5) lgkmcnt(0)
	v_mul_f32_e32 v2, v59, v51
	v_fma_f32 v102, v58, v50, -v2
	v_mul_f32_e32 v2, v61, v53
	v_fma_f32 v104, v60, v52, -v2
	ds_read2_b64 v[2:5], v82 offset0:99 offset1:100
	ds_read2_b64 v[6:9], v82 offset0:101 offset1:102
	;; [unrolled: 1-line block ×4, first 2 shown]
	v_mul_f32_e32 v103, v58, v51
	v_mul_f32_e32 v105, v60, v53
	v_fmac_f32_e32 v103, v59, v50
	s_waitcnt vmcnt(4) lgkmcnt(3)
	v_pk_mul_f32 v[24:25], v[2:3], v[54:55] op_sel:[1,1] op_sel_hi:[0,1]
	v_fmac_f32_e32 v105, v61, v52
	v_pk_add_f32 v[22:23], v[26:27], v[102:103]
	v_pk_fma_f32 v[26:27], v[2:3], v[54:55], v[24:25] neg_lo:[0,0,1] neg_hi:[0,0,1]
	v_pk_fma_f32 v[2:3], v[2:3], v[54:55], v[24:25] op_sel_hi:[1,0,1]
	v_pk_add_f32 v[22:23], v[22:23], v[104:105]
	v_mov_b32_e32 v27, v3
	v_pk_add_f32 v[2:3], v[22:23], v[26:27]
	v_mov_b32_e32 v22, v57
	v_pk_mul_f32 v[22:23], v[4:5], v[22:23] op_sel:[1,0] op_sel_hi:[0,0]
	v_pk_fma_f32 v[24:25], v[4:5], v[56:57], v[22:23] neg_lo:[0,0,1] neg_hi:[0,0,1]
	v_pk_fma_f32 v[4:5], v[4:5], v[56:57], v[22:23] op_sel_hi:[1,0,1]
	s_nop 0
	v_mov_b32_e32 v25, v5
	s_waitcnt vmcnt(3) lgkmcnt(2)
	v_pk_mul_f32 v[4:5], v[6:7], v[46:47] op_sel:[1,1] op_sel_hi:[0,1]
	v_pk_fma_f32 v[22:23], v[6:7], v[46:47], v[4:5] neg_lo:[0,0,1] neg_hi:[0,0,1]
	v_pk_fma_f32 v[4:5], v[6:7], v[46:47], v[4:5] op_sel_hi:[1,0,1]
	v_pk_add_f32 v[2:3], v[2:3], v[24:25]
	v_mov_b32_e32 v4, v49
	v_mov_b32_e32 v23, v5
	v_pk_mul_f32 v[4:5], v[8:9], v[4:5] op_sel:[1,0] op_sel_hi:[0,0]
	v_pk_fma_f32 v[6:7], v[8:9], v[48:49], v[4:5] neg_lo:[0,0,1] neg_hi:[0,0,1]
	v_pk_fma_f32 v[4:5], v[8:9], v[48:49], v[4:5] op_sel_hi:[1,0,1]
	v_pk_add_f32 v[2:3], v[2:3], v[22:23]
	v_mov_b32_e32 v7, v5
	s_waitcnt vmcnt(2) lgkmcnt(1)
	v_pk_mul_f32 v[4:5], v[10:11], v[34:35] op_sel:[1,1] op_sel_hi:[0,1]
	v_pk_add_f32 v[2:3], v[2:3], v[6:7]
	v_pk_fma_f32 v[6:7], v[10:11], v[34:35], v[4:5] neg_lo:[0,0,1] neg_hi:[0,0,1]
	v_pk_fma_f32 v[4:5], v[10:11], v[34:35], v[4:5] op_sel_hi:[1,0,1]
	s_nop 0
	v_mov_b32_e32 v4, v37
	v_mov_b32_e32 v7, v5
	v_pk_mul_f32 v[4:5], v[12:13], v[4:5] op_sel:[1,0] op_sel_hi:[0,0]
	v_pk_add_f32 v[2:3], v[2:3], v[6:7]
	v_pk_fma_f32 v[6:7], v[12:13], v[36:37], v[4:5] neg_lo:[0,0,1] neg_hi:[0,0,1]
	v_pk_fma_f32 v[4:5], v[12:13], v[36:37], v[4:5] op_sel_hi:[1,0,1]
	s_nop 0
	v_mov_b32_e32 v7, v5
	s_waitcnt vmcnt(1) lgkmcnt(0)
	v_pk_mul_f32 v[4:5], v[14:15], v[18:19] op_sel:[1,1] op_sel_hi:[0,1]
	v_pk_add_f32 v[2:3], v[2:3], v[6:7]
	v_pk_fma_f32 v[6:7], v[14:15], v[18:19], v[4:5] neg_lo:[0,0,1] neg_hi:[0,0,1]
	v_pk_fma_f32 v[4:5], v[14:15], v[18:19], v[4:5] op_sel_hi:[1,0,1]
	s_nop 0
	v_mov_b32_e32 v4, v21
	v_mov_b32_e32 v7, v5
	v_pk_mul_f32 v[4:5], v[16:17], v[4:5] op_sel:[1,0] op_sel_hi:[0,0]
	v_pk_add_f32 v[2:3], v[2:3], v[6:7]
	v_pk_fma_f32 v[6:7], v[16:17], v[20:21], v[4:5] neg_lo:[0,0,1] neg_hi:[0,0,1]
	v_pk_fma_f32 v[4:5], v[16:17], v[20:21], v[4:5] op_sel_hi:[1,0,1]
	s_nop 0
	v_mov_b32_e32 v7, v5
	v_pk_add_f32 v[2:3], v[2:3], v[6:7]
	s_waitcnt vmcnt(0)
	v_pk_add_f32 v[2:3], v[100:101], v[2:3] neg_lo:[0,1] neg_hi:[0,1]
	scratch_store_dwordx2 off, v[2:3], off offset:192
	s_and_saveexec_b64 s[0:1], vcc
	s_cbranch_execz .LBB116_285
; %bb.284:
	scratch_load_dwordx2 v[2:3], off, off offset:184
	v_mov_b32_e32 v4, 0
	v_mov_b32_e32 v5, v4
	scratch_store_dwordx2 off, v[4:5], off offset:184
	s_waitcnt vmcnt(1)
	ds_write_b64 v1, v[2:3]
.LBB116_285:
	s_or_b64 exec, exec, s[0:1]
	s_waitcnt lgkmcnt(0)
	; wave barrier
	scratch_load_dwordx4 v[26:29], off, off offset:192
	scratch_load_dwordx4 v[2:5], off, off offset:208
	scratch_load_dwordx4 v[6:9], off, off offset:224
	scratch_load_dwordx4 v[10:13], off, off offset:240
	scratch_load_dwordx4 v[14:17], off, off offset:256
	scratch_load_dwordx4 v[22:25], off, off offset:272
	scratch_load_dwordx4 v[30:33], off, off offset:288
	scratch_load_dwordx4 v[38:41], off, off offset:304
	scratch_load_dwordx4 v[42:45], off, off offset:320
	scratch_load_dwordx4 v[50:53], off, off offset:336
	scratch_load_dwordx4 v[54:57], off, off offset:352
	scratch_load_dwordx4 v[46:49], off, off offset:368
	scratch_load_dwordx4 v[34:37], off, off offset:384
	scratch_load_dwordx4 v[18:21], off, off offset:400
	scratch_load_dwordx2 v[58:59], off, off offset:416
	scratch_load_dwordx2 v[100:101], off, off offset:184
	v_mov_b32_e32 v102, 0
	ds_read_b128 v[60:63], v102 offset:624
	ds_read_b128 v[64:67], v102 offset:640
	;; [unrolled: 1-line block ×12, first 2 shown]
	v_cmp_lt_u32_e32 vcc, 22, v0
	s_waitcnt vmcnt(15) lgkmcnt(11)
	v_mul_f32_e32 v103, v60, v27
	v_mul_f32_e32 v112, v62, v29
	s_waitcnt vmcnt(14) lgkmcnt(10)
	v_mul_f32_e32 v114, v64, v3
	v_mul_f32_e32 v3, v65, v3
	v_fmac_f32_e32 v103, v61, v26
	v_fmac_f32_e32 v112, v63, v28
	;; [unrolled: 1-line block ×3, first 2 shown]
	v_fma_f32 v2, v64, v2, -v3
	v_add_f32_e32 v3, 0, v103
	v_mul_f32_e32 v116, v66, v5
	v_add_f32_e32 v3, v3, v112
	s_waitcnt vmcnt(13) lgkmcnt(9)
	v_mul_f32_e32 v117, v68, v7
	v_fmac_f32_e32 v116, v67, v4
	v_add_f32_e32 v3, v3, v114
	v_mul_f32_e32 v118, v70, v9
	v_fmac_f32_e32 v117, v69, v6
	v_add_f32_e32 v3, v3, v116
	s_waitcnt vmcnt(12) lgkmcnt(8)
	v_mul_f32_e32 v119, v72, v11
	v_fmac_f32_e32 v118, v71, v8
	v_add_f32_e32 v3, v3, v117
	v_mul_f32_e32 v120, v74, v13
	v_fmac_f32_e32 v119, v73, v10
	;; [unrolled: 7-line block ×6, first 2 shown]
	v_add_f32_e32 v3, v3, v126
	s_waitcnt vmcnt(7) lgkmcnt(3)
	v_mul_f32_e32 v129, v92, v43
	v_fmac_f32_e32 v128, v91, v40
	v_add_f32_e32 v3, v3, v127
	v_mul_f32_e32 v130, v94, v45
	v_mul_f32_e32 v27, v61, v27
	v_fmac_f32_e32 v129, v93, v42
	v_add_f32_e32 v3, v3, v128
	s_waitcnt vmcnt(6) lgkmcnt(2)
	v_mul_f32_e32 v131, v96, v51
	v_mul_f32_e32 v29, v63, v29
	v_fmac_f32_e32 v130, v95, v44
	v_fma_f32 v26, v60, v26, -v27
	v_add_f32_e32 v3, v3, v129
	v_fmac_f32_e32 v131, v97, v50
	v_fma_f32 v27, v62, v28, -v29
	v_add_f32_e32 v26, 0, v26
	v_add_f32_e32 v3, v3, v130
	;; [unrolled: 1-line block ×4, first 2 shown]
	v_mul_f32_e32 v3, v67, v5
	v_add_f32_e32 v2, v26, v2
	v_fma_f32 v3, v66, v4, -v3
	v_add_f32_e32 v2, v2, v3
	v_mul_f32_e32 v3, v69, v7
	v_fma_f32 v3, v68, v6, -v3
	v_add_f32_e32 v2, v2, v3
	v_mul_f32_e32 v3, v71, v9
	;; [unrolled: 3-line block ×15, first 2 shown]
	v_fma_f32 v3, v96, v50, -v3
	v_mul_f32_e32 v113, v98, v53
	v_add_f32_e32 v26, v2, v3
	v_mul_f32_e32 v2, v99, v53
	s_waitcnt vmcnt(5)
	v_mov_b32_e32 v14, v57
	s_waitcnt lgkmcnt(1)
	v_mul_f32_e32 v115, v104, v55
	v_fmac_f32_e32 v113, v99, v52
	v_fma_f32 v112, v98, v52, -v2
	v_mul_f32_e32 v2, v105, v55
	v_pk_mul_f32 v[14:15], v[106:107], v[14:15] op_sel:[1,0] op_sel_hi:[0,0]
	v_fmac_f32_e32 v115, v105, v54
	v_fma_f32 v114, v104, v54, -v2
	v_pk_add_f32 v[12:13], v[26:27], v[112:113]
	v_pk_fma_f32 v[16:17], v[106:107], v[56:57], v[14:15] neg_lo:[0,0,1] neg_hi:[0,0,1]
	v_pk_fma_f32 v[14:15], v[106:107], v[56:57], v[14:15] op_sel_hi:[1,0,1]
	v_pk_add_f32 v[12:13], v[12:13], v[114:115]
	v_mov_b32_e32 v17, v15
	s_waitcnt vmcnt(4) lgkmcnt(0)
	v_pk_mul_f32 v[14:15], v[108:109], v[46:47] op_sel:[1,1] op_sel_hi:[0,1]
	v_pk_add_f32 v[12:13], v[12:13], v[16:17]
	v_pk_fma_f32 v[16:17], v[108:109], v[46:47], v[14:15] neg_lo:[0,0,1] neg_hi:[0,0,1]
	v_pk_fma_f32 v[14:15], v[108:109], v[46:47], v[14:15] op_sel_hi:[1,0,1]
	ds_read_b128 v[2:5], v102 offset:816
	ds_read_b128 v[6:9], v102 offset:832
	ds_read_b64 v[10:11], v102 offset:848
	v_mov_b32_e32 v14, v49
	v_mov_b32_e32 v17, v15
	v_pk_mul_f32 v[14:15], v[110:111], v[14:15] op_sel:[1,0] op_sel_hi:[0,0]
	v_pk_add_f32 v[12:13], v[12:13], v[16:17]
	v_pk_fma_f32 v[16:17], v[110:111], v[48:49], v[14:15] neg_lo:[0,0,1] neg_hi:[0,0,1]
	v_pk_fma_f32 v[14:15], v[110:111], v[48:49], v[14:15] op_sel_hi:[1,0,1]
	s_nop 0
	v_mov_b32_e32 v17, v15
	s_waitcnt vmcnt(3) lgkmcnt(2)
	v_pk_mul_f32 v[14:15], v[2:3], v[34:35] op_sel:[1,1] op_sel_hi:[0,1]
	v_pk_add_f32 v[12:13], v[12:13], v[16:17]
	v_pk_fma_f32 v[16:17], v[2:3], v[34:35], v[14:15] neg_lo:[0,0,1] neg_hi:[0,0,1]
	v_pk_fma_f32 v[2:3], v[2:3], v[34:35], v[14:15] op_sel_hi:[1,0,1]
	s_nop 0
	v_mov_b32_e32 v17, v3
	v_pk_add_f32 v[2:3], v[12:13], v[16:17]
	v_mov_b32_e32 v12, v37
	v_pk_mul_f32 v[12:13], v[4:5], v[12:13] op_sel:[1,0] op_sel_hi:[0,0]
	v_pk_fma_f32 v[14:15], v[4:5], v[36:37], v[12:13] neg_lo:[0,0,1] neg_hi:[0,0,1]
	v_pk_fma_f32 v[4:5], v[4:5], v[36:37], v[12:13] op_sel_hi:[1,0,1]
	s_nop 0
	v_mov_b32_e32 v15, v5
	s_waitcnt vmcnt(2) lgkmcnt(1)
	v_pk_mul_f32 v[4:5], v[6:7], v[18:19] op_sel:[1,1] op_sel_hi:[0,1]
	v_pk_fma_f32 v[12:13], v[6:7], v[18:19], v[4:5] neg_lo:[0,0,1] neg_hi:[0,0,1]
	v_pk_fma_f32 v[4:5], v[6:7], v[18:19], v[4:5] op_sel_hi:[1,0,1]
	v_pk_add_f32 v[2:3], v[2:3], v[14:15]
	v_mov_b32_e32 v4, v21
	v_mov_b32_e32 v13, v5
	v_pk_mul_f32 v[4:5], v[8:9], v[4:5] op_sel:[1,0] op_sel_hi:[0,0]
	v_pk_fma_f32 v[6:7], v[8:9], v[20:21], v[4:5] neg_lo:[0,0,1] neg_hi:[0,0,1]
	v_pk_fma_f32 v[4:5], v[8:9], v[20:21], v[4:5] op_sel_hi:[1,0,1]
	v_pk_add_f32 v[2:3], v[2:3], v[12:13]
	v_mov_b32_e32 v7, v5
	s_waitcnt vmcnt(1) lgkmcnt(0)
	v_pk_mul_f32 v[4:5], v[10:11], v[58:59] op_sel:[1,1] op_sel_hi:[0,1]
	v_pk_add_f32 v[2:3], v[2:3], v[6:7]
	v_pk_fma_f32 v[6:7], v[10:11], v[58:59], v[4:5] neg_lo:[0,0,1] neg_hi:[0,0,1]
	v_pk_fma_f32 v[4:5], v[10:11], v[58:59], v[4:5] op_sel_hi:[1,0,1]
	s_nop 0
	v_mov_b32_e32 v7, v5
	v_pk_add_f32 v[2:3], v[2:3], v[6:7]
	s_waitcnt vmcnt(0)
	v_pk_add_f32 v[2:3], v[100:101], v[2:3] neg_lo:[0,1] neg_hi:[0,1]
	scratch_store_dwordx2 off, v[2:3], off offset:184
	s_and_saveexec_b64 s[0:1], vcc
	s_cbranch_execz .LBB116_287
; %bb.286:
	scratch_load_dwordx2 v[2:3], off, off offset:176
	v_mov_b32_e32 v103, v102
	scratch_store_dwordx2 off, v[102:103], off offset:176
	s_waitcnt vmcnt(1)
	ds_write_b64 v1, v[2:3]
.LBB116_287:
	s_or_b64 exec, exec, s[0:1]
	s_waitcnt lgkmcnt(0)
	; wave barrier
	scratch_load_dwordx4 v[18:21], off, off offset:184
	scratch_load_dwordx4 v[2:5], off, off offset:200
	;; [unrolled: 1-line block ×11, first 2 shown]
	ds_read2_b64 v[104:107], v102 offset0:77 offset1:78
	ds_read2_b64 v[98:101], v102 offset0:79 offset1:80
	;; [unrolled: 1-line block ×10, first 2 shown]
	scratch_load_dwordx4 v[58:61], off, off offset:360
	scratch_load_dwordx4 v[50:53], off, off offset:376
	;; [unrolled: 1-line block ×4, first 2 shown]
	ds_read2_b64 v[78:81], v102 offset0:97 offset1:98
	ds_read2_b64 v[108:111], v102 offset0:99 offset1:100
	scratch_load_dwordx2 v[112:113], off, off offset:176
	v_cmp_lt_u32_e32 vcc, 21, v0
	s_waitcnt vmcnt(15) lgkmcnt(11)
	v_mul_f32_e32 v103, v104, v19
	v_mul_f32_e32 v114, v106, v21
	s_waitcnt vmcnt(14) lgkmcnt(10)
	v_mul_f32_e32 v116, v98, v3
	v_mul_f32_e32 v3, v99, v3
	v_fmac_f32_e32 v103, v105, v18
	v_fmac_f32_e32 v114, v107, v20
	;; [unrolled: 1-line block ×3, first 2 shown]
	v_fma_f32 v2, v98, v2, -v3
	v_add_f32_e32 v3, 0, v103
	v_mul_f32_e32 v118, v100, v5
	v_add_f32_e32 v3, v3, v114
	s_waitcnt vmcnt(13) lgkmcnt(9)
	v_mul_f32_e32 v119, v94, v7
	v_fmac_f32_e32 v118, v101, v4
	v_add_f32_e32 v3, v3, v116
	v_mul_f32_e32 v120, v96, v9
	v_fmac_f32_e32 v119, v95, v6
	v_add_f32_e32 v3, v3, v118
	s_waitcnt vmcnt(12) lgkmcnt(8)
	v_mul_f32_e32 v121, v90, v11
	v_fmac_f32_e32 v120, v97, v8
	v_add_f32_e32 v3, v3, v119
	v_mul_f32_e32 v122, v92, v13
	v_fmac_f32_e32 v121, v91, v10
	;; [unrolled: 7-line block ×7, first 2 shown]
	v_add_f32_e32 v3, v3, v130
	s_waitcnt vmcnt(6) lgkmcnt(2)
	v_mul_f32_e32 v133, v62, v47
	v_mul_f32_e32 v19, v105, v19
	v_fmac_f32_e32 v132, v69, v44
	v_add_f32_e32 v3, v3, v131
	v_mul_f32_e32 v134, v64, v49
	v_mul_f32_e32 v21, v107, v21
	v_fmac_f32_e32 v133, v63, v46
	v_fma_f32 v18, v104, v18, -v19
	v_add_f32_e32 v3, v3, v132
	v_fmac_f32_e32 v134, v65, v48
	v_fma_f32 v19, v106, v20, -v21
	v_add_f32_e32 v18, 0, v18
	v_add_f32_e32 v3, v3, v133
	;; [unrolled: 1-line block ×4, first 2 shown]
	v_mul_f32_e32 v3, v101, v5
	v_add_f32_e32 v2, v18, v2
	v_fma_f32 v3, v100, v4, -v3
	v_add_f32_e32 v2, v2, v3
	v_mul_f32_e32 v3, v95, v7
	v_fma_f32 v3, v94, v6, -v3
	v_add_f32_e32 v2, v2, v3
	v_mul_f32_e32 v3, v97, v9
	;; [unrolled: 3-line block ×16, first 2 shown]
	v_fma_f32 v3, v64, v48, -v3
	s_waitcnt vmcnt(5) lgkmcnt(1)
	v_mul_f32_e32 v115, v78, v55
	v_add_f32_e32 v18, v2, v3
	v_mul_f32_e32 v2, v79, v55
	v_fmac_f32_e32 v115, v79, v54
	v_fma_f32 v114, v78, v54, -v2
	s_waitcnt vmcnt(4) lgkmcnt(0)
	v_pk_mul_f32 v[16:17], v[108:109], v[58:59] op_sel:[1,1] op_sel_hi:[0,1]
	v_mul_f32_e32 v117, v80, v57
	v_mul_f32_e32 v2, v81, v57
	v_pk_add_f32 v[14:15], v[18:19], v[114:115]
	v_pk_fma_f32 v[18:19], v[108:109], v[58:59], v[16:17] neg_lo:[0,0,1] neg_hi:[0,0,1]
	v_pk_fma_f32 v[16:17], v[108:109], v[58:59], v[16:17] op_sel_hi:[1,0,1]
	v_fmac_f32_e32 v117, v81, v56
	v_fma_f32 v116, v80, v56, -v2
	ds_read2_b64 v[2:5], v102 offset0:101 offset1:102
	ds_read2_b64 v[6:9], v102 offset0:103 offset1:104
	;; [unrolled: 1-line block ×3, first 2 shown]
	v_mov_b32_e32 v16, v61
	v_pk_add_f32 v[14:15], v[14:15], v[116:117]
	v_mov_b32_e32 v19, v17
	v_pk_mul_f32 v[16:17], v[110:111], v[16:17] op_sel:[1,0] op_sel_hi:[0,0]
	v_pk_add_f32 v[14:15], v[14:15], v[18:19]
	v_pk_fma_f32 v[18:19], v[110:111], v[60:61], v[16:17] neg_lo:[0,0,1] neg_hi:[0,0,1]
	v_pk_fma_f32 v[16:17], v[110:111], v[60:61], v[16:17] op_sel_hi:[1,0,1]
	s_nop 0
	v_mov_b32_e32 v19, v17
	s_waitcnt vmcnt(3) lgkmcnt(2)
	v_pk_mul_f32 v[16:17], v[2:3], v[50:51] op_sel:[1,1] op_sel_hi:[0,1]
	v_pk_add_f32 v[14:15], v[14:15], v[18:19]
	v_pk_fma_f32 v[18:19], v[2:3], v[50:51], v[16:17] neg_lo:[0,0,1] neg_hi:[0,0,1]
	v_pk_fma_f32 v[2:3], v[2:3], v[50:51], v[16:17] op_sel_hi:[1,0,1]
	s_nop 0
	v_mov_b32_e32 v19, v3
	v_pk_add_f32 v[2:3], v[14:15], v[18:19]
	v_mov_b32_e32 v14, v53
	v_pk_mul_f32 v[14:15], v[4:5], v[14:15] op_sel:[1,0] op_sel_hi:[0,0]
	v_pk_fma_f32 v[16:17], v[4:5], v[52:53], v[14:15] neg_lo:[0,0,1] neg_hi:[0,0,1]
	v_pk_fma_f32 v[4:5], v[4:5], v[52:53], v[14:15] op_sel_hi:[1,0,1]
	s_nop 0
	v_mov_b32_e32 v17, v5
	s_waitcnt vmcnt(2) lgkmcnt(1)
	v_pk_mul_f32 v[4:5], v[6:7], v[38:39] op_sel:[1,1] op_sel_hi:[0,1]
	v_pk_fma_f32 v[14:15], v[6:7], v[38:39], v[4:5] neg_lo:[0,0,1] neg_hi:[0,0,1]
	v_pk_fma_f32 v[4:5], v[6:7], v[38:39], v[4:5] op_sel_hi:[1,0,1]
	v_pk_add_f32 v[2:3], v[2:3], v[16:17]
	v_mov_b32_e32 v4, v41
	v_mov_b32_e32 v15, v5
	v_pk_mul_f32 v[4:5], v[8:9], v[4:5] op_sel:[1,0] op_sel_hi:[0,0]
	v_pk_fma_f32 v[6:7], v[8:9], v[40:41], v[4:5] neg_lo:[0,0,1] neg_hi:[0,0,1]
	v_pk_fma_f32 v[4:5], v[8:9], v[40:41], v[4:5] op_sel_hi:[1,0,1]
	v_pk_add_f32 v[2:3], v[2:3], v[14:15]
	v_mov_b32_e32 v7, v5
	s_waitcnt vmcnt(1) lgkmcnt(0)
	v_pk_mul_f32 v[4:5], v[10:11], v[26:27] op_sel:[1,1] op_sel_hi:[0,1]
	v_pk_add_f32 v[2:3], v[2:3], v[6:7]
	v_pk_fma_f32 v[6:7], v[10:11], v[26:27], v[4:5] neg_lo:[0,0,1] neg_hi:[0,0,1]
	v_pk_fma_f32 v[4:5], v[10:11], v[26:27], v[4:5] op_sel_hi:[1,0,1]
	s_nop 0
	v_mov_b32_e32 v4, v29
	v_mov_b32_e32 v7, v5
	v_pk_mul_f32 v[4:5], v[12:13], v[4:5] op_sel:[1,0] op_sel_hi:[0,0]
	v_pk_add_f32 v[2:3], v[2:3], v[6:7]
	v_pk_fma_f32 v[6:7], v[12:13], v[28:29], v[4:5] neg_lo:[0,0,1] neg_hi:[0,0,1]
	v_pk_fma_f32 v[4:5], v[12:13], v[28:29], v[4:5] op_sel_hi:[1,0,1]
	s_nop 0
	v_mov_b32_e32 v7, v5
	v_pk_add_f32 v[2:3], v[2:3], v[6:7]
	s_waitcnt vmcnt(0)
	v_pk_add_f32 v[2:3], v[112:113], v[2:3] neg_lo:[0,1] neg_hi:[0,1]
	scratch_store_dwordx2 off, v[2:3], off offset:176
	s_and_saveexec_b64 s[0:1], vcc
	s_cbranch_execz .LBB116_289
; %bb.288:
	scratch_load_dwordx2 v[2:3], off, off offset:168
	v_mov_b32_e32 v4, 0
	v_mov_b32_e32 v5, v4
	scratch_store_dwordx2 off, v[4:5], off offset:168
	s_waitcnt vmcnt(1)
	ds_write_b64 v1, v[2:3]
.LBB116_289:
	s_or_b64 exec, exec, s[0:1]
	s_waitcnt lgkmcnt(0)
	; wave barrier
	scratch_load_dwordx4 v[2:5], off, off offset:176
	scratch_load_dwordx4 v[6:9], off, off offset:192
	;; [unrolled: 1-line block ×15, first 2 shown]
	scratch_load_dwordx2 v[62:63], off, off offset:416
	scratch_load_dwordx2 v[112:113], off, off offset:168
	v_mov_b32_e32 v114, 0
	ds_read_b128 v[64:67], v114 offset:608
	ds_read_b128 v[68:71], v114 offset:624
	;; [unrolled: 1-line block ×12, first 2 shown]
	v_cmp_lt_u32_e32 vcc, 20, v0
	s_waitcnt vmcnt(16) lgkmcnt(11)
	v_mul_f32_e32 v115, v64, v3
	v_mul_f32_e32 v116, v66, v5
	;; [unrolled: 1-line block ×3, first 2 shown]
	v_fmac_f32_e32 v115, v65, v2
	s_waitcnt vmcnt(15) lgkmcnt(10)
	v_mul_f32_e32 v118, v68, v7
	v_fmac_f32_e32 v116, v67, v4
	v_fma_f32 v2, v64, v2, -v3
	v_add_f32_e32 v3, 0, v115
	v_mul_f32_e32 v120, v70, v9
	v_fmac_f32_e32 v118, v69, v6
	v_add_f32_e32 v3, v3, v116
	s_waitcnt vmcnt(14) lgkmcnt(9)
	v_mul_f32_e32 v121, v72, v11
	v_fmac_f32_e32 v120, v71, v8
	v_add_f32_e32 v3, v3, v118
	v_mul_f32_e32 v122, v74, v13
	v_fmac_f32_e32 v121, v73, v10
	v_add_f32_e32 v3, v3, v120
	s_waitcnt vmcnt(13) lgkmcnt(8)
	v_mul_f32_e32 v123, v76, v15
	v_fmac_f32_e32 v122, v75, v12
	;; [unrolled: 7-line block ×9, first 2 shown]
	v_add_f32_e32 v3, v3, v135
	v_mul_f32_e32 v5, v67, v5
	v_fmac_f32_e32 v137, v105, v58
	v_add_f32_e32 v3, v3, v136
	v_add_f32_e32 v2, 0, v2
	;; [unrolled: 1-line block ×3, first 2 shown]
	v_fma_f32 v3, v66, v4, -v5
	v_add_f32_e32 v2, v2, v3
	v_mul_f32_e32 v3, v69, v7
	v_fma_f32 v3, v68, v6, -v3
	v_add_f32_e32 v2, v2, v3
	v_mul_f32_e32 v3, v71, v9
	;; [unrolled: 3-line block ×20, first 2 shown]
	v_mul_f32_e32 v117, v106, v61
	v_fma_f32 v116, v106, v60, -v2
	s_waitcnt vmcnt(5) lgkmcnt(0)
	v_mul_f32_e32 v2, v109, v55
	v_mov_b32_e32 v18, v57
	v_mul_f32_e32 v119, v108, v55
	v_fmac_f32_e32 v117, v107, v60
	v_fma_f32 v118, v108, v54, -v2
	ds_read_b128 v[2:5], v114 offset:800
	ds_read_b128 v[6:9], v114 offset:816
	;; [unrolled: 1-line block ×3, first 2 shown]
	ds_read_b64 v[14:15], v114 offset:848
	v_pk_mul_f32 v[18:19], v[110:111], v[18:19] op_sel:[1,0] op_sel_hi:[0,0]
	v_fmac_f32_e32 v119, v109, v54
	v_pk_add_f32 v[16:17], v[64:65], v[116:117]
	v_pk_fma_f32 v[20:21], v[110:111], v[56:57], v[18:19] neg_lo:[0,0,1] neg_hi:[0,0,1]
	v_pk_fma_f32 v[18:19], v[110:111], v[56:57], v[18:19] op_sel_hi:[1,0,1]
	v_pk_add_f32 v[16:17], v[16:17], v[118:119]
	v_mov_b32_e32 v21, v19
	s_waitcnt vmcnt(4) lgkmcnt(3)
	v_pk_mul_f32 v[18:19], v[2:3], v[50:51] op_sel:[1,1] op_sel_hi:[0,1]
	v_pk_add_f32 v[16:17], v[16:17], v[20:21]
	v_pk_fma_f32 v[20:21], v[2:3], v[50:51], v[18:19] neg_lo:[0,0,1] neg_hi:[0,0,1]
	v_pk_fma_f32 v[2:3], v[2:3], v[50:51], v[18:19] op_sel_hi:[1,0,1]
	s_nop 0
	v_mov_b32_e32 v21, v3
	v_pk_add_f32 v[2:3], v[16:17], v[20:21]
	v_mov_b32_e32 v16, v53
	v_pk_mul_f32 v[16:17], v[4:5], v[16:17] op_sel:[1,0] op_sel_hi:[0,0]
	v_pk_fma_f32 v[18:19], v[4:5], v[52:53], v[16:17] neg_lo:[0,0,1] neg_hi:[0,0,1]
	v_pk_fma_f32 v[4:5], v[4:5], v[52:53], v[16:17] op_sel_hi:[1,0,1]
	s_nop 0
	v_mov_b32_e32 v19, v5
	s_waitcnt vmcnt(3) lgkmcnt(2)
	v_pk_mul_f32 v[4:5], v[6:7], v[38:39] op_sel:[1,1] op_sel_hi:[0,1]
	v_pk_fma_f32 v[16:17], v[6:7], v[38:39], v[4:5] neg_lo:[0,0,1] neg_hi:[0,0,1]
	v_pk_fma_f32 v[4:5], v[6:7], v[38:39], v[4:5] op_sel_hi:[1,0,1]
	v_pk_add_f32 v[2:3], v[2:3], v[18:19]
	v_mov_b32_e32 v4, v41
	v_mov_b32_e32 v17, v5
	v_pk_mul_f32 v[4:5], v[8:9], v[4:5] op_sel:[1,0] op_sel_hi:[0,0]
	v_pk_fma_f32 v[6:7], v[8:9], v[40:41], v[4:5] neg_lo:[0,0,1] neg_hi:[0,0,1]
	v_pk_fma_f32 v[4:5], v[8:9], v[40:41], v[4:5] op_sel_hi:[1,0,1]
	v_pk_add_f32 v[2:3], v[2:3], v[16:17]
	v_mov_b32_e32 v7, v5
	s_waitcnt vmcnt(2) lgkmcnt(1)
	v_pk_mul_f32 v[4:5], v[10:11], v[26:27] op_sel:[1,1] op_sel_hi:[0,1]
	v_pk_add_f32 v[2:3], v[2:3], v[6:7]
	v_pk_fma_f32 v[6:7], v[10:11], v[26:27], v[4:5] neg_lo:[0,0,1] neg_hi:[0,0,1]
	v_pk_fma_f32 v[4:5], v[10:11], v[26:27], v[4:5] op_sel_hi:[1,0,1]
	s_nop 0
	v_mov_b32_e32 v4, v29
	v_mov_b32_e32 v7, v5
	v_pk_mul_f32 v[4:5], v[12:13], v[4:5] op_sel:[1,0] op_sel_hi:[0,0]
	v_pk_add_f32 v[2:3], v[2:3], v[6:7]
	v_pk_fma_f32 v[6:7], v[12:13], v[28:29], v[4:5] neg_lo:[0,0,1] neg_hi:[0,0,1]
	v_pk_fma_f32 v[4:5], v[12:13], v[28:29], v[4:5] op_sel_hi:[1,0,1]
	s_nop 0
	v_mov_b32_e32 v7, v5
	s_waitcnt vmcnt(1) lgkmcnt(0)
	v_pk_mul_f32 v[4:5], v[14:15], v[62:63] op_sel:[1,1] op_sel_hi:[0,1]
	v_pk_add_f32 v[2:3], v[2:3], v[6:7]
	v_pk_fma_f32 v[6:7], v[14:15], v[62:63], v[4:5] neg_lo:[0,0,1] neg_hi:[0,0,1]
	v_pk_fma_f32 v[4:5], v[14:15], v[62:63], v[4:5] op_sel_hi:[1,0,1]
	s_nop 0
	v_mov_b32_e32 v7, v5
	v_pk_add_f32 v[2:3], v[2:3], v[6:7]
	s_waitcnt vmcnt(0)
	v_pk_add_f32 v[2:3], v[112:113], v[2:3] neg_lo:[0,1] neg_hi:[0,1]
	scratch_store_dwordx2 off, v[2:3], off offset:168
	s_and_saveexec_b64 s[0:1], vcc
	s_cbranch_execz .LBB116_291
; %bb.290:
	scratch_load_dwordx2 v[2:3], off, off offset:160
	v_mov_b32_e32 v115, v114
	scratch_store_dwordx2 off, v[114:115], off offset:160
	s_waitcnt vmcnt(1)
	ds_write_b64 v1, v[2:3]
.LBB116_291:
	s_or_b64 exec, exec, s[0:1]
	s_waitcnt lgkmcnt(0)
	; wave barrier
	scratch_load_dwordx4 v[2:5], off, off offset:168
	scratch_load_dwordx4 v[6:9], off, off offset:184
	;; [unrolled: 1-line block ×12, first 2 shown]
	ds_read2_b64 v[110:113], v114 offset0:75 offset1:76
	ds_read2_b64 v[106:109], v114 offset0:77 offset1:78
	;; [unrolled: 1-line block ×12, first 2 shown]
	scratch_load_dwordx4 v[62:65], off, off offset:360
	scratch_load_dwordx4 v[54:57], off, off offset:376
	;; [unrolled: 1-line block ×4, first 2 shown]
	scratch_load_dwordx2 v[116:117], off, off offset:160
	v_cmp_lt_u32_e32 vcc, 19, v0
	s_waitcnt vmcnt(16) lgkmcnt(11)
	v_mul_f32_e32 v115, v110, v3
	v_mul_f32_e32 v118, v112, v5
	;; [unrolled: 1-line block ×3, first 2 shown]
	v_fmac_f32_e32 v115, v111, v2
	s_waitcnt vmcnt(15) lgkmcnt(10)
	v_mul_f32_e32 v120, v106, v7
	v_fmac_f32_e32 v118, v113, v4
	v_fma_f32 v2, v110, v2, -v3
	v_add_f32_e32 v3, 0, v115
	v_mul_f32_e32 v122, v108, v9
	v_fmac_f32_e32 v120, v107, v6
	v_add_f32_e32 v3, v3, v118
	s_waitcnt vmcnt(14) lgkmcnt(9)
	v_mul_f32_e32 v123, v102, v11
	v_fmac_f32_e32 v122, v109, v8
	v_add_f32_e32 v3, v3, v120
	v_mul_f32_e32 v124, v104, v13
	v_fmac_f32_e32 v123, v103, v10
	v_add_f32_e32 v3, v3, v122
	s_waitcnt vmcnt(13) lgkmcnt(8)
	v_mul_f32_e32 v125, v98, v15
	v_fmac_f32_e32 v124, v105, v12
	;; [unrolled: 7-line block ×9, first 2 shown]
	v_add_f32_e32 v3, v3, v137
	v_mul_f32_e32 v140, v72, v53
	v_fmac_f32_e32 v139, v71, v50
	v_add_f32_e32 v3, v3, v138
	v_fmac_f32_e32 v140, v73, v52
	v_add_f32_e32 v3, v3, v139
	v_add_f32_e32 v111, v3, v140
	v_mul_f32_e32 v3, v113, v5
	v_add_f32_e32 v2, 0, v2
	v_fma_f32 v3, v112, v4, -v3
	v_add_f32_e32 v2, v2, v3
	v_mul_f32_e32 v3, v107, v7
	v_fma_f32 v3, v106, v6, -v3
	v_add_f32_e32 v2, v2, v3
	v_mul_f32_e32 v3, v109, v9
	v_fma_f32 v3, v108, v8, -v3
	v_add_f32_e32 v2, v2, v3
	v_mul_f32_e32 v3, v103, v11
	v_fma_f32 v3, v102, v10, -v3
	v_add_f32_e32 v2, v2, v3
	v_mul_f32_e32 v3, v105, v13
	v_fma_f32 v3, v104, v12, -v3
	v_add_f32_e32 v2, v2, v3
	v_mul_f32_e32 v3, v99, v15
	v_fma_f32 v3, v98, v14, -v3
	v_add_f32_e32 v2, v2, v3
	v_mul_f32_e32 v3, v101, v17
	v_fma_f32 v3, v100, v16, -v3
	v_add_f32_e32 v2, v2, v3
	v_mul_f32_e32 v3, v95, v19
	v_fma_f32 v3, v94, v18, -v3
	v_add_f32_e32 v2, v2, v3
	v_mul_f32_e32 v3, v97, v21
	v_fma_f32 v3, v96, v20, -v3
	v_add_f32_e32 v2, v2, v3
	v_mul_f32_e32 v3, v91, v23
	v_fma_f32 v3, v90, v22, -v3
	v_add_f32_e32 v2, v2, v3
	v_mul_f32_e32 v3, v93, v25
	v_fma_f32 v3, v92, v24, -v3
	v_add_f32_e32 v2, v2, v3
	v_mul_f32_e32 v3, v87, v27
	v_fma_f32 v3, v86, v26, -v3
	v_add_f32_e32 v2, v2, v3
	v_mul_f32_e32 v3, v89, v29
	v_fma_f32 v3, v88, v28, -v3
	v_add_f32_e32 v2, v2, v3
	v_mul_f32_e32 v3, v83, v31
	v_fma_f32 v3, v82, v30, -v3
	v_add_f32_e32 v2, v2, v3
	v_mul_f32_e32 v3, v85, v33
	v_fma_f32 v3, v84, v32, -v3
	v_add_f32_e32 v2, v2, v3
	v_mul_f32_e32 v3, v79, v39
	v_fma_f32 v3, v78, v38, -v3
	v_add_f32_e32 v2, v2, v3
	v_mul_f32_e32 v3, v81, v41
	v_fma_f32 v3, v80, v40, -v3
	v_add_f32_e32 v2, v2, v3
	v_mul_f32_e32 v3, v75, v47
	v_fma_f32 v3, v74, v46, -v3
	v_add_f32_e32 v2, v2, v3
	v_mul_f32_e32 v3, v77, v49
	v_fma_f32 v3, v76, v48, -v3
	v_add_f32_e32 v2, v2, v3
	v_mul_f32_e32 v3, v71, v51
	v_fma_f32 v3, v70, v50, -v3
	v_add_f32_e32 v2, v2, v3
	v_mul_f32_e32 v3, v73, v53
	v_fma_f32 v3, v72, v52, -v3
	v_add_f32_e32 v110, v2, v3
	s_waitcnt vmcnt(5) lgkmcnt(0)
	v_mul_f32_e32 v2, v67, v59
	v_fma_f32 v118, v66, v58, -v2
	v_mul_f32_e32 v2, v69, v61
	v_fma_f32 v120, v68, v60, -v2
	ds_read2_b64 v[2:5], v114 offset0:99 offset1:100
	ds_read2_b64 v[6:9], v114 offset0:101 offset1:102
	;; [unrolled: 1-line block ×4, first 2 shown]
	v_mul_f32_e32 v119, v66, v59
	v_mul_f32_e32 v121, v68, v61
	v_fmac_f32_e32 v119, v67, v58
	s_waitcnt vmcnt(4) lgkmcnt(3)
	v_pk_mul_f32 v[20:21], v[2:3], v[62:63] op_sel:[1,1] op_sel_hi:[0,1]
	v_fmac_f32_e32 v121, v69, v60
	v_pk_add_f32 v[18:19], v[110:111], v[118:119]
	v_pk_fma_f32 v[22:23], v[2:3], v[62:63], v[20:21] neg_lo:[0,0,1] neg_hi:[0,0,1]
	v_pk_fma_f32 v[2:3], v[2:3], v[62:63], v[20:21] op_sel_hi:[1,0,1]
	v_pk_add_f32 v[18:19], v[18:19], v[120:121]
	v_mov_b32_e32 v23, v3
	v_pk_add_f32 v[2:3], v[18:19], v[22:23]
	v_mov_b32_e32 v18, v65
	v_pk_mul_f32 v[18:19], v[4:5], v[18:19] op_sel:[1,0] op_sel_hi:[0,0]
	v_pk_fma_f32 v[20:21], v[4:5], v[64:65], v[18:19] neg_lo:[0,0,1] neg_hi:[0,0,1]
	v_pk_fma_f32 v[4:5], v[4:5], v[64:65], v[18:19] op_sel_hi:[1,0,1]
	s_nop 0
	v_mov_b32_e32 v21, v5
	s_waitcnt vmcnt(3) lgkmcnt(2)
	v_pk_mul_f32 v[4:5], v[6:7], v[54:55] op_sel:[1,1] op_sel_hi:[0,1]
	v_pk_fma_f32 v[18:19], v[6:7], v[54:55], v[4:5] neg_lo:[0,0,1] neg_hi:[0,0,1]
	v_pk_fma_f32 v[4:5], v[6:7], v[54:55], v[4:5] op_sel_hi:[1,0,1]
	v_pk_add_f32 v[2:3], v[2:3], v[20:21]
	v_mov_b32_e32 v4, v57
	v_mov_b32_e32 v19, v5
	v_pk_mul_f32 v[4:5], v[8:9], v[4:5] op_sel:[1,0] op_sel_hi:[0,0]
	v_pk_fma_f32 v[6:7], v[8:9], v[56:57], v[4:5] neg_lo:[0,0,1] neg_hi:[0,0,1]
	v_pk_fma_f32 v[4:5], v[8:9], v[56:57], v[4:5] op_sel_hi:[1,0,1]
	v_pk_add_f32 v[2:3], v[2:3], v[18:19]
	v_mov_b32_e32 v7, v5
	s_waitcnt vmcnt(2) lgkmcnt(1)
	v_pk_mul_f32 v[4:5], v[10:11], v[42:43] op_sel:[1,1] op_sel_hi:[0,1]
	v_pk_add_f32 v[2:3], v[2:3], v[6:7]
	v_pk_fma_f32 v[6:7], v[10:11], v[42:43], v[4:5] neg_lo:[0,0,1] neg_hi:[0,0,1]
	v_pk_fma_f32 v[4:5], v[10:11], v[42:43], v[4:5] op_sel_hi:[1,0,1]
	s_nop 0
	v_mov_b32_e32 v4, v45
	v_mov_b32_e32 v7, v5
	v_pk_mul_f32 v[4:5], v[12:13], v[4:5] op_sel:[1,0] op_sel_hi:[0,0]
	v_pk_add_f32 v[2:3], v[2:3], v[6:7]
	v_pk_fma_f32 v[6:7], v[12:13], v[44:45], v[4:5] neg_lo:[0,0,1] neg_hi:[0,0,1]
	v_pk_fma_f32 v[4:5], v[12:13], v[44:45], v[4:5] op_sel_hi:[1,0,1]
	s_nop 0
	v_mov_b32_e32 v7, v5
	s_waitcnt vmcnt(1) lgkmcnt(0)
	v_pk_mul_f32 v[4:5], v[14:15], v[34:35] op_sel:[1,1] op_sel_hi:[0,1]
	v_pk_add_f32 v[2:3], v[2:3], v[6:7]
	v_pk_fma_f32 v[6:7], v[14:15], v[34:35], v[4:5] neg_lo:[0,0,1] neg_hi:[0,0,1]
	v_pk_fma_f32 v[4:5], v[14:15], v[34:35], v[4:5] op_sel_hi:[1,0,1]
	s_nop 0
	v_mov_b32_e32 v4, v37
	v_mov_b32_e32 v7, v5
	v_pk_mul_f32 v[4:5], v[16:17], v[4:5] op_sel:[1,0] op_sel_hi:[0,0]
	v_pk_add_f32 v[2:3], v[2:3], v[6:7]
	v_pk_fma_f32 v[6:7], v[16:17], v[36:37], v[4:5] neg_lo:[0,0,1] neg_hi:[0,0,1]
	v_pk_fma_f32 v[4:5], v[16:17], v[36:37], v[4:5] op_sel_hi:[1,0,1]
	s_nop 0
	v_mov_b32_e32 v7, v5
	v_pk_add_f32 v[2:3], v[2:3], v[6:7]
	s_waitcnt vmcnt(0)
	v_pk_add_f32 v[2:3], v[116:117], v[2:3] neg_lo:[0,1] neg_hi:[0,1]
	scratch_store_dwordx2 off, v[2:3], off offset:160
	s_and_saveexec_b64 s[0:1], vcc
	s_cbranch_execz .LBB116_293
; %bb.292:
	scratch_load_dwordx2 v[2:3], off, off offset:152
	v_mov_b32_e32 v4, 0
	v_mov_b32_e32 v5, v4
	scratch_store_dwordx2 off, v[4:5], off offset:152
	s_waitcnt vmcnt(1)
	ds_write_b64 v1, v[2:3]
.LBB116_293:
	s_or_b64 exec, exec, s[0:1]
	s_waitcnt lgkmcnt(0)
	; wave barrier
	scratch_load_dwordx4 v[2:5], off, off offset:160
	scratch_load_dwordx4 v[6:9], off, off offset:176
	;; [unrolled: 1-line block ×13, first 2 shown]
	v_mov_b32_e32 v106, 0
	scratch_load_dwordx2 v[124:125], off, off offset:152
	ds_read_b128 v[54:57], v106 offset:592
	ds_read_b128 v[58:61], v106 offset:608
	;; [unrolled: 1-line block ×14, first 2 shown]
	v_cmp_lt_u32_e32 vcc, 18, v0
	s_waitcnt vmcnt(13) lgkmcnt(13)
	v_mul_f32_e32 v107, v54, v3
	v_mul_f32_e32 v112, v56, v5
	v_fmac_f32_e32 v107, v55, v2
	s_waitcnt vmcnt(12) lgkmcnt(12)
	v_mul_f32_e32 v113, v58, v7
	v_fmac_f32_e32 v112, v57, v4
	v_add_f32_e32 v107, 0, v107
	v_mul_f32_e32 v114, v60, v9
	v_fmac_f32_e32 v113, v59, v6
	v_add_f32_e32 v107, v107, v112
	s_waitcnt vmcnt(11) lgkmcnt(11)
	v_mul_f32_e32 v115, v62, v11
	v_fmac_f32_e32 v114, v61, v8
	v_add_f32_e32 v107, v107, v113
	v_mul_f32_e32 v116, v64, v13
	v_fmac_f32_e32 v115, v63, v10
	v_add_f32_e32 v107, v107, v114
	;; [unrolled: 7-line block ×8, first 2 shown]
	s_waitcnt vmcnt(4) lgkmcnt(4)
	v_mul_f32_e32 v133, v90, v39
	v_fmac_f32_e32 v132, v89, v36
	v_add_f32_e32 v107, v107, v131
	v_fmac_f32_e32 v133, v91, v38
	v_add_f32_e32 v107, v107, v132
	v_add_f32_e32 v107, v107, v133
	scratch_load_dwordx4 v[112:115], off, off offset:368
	scratch_load_dwordx4 v[116:119], off, off offset:384
	;; [unrolled: 1-line block ×3, first 2 shown]
	scratch_load_dwordx2 v[132:133], off, off offset:416
	v_mul_f32_e32 v3, v55, v3
	v_fma_f32 v2, v54, v2, -v3
	v_mul_f32_e32 v3, v57, v5
	v_add_f32_e32 v2, 0, v2
	v_fma_f32 v3, v56, v4, -v3
	v_add_f32_e32 v2, v2, v3
	v_mul_f32_e32 v3, v59, v7
	v_fma_f32 v3, v58, v6, -v3
	v_add_f32_e32 v2, v2, v3
	v_mul_f32_e32 v3, v61, v9
	v_fma_f32 v3, v60, v8, -v3
	v_add_f32_e32 v2, v2, v3
	v_mul_f32_e32 v3, v63, v11
	v_fma_f32 v3, v62, v10, -v3
	v_add_f32_e32 v2, v2, v3
	v_mul_f32_e32 v3, v65, v13
	v_fma_f32 v3, v64, v12, -v3
	v_add_f32_e32 v2, v2, v3
	v_mul_f32_e32 v3, v67, v15
	v_fma_f32 v3, v66, v14, -v3
	v_add_f32_e32 v2, v2, v3
	v_mul_f32_e32 v3, v69, v17
	v_fma_f32 v3, v68, v16, -v3
	v_add_f32_e32 v2, v2, v3
	v_mul_f32_e32 v3, v71, v19
	v_fma_f32 v3, v70, v18, -v3
	v_add_f32_e32 v2, v2, v3
	v_mul_f32_e32 v3, v73, v21
	v_fma_f32 v3, v72, v20, -v3
	v_add_f32_e32 v2, v2, v3
	v_mul_f32_e32 v3, v75, v23
	v_fma_f32 v3, v74, v22, -v3
	v_add_f32_e32 v2, v2, v3
	v_mul_f32_e32 v3, v77, v25
	v_fma_f32 v3, v76, v24, -v3
	v_add_f32_e32 v2, v2, v3
	v_mul_f32_e32 v3, v79, v27
	v_fma_f32 v3, v78, v26, -v3
	v_add_f32_e32 v2, v2, v3
	v_mul_f32_e32 v3, v81, v29
	v_fma_f32 v3, v80, v28, -v3
	v_add_f32_e32 v2, v2, v3
	v_mul_f32_e32 v3, v83, v31
	v_fma_f32 v3, v82, v30, -v3
	v_add_f32_e32 v2, v2, v3
	v_mul_f32_e32 v3, v85, v33
	v_fma_f32 v3, v84, v32, -v3
	v_add_f32_e32 v2, v2, v3
	v_mul_f32_e32 v3, v87, v35
	v_fma_f32 v3, v86, v34, -v3
	v_add_f32_e32 v2, v2, v3
	v_mul_f32_e32 v3, v89, v37
	v_fma_f32 v3, v88, v36, -v3
	v_add_f32_e32 v2, v2, v3
	v_mul_f32_e32 v3, v91, v39
	v_fma_f32 v3, v90, v38, -v3
	v_add_f32_e32 v2, v2, v3
	v_mul_f32_e32 v3, v93, v41
	v_fma_f32 v3, v92, v40, -v3
	v_add_f32_e32 v2, v2, v3
	s_waitcnt vmcnt(7) lgkmcnt(3)
	v_mul_f32_e32 v3, v95, v43
	v_fma_f32 v3, v94, v42, -v3
	v_mul_f32_e32 v134, v92, v41
	v_add_f32_e32 v2, v2, v3
	v_mul_f32_e32 v3, v97, v45
	v_mul_f32_e32 v135, v94, v43
	v_fmac_f32_e32 v134, v93, v40
	v_fma_f32 v3, v96, v44, -v3
	v_mul_f32_e32 v136, v96, v45
	v_fmac_f32_e32 v135, v95, v42
	v_add_f32_e32 v107, v107, v134
	v_add_f32_e32 v2, v2, v3
	s_waitcnt vmcnt(6) lgkmcnt(2)
	v_mul_f32_e32 v3, v99, v47
	v_mul_f32_e32 v137, v98, v47
	v_fmac_f32_e32 v136, v97, v44
	v_add_f32_e32 v107, v107, v135
	v_fma_f32 v3, v98, v46, -v3
	v_mul_f32_e32 v127, v100, v49
	v_fmac_f32_e32 v137, v99, v46
	v_add_f32_e32 v107, v107, v136
	v_add_f32_e32 v130, v2, v3
	v_mul_f32_e32 v2, v101, v49
	s_waitcnt vmcnt(5)
	v_mov_b32_e32 v14, v53
	s_waitcnt lgkmcnt(1)
	v_mul_f32_e32 v129, v102, v51
	v_fmac_f32_e32 v127, v101, v48
	v_add_f32_e32 v131, v107, v137
	v_fma_f32 v126, v100, v48, -v2
	v_mul_f32_e32 v2, v103, v51
	v_pk_mul_f32 v[14:15], v[104:105], v[14:15] op_sel:[1,0] op_sel_hi:[0,0]
	v_fmac_f32_e32 v129, v103, v50
	v_fma_f32 v128, v102, v50, -v2
	v_pk_add_f32 v[12:13], v[130:131], v[126:127]
	v_pk_fma_f32 v[16:17], v[104:105], v[52:53], v[14:15] neg_lo:[0,0,1] neg_hi:[0,0,1]
	v_pk_fma_f32 v[14:15], v[104:105], v[52:53], v[14:15] op_sel_hi:[1,0,1]
	v_pk_add_f32 v[12:13], v[12:13], v[128:129]
	v_mov_b32_e32 v17, v15
	s_waitcnt vmcnt(3) lgkmcnt(0)
	v_pk_mul_f32 v[14:15], v[108:109], v[112:113] op_sel:[1,1] op_sel_hi:[0,1]
	v_pk_add_f32 v[12:13], v[12:13], v[16:17]
	v_pk_fma_f32 v[16:17], v[108:109], v[112:113], v[14:15] neg_lo:[0,0,1] neg_hi:[0,0,1]
	v_pk_fma_f32 v[14:15], v[108:109], v[112:113], v[14:15] op_sel_hi:[1,0,1]
	ds_read_b128 v[2:5], v106 offset:816
	ds_read_b128 v[6:9], v106 offset:832
	ds_read_b64 v[10:11], v106 offset:848
	v_mov_b32_e32 v14, v115
	v_mov_b32_e32 v17, v15
	v_pk_mul_f32 v[14:15], v[110:111], v[14:15] op_sel:[1,0] op_sel_hi:[0,0]
	v_pk_add_f32 v[12:13], v[12:13], v[16:17]
	v_pk_fma_f32 v[16:17], v[110:111], v[114:115], v[14:15] neg_lo:[0,0,1] neg_hi:[0,0,1]
	v_pk_fma_f32 v[14:15], v[110:111], v[114:115], v[14:15] op_sel_hi:[1,0,1]
	s_nop 0
	v_mov_b32_e32 v17, v15
	s_waitcnt vmcnt(2) lgkmcnt(2)
	v_pk_mul_f32 v[14:15], v[2:3], v[116:117] op_sel:[1,1] op_sel_hi:[0,1]
	v_pk_add_f32 v[12:13], v[12:13], v[16:17]
	v_pk_fma_f32 v[16:17], v[2:3], v[116:117], v[14:15] neg_lo:[0,0,1] neg_hi:[0,0,1]
	v_pk_fma_f32 v[2:3], v[2:3], v[116:117], v[14:15] op_sel_hi:[1,0,1]
	s_nop 0
	v_mov_b32_e32 v17, v3
	v_pk_add_f32 v[2:3], v[12:13], v[16:17]
	v_mov_b32_e32 v12, v119
	v_pk_mul_f32 v[12:13], v[4:5], v[12:13] op_sel:[1,0] op_sel_hi:[0,0]
	v_pk_fma_f32 v[14:15], v[4:5], v[118:119], v[12:13] neg_lo:[0,0,1] neg_hi:[0,0,1]
	v_pk_fma_f32 v[4:5], v[4:5], v[118:119], v[12:13] op_sel_hi:[1,0,1]
	s_nop 0
	v_mov_b32_e32 v15, v5
	s_waitcnt vmcnt(1) lgkmcnt(1)
	v_pk_mul_f32 v[4:5], v[6:7], v[120:121] op_sel:[1,1] op_sel_hi:[0,1]
	v_pk_fma_f32 v[12:13], v[6:7], v[120:121], v[4:5] neg_lo:[0,0,1] neg_hi:[0,0,1]
	v_pk_fma_f32 v[4:5], v[6:7], v[120:121], v[4:5] op_sel_hi:[1,0,1]
	v_pk_add_f32 v[2:3], v[2:3], v[14:15]
	v_mov_b32_e32 v4, v123
	v_mov_b32_e32 v13, v5
	v_pk_mul_f32 v[4:5], v[8:9], v[4:5] op_sel:[1,0] op_sel_hi:[0,0]
	v_pk_fma_f32 v[6:7], v[8:9], v[122:123], v[4:5] neg_lo:[0,0,1] neg_hi:[0,0,1]
	v_pk_fma_f32 v[4:5], v[8:9], v[122:123], v[4:5] op_sel_hi:[1,0,1]
	v_pk_add_f32 v[2:3], v[2:3], v[12:13]
	v_mov_b32_e32 v7, v5
	s_waitcnt vmcnt(0) lgkmcnt(0)
	v_pk_mul_f32 v[4:5], v[10:11], v[132:133] op_sel:[1,1] op_sel_hi:[0,1]
	v_pk_add_f32 v[2:3], v[2:3], v[6:7]
	v_pk_fma_f32 v[6:7], v[10:11], v[132:133], v[4:5] neg_lo:[0,0,1] neg_hi:[0,0,1]
	v_pk_fma_f32 v[4:5], v[10:11], v[132:133], v[4:5] op_sel_hi:[1,0,1]
	s_nop 0
	v_mov_b32_e32 v7, v5
	v_pk_add_f32 v[2:3], v[2:3], v[6:7]
	s_nop 0
	v_pk_add_f32 v[2:3], v[124:125], v[2:3] neg_lo:[0,1] neg_hi:[0,1]
	scratch_store_dwordx2 off, v[2:3], off offset:152
	s_and_saveexec_b64 s[0:1], vcc
	s_cbranch_execz .LBB116_295
; %bb.294:
	scratch_load_dwordx2 v[2:3], off, off offset:144
	v_mov_b32_e32 v107, v106
	scratch_store_dwordx2 off, v[106:107], off offset:144
	s_waitcnt vmcnt(1)
	ds_write_b64 v1, v[2:3]
.LBB116_295:
	s_or_b64 exec, exec, s[0:1]
	s_waitcnt lgkmcnt(0)
	; wave barrier
	scratch_load_dwordx4 v[2:5], off, off offset:152
	scratch_load_dwordx4 v[6:9], off, off offset:168
	;; [unrolled: 1-line block ×13, first 2 shown]
	ds_read2_b64 v[102:105], v106 offset0:73 offset1:74
	ds_read2_b64 v[98:101], v106 offset0:75 offset1:76
	;; [unrolled: 1-line block ×14, first 2 shown]
	scratch_load_dwordx2 v[128:129], off, off offset:144
	v_cmp_lt_u32_e32 vcc, 17, v0
	s_waitcnt vmcnt(13) lgkmcnt(13)
	v_mul_f32_e32 v107, v102, v3
	v_mul_f32_e32 v112, v104, v5
	v_fmac_f32_e32 v107, v103, v2
	s_waitcnt vmcnt(12) lgkmcnt(12)
	v_mul_f32_e32 v113, v98, v7
	v_fmac_f32_e32 v112, v105, v4
	v_add_f32_e32 v107, 0, v107
	v_mul_f32_e32 v114, v100, v9
	v_fmac_f32_e32 v113, v99, v6
	v_add_f32_e32 v107, v107, v112
	s_waitcnt vmcnt(11) lgkmcnt(11)
	v_mul_f32_e32 v115, v94, v11
	v_fmac_f32_e32 v114, v101, v8
	v_add_f32_e32 v107, v107, v113
	v_mul_f32_e32 v116, v96, v13
	v_fmac_f32_e32 v115, v95, v10
	v_add_f32_e32 v107, v107, v114
	;; [unrolled: 7-line block ×7, first 2 shown]
	s_waitcnt vmcnt(5) lgkmcnt(5)
	v_mul_f32_e32 v127, v70, v35
	v_fmac_f32_e32 v126, v77, v32
	v_add_f32_e32 v107, v107, v125
	v_fmac_f32_e32 v127, v71, v34
	v_add_f32_e32 v107, v107, v126
	v_add_f32_e32 v107, v107, v127
	scratch_load_dwordx4 v[112:115], off, off offset:360
	scratch_load_dwordx4 v[116:119], off, off offset:376
	;; [unrolled: 1-line block ×4, first 2 shown]
	v_mul_f32_e32 v3, v103, v3
	v_fma_f32 v2, v102, v2, -v3
	v_mul_f32_e32 v3, v105, v5
	v_add_f32_e32 v2, 0, v2
	v_fma_f32 v3, v104, v4, -v3
	v_add_f32_e32 v2, v2, v3
	v_mul_f32_e32 v3, v99, v7
	v_fma_f32 v3, v98, v6, -v3
	v_add_f32_e32 v2, v2, v3
	v_mul_f32_e32 v3, v101, v9
	;; [unrolled: 3-line block ×16, first 2 shown]
	v_fma_f32 v3, v72, v36, -v3
	v_add_f32_e32 v2, v2, v3
	s_waitcnt vmcnt(8) lgkmcnt(4)
	v_mul_f32_e32 v3, v67, v39
	v_fma_f32 v3, v66, v38, -v3
	v_add_f32_e32 v2, v2, v3
	v_mul_f32_e32 v3, v69, v41
	v_fma_f32 v3, v68, v40, -v3
	v_add_f32_e32 v2, v2, v3
	s_waitcnt vmcnt(7) lgkmcnt(3)
	v_mul_f32_e32 v3, v63, v43
	v_mul_f32_e32 v130, v72, v37
	v_fma_f32 v3, v62, v42, -v3
	v_mul_f32_e32 v132, v66, v39
	v_fmac_f32_e32 v130, v73, v36
	v_add_f32_e32 v2, v2, v3
	v_mul_f32_e32 v3, v65, v45
	v_mul_f32_e32 v134, v68, v41
	v_fmac_f32_e32 v132, v67, v38
	v_add_f32_e32 v107, v107, v130
	v_fma_f32 v3, v64, v44, -v3
	v_mul_f32_e32 v135, v62, v43
	v_fmac_f32_e32 v134, v69, v40
	v_add_f32_e32 v107, v107, v132
	v_add_f32_e32 v2, v2, v3
	s_waitcnt vmcnt(6) lgkmcnt(2)
	v_mul_f32_e32 v3, v59, v47
	v_mul_f32_e32 v136, v64, v45
	v_fmac_f32_e32 v135, v63, v42
	v_add_f32_e32 v107, v107, v134
	v_fma_f32 v3, v58, v46, -v3
	v_mul_f32_e32 v137, v58, v47
	v_fmac_f32_e32 v136, v65, v44
	v_add_f32_e32 v107, v107, v135
	v_add_f32_e32 v2, v2, v3
	v_mul_f32_e32 v3, v61, v49
	v_mul_f32_e32 v138, v60, v49
	v_fmac_f32_e32 v137, v59, v46
	v_add_f32_e32 v107, v107, v136
	v_fma_f32 v3, v60, v48, -v3
	s_waitcnt vmcnt(5) lgkmcnt(1)
	v_mul_f32_e32 v131, v54, v51
	v_fmac_f32_e32 v138, v61, v48
	v_add_f32_e32 v107, v107, v137
	v_add_f32_e32 v134, v2, v3
	v_mul_f32_e32 v2, v55, v51
	s_waitcnt vmcnt(3) lgkmcnt(0)
	v_pk_mul_f32 v[16:17], v[108:109], v[112:113] op_sel:[1,1] op_sel_hi:[0,1]
	v_mul_f32_e32 v133, v56, v53
	v_fmac_f32_e32 v131, v55, v50
	v_add_f32_e32 v135, v107, v138
	v_fma_f32 v130, v54, v50, -v2
	v_mul_f32_e32 v2, v57, v53
	v_pk_fma_f32 v[18:19], v[108:109], v[112:113], v[16:17] neg_lo:[0,0,1] neg_hi:[0,0,1]
	v_pk_fma_f32 v[16:17], v[108:109], v[112:113], v[16:17] op_sel_hi:[1,0,1]
	v_fmac_f32_e32 v133, v57, v52
	v_fma_f32 v132, v56, v52, -v2
	ds_read2_b64 v[2:5], v106 offset0:101 offset1:102
	ds_read2_b64 v[6:9], v106 offset0:103 offset1:104
	;; [unrolled: 1-line block ×3, first 2 shown]
	v_pk_add_f32 v[14:15], v[134:135], v[130:131]
	v_mov_b32_e32 v16, v115
	v_pk_add_f32 v[14:15], v[14:15], v[132:133]
	v_mov_b32_e32 v19, v17
	v_pk_mul_f32 v[16:17], v[110:111], v[16:17] op_sel:[1,0] op_sel_hi:[0,0]
	v_pk_add_f32 v[14:15], v[14:15], v[18:19]
	v_pk_fma_f32 v[18:19], v[110:111], v[114:115], v[16:17] neg_lo:[0,0,1] neg_hi:[0,0,1]
	v_pk_fma_f32 v[16:17], v[110:111], v[114:115], v[16:17] op_sel_hi:[1,0,1]
	s_nop 0
	v_mov_b32_e32 v19, v17
	s_waitcnt vmcnt(2) lgkmcnt(2)
	v_pk_mul_f32 v[16:17], v[2:3], v[116:117] op_sel:[1,1] op_sel_hi:[0,1]
	v_pk_add_f32 v[14:15], v[14:15], v[18:19]
	v_pk_fma_f32 v[18:19], v[2:3], v[116:117], v[16:17] neg_lo:[0,0,1] neg_hi:[0,0,1]
	v_pk_fma_f32 v[2:3], v[2:3], v[116:117], v[16:17] op_sel_hi:[1,0,1]
	s_nop 0
	v_mov_b32_e32 v19, v3
	v_pk_add_f32 v[2:3], v[14:15], v[18:19]
	v_mov_b32_e32 v14, v119
	v_pk_mul_f32 v[14:15], v[4:5], v[14:15] op_sel:[1,0] op_sel_hi:[0,0]
	v_pk_fma_f32 v[16:17], v[4:5], v[118:119], v[14:15] neg_lo:[0,0,1] neg_hi:[0,0,1]
	v_pk_fma_f32 v[4:5], v[4:5], v[118:119], v[14:15] op_sel_hi:[1,0,1]
	s_nop 0
	v_mov_b32_e32 v17, v5
	s_waitcnt vmcnt(1) lgkmcnt(1)
	v_pk_mul_f32 v[4:5], v[6:7], v[120:121] op_sel:[1,1] op_sel_hi:[0,1]
	v_pk_fma_f32 v[14:15], v[6:7], v[120:121], v[4:5] neg_lo:[0,0,1] neg_hi:[0,0,1]
	v_pk_fma_f32 v[4:5], v[6:7], v[120:121], v[4:5] op_sel_hi:[1,0,1]
	v_pk_add_f32 v[2:3], v[2:3], v[16:17]
	v_mov_b32_e32 v4, v123
	v_mov_b32_e32 v15, v5
	v_pk_mul_f32 v[4:5], v[8:9], v[4:5] op_sel:[1,0] op_sel_hi:[0,0]
	v_pk_fma_f32 v[6:7], v[8:9], v[122:123], v[4:5] neg_lo:[0,0,1] neg_hi:[0,0,1]
	v_pk_fma_f32 v[4:5], v[8:9], v[122:123], v[4:5] op_sel_hi:[1,0,1]
	v_pk_add_f32 v[2:3], v[2:3], v[14:15]
	v_mov_b32_e32 v7, v5
	s_waitcnt vmcnt(0) lgkmcnt(0)
	v_pk_mul_f32 v[4:5], v[10:11], v[124:125] op_sel:[1,1] op_sel_hi:[0,1]
	v_pk_add_f32 v[2:3], v[2:3], v[6:7]
	v_pk_fma_f32 v[6:7], v[10:11], v[124:125], v[4:5] neg_lo:[0,0,1] neg_hi:[0,0,1]
	v_pk_fma_f32 v[4:5], v[10:11], v[124:125], v[4:5] op_sel_hi:[1,0,1]
	s_nop 0
	v_mov_b32_e32 v4, v127
	v_mov_b32_e32 v7, v5
	v_pk_mul_f32 v[4:5], v[12:13], v[4:5] op_sel:[1,0] op_sel_hi:[0,0]
	v_pk_add_f32 v[2:3], v[2:3], v[6:7]
	v_pk_fma_f32 v[6:7], v[12:13], v[126:127], v[4:5] neg_lo:[0,0,1] neg_hi:[0,0,1]
	v_pk_fma_f32 v[4:5], v[12:13], v[126:127], v[4:5] op_sel_hi:[1,0,1]
	s_nop 0
	v_mov_b32_e32 v7, v5
	v_pk_add_f32 v[2:3], v[2:3], v[6:7]
	s_nop 0
	v_pk_add_f32 v[2:3], v[128:129], v[2:3] neg_lo:[0,1] neg_hi:[0,1]
	scratch_store_dwordx2 off, v[2:3], off offset:144
	s_and_saveexec_b64 s[0:1], vcc
	s_cbranch_execz .LBB116_297
; %bb.296:
	scratch_load_dwordx2 v[2:3], off, off offset:136
	v_mov_b32_e32 v4, 0
	v_mov_b32_e32 v5, v4
	scratch_store_dwordx2 off, v[4:5], off offset:136
	s_waitcnt vmcnt(1)
	ds_write_b64 v1, v[2:3]
.LBB116_297:
	s_or_b64 exec, exec, s[0:1]
	s_waitcnt lgkmcnt(0)
	; wave barrier
	scratch_load_dwordx4 v[2:5], off, off offset:144
	scratch_load_dwordx4 v[6:9], off, off offset:160
	;; [unrolled: 1-line block ×13, first 2 shown]
	v_mov_b32_e32 v114, 0
	scratch_load_dwordx4 v[54:57], off, off offset:352
	scratch_load_dwordx2 v[128:129], off, off offset:136
	ds_read_b128 v[58:61], v114 offset:576
	ds_read_b128 v[62:65], v114 offset:592
	;; [unrolled: 1-line block ×14, first 2 shown]
	v_cmp_lt_u32_e32 vcc, 16, v0
	s_waitcnt vmcnt(14) lgkmcnt(13)
	v_mul_f32_e32 v115, v58, v3
	v_mul_f32_e32 v116, v60, v5
	v_fmac_f32_e32 v115, v59, v2
	s_waitcnt vmcnt(13) lgkmcnt(12)
	v_mul_f32_e32 v117, v62, v7
	v_fmac_f32_e32 v116, v61, v4
	v_add_f32_e32 v115, 0, v115
	v_mul_f32_e32 v118, v64, v9
	v_fmac_f32_e32 v117, v63, v6
	v_add_f32_e32 v115, v115, v116
	s_waitcnt vmcnt(12) lgkmcnt(11)
	v_mul_f32_e32 v119, v66, v11
	v_fmac_f32_e32 v118, v65, v8
	v_add_f32_e32 v115, v115, v117
	v_mul_f32_e32 v120, v68, v13
	v_fmac_f32_e32 v119, v67, v10
	v_add_f32_e32 v115, v115, v118
	s_waitcnt vmcnt(11) lgkmcnt(10)
	v_mul_f32_e32 v121, v70, v15
	v_fmac_f32_e32 v120, v69, v12
	v_add_f32_e32 v115, v115, v119
	v_mul_f32_e32 v122, v72, v17
	v_fmac_f32_e32 v121, v71, v14
	v_add_f32_e32 v115, v115, v120
	s_waitcnt vmcnt(10) lgkmcnt(9)
	v_mul_f32_e32 v123, v74, v19
	v_fmac_f32_e32 v122, v73, v16
	v_add_f32_e32 v115, v115, v121
	v_mul_f32_e32 v124, v76, v21
	v_fmac_f32_e32 v123, v75, v18
	v_add_f32_e32 v115, v115, v122
	s_waitcnt vmcnt(9) lgkmcnt(8)
	v_mul_f32_e32 v125, v78, v23
	v_fmac_f32_e32 v124, v77, v20
	v_add_f32_e32 v115, v115, v123
	v_mul_f32_e32 v126, v80, v25
	v_fmac_f32_e32 v125, v79, v22
	v_add_f32_e32 v115, v115, v124
	s_waitcnt vmcnt(8) lgkmcnt(7)
	v_mul_f32_e32 v127, v82, v27
	v_fmac_f32_e32 v126, v81, v24
	v_add_f32_e32 v115, v115, v125
	v_mul_f32_e32 v130, v84, v29
	v_fmac_f32_e32 v127, v83, v26
	v_add_f32_e32 v115, v115, v126
	s_waitcnt vmcnt(7) lgkmcnt(6)
	v_mul_f32_e32 v131, v86, v31
	v_fmac_f32_e32 v130, v85, v28
	v_add_f32_e32 v115, v115, v127
	scratch_load_dwordx4 v[116:119], off, off offset:368
	v_mul_f32_e32 v132, v88, v33
	v_fmac_f32_e32 v131, v87, v30
	v_add_f32_e32 v115, v115, v130
	s_waitcnt vmcnt(7) lgkmcnt(5)
	v_mul_f32_e32 v133, v90, v35
	v_fmac_f32_e32 v132, v89, v32
	v_add_f32_e32 v115, v115, v131
	v_mul_f32_e32 v134, v92, v37
	v_fmac_f32_e32 v133, v91, v34
	v_add_f32_e32 v115, v115, v132
	s_waitcnt vmcnt(6) lgkmcnt(4)
	v_mul_f32_e32 v135, v94, v39
	v_fmac_f32_e32 v134, v93, v36
	v_add_f32_e32 v115, v115, v133
	;; [unrolled: 7-line block ×3, first 2 shown]
	v_fmac_f32_e32 v137, v99, v42
	v_add_f32_e32 v115, v115, v136
	v_add_f32_e32 v115, v115, v137
	scratch_load_dwordx4 v[120:123], off, off offset:384
	scratch_load_dwordx4 v[124:127], off, off offset:400
	scratch_load_dwordx2 v[136:137], off, off offset:416
	v_mul_f32_e32 v3, v59, v3
	v_fma_f32 v2, v58, v2, -v3
	v_mul_f32_e32 v3, v61, v5
	v_add_f32_e32 v2, 0, v2
	v_fma_f32 v3, v60, v4, -v3
	v_add_f32_e32 v2, v2, v3
	v_mul_f32_e32 v3, v63, v7
	v_fma_f32 v3, v62, v6, -v3
	v_add_f32_e32 v2, v2, v3
	v_mul_f32_e32 v3, v65, v9
	;; [unrolled: 3-line block ×20, first 2 shown]
	v_fma_f32 v3, v100, v44, -v3
	v_add_f32_e32 v2, v2, v3
	s_waitcnt vmcnt(7) lgkmcnt(2)
	v_mul_f32_e32 v3, v103, v47
	v_fma_f32 v3, v102, v46, -v3
	v_add_f32_e32 v2, v2, v3
	v_mul_f32_e32 v3, v105, v49
	v_mul_f32_e32 v138, v100, v45
	v_fma_f32 v3, v104, v48, -v3
	v_mul_f32_e32 v139, v102, v47
	v_fmac_f32_e32 v138, v101, v44
	v_add_f32_e32 v2, v2, v3
	s_waitcnt vmcnt(6) lgkmcnt(1)
	v_mul_f32_e32 v3, v107, v51
	v_mul_f32_e32 v140, v104, v49
	v_fmac_f32_e32 v139, v103, v46
	v_add_f32_e32 v115, v115, v138
	v_fma_f32 v3, v106, v50, -v3
	v_mul_f32_e32 v141, v106, v51
	v_fmac_f32_e32 v140, v105, v48
	v_add_f32_e32 v115, v115, v139
	v_add_f32_e32 v130, v2, v3
	v_mul_f32_e32 v2, v109, v53
	v_fmac_f32_e32 v141, v107, v50
	v_add_f32_e32 v115, v115, v140
	v_mul_f32_e32 v133, v108, v53
	v_fma_f32 v132, v108, v52, -v2
	s_waitcnt vmcnt(5) lgkmcnt(0)
	v_mul_f32_e32 v2, v111, v55
	v_mov_b32_e32 v18, v57
	v_add_f32_e32 v131, v115, v141
	v_fmac_f32_e32 v133, v109, v52
	v_mul_f32_e32 v135, v110, v55
	v_fma_f32 v134, v110, v54, -v2
	ds_read_b128 v[2:5], v114 offset:800
	ds_read_b128 v[6:9], v114 offset:816
	ds_read_b128 v[10:13], v114 offset:832
	ds_read_b64 v[14:15], v114 offset:848
	v_pk_mul_f32 v[18:19], v[112:113], v[18:19] op_sel:[1,0] op_sel_hi:[0,0]
	v_fmac_f32_e32 v135, v111, v54
	v_pk_add_f32 v[16:17], v[130:131], v[132:133]
	v_pk_fma_f32 v[20:21], v[112:113], v[56:57], v[18:19] neg_lo:[0,0,1] neg_hi:[0,0,1]
	v_pk_fma_f32 v[18:19], v[112:113], v[56:57], v[18:19] op_sel_hi:[1,0,1]
	v_pk_add_f32 v[16:17], v[16:17], v[134:135]
	v_mov_b32_e32 v21, v19
	s_waitcnt vmcnt(3) lgkmcnt(3)
	v_pk_mul_f32 v[18:19], v[2:3], v[116:117] op_sel:[1,1] op_sel_hi:[0,1]
	v_pk_add_f32 v[16:17], v[16:17], v[20:21]
	v_pk_fma_f32 v[20:21], v[2:3], v[116:117], v[18:19] neg_lo:[0,0,1] neg_hi:[0,0,1]
	v_pk_fma_f32 v[2:3], v[2:3], v[116:117], v[18:19] op_sel_hi:[1,0,1]
	s_nop 0
	v_mov_b32_e32 v21, v3
	v_pk_add_f32 v[2:3], v[16:17], v[20:21]
	v_mov_b32_e32 v16, v119
	v_pk_mul_f32 v[16:17], v[4:5], v[16:17] op_sel:[1,0] op_sel_hi:[0,0]
	v_pk_fma_f32 v[18:19], v[4:5], v[118:119], v[16:17] neg_lo:[0,0,1] neg_hi:[0,0,1]
	v_pk_fma_f32 v[4:5], v[4:5], v[118:119], v[16:17] op_sel_hi:[1,0,1]
	s_nop 0
	v_mov_b32_e32 v19, v5
	s_waitcnt vmcnt(2) lgkmcnt(2)
	v_pk_mul_f32 v[4:5], v[6:7], v[120:121] op_sel:[1,1] op_sel_hi:[0,1]
	v_pk_fma_f32 v[16:17], v[6:7], v[120:121], v[4:5] neg_lo:[0,0,1] neg_hi:[0,0,1]
	v_pk_fma_f32 v[4:5], v[6:7], v[120:121], v[4:5] op_sel_hi:[1,0,1]
	v_pk_add_f32 v[2:3], v[2:3], v[18:19]
	v_mov_b32_e32 v4, v123
	v_mov_b32_e32 v17, v5
	v_pk_mul_f32 v[4:5], v[8:9], v[4:5] op_sel:[1,0] op_sel_hi:[0,0]
	v_pk_fma_f32 v[6:7], v[8:9], v[122:123], v[4:5] neg_lo:[0,0,1] neg_hi:[0,0,1]
	v_pk_fma_f32 v[4:5], v[8:9], v[122:123], v[4:5] op_sel_hi:[1,0,1]
	v_pk_add_f32 v[2:3], v[2:3], v[16:17]
	v_mov_b32_e32 v7, v5
	s_waitcnt vmcnt(1) lgkmcnt(1)
	v_pk_mul_f32 v[4:5], v[10:11], v[124:125] op_sel:[1,1] op_sel_hi:[0,1]
	v_pk_add_f32 v[2:3], v[2:3], v[6:7]
	v_pk_fma_f32 v[6:7], v[10:11], v[124:125], v[4:5] neg_lo:[0,0,1] neg_hi:[0,0,1]
	v_pk_fma_f32 v[4:5], v[10:11], v[124:125], v[4:5] op_sel_hi:[1,0,1]
	s_nop 0
	v_mov_b32_e32 v4, v127
	v_mov_b32_e32 v7, v5
	v_pk_mul_f32 v[4:5], v[12:13], v[4:5] op_sel:[1,0] op_sel_hi:[0,0]
	v_pk_add_f32 v[2:3], v[2:3], v[6:7]
	v_pk_fma_f32 v[6:7], v[12:13], v[126:127], v[4:5] neg_lo:[0,0,1] neg_hi:[0,0,1]
	v_pk_fma_f32 v[4:5], v[12:13], v[126:127], v[4:5] op_sel_hi:[1,0,1]
	s_nop 0
	v_mov_b32_e32 v7, v5
	s_waitcnt vmcnt(0) lgkmcnt(0)
	v_pk_mul_f32 v[4:5], v[14:15], v[136:137] op_sel:[1,1] op_sel_hi:[0,1]
	v_pk_add_f32 v[2:3], v[2:3], v[6:7]
	v_pk_fma_f32 v[6:7], v[14:15], v[136:137], v[4:5] neg_lo:[0,0,1] neg_hi:[0,0,1]
	v_pk_fma_f32 v[4:5], v[14:15], v[136:137], v[4:5] op_sel_hi:[1,0,1]
	s_nop 0
	v_mov_b32_e32 v7, v5
	v_pk_add_f32 v[2:3], v[2:3], v[6:7]
	s_nop 0
	v_pk_add_f32 v[2:3], v[128:129], v[2:3] neg_lo:[0,1] neg_hi:[0,1]
	scratch_store_dwordx2 off, v[2:3], off offset:136
	s_and_saveexec_b64 s[0:1], vcc
	s_cbranch_execz .LBB116_299
; %bb.298:
	scratch_load_dwordx2 v[2:3], off, off offset:128
	v_mov_b32_e32 v115, v114
	scratch_store_dwordx2 off, v[114:115], off offset:128
	s_waitcnt vmcnt(1)
	ds_write_b64 v1, v[2:3]
.LBB116_299:
	s_or_b64 exec, exec, s[0:1]
	s_waitcnt lgkmcnt(0)
	; wave barrier
	scratch_load_dwordx4 v[2:5], off, off offset:136
	scratch_load_dwordx4 v[6:9], off, off offset:152
	;; [unrolled: 1-line block ×13, first 2 shown]
	ds_read2_b64 v[110:113], v114 offset0:71 offset1:72
	ds_read2_b64 v[106:109], v114 offset0:73 offset1:74
	;; [unrolled: 1-line block ×14, first 2 shown]
	scratch_load_dwordx4 v[66:69], off, off offset:344
	scratch_load_dwordx2 v[132:133], off, off offset:128
	v_cmp_lt_u32_e32 vcc, 15, v0
	s_waitcnt vmcnt(14) lgkmcnt(13)
	v_mul_f32_e32 v115, v110, v3
	v_mul_f32_e32 v116, v112, v5
	v_fmac_f32_e32 v115, v111, v2
	s_waitcnt vmcnt(13) lgkmcnt(12)
	v_mul_f32_e32 v117, v106, v7
	v_fmac_f32_e32 v116, v113, v4
	v_add_f32_e32 v115, 0, v115
	v_mul_f32_e32 v118, v108, v9
	v_fmac_f32_e32 v117, v107, v6
	v_add_f32_e32 v115, v115, v116
	s_waitcnt vmcnt(12) lgkmcnt(11)
	v_mul_f32_e32 v119, v102, v11
	v_fmac_f32_e32 v118, v109, v8
	v_add_f32_e32 v115, v115, v117
	v_mul_f32_e32 v120, v104, v13
	v_fmac_f32_e32 v119, v103, v10
	v_add_f32_e32 v115, v115, v118
	;; [unrolled: 7-line block ×4, first 2 shown]
	s_waitcnt vmcnt(9) lgkmcnt(8)
	v_mul_f32_e32 v125, v90, v23
	v_fmac_f32_e32 v124, v97, v20
	v_add_f32_e32 v115, v115, v123
	scratch_load_dwordx4 v[116:119], off, off offset:360
	v_mul_f32_e32 v126, v92, v25
	v_fmac_f32_e32 v125, v91, v22
	v_add_f32_e32 v115, v115, v124
	s_waitcnt vmcnt(9) lgkmcnt(7)
	v_mul_f32_e32 v127, v86, v27
	v_fmac_f32_e32 v126, v93, v24
	v_add_f32_e32 v115, v115, v125
	v_mul_f32_e32 v128, v88, v29
	v_fmac_f32_e32 v127, v87, v26
	v_add_f32_e32 v115, v115, v126
	s_waitcnt vmcnt(8) lgkmcnt(6)
	v_mul_f32_e32 v129, v82, v31
	v_fmac_f32_e32 v128, v89, v28
	v_add_f32_e32 v115, v115, v127
	;; [unrolled: 7-line block ×3, first 2 shown]
	v_fmac_f32_e32 v131, v79, v34
	v_add_f32_e32 v115, v115, v130
	v_add_f32_e32 v115, v115, v131
	scratch_load_dwordx4 v[120:123], off, off offset:376
	scratch_load_dwordx4 v[124:127], off, off offset:392
	;; [unrolled: 1-line block ×3, first 2 shown]
	v_mul_f32_e32 v3, v111, v3
	v_fma_f32 v2, v110, v2, -v3
	v_mul_f32_e32 v3, v113, v5
	v_add_f32_e32 v2, 0, v2
	v_fma_f32 v3, v112, v4, -v3
	v_add_f32_e32 v2, v2, v3
	v_mul_f32_e32 v3, v107, v7
	v_fma_f32 v3, v106, v6, -v3
	v_add_f32_e32 v2, v2, v3
	v_mul_f32_e32 v3, v109, v9
	v_fma_f32 v3, v108, v8, -v3
	v_add_f32_e32 v2, v2, v3
	v_mul_f32_e32 v3, v103, v11
	v_fma_f32 v3, v102, v10, -v3
	v_add_f32_e32 v2, v2, v3
	v_mul_f32_e32 v3, v105, v13
	v_fma_f32 v3, v104, v12, -v3
	v_add_f32_e32 v2, v2, v3
	v_mul_f32_e32 v3, v99, v15
	v_fma_f32 v3, v98, v14, -v3
	v_add_f32_e32 v2, v2, v3
	v_mul_f32_e32 v3, v101, v17
	v_fma_f32 v3, v100, v16, -v3
	v_add_f32_e32 v2, v2, v3
	v_mul_f32_e32 v3, v95, v19
	v_fma_f32 v3, v94, v18, -v3
	v_add_f32_e32 v2, v2, v3
	v_mul_f32_e32 v3, v97, v21
	v_fma_f32 v3, v96, v20, -v3
	v_add_f32_e32 v2, v2, v3
	v_mul_f32_e32 v3, v91, v23
	v_fma_f32 v3, v90, v22, -v3
	v_add_f32_e32 v2, v2, v3
	v_mul_f32_e32 v3, v93, v25
	v_fma_f32 v3, v92, v24, -v3
	v_add_f32_e32 v2, v2, v3
	v_mul_f32_e32 v3, v87, v27
	v_fma_f32 v3, v86, v26, -v3
	v_add_f32_e32 v2, v2, v3
	v_mul_f32_e32 v3, v89, v29
	v_fma_f32 v3, v88, v28, -v3
	v_add_f32_e32 v2, v2, v3
	v_mul_f32_e32 v3, v83, v31
	v_fma_f32 v3, v82, v30, -v3
	v_add_f32_e32 v2, v2, v3
	v_mul_f32_e32 v3, v85, v33
	v_fma_f32 v3, v84, v32, -v3
	v_add_f32_e32 v2, v2, v3
	v_mul_f32_e32 v3, v79, v35
	v_fma_f32 v3, v78, v34, -v3
	v_add_f32_e32 v2, v2, v3
	v_mul_f32_e32 v3, v81, v37
	v_fma_f32 v3, v80, v36, -v3
	v_add_f32_e32 v2, v2, v3
	s_waitcnt vmcnt(9) lgkmcnt(4)
	v_mul_f32_e32 v3, v75, v39
	v_fma_f32 v3, v74, v38, -v3
	v_add_f32_e32 v2, v2, v3
	v_mul_f32_e32 v3, v77, v41
	v_fma_f32 v3, v76, v40, -v3
	v_add_f32_e32 v2, v2, v3
	s_waitcnt vmcnt(8) lgkmcnt(3)
	v_mul_f32_e32 v3, v71, v43
	v_fma_f32 v3, v70, v42, -v3
	v_add_f32_e32 v2, v2, v3
	v_mul_f32_e32 v3, v73, v45
	v_fma_f32 v3, v72, v44, -v3
	v_add_f32_e32 v2, v2, v3
	s_waitcnt vmcnt(7) lgkmcnt(2)
	v_mul_f32_e32 v3, v63, v47
	v_fma_f32 v3, v62, v46, -v3
	v_mul_f32_e32 v134, v80, v37
	v_add_f32_e32 v2, v2, v3
	v_mul_f32_e32 v3, v65, v49
	v_mul_f32_e32 v135, v74, v39
	v_fmac_f32_e32 v134, v81, v36
	v_fma_f32 v3, v64, v48, -v3
	v_mul_f32_e32 v136, v76, v41
	v_fmac_f32_e32 v135, v75, v38
	v_add_f32_e32 v115, v115, v134
	v_add_f32_e32 v2, v2, v3
	s_waitcnt vmcnt(6) lgkmcnt(1)
	v_mul_f32_e32 v3, v55, v51
	v_mul_f32_e32 v137, v70, v43
	v_fmac_f32_e32 v136, v77, v40
	v_add_f32_e32 v115, v115, v135
	v_fma_f32 v3, v54, v50, -v3
	v_mul_f32_e32 v138, v72, v45
	v_fmac_f32_e32 v137, v71, v42
	v_add_f32_e32 v115, v115, v136
	v_add_f32_e32 v2, v2, v3
	v_mul_f32_e32 v3, v57, v53
	v_mul_f32_e32 v139, v62, v47
	v_fmac_f32_e32 v138, v73, v44
	v_add_f32_e32 v115, v115, v137
	v_fma_f32 v3, v56, v52, -v3
	v_mul_f32_e32 v140, v64, v49
	v_fmac_f32_e32 v139, v63, v46
	v_add_f32_e32 v115, v115, v138
	v_add_f32_e32 v134, v2, v3
	s_waitcnt vmcnt(5) lgkmcnt(0)
	v_mul_f32_e32 v2, v59, v67
	v_mul_f32_e32 v141, v54, v51
	v_fmac_f32_e32 v140, v65, v48
	v_add_f32_e32 v115, v115, v139
	v_fma_f32 v136, v58, v66, -v2
	v_mul_f32_e32 v2, v61, v69
	v_mul_f32_e32 v144, v56, v53
	v_fmac_f32_e32 v141, v55, v50
	v_add_f32_e32 v115, v115, v140
	v_fma_f32 v138, v60, v68, -v2
	ds_read2_b64 v[2:5], v114 offset0:99 offset1:100
	ds_read2_b64 v[6:9], v114 offset0:101 offset1:102
	;; [unrolled: 1-line block ×4, first 2 shown]
	v_add_f32_e32 v115, v115, v141
	v_fmac_f32_e32 v144, v57, v52
	v_mul_f32_e32 v137, v58, v67
	v_add_f32_e32 v135, v115, v144
	v_fmac_f32_e32 v137, v59, v66
	v_mul_f32_e32 v139, v60, v69
	s_waitcnt vmcnt(3) lgkmcnt(3)
	v_pk_mul_f32 v[20:21], v[2:3], v[116:117] op_sel:[1,1] op_sel_hi:[0,1]
	v_fmac_f32_e32 v139, v61, v68
	v_pk_add_f32 v[18:19], v[134:135], v[136:137]
	v_pk_fma_f32 v[22:23], v[2:3], v[116:117], v[20:21] neg_lo:[0,0,1] neg_hi:[0,0,1]
	v_pk_fma_f32 v[2:3], v[2:3], v[116:117], v[20:21] op_sel_hi:[1,0,1]
	v_pk_add_f32 v[18:19], v[18:19], v[138:139]
	v_mov_b32_e32 v23, v3
	v_pk_add_f32 v[2:3], v[18:19], v[22:23]
	v_mov_b32_e32 v18, v119
	v_pk_mul_f32 v[18:19], v[4:5], v[18:19] op_sel:[1,0] op_sel_hi:[0,0]
	v_pk_fma_f32 v[20:21], v[4:5], v[118:119], v[18:19] neg_lo:[0,0,1] neg_hi:[0,0,1]
	v_pk_fma_f32 v[4:5], v[4:5], v[118:119], v[18:19] op_sel_hi:[1,0,1]
	s_nop 0
	v_mov_b32_e32 v21, v5
	s_waitcnt vmcnt(2) lgkmcnt(2)
	v_pk_mul_f32 v[4:5], v[6:7], v[120:121] op_sel:[1,1] op_sel_hi:[0,1]
	v_pk_fma_f32 v[18:19], v[6:7], v[120:121], v[4:5] neg_lo:[0,0,1] neg_hi:[0,0,1]
	v_pk_fma_f32 v[4:5], v[6:7], v[120:121], v[4:5] op_sel_hi:[1,0,1]
	v_pk_add_f32 v[2:3], v[2:3], v[20:21]
	v_mov_b32_e32 v4, v123
	v_mov_b32_e32 v19, v5
	v_pk_mul_f32 v[4:5], v[8:9], v[4:5] op_sel:[1,0] op_sel_hi:[0,0]
	v_pk_fma_f32 v[6:7], v[8:9], v[122:123], v[4:5] neg_lo:[0,0,1] neg_hi:[0,0,1]
	v_pk_fma_f32 v[4:5], v[8:9], v[122:123], v[4:5] op_sel_hi:[1,0,1]
	v_pk_add_f32 v[2:3], v[2:3], v[18:19]
	v_mov_b32_e32 v7, v5
	s_waitcnt vmcnt(1) lgkmcnt(1)
	v_pk_mul_f32 v[4:5], v[10:11], v[124:125] op_sel:[1,1] op_sel_hi:[0,1]
	v_pk_add_f32 v[2:3], v[2:3], v[6:7]
	v_pk_fma_f32 v[6:7], v[10:11], v[124:125], v[4:5] neg_lo:[0,0,1] neg_hi:[0,0,1]
	v_pk_fma_f32 v[4:5], v[10:11], v[124:125], v[4:5] op_sel_hi:[1,0,1]
	s_nop 0
	v_mov_b32_e32 v4, v127
	v_mov_b32_e32 v7, v5
	v_pk_mul_f32 v[4:5], v[12:13], v[4:5] op_sel:[1,0] op_sel_hi:[0,0]
	v_pk_add_f32 v[2:3], v[2:3], v[6:7]
	v_pk_fma_f32 v[6:7], v[12:13], v[126:127], v[4:5] neg_lo:[0,0,1] neg_hi:[0,0,1]
	v_pk_fma_f32 v[4:5], v[12:13], v[126:127], v[4:5] op_sel_hi:[1,0,1]
	s_nop 0
	v_mov_b32_e32 v7, v5
	s_waitcnt vmcnt(0) lgkmcnt(0)
	v_pk_mul_f32 v[4:5], v[14:15], v[128:129] op_sel:[1,1] op_sel_hi:[0,1]
	v_pk_add_f32 v[2:3], v[2:3], v[6:7]
	v_pk_fma_f32 v[6:7], v[14:15], v[128:129], v[4:5] neg_lo:[0,0,1] neg_hi:[0,0,1]
	v_pk_fma_f32 v[4:5], v[14:15], v[128:129], v[4:5] op_sel_hi:[1,0,1]
	s_nop 0
	v_mov_b32_e32 v4, v131
	v_mov_b32_e32 v7, v5
	v_pk_mul_f32 v[4:5], v[16:17], v[4:5] op_sel:[1,0] op_sel_hi:[0,0]
	v_pk_add_f32 v[2:3], v[2:3], v[6:7]
	v_pk_fma_f32 v[6:7], v[16:17], v[130:131], v[4:5] neg_lo:[0,0,1] neg_hi:[0,0,1]
	v_pk_fma_f32 v[4:5], v[16:17], v[130:131], v[4:5] op_sel_hi:[1,0,1]
	s_nop 0
	v_mov_b32_e32 v7, v5
	v_pk_add_f32 v[2:3], v[2:3], v[6:7]
	s_nop 0
	v_pk_add_f32 v[2:3], v[132:133], v[2:3] neg_lo:[0,1] neg_hi:[0,1]
	scratch_store_dwordx2 off, v[2:3], off offset:128
	s_and_saveexec_b64 s[0:1], vcc
	s_cbranch_execz .LBB116_301
; %bb.300:
	scratch_load_dwordx2 v[2:3], off, off offset:120
	v_mov_b32_e32 v4, 0
	v_mov_b32_e32 v5, v4
	scratch_store_dwordx2 off, v[4:5], off offset:120
	s_waitcnt vmcnt(1)
	ds_write_b64 v1, v[2:3]
.LBB116_301:
	s_or_b64 exec, exec, s[0:1]
	s_waitcnt lgkmcnt(0)
	; wave barrier
	scratch_load_dwordx4 v[2:5], off, off offset:128
	scratch_load_dwordx4 v[6:9], off, off offset:144
	;; [unrolled: 1-line block ×15, first 2 shown]
	scratch_load_dwordx2 v[140:141], off, off offset:120
	v_mov_b32_e32 v118, 0
	ds_read_b128 v[62:65], v118 offset:560
	ds_read_b128 v[66:69], v118 offset:576
	;; [unrolled: 1-line block ×14, first 2 shown]
	v_cmp_lt_u32_e32 vcc, 14, v0
	s_waitcnt vmcnt(15) lgkmcnt(13)
	v_mul_f32_e32 v119, v62, v3
	v_mul_f32_e32 v120, v64, v5
	v_fmac_f32_e32 v119, v63, v2
	s_waitcnt vmcnt(14) lgkmcnt(12)
	v_mul_f32_e32 v121, v66, v7
	v_fmac_f32_e32 v120, v65, v4
	v_add_f32_e32 v119, 0, v119
	v_mul_f32_e32 v122, v68, v9
	v_fmac_f32_e32 v121, v67, v6
	v_add_f32_e32 v119, v119, v120
	s_waitcnt vmcnt(13) lgkmcnt(11)
	v_mul_f32_e32 v123, v70, v11
	v_fmac_f32_e32 v122, v69, v8
	v_add_f32_e32 v119, v119, v121
	v_mul_f32_e32 v124, v72, v13
	v_fmac_f32_e32 v123, v71, v10
	v_add_f32_e32 v119, v119, v122
	;; [unrolled: 7-line block ×11, first 2 shown]
	s_waitcnt vmcnt(3) lgkmcnt(1)
	v_mul_f32_e32 v147, v110, v51
	v_fmac_f32_e32 v146, v109, v48
	v_add_f32_e32 v119, v119, v145
	v_add_f32_e32 v119, v119, v146
	v_fmac_f32_e32 v147, v111, v50
	v_mul_f32_e32 v120, v112, v53
	v_add_f32_e32 v119, v119, v147
	v_fmac_f32_e32 v120, v113, v52
	s_waitcnt vmcnt(2) lgkmcnt(0)
	v_mul_f32_e32 v124, v114, v55
	v_add_f32_e32 v119, v119, v120
	v_fmac_f32_e32 v124, v115, v54
	ds_read_b128 v[120:123], v118 offset:784
	v_add_f32_e32 v145, v119, v124
	ds_read_b128 v[124:127], v118 offset:800
	scratch_load_dwordx4 v[128:131], off, off offset:368
	scratch_load_dwordx4 v[132:135], off, off offset:384
	;; [unrolled: 1-line block ×3, first 2 shown]
	scratch_load_dwordx2 v[150:151], off, off offset:416
	v_mul_f32_e32 v3, v63, v3
	v_fma_f32 v2, v62, v2, -v3
	v_mul_f32_e32 v3, v65, v5
	v_add_f32_e32 v2, 0, v2
	v_fma_f32 v3, v64, v4, -v3
	v_add_f32_e32 v2, v2, v3
	v_mul_f32_e32 v3, v67, v7
	v_fma_f32 v3, v66, v6, -v3
	v_add_f32_e32 v2, v2, v3
	v_mul_f32_e32 v3, v69, v9
	;; [unrolled: 3-line block ×25, first 2 shown]
	v_fma_f32 v3, v114, v54, -v3
	v_mul_f32_e32 v147, v116, v57
	v_add_f32_e32 v144, v2, v3
	v_mul_f32_e32 v2, v117, v57
	s_waitcnt vmcnt(5)
	v_mov_b32_e32 v14, v61
	v_fmac_f32_e32 v147, v117, v56
	s_waitcnt lgkmcnt(1)
	v_mul_f32_e32 v149, v120, v59
	v_fma_f32 v146, v116, v56, -v2
	v_mul_f32_e32 v2, v121, v59
	v_pk_mul_f32 v[14:15], v[122:123], v[14:15] op_sel:[1,0] op_sel_hi:[0,0]
	v_fmac_f32_e32 v149, v121, v58
	v_fma_f32 v148, v120, v58, -v2
	v_pk_add_f32 v[12:13], v[144:145], v[146:147]
	v_pk_fma_f32 v[16:17], v[122:123], v[60:61], v[14:15] neg_lo:[0,0,1] neg_hi:[0,0,1]
	v_pk_fma_f32 v[14:15], v[122:123], v[60:61], v[14:15] op_sel_hi:[1,0,1]
	v_pk_add_f32 v[12:13], v[12:13], v[148:149]
	v_mov_b32_e32 v17, v15
	s_waitcnt vmcnt(3) lgkmcnt(0)
	v_pk_mul_f32 v[14:15], v[124:125], v[128:129] op_sel:[1,1] op_sel_hi:[0,1]
	v_pk_add_f32 v[12:13], v[12:13], v[16:17]
	v_pk_fma_f32 v[16:17], v[124:125], v[128:129], v[14:15] neg_lo:[0,0,1] neg_hi:[0,0,1]
	v_pk_fma_f32 v[14:15], v[124:125], v[128:129], v[14:15] op_sel_hi:[1,0,1]
	ds_read_b128 v[2:5], v118 offset:816
	ds_read_b128 v[6:9], v118 offset:832
	ds_read_b64 v[10:11], v118 offset:848
	v_mov_b32_e32 v14, v131
	v_mov_b32_e32 v17, v15
	v_pk_mul_f32 v[14:15], v[126:127], v[14:15] op_sel:[1,0] op_sel_hi:[0,0]
	v_pk_add_f32 v[12:13], v[12:13], v[16:17]
	v_pk_fma_f32 v[16:17], v[126:127], v[130:131], v[14:15] neg_lo:[0,0,1] neg_hi:[0,0,1]
	v_pk_fma_f32 v[14:15], v[126:127], v[130:131], v[14:15] op_sel_hi:[1,0,1]
	s_nop 0
	v_mov_b32_e32 v17, v15
	s_waitcnt vmcnt(2) lgkmcnt(2)
	v_pk_mul_f32 v[14:15], v[2:3], v[132:133] op_sel:[1,1] op_sel_hi:[0,1]
	v_pk_add_f32 v[12:13], v[12:13], v[16:17]
	v_pk_fma_f32 v[16:17], v[2:3], v[132:133], v[14:15] neg_lo:[0,0,1] neg_hi:[0,0,1]
	v_pk_fma_f32 v[2:3], v[2:3], v[132:133], v[14:15] op_sel_hi:[1,0,1]
	s_nop 0
	v_mov_b32_e32 v17, v3
	v_pk_add_f32 v[2:3], v[12:13], v[16:17]
	v_mov_b32_e32 v12, v135
	v_pk_mul_f32 v[12:13], v[4:5], v[12:13] op_sel:[1,0] op_sel_hi:[0,0]
	v_pk_fma_f32 v[14:15], v[4:5], v[134:135], v[12:13] neg_lo:[0,0,1] neg_hi:[0,0,1]
	v_pk_fma_f32 v[4:5], v[4:5], v[134:135], v[12:13] op_sel_hi:[1,0,1]
	s_nop 0
	v_mov_b32_e32 v15, v5
	s_waitcnt vmcnt(1) lgkmcnt(1)
	v_pk_mul_f32 v[4:5], v[6:7], v[136:137] op_sel:[1,1] op_sel_hi:[0,1]
	v_pk_fma_f32 v[12:13], v[6:7], v[136:137], v[4:5] neg_lo:[0,0,1] neg_hi:[0,0,1]
	v_pk_fma_f32 v[4:5], v[6:7], v[136:137], v[4:5] op_sel_hi:[1,0,1]
	v_pk_add_f32 v[2:3], v[2:3], v[14:15]
	v_mov_b32_e32 v4, v139
	v_mov_b32_e32 v13, v5
	v_pk_mul_f32 v[4:5], v[8:9], v[4:5] op_sel:[1,0] op_sel_hi:[0,0]
	v_pk_fma_f32 v[6:7], v[8:9], v[138:139], v[4:5] neg_lo:[0,0,1] neg_hi:[0,0,1]
	v_pk_fma_f32 v[4:5], v[8:9], v[138:139], v[4:5] op_sel_hi:[1,0,1]
	v_pk_add_f32 v[2:3], v[2:3], v[12:13]
	v_mov_b32_e32 v7, v5
	s_waitcnt vmcnt(0) lgkmcnt(0)
	v_pk_mul_f32 v[4:5], v[10:11], v[150:151] op_sel:[1,1] op_sel_hi:[0,1]
	v_pk_add_f32 v[2:3], v[2:3], v[6:7]
	v_pk_fma_f32 v[6:7], v[10:11], v[150:151], v[4:5] neg_lo:[0,0,1] neg_hi:[0,0,1]
	v_pk_fma_f32 v[4:5], v[10:11], v[150:151], v[4:5] op_sel_hi:[1,0,1]
	s_nop 0
	v_mov_b32_e32 v7, v5
	v_pk_add_f32 v[2:3], v[2:3], v[6:7]
	s_nop 0
	v_pk_add_f32 v[2:3], v[140:141], v[2:3] neg_lo:[0,1] neg_hi:[0,1]
	scratch_store_dwordx2 off, v[2:3], off offset:120
	s_and_saveexec_b64 s[0:1], vcc
	s_cbranch_execz .LBB116_303
; %bb.302:
	scratch_load_dwordx2 v[2:3], off, off offset:112
	v_mov_b32_e32 v119, v118
	scratch_store_dwordx2 off, v[118:119], off offset:112
	s_waitcnt vmcnt(1)
	ds_write_b64 v1, v[2:3]
.LBB116_303:
	s_or_b64 exec, exec, s[0:1]
	s_waitcnt lgkmcnt(0)
	; wave barrier
	scratch_load_dwordx4 v[2:5], off, off offset:120
	scratch_load_dwordx4 v[6:9], off, off offset:136
	;; [unrolled: 1-line block ×13, first 2 shown]
	ds_read2_b64 v[114:117], v118 offset0:69 offset1:70
	ds_read2_b64 v[110:113], v118 offset0:71 offset1:72
	;; [unrolled: 1-line block ×14, first 2 shown]
	scratch_load_dwordx4 v[62:65], off, off offset:328
	scratch_load_dwordx4 v[70:73], off, off offset:344
	scratch_load_dwordx2 v[140:141], off, off offset:112
	v_cmp_lt_u32_e32 vcc, 13, v0
	s_waitcnt vmcnt(15) lgkmcnt(13)
	v_mul_f32_e32 v119, v114, v3
	v_mul_f32_e32 v120, v116, v5
	v_fmac_f32_e32 v119, v115, v2
	s_waitcnt vmcnt(14) lgkmcnt(12)
	v_mul_f32_e32 v121, v110, v7
	v_fmac_f32_e32 v120, v117, v4
	v_add_f32_e32 v119, 0, v119
	v_mul_f32_e32 v122, v112, v9
	v_fmac_f32_e32 v121, v111, v6
	v_add_f32_e32 v119, v119, v120
	s_waitcnt vmcnt(13) lgkmcnt(11)
	v_mul_f32_e32 v123, v106, v11
	v_fmac_f32_e32 v122, v113, v8
	v_add_f32_e32 v119, v119, v121
	v_mul_f32_e32 v124, v108, v13
	v_fmac_f32_e32 v123, v107, v10
	v_add_f32_e32 v119, v119, v122
	;; [unrolled: 7-line block ×11, first 2 shown]
	s_waitcnt vmcnt(3) lgkmcnt(1)
	v_mul_f32_e32 v147, v54, v51
	v_fmac_f32_e32 v146, v69, v48
	v_add_f32_e32 v119, v119, v145
	v_fmac_f32_e32 v147, v55, v50
	v_add_f32_e32 v119, v119, v146
	v_mul_f32_e32 v120, v56, v53
	v_add_f32_e32 v119, v119, v147
	v_fmac_f32_e32 v120, v57, v52
	v_add_f32_e32 v119, v119, v120
	s_waitcnt vmcnt(2) lgkmcnt(0)
	v_mul_f32_e32 v120, v58, v63
	v_fmac_f32_e32 v120, v59, v62
	v_mul_f32_e32 v124, v60, v65
	v_add_f32_e32 v119, v119, v120
	v_fmac_f32_e32 v124, v61, v64
	ds_read2_b64 v[120:123], v118 offset0:97 offset1:98
	v_add_f32_e32 v145, v119, v124
	ds_read2_b64 v[124:127], v118 offset0:99 offset1:100
	scratch_load_dwordx4 v[128:131], off, off offset:360
	scratch_load_dwordx4 v[132:135], off, off offset:376
	;; [unrolled: 1-line block ×4, first 2 shown]
	v_mul_f32_e32 v3, v115, v3
	v_fma_f32 v2, v114, v2, -v3
	v_mul_f32_e32 v3, v117, v5
	v_add_f32_e32 v2, 0, v2
	v_fma_f32 v3, v116, v4, -v3
	v_add_f32_e32 v2, v2, v3
	v_mul_f32_e32 v3, v111, v7
	v_fma_f32 v3, v110, v6, -v3
	v_add_f32_e32 v2, v2, v3
	v_mul_f32_e32 v3, v113, v9
	;; [unrolled: 3-line block ×26, first 2 shown]
	v_fma_f32 v3, v60, v64, -v3
	s_waitcnt vmcnt(5) lgkmcnt(1)
	v_mul_f32_e32 v147, v120, v71
	v_add_f32_e32 v144, v2, v3
	v_mul_f32_e32 v2, v121, v71
	s_waitcnt vmcnt(3) lgkmcnt(0)
	v_pk_mul_f32 v[16:17], v[124:125], v[128:129] op_sel:[1,1] op_sel_hi:[0,1]
	v_fmac_f32_e32 v147, v121, v70
	v_mul_f32_e32 v149, v122, v73
	v_fma_f32 v146, v120, v70, -v2
	v_mul_f32_e32 v2, v123, v73
	v_pk_fma_f32 v[18:19], v[124:125], v[128:129], v[16:17] neg_lo:[0,0,1] neg_hi:[0,0,1]
	v_pk_fma_f32 v[16:17], v[124:125], v[128:129], v[16:17] op_sel_hi:[1,0,1]
	v_fmac_f32_e32 v149, v123, v72
	v_fma_f32 v148, v122, v72, -v2
	ds_read2_b64 v[2:5], v118 offset0:101 offset1:102
	ds_read2_b64 v[6:9], v118 offset0:103 offset1:104
	;; [unrolled: 1-line block ×3, first 2 shown]
	v_pk_add_f32 v[14:15], v[144:145], v[146:147]
	v_mov_b32_e32 v16, v131
	v_pk_add_f32 v[14:15], v[14:15], v[148:149]
	v_mov_b32_e32 v19, v17
	v_pk_mul_f32 v[16:17], v[126:127], v[16:17] op_sel:[1,0] op_sel_hi:[0,0]
	v_pk_add_f32 v[14:15], v[14:15], v[18:19]
	v_pk_fma_f32 v[18:19], v[126:127], v[130:131], v[16:17] neg_lo:[0,0,1] neg_hi:[0,0,1]
	v_pk_fma_f32 v[16:17], v[126:127], v[130:131], v[16:17] op_sel_hi:[1,0,1]
	s_nop 0
	v_mov_b32_e32 v19, v17
	s_waitcnt vmcnt(2) lgkmcnt(2)
	v_pk_mul_f32 v[16:17], v[2:3], v[132:133] op_sel:[1,1] op_sel_hi:[0,1]
	v_pk_add_f32 v[14:15], v[14:15], v[18:19]
	v_pk_fma_f32 v[18:19], v[2:3], v[132:133], v[16:17] neg_lo:[0,0,1] neg_hi:[0,0,1]
	v_pk_fma_f32 v[2:3], v[2:3], v[132:133], v[16:17] op_sel_hi:[1,0,1]
	s_nop 0
	v_mov_b32_e32 v19, v3
	v_pk_add_f32 v[2:3], v[14:15], v[18:19]
	v_mov_b32_e32 v14, v135
	v_pk_mul_f32 v[14:15], v[4:5], v[14:15] op_sel:[1,0] op_sel_hi:[0,0]
	v_pk_fma_f32 v[16:17], v[4:5], v[134:135], v[14:15] neg_lo:[0,0,1] neg_hi:[0,0,1]
	v_pk_fma_f32 v[4:5], v[4:5], v[134:135], v[14:15] op_sel_hi:[1,0,1]
	s_nop 0
	v_mov_b32_e32 v17, v5
	s_waitcnt vmcnt(1) lgkmcnt(1)
	v_pk_mul_f32 v[4:5], v[6:7], v[136:137] op_sel:[1,1] op_sel_hi:[0,1]
	v_pk_fma_f32 v[14:15], v[6:7], v[136:137], v[4:5] neg_lo:[0,0,1] neg_hi:[0,0,1]
	v_pk_fma_f32 v[4:5], v[6:7], v[136:137], v[4:5] op_sel_hi:[1,0,1]
	v_pk_add_f32 v[2:3], v[2:3], v[16:17]
	v_mov_b32_e32 v4, v139
	v_mov_b32_e32 v15, v5
	v_pk_mul_f32 v[4:5], v[8:9], v[4:5] op_sel:[1,0] op_sel_hi:[0,0]
	v_pk_fma_f32 v[6:7], v[8:9], v[138:139], v[4:5] neg_lo:[0,0,1] neg_hi:[0,0,1]
	v_pk_fma_f32 v[4:5], v[8:9], v[138:139], v[4:5] op_sel_hi:[1,0,1]
	v_pk_add_f32 v[2:3], v[2:3], v[14:15]
	v_mov_b32_e32 v7, v5
	s_waitcnt vmcnt(0) lgkmcnt(0)
	v_pk_mul_f32 v[4:5], v[10:11], v[248:249] op_sel:[1,1] op_sel_hi:[0,1]
	v_pk_add_f32 v[2:3], v[2:3], v[6:7]
	v_pk_fma_f32 v[6:7], v[10:11], v[248:249], v[4:5] neg_lo:[0,0,1] neg_hi:[0,0,1]
	v_pk_fma_f32 v[4:5], v[10:11], v[248:249], v[4:5] op_sel_hi:[1,0,1]
	s_nop 0
	v_mov_b32_e32 v4, v251
	v_mov_b32_e32 v7, v5
	v_pk_mul_f32 v[4:5], v[12:13], v[4:5] op_sel:[1,0] op_sel_hi:[0,0]
	v_pk_add_f32 v[2:3], v[2:3], v[6:7]
	v_pk_fma_f32 v[6:7], v[12:13], v[250:251], v[4:5] neg_lo:[0,0,1] neg_hi:[0,0,1]
	v_pk_fma_f32 v[4:5], v[12:13], v[250:251], v[4:5] op_sel_hi:[1,0,1]
	s_nop 0
	v_mov_b32_e32 v7, v5
	v_pk_add_f32 v[2:3], v[2:3], v[6:7]
	s_nop 0
	v_pk_add_f32 v[2:3], v[140:141], v[2:3] neg_lo:[0,1] neg_hi:[0,1]
	scratch_store_dwordx2 off, v[2:3], off offset:112
	s_and_saveexec_b64 s[0:1], vcc
	s_cbranch_execz .LBB116_305
; %bb.304:
	scratch_load_dwordx2 v[2:3], off, off offset:104
	v_mov_b32_e32 v4, 0
	v_mov_b32_e32 v5, v4
	scratch_store_dwordx2 off, v[4:5], off offset:104
	s_waitcnt vmcnt(1)
	ds_write_b64 v1, v[2:3]
.LBB116_305:
	s_or_b64 exec, exec, s[0:1]
	s_waitcnt lgkmcnt(0)
	; wave barrier
	scratch_load_dwordx4 v[62:65], off, off offset:112
	scratch_load_dwordx4 v[66:69], off, off offset:128
	scratch_load_dwordx4 v[70:73], off, off offset:144
	scratch_load_dwordx4 v[74:77], off, off offset:160
	scratch_load_dwordx4 v[78:81], off, off offset:176
	scratch_load_dwordx4 v[82:85], off, off offset:192
	scratch_load_dwordx4 v[86:89], off, off offset:208
	scratch_load_dwordx4 v[90:93], off, off offset:224
	scratch_load_dwordx4 v[94:97], off, off offset:240
	scratch_load_dwordx4 v[98:101], off, off offset:256
	scratch_load_dwordx4 v[2:5], off, off offset:272
	scratch_load_dwordx4 v[6:9], off, off offset:288
	scratch_load_dwordx4 v[10:13], off, off offset:304
	scratch_load_dwordx4 v[14:17], off, off offset:320
	scratch_load_dwordx4 v[18:21], off, off offset:336
	scratch_load_dwordx4 v[22:25], off, off offset:352
	v_mov_b32_e32 v102, 0
	ds_read_b128 v[112:115], v102 offset:544
	ds_read_b128 v[116:119], v102 offset:560
	;; [unrolled: 1-line block ×13, first 2 shown]
	v_cmp_lt_u32_e32 vcc, 12, v0
	s_waitcnt vmcnt(15) lgkmcnt(12)
	v_mul_f32_e32 v38, v112, v63
	v_mul_f32_e32 v39, v114, v65
	v_fmac_f32_e32 v38, v113, v62
	s_waitcnt vmcnt(14) lgkmcnt(11)
	v_mul_f32_e32 v40, v116, v67
	v_fmac_f32_e32 v39, v115, v64
	v_add_f32_e32 v38, 0, v38
	v_mul_f32_e32 v41, v118, v69
	v_fmac_f32_e32 v40, v117, v66
	v_add_f32_e32 v38, v38, v39
	s_waitcnt vmcnt(13) lgkmcnt(10)
	v_mul_f32_e32 v42, v120, v71
	v_fmac_f32_e32 v41, v119, v68
	v_add_f32_e32 v38, v38, v40
	v_mul_f32_e32 v43, v122, v73
	v_fmac_f32_e32 v42, v121, v70
	v_add_f32_e32 v38, v38, v41
	;; [unrolled: 7-line block ×10, first 2 shown]
	s_waitcnt vmcnt(4) lgkmcnt(1)
	v_mul_f32_e32 v60, v30, v7
	v_fmac_f32_e32 v59, v37, v4
	v_add_f32_e32 v38, v38, v58
	ds_read_b128 v[54:57], v102 offset:752
	v_mul_f32_e32 v61, v32, v9
	v_fmac_f32_e32 v60, v31, v6
	v_add_f32_e32 v38, v38, v59
	s_waitcnt vmcnt(3) lgkmcnt(1)
	v_mul_f32_e32 v103, v26, v11
	v_fmac_f32_e32 v61, v33, v8
	v_add_f32_e32 v38, v38, v60
	v_fmac_f32_e32 v103, v27, v10
	v_add_f32_e32 v38, v38, v61
	v_mul_f32_e32 v39, v28, v13
	v_add_f32_e32 v38, v38, v103
	v_fmac_f32_e32 v39, v29, v12
	ds_read_b128 v[58:61], v102 offset:768
	v_add_f32_e32 v38, v38, v39
	s_waitcnt vmcnt(2) lgkmcnt(1)
	v_mul_f32_e32 v39, v54, v15
	v_fmac_f32_e32 v39, v55, v14
	v_add_f32_e32 v38, v38, v39
	v_mul_f32_e32 v39, v56, v17
	v_fmac_f32_e32 v39, v57, v16
	v_add_f32_e32 v38, v38, v39
	s_waitcnt vmcnt(1) lgkmcnt(0)
	v_mul_f32_e32 v39, v58, v19
	v_fmac_f32_e32 v39, v59, v18
	ds_read_b128 v[50:53], v102 offset:784
	v_add_f32_e32 v107, v38, v39
	scratch_load_dwordx4 v[46:49], off, off offset:368
	scratch_load_dwordx4 v[42:45], off, off offset:384
	;; [unrolled: 1-line block ×3, first 2 shown]
	scratch_load_dwordx2 v[104:105], off, off offset:416
	v_mul_f32_e32 v3, v35, v3
	v_fma_f32 v34, v34, v2, -v3
	scratch_load_dwordx2 v[2:3], off, off offset:104
	v_mul_f32_e32 v63, v113, v63
	v_fma_f32 v62, v112, v62, -v63
	v_mul_f32_e32 v63, v115, v65
	v_add_f32_e32 v62, 0, v62
	v_fma_f32 v63, v114, v64, -v63
	v_add_f32_e32 v62, v62, v63
	v_mul_f32_e32 v63, v117, v67
	v_fma_f32 v63, v116, v66, -v63
	v_add_f32_e32 v62, v62, v63
	v_mul_f32_e32 v63, v119, v69
	;; [unrolled: 3-line block ×19, first 2 shown]
	v_add_f32_e32 v34, v62, v34
	v_fma_f32 v4, v36, v4, -v5
	v_mul_f32_e32 v5, v31, v7
	v_add_f32_e32 v4, v34, v4
	v_fma_f32 v5, v30, v6, -v5
	v_add_f32_e32 v4, v4, v5
	v_mul_f32_e32 v5, v33, v9
	v_fma_f32 v5, v32, v8, -v5
	v_add_f32_e32 v4, v4, v5
	v_mul_f32_e32 v5, v27, v11
	;; [unrolled: 3-line block ×6, first 2 shown]
	v_fma_f32 v5, v58, v18, -v5
	v_mul_f32_e32 v109, v60, v21
	v_add_f32_e32 v106, v4, v5
	v_mul_f32_e32 v4, v61, v21
	v_fmac_f32_e32 v109, v61, v20
	v_fma_f32 v108, v60, v20, -v4
	s_waitcnt vmcnt(5) lgkmcnt(0)
	v_mul_f32_e32 v4, v51, v23
	v_mov_b32_e32 v20, v25
	v_mul_f32_e32 v111, v50, v23
	v_fma_f32 v110, v50, v22, -v4
	ds_read_b128 v[4:7], v102 offset:800
	ds_read_b128 v[8:11], v102 offset:816
	;; [unrolled: 1-line block ×3, first 2 shown]
	ds_read_b64 v[16:17], v102 offset:848
	v_pk_mul_f32 v[20:21], v[52:53], v[20:21] op_sel:[1,0] op_sel_hi:[0,0]
	v_fmac_f32_e32 v111, v51, v22
	v_pk_add_f32 v[18:19], v[106:107], v[108:109]
	v_pk_fma_f32 v[22:23], v[52:53], v[24:25], v[20:21] neg_lo:[0,0,1] neg_hi:[0,0,1]
	v_pk_fma_f32 v[20:21], v[52:53], v[24:25], v[20:21] op_sel_hi:[1,0,1]
	v_pk_add_f32 v[18:19], v[18:19], v[110:111]
	v_mov_b32_e32 v23, v21
	s_waitcnt vmcnt(4) lgkmcnt(3)
	v_pk_mul_f32 v[20:21], v[4:5], v[46:47] op_sel:[1,1] op_sel_hi:[0,1]
	v_pk_add_f32 v[18:19], v[18:19], v[22:23]
	v_pk_fma_f32 v[22:23], v[4:5], v[46:47], v[20:21] neg_lo:[0,0,1] neg_hi:[0,0,1]
	v_pk_fma_f32 v[4:5], v[4:5], v[46:47], v[20:21] op_sel_hi:[1,0,1]
	s_nop 0
	v_mov_b32_e32 v23, v5
	v_pk_add_f32 v[4:5], v[18:19], v[22:23]
	v_mov_b32_e32 v18, v49
	v_pk_mul_f32 v[18:19], v[6:7], v[18:19] op_sel:[1,0] op_sel_hi:[0,0]
	v_pk_fma_f32 v[20:21], v[6:7], v[48:49], v[18:19] neg_lo:[0,0,1] neg_hi:[0,0,1]
	v_pk_fma_f32 v[6:7], v[6:7], v[48:49], v[18:19] op_sel_hi:[1,0,1]
	s_nop 0
	v_mov_b32_e32 v21, v7
	s_waitcnt vmcnt(3) lgkmcnt(2)
	v_pk_mul_f32 v[6:7], v[8:9], v[42:43] op_sel:[1,1] op_sel_hi:[0,1]
	v_pk_fma_f32 v[18:19], v[8:9], v[42:43], v[6:7] neg_lo:[0,0,1] neg_hi:[0,0,1]
	v_pk_fma_f32 v[6:7], v[8:9], v[42:43], v[6:7] op_sel_hi:[1,0,1]
	v_pk_add_f32 v[4:5], v[4:5], v[20:21]
	v_mov_b32_e32 v6, v45
	v_mov_b32_e32 v19, v7
	v_pk_mul_f32 v[6:7], v[10:11], v[6:7] op_sel:[1,0] op_sel_hi:[0,0]
	v_pk_fma_f32 v[8:9], v[10:11], v[44:45], v[6:7] neg_lo:[0,0,1] neg_hi:[0,0,1]
	v_pk_fma_f32 v[6:7], v[10:11], v[44:45], v[6:7] op_sel_hi:[1,0,1]
	v_pk_add_f32 v[4:5], v[4:5], v[18:19]
	v_mov_b32_e32 v9, v7
	s_waitcnt vmcnt(2) lgkmcnt(1)
	v_pk_mul_f32 v[6:7], v[12:13], v[38:39] op_sel:[1,1] op_sel_hi:[0,1]
	v_pk_add_f32 v[4:5], v[4:5], v[8:9]
	v_pk_fma_f32 v[8:9], v[12:13], v[38:39], v[6:7] neg_lo:[0,0,1] neg_hi:[0,0,1]
	v_pk_fma_f32 v[6:7], v[12:13], v[38:39], v[6:7] op_sel_hi:[1,0,1]
	s_nop 0
	v_mov_b32_e32 v6, v41
	v_mov_b32_e32 v9, v7
	v_pk_mul_f32 v[6:7], v[14:15], v[6:7] op_sel:[1,0] op_sel_hi:[0,0]
	v_pk_add_f32 v[4:5], v[4:5], v[8:9]
	v_pk_fma_f32 v[8:9], v[14:15], v[40:41], v[6:7] neg_lo:[0,0,1] neg_hi:[0,0,1]
	v_pk_fma_f32 v[6:7], v[14:15], v[40:41], v[6:7] op_sel_hi:[1,0,1]
	s_nop 0
	v_mov_b32_e32 v9, v7
	s_waitcnt vmcnt(1) lgkmcnt(0)
	v_pk_mul_f32 v[6:7], v[16:17], v[104:105] op_sel:[1,1] op_sel_hi:[0,1]
	v_pk_add_f32 v[4:5], v[4:5], v[8:9]
	v_pk_fma_f32 v[8:9], v[16:17], v[104:105], v[6:7] neg_lo:[0,0,1] neg_hi:[0,0,1]
	v_pk_fma_f32 v[6:7], v[16:17], v[104:105], v[6:7] op_sel_hi:[1,0,1]
	s_nop 0
	v_mov_b32_e32 v9, v7
	v_pk_add_f32 v[4:5], v[4:5], v[8:9]
	s_waitcnt vmcnt(0)
	v_pk_add_f32 v[2:3], v[2:3], v[4:5] neg_lo:[0,1] neg_hi:[0,1]
	scratch_store_dwordx2 off, v[2:3], off offset:104
	s_and_saveexec_b64 s[0:1], vcc
	s_cbranch_execz .LBB116_307
; %bb.306:
	scratch_load_dwordx2 v[2:3], off, off offset:96
	v_mov_b32_e32 v103, v102
	scratch_store_dwordx2 off, v[102:103], off offset:96
	s_waitcnt vmcnt(1)
	ds_write_b64 v1, v[2:3]
.LBB116_307:
	s_or_b64 exec, exec, s[0:1]
	s_waitcnt lgkmcnt(0)
	; wave barrier
	scratch_load_dwordx4 v[6:9], off, off offset:104
	scratch_load_dwordx4 v[14:17], off, off offset:120
	;; [unrolled: 1-line block ×10, first 2 shown]
	ds_read2_b64 v[2:5], v102 offset0:67 offset1:68
	scratch_load_dwordx4 v[86:89], off, off offset:264
	scratch_load_dwordx4 v[94:97], off, off offset:280
	;; [unrolled: 1-line block ×6, first 2 shown]
	v_cmp_lt_u32_e32 vcc, 11, v0
	s_waitcnt vmcnt(15) lgkmcnt(0)
	v_mul_f32_e32 v10, v2, v7
	v_fmac_f32_e32 v10, v3, v6
	v_mul_f32_e32 v11, v4, v9
	v_add_f32_e32 v10, 0, v10
	v_fmac_f32_e32 v11, v5, v8
	v_add_f32_e32 v18, v10, v11
	ds_read2_b64 v[10:13], v102 offset0:69 offset1:70
	v_mul_f32_e32 v3, v3, v7
	v_fma_f32 v2, v2, v6, -v3
	v_mul_f32_e32 v3, v5, v9
	v_add_f32_e32 v2, 0, v2
	s_waitcnt vmcnt(14) lgkmcnt(0)
	v_mul_f32_e32 v19, v10, v15
	v_fmac_f32_e32 v19, v11, v14
	v_add_f32_e32 v18, v18, v19
	v_mul_f32_e32 v19, v12, v17
	v_fmac_f32_e32 v19, v13, v16
	v_add_f32_e32 v26, v18, v19
	ds_read2_b64 v[18:21], v102 offset0:71 offset1:72
	v_fma_f32 v3, v4, v8, -v3
	v_add_f32_e32 v2, v2, v3
	v_mul_f32_e32 v3, v11, v15
	v_fma_f32 v3, v10, v14, -v3
	s_waitcnt vmcnt(13) lgkmcnt(0)
	v_mul_f32_e32 v27, v18, v23
	v_fmac_f32_e32 v27, v19, v22
	v_add_f32_e32 v26, v26, v27
	v_mul_f32_e32 v27, v20, v25
	v_fmac_f32_e32 v27, v21, v24
	v_add_f32_e32 v34, v26, v27
	ds_read2_b64 v[26:29], v102 offset0:73 offset1:74
	v_add_f32_e32 v2, v2, v3
	v_mul_f32_e32 v3, v13, v17
	v_fma_f32 v3, v12, v16, -v3
	v_add_f32_e32 v2, v2, v3
	s_waitcnt vmcnt(12) lgkmcnt(0)
	v_mul_f32_e32 v35, v26, v31
	v_fmac_f32_e32 v35, v27, v30
	v_add_f32_e32 v34, v34, v35
	v_mul_f32_e32 v35, v28, v33
	v_fmac_f32_e32 v35, v29, v32
	v_add_f32_e32 v42, v34, v35
	ds_read2_b64 v[34:37], v102 offset0:75 offset1:76
	v_mul_f32_e32 v3, v19, v23
	v_fma_f32 v3, v18, v22, -v3
	v_add_f32_e32 v2, v2, v3
	v_mul_f32_e32 v3, v21, v25
	s_waitcnt vmcnt(11) lgkmcnt(0)
	v_mul_f32_e32 v43, v34, v39
	v_fmac_f32_e32 v43, v35, v38
	v_add_f32_e32 v42, v42, v43
	v_mul_f32_e32 v43, v36, v41
	v_fmac_f32_e32 v43, v37, v40
	v_add_f32_e32 v50, v42, v43
	ds_read2_b64 v[42:45], v102 offset0:77 offset1:78
	v_fma_f32 v3, v20, v24, -v3
	v_add_f32_e32 v2, v2, v3
	v_mul_f32_e32 v3, v27, v31
	v_fma_f32 v3, v26, v30, -v3
	s_waitcnt vmcnt(10) lgkmcnt(0)
	v_mul_f32_e32 v51, v42, v47
	v_fmac_f32_e32 v51, v43, v46
	v_add_f32_e32 v50, v50, v51
	v_mul_f32_e32 v51, v44, v49
	v_fmac_f32_e32 v51, v45, v48
	v_add_f32_e32 v58, v50, v51
	ds_read2_b64 v[50:53], v102 offset0:79 offset1:80
	v_add_f32_e32 v2, v2, v3
	v_mul_f32_e32 v3, v29, v33
	v_fma_f32 v3, v28, v32, -v3
	v_add_f32_e32 v2, v2, v3
	s_waitcnt vmcnt(9) lgkmcnt(0)
	v_mul_f32_e32 v59, v50, v55
	v_fmac_f32_e32 v59, v51, v54
	v_add_f32_e32 v58, v58, v59
	v_mul_f32_e32 v59, v52, v57
	v_fmac_f32_e32 v59, v53, v56
	v_add_f32_e32 v66, v58, v59
	ds_read2_b64 v[58:61], v102 offset0:81 offset1:82
	v_mul_f32_e32 v3, v35, v39
	v_fma_f32 v3, v34, v38, -v3
	v_add_f32_e32 v2, v2, v3
	v_mul_f32_e32 v3, v37, v41
	s_waitcnt vmcnt(8) lgkmcnt(0)
	v_mul_f32_e32 v67, v58, v63
	v_fmac_f32_e32 v67, v59, v62
	v_add_f32_e32 v66, v66, v67
	v_mul_f32_e32 v67, v60, v65
	v_fmac_f32_e32 v67, v61, v64
	v_add_f32_e32 v74, v66, v67
	ds_read2_b64 v[66:69], v102 offset0:83 offset1:84
	v_fma_f32 v3, v36, v40, -v3
	v_add_f32_e32 v2, v2, v3
	v_mul_f32_e32 v3, v43, v47
	v_fma_f32 v3, v42, v46, -v3
	s_waitcnt vmcnt(7) lgkmcnt(0)
	v_mul_f32_e32 v75, v66, v71
	v_fmac_f32_e32 v75, v67, v70
	v_add_f32_e32 v74, v74, v75
	v_mul_f32_e32 v75, v68, v73
	v_fmac_f32_e32 v75, v69, v72
	v_add_f32_e32 v82, v74, v75
	ds_read2_b64 v[74:77], v102 offset0:85 offset1:86
	v_add_f32_e32 v2, v2, v3
	v_mul_f32_e32 v3, v45, v49
	v_fma_f32 v3, v44, v48, -v3
	v_add_f32_e32 v2, v2, v3
	s_waitcnt vmcnt(6) lgkmcnt(0)
	v_mul_f32_e32 v83, v74, v79
	v_fmac_f32_e32 v83, v75, v78
	v_add_f32_e32 v82, v82, v83
	v_mul_f32_e32 v83, v76, v81
	v_fmac_f32_e32 v83, v77, v80
	v_add_f32_e32 v90, v82, v83
	ds_read2_b64 v[82:85], v102 offset0:87 offset1:88
	v_mul_f32_e32 v3, v51, v55
	v_fma_f32 v3, v50, v54, -v3
	v_add_f32_e32 v2, v2, v3
	v_mul_f32_e32 v3, v53, v57
	s_waitcnt vmcnt(5) lgkmcnt(0)
	v_mul_f32_e32 v91, v82, v87
	v_fmac_f32_e32 v91, v83, v86
	v_add_f32_e32 v90, v90, v91
	v_mul_f32_e32 v91, v84, v89
	v_fmac_f32_e32 v91, v85, v88
	v_add_f32_e32 v98, v90, v91
	ds_read2_b64 v[90:93], v102 offset0:89 offset1:90
	v_fma_f32 v3, v52, v56, -v3
	v_add_f32_e32 v2, v2, v3
	v_mul_f32_e32 v3, v59, v63
	v_fma_f32 v3, v58, v62, -v3
	s_waitcnt vmcnt(4) lgkmcnt(0)
	v_mul_f32_e32 v99, v90, v95
	v_fmac_f32_e32 v99, v91, v94
	v_add_f32_e32 v98, v98, v99
	v_mul_f32_e32 v99, v92, v97
	v_fmac_f32_e32 v99, v93, v96
	v_add_f32_e32 v103, v98, v99
	ds_read2_b64 v[98:101], v102 offset0:91 offset1:92
	v_add_f32_e32 v2, v2, v3
	v_mul_f32_e32 v3, v61, v65
	v_fma_f32 v3, v60, v64, -v3
	v_add_f32_e32 v2, v2, v3
	s_waitcnt vmcnt(3) lgkmcnt(0)
	v_mul_f32_e32 v108, v98, v105
	v_fmac_f32_e32 v108, v99, v104
	v_add_f32_e32 v103, v103, v108
	v_mul_f32_e32 v108, v100, v107
	v_fmac_f32_e32 v108, v101, v106
	v_add_f32_e32 v103, v103, v108
	ds_read2_b64 v[108:111], v102 offset0:93 offset1:94
	v_mul_f32_e32 v3, v67, v71
	v_fma_f32 v3, v66, v70, -v3
	v_add_f32_e32 v2, v2, v3
	v_mul_f32_e32 v3, v69, v73
	s_waitcnt vmcnt(2) lgkmcnt(0)
	v_mul_f32_e32 v116, v108, v113
	v_fmac_f32_e32 v116, v109, v112
	v_add_f32_e32 v103, v103, v116
	v_mul_f32_e32 v116, v110, v115
	v_fmac_f32_e32 v116, v111, v114
	v_add_f32_e32 v103, v103, v116
	ds_read2_b64 v[116:119], v102 offset0:95 offset1:96
	v_fma_f32 v3, v68, v72, -v3
	v_add_f32_e32 v2, v2, v3
	v_mul_f32_e32 v3, v75, v79
	v_fma_f32 v3, v74, v78, -v3
	s_waitcnt vmcnt(1) lgkmcnt(0)
	v_mul_f32_e32 v124, v116, v121
	v_fmac_f32_e32 v124, v117, v120
	v_add_f32_e32 v103, v103, v124
	v_mul_f32_e32 v124, v118, v123
	v_fmac_f32_e32 v124, v119, v122
	v_add_f32_e32 v141, v103, v124
	ds_read2_b64 v[124:127], v102 offset0:97 offset1:98
	scratch_load_dwordx4 v[132:135], off, off offset:360
	scratch_load_dwordx4 v[136:139], off, off offset:376
	;; [unrolled: 1-line block ×4, first 2 shown]
	v_add_f32_e32 v2, v2, v3
	v_mul_f32_e32 v3, v77, v81
	v_fma_f32 v3, v76, v80, -v3
	v_add_f32_e32 v2, v2, v3
	v_mul_f32_e32 v3, v83, v87
	v_fma_f32 v3, v82, v86, -v3
	;; [unrolled: 3-line block ×11, first 2 shown]
	v_add_f32_e32 v140, v2, v3
	s_waitcnt vmcnt(4) lgkmcnt(0)
	v_mul_f32_e32 v2, v125, v129
	v_fma_f32 v148, v124, v128, -v2
	v_mul_f32_e32 v2, v127, v131
	v_fma_f32 v150, v126, v130, -v2
	ds_read2_b64 v[2:5], v102 offset0:99 offset1:100
	ds_read2_b64 v[6:9], v102 offset0:101 offset1:102
	;; [unrolled: 1-line block ×4, first 2 shown]
	v_mul_f32_e32 v149, v124, v129
	v_fmac_f32_e32 v149, v125, v128
	v_mul_f32_e32 v151, v126, v131
	v_fmac_f32_e32 v151, v127, v130
	v_pk_add_f32 v[18:19], v[140:141], v[148:149]
	s_waitcnt vmcnt(3) lgkmcnt(3)
	v_pk_mul_f32 v[20:21], v[2:3], v[132:133] op_sel:[1,1] op_sel_hi:[0,1]
	v_pk_fma_f32 v[22:23], v[2:3], v[132:133], v[20:21] neg_lo:[0,0,1] neg_hi:[0,0,1]
	v_pk_fma_f32 v[2:3], v[2:3], v[132:133], v[20:21] op_sel_hi:[1,0,1]
	v_pk_add_f32 v[18:19], v[18:19], v[150:151]
	v_mov_b32_e32 v23, v3
	v_pk_add_f32 v[2:3], v[18:19], v[22:23]
	v_mov_b32_e32 v18, v135
	v_pk_mul_f32 v[18:19], v[4:5], v[18:19] op_sel:[1,0] op_sel_hi:[0,0]
	v_pk_fma_f32 v[20:21], v[4:5], v[134:135], v[18:19] neg_lo:[0,0,1] neg_hi:[0,0,1]
	v_pk_fma_f32 v[4:5], v[4:5], v[134:135], v[18:19] op_sel_hi:[1,0,1]
	s_nop 0
	v_mov_b32_e32 v21, v5
	s_waitcnt vmcnt(2) lgkmcnt(2)
	v_pk_mul_f32 v[4:5], v[6:7], v[136:137] op_sel:[1,1] op_sel_hi:[0,1]
	v_pk_fma_f32 v[18:19], v[6:7], v[136:137], v[4:5] neg_lo:[0,0,1] neg_hi:[0,0,1]
	v_pk_fma_f32 v[4:5], v[6:7], v[136:137], v[4:5] op_sel_hi:[1,0,1]
	v_pk_add_f32 v[2:3], v[2:3], v[20:21]
	v_mov_b32_e32 v4, v139
	v_mov_b32_e32 v19, v5
	v_pk_mul_f32 v[4:5], v[8:9], v[4:5] op_sel:[1,0] op_sel_hi:[0,0]
	v_pk_fma_f32 v[6:7], v[8:9], v[138:139], v[4:5] neg_lo:[0,0,1] neg_hi:[0,0,1]
	v_pk_fma_f32 v[4:5], v[8:9], v[138:139], v[4:5] op_sel_hi:[1,0,1]
	v_pk_add_f32 v[2:3], v[2:3], v[18:19]
	v_mov_b32_e32 v7, v5
	s_waitcnt vmcnt(1) lgkmcnt(1)
	v_pk_mul_f32 v[4:5], v[10:11], v[144:145] op_sel:[1,1] op_sel_hi:[0,1]
	v_pk_add_f32 v[2:3], v[2:3], v[6:7]
	v_pk_fma_f32 v[6:7], v[10:11], v[144:145], v[4:5] neg_lo:[0,0,1] neg_hi:[0,0,1]
	v_pk_fma_f32 v[4:5], v[10:11], v[144:145], v[4:5] op_sel_hi:[1,0,1]
	s_nop 0
	v_mov_b32_e32 v4, v147
	v_mov_b32_e32 v7, v5
	v_pk_mul_f32 v[4:5], v[12:13], v[4:5] op_sel:[1,0] op_sel_hi:[0,0]
	v_pk_add_f32 v[2:3], v[2:3], v[6:7]
	v_pk_fma_f32 v[6:7], v[12:13], v[146:147], v[4:5] neg_lo:[0,0,1] neg_hi:[0,0,1]
	v_pk_fma_f32 v[4:5], v[12:13], v[146:147], v[4:5] op_sel_hi:[1,0,1]
	s_nop 0
	v_mov_b32_e32 v7, v5
	s_waitcnt vmcnt(0) lgkmcnt(0)
	v_pk_mul_f32 v[4:5], v[14:15], v[248:249] op_sel:[1,1] op_sel_hi:[0,1]
	v_pk_add_f32 v[2:3], v[2:3], v[6:7]
	v_pk_fma_f32 v[6:7], v[14:15], v[248:249], v[4:5] neg_lo:[0,0,1] neg_hi:[0,0,1]
	v_pk_fma_f32 v[4:5], v[14:15], v[248:249], v[4:5] op_sel_hi:[1,0,1]
	s_nop 0
	v_mov_b32_e32 v4, v251
	v_mov_b32_e32 v7, v5
	v_pk_mul_f32 v[4:5], v[16:17], v[4:5] op_sel:[1,0] op_sel_hi:[0,0]
	v_pk_add_f32 v[2:3], v[2:3], v[6:7]
	v_pk_fma_f32 v[6:7], v[16:17], v[250:251], v[4:5] neg_lo:[0,0,1] neg_hi:[0,0,1]
	v_pk_fma_f32 v[4:5], v[16:17], v[250:251], v[4:5] op_sel_hi:[1,0,1]
	s_nop 0
	v_mov_b32_e32 v7, v5
	scratch_load_dwordx2 v[4:5], off, off offset:96
	v_pk_add_f32 v[2:3], v[2:3], v[6:7]
	s_waitcnt vmcnt(0)
	v_pk_add_f32 v[2:3], v[4:5], v[2:3] neg_lo:[0,1] neg_hi:[0,1]
	scratch_store_dwordx2 off, v[2:3], off offset:96
	s_and_saveexec_b64 s[0:1], vcc
	s_cbranch_execz .LBB116_309
; %bb.308:
	scratch_load_dwordx2 v[2:3], off, off offset:88
	v_mov_b32_e32 v4, 0
	v_mov_b32_e32 v5, v4
	scratch_store_dwordx2 off, v[4:5], off offset:88
	s_waitcnt vmcnt(1)
	ds_write_b64 v1, v[2:3]
.LBB116_309:
	s_or_b64 exec, exec, s[0:1]
	v_mov_b32_e32 v102, 0
	s_waitcnt lgkmcnt(0)
	; wave barrier
	ds_read_b128 v[14:17], v102 offset:528
	ds_read_b128 v[10:13], v102 offset:544
	;; [unrolled: 1-line block ×4, first 2 shown]
	scratch_load_dwordx4 v[18:21], off, off offset:96
	scratch_load_dwordx4 v[38:41], off, off offset:160
	;; [unrolled: 1-line block ×11, first 2 shown]
	v_cmp_lt_u32_e32 vcc, 10, v0
	scratch_load_dwordx4 v[46:49], off, off offset:176
	scratch_load_dwordx4 v[54:57], off, off offset:192
	;; [unrolled: 1-line block ×3, first 2 shown]
	s_waitcnt vmcnt(13) lgkmcnt(3)
	v_mul_f32_e32 v22, v14, v19
	v_fmac_f32_e32 v22, v15, v18
	v_mul_f32_e32 v23, v16, v21
	v_add_f32_e32 v22, 0, v22
	v_fmac_f32_e32 v23, v17, v20
	v_add_f32_e32 v26, v22, v23
	scratch_load_dwordx4 v[22:25], off, off offset:112
	v_mul_f32_e32 v15, v15, v19
	v_fma_f32 v14, v14, v18, -v15
	v_mul_f32_e32 v15, v17, v21
	v_add_f32_e32 v14, 0, v14
	v_fma_f32 v15, v16, v20, -v15
	v_add_f32_e32 v14, v14, v15
	s_waitcnt vmcnt(4)
	v_mov_b32_e32 v18, v139
	s_waitcnt vmcnt(0) lgkmcnt(2)
	v_mul_f32_e32 v27, v10, v23
	v_fmac_f32_e32 v27, v11, v22
	v_add_f32_e32 v26, v26, v27
	v_mul_f32_e32 v27, v12, v25
	v_fmac_f32_e32 v27, v13, v24
	v_add_f32_e32 v30, v26, v27
	scratch_load_dwordx4 v[26:29], off, off offset:128
	v_mul_f32_e32 v11, v11, v23
	v_fma_f32 v10, v10, v22, -v11
	v_mul_f32_e32 v11, v13, v25
	v_add_f32_e32 v10, v14, v10
	v_fma_f32 v11, v12, v24, -v11
	v_add_f32_e32 v10, v10, v11
	s_waitcnt vmcnt(0) lgkmcnt(1)
	v_mul_f32_e32 v31, v6, v27
	v_fmac_f32_e32 v31, v7, v26
	v_add_f32_e32 v30, v30, v31
	v_mul_f32_e32 v31, v8, v29
	v_fmac_f32_e32 v31, v9, v28
	v_add_f32_e32 v34, v30, v31
	scratch_load_dwordx4 v[30:33], off, off offset:144
	v_mul_f32_e32 v7, v7, v27
	v_fma_f32 v6, v6, v26, -v7
	v_mul_f32_e32 v7, v9, v29
	v_add_f32_e32 v6, v10, v6
	v_fma_f32 v7, v8, v28, -v7
	v_add_f32_e32 v6, v6, v7
	s_waitcnt vmcnt(0) lgkmcnt(0)
	v_mul_f32_e32 v35, v2, v31
	v_fmac_f32_e32 v35, v3, v30
	v_add_f32_e32 v34, v34, v35
	v_mul_f32_e32 v35, v4, v33
	v_fmac_f32_e32 v35, v5, v32
	v_add_f32_e32 v42, v34, v35
	ds_read_b128 v[34:37], v102 offset:592
	v_mul_f32_e32 v3, v3, v31
	v_fma_f32 v2, v2, v30, -v3
	v_mul_f32_e32 v3, v5, v33
	v_add_f32_e32 v2, v6, v2
	s_waitcnt lgkmcnt(0)
	v_mul_f32_e32 v43, v34, v39
	v_fmac_f32_e32 v43, v35, v38
	v_add_f32_e32 v42, v42, v43
	v_mul_f32_e32 v43, v36, v41
	v_fmac_f32_e32 v43, v37, v40
	v_add_f32_e32 v50, v42, v43
	ds_read_b128 v[42:45], v102 offset:608
	v_fma_f32 v3, v4, v32, -v3
	v_add_f32_e32 v2, v2, v3
	v_mul_f32_e32 v3, v35, v39
	v_fma_f32 v3, v34, v38, -v3
	s_waitcnt lgkmcnt(0)
	v_mul_f32_e32 v51, v42, v47
	v_fmac_f32_e32 v51, v43, v46
	v_add_f32_e32 v50, v50, v51
	v_mul_f32_e32 v51, v44, v49
	v_fmac_f32_e32 v51, v45, v48
	v_add_f32_e32 v58, v50, v51
	ds_read_b128 v[50:53], v102 offset:624
	v_add_f32_e32 v2, v2, v3
	v_mul_f32_e32 v3, v37, v41
	v_fma_f32 v3, v36, v40, -v3
	v_add_f32_e32 v2, v2, v3
	s_waitcnt lgkmcnt(0)
	v_mul_f32_e32 v59, v50, v55
	v_fmac_f32_e32 v59, v51, v54
	v_add_f32_e32 v58, v58, v59
	v_mul_f32_e32 v59, v52, v57
	v_fmac_f32_e32 v59, v53, v56
	v_add_f32_e32 v66, v58, v59
	ds_read_b128 v[58:61], v102 offset:640
	v_mul_f32_e32 v3, v43, v47
	v_fma_f32 v3, v42, v46, -v3
	v_add_f32_e32 v2, v2, v3
	v_mul_f32_e32 v3, v45, v49
	s_waitcnt lgkmcnt(0)
	v_mul_f32_e32 v67, v58, v63
	v_fmac_f32_e32 v67, v59, v62
	v_add_f32_e32 v66, v66, v67
	v_mul_f32_e32 v67, v60, v65
	v_fmac_f32_e32 v67, v61, v64
	v_add_f32_e32 v74, v66, v67
	ds_read_b128 v[66:69], v102 offset:656
	v_fma_f32 v3, v44, v48, -v3
	v_add_f32_e32 v2, v2, v3
	v_mul_f32_e32 v3, v51, v55
	v_fma_f32 v3, v50, v54, -v3
	s_waitcnt lgkmcnt(0)
	v_mul_f32_e32 v75, v66, v71
	v_fmac_f32_e32 v75, v67, v70
	v_add_f32_e32 v74, v74, v75
	v_mul_f32_e32 v75, v68, v73
	v_fmac_f32_e32 v75, v69, v72
	v_add_f32_e32 v82, v74, v75
	ds_read_b128 v[74:77], v102 offset:672
	v_add_f32_e32 v2, v2, v3
	v_mul_f32_e32 v3, v53, v57
	v_fma_f32 v3, v52, v56, -v3
	v_add_f32_e32 v2, v2, v3
	s_waitcnt lgkmcnt(0)
	v_mul_f32_e32 v83, v74, v79
	v_fmac_f32_e32 v83, v75, v78
	v_add_f32_e32 v82, v82, v83
	v_mul_f32_e32 v83, v76, v81
	v_fmac_f32_e32 v83, v77, v80
	v_add_f32_e32 v90, v82, v83
	ds_read_b128 v[82:85], v102 offset:688
	v_mul_f32_e32 v3, v59, v63
	v_fma_f32 v3, v58, v62, -v3
	v_add_f32_e32 v2, v2, v3
	v_mul_f32_e32 v3, v61, v65
	;; [unrolled: 36-line block ×3, first 2 shown]
	s_waitcnt lgkmcnt(0)
	v_mul_f32_e32 v116, v108, v113
	v_fmac_f32_e32 v116, v109, v112
	v_add_f32_e32 v103, v103, v116
	v_mul_f32_e32 v116, v110, v115
	v_fmac_f32_e32 v116, v111, v114
	v_add_f32_e32 v103, v103, v116
	ds_read_b128 v[116:119], v102 offset:752
	v_fma_f32 v3, v76, v80, -v3
	v_add_f32_e32 v2, v2, v3
	v_mul_f32_e32 v3, v83, v87
	v_fma_f32 v3, v82, v86, -v3
	s_waitcnt lgkmcnt(0)
	v_mul_f32_e32 v124, v116, v121
	v_fmac_f32_e32 v124, v117, v120
	v_add_f32_e32 v103, v103, v124
	v_mul_f32_e32 v124, v118, v123
	v_fmac_f32_e32 v124, v119, v122
	v_add_f32_e32 v103, v103, v124
	ds_read_b128 v[124:127], v102 offset:768
	v_add_f32_e32 v2, v2, v3
	v_mul_f32_e32 v3, v85, v89
	v_fma_f32 v3, v84, v88, -v3
	v_add_f32_e32 v2, v2, v3
	s_waitcnt lgkmcnt(0)
	v_mul_f32_e32 v132, v124, v129
	v_fmac_f32_e32 v132, v125, v128
	v_add_f32_e32 v141, v103, v132
	ds_read_b128 v[132:135], v102 offset:784
	scratch_load_dwordx4 v[144:147], off, off offset:368
	scratch_load_dwordx4 v[248:251], off, off offset:384
	;; [unrolled: 1-line block ×3, first 2 shown]
	scratch_load_dwordx2 v[152:153], off, off offset:416
	v_mul_f32_e32 v3, v91, v95
	v_fma_f32 v3, v90, v94, -v3
	v_add_f32_e32 v2, v2, v3
	v_mul_f32_e32 v3, v93, v97
	v_fma_f32 v3, v92, v96, -v3
	v_add_f32_e32 v2, v2, v3
	;; [unrolled: 3-line block ×9, first 2 shown]
	v_mul_f32_e32 v2, v127, v131
	v_mul_f32_e32 v149, v126, v131
	v_fma_f32 v148, v126, v130, -v2
	s_waitcnt lgkmcnt(0)
	v_mul_f32_e32 v2, v133, v137
	v_fmac_f32_e32 v149, v127, v130
	v_mul_f32_e32 v151, v132, v137
	v_fma_f32 v150, v132, v136, -v2
	ds_read_b128 v[2:5], v102 offset:800
	ds_read_b128 v[6:9], v102 offset:816
	;; [unrolled: 1-line block ×3, first 2 shown]
	ds_read_b64 v[14:15], v102 offset:848
	v_pk_mul_f32 v[18:19], v[134:135], v[18:19] op_sel:[1,0] op_sel_hi:[0,0]
	v_fmac_f32_e32 v151, v133, v136
	v_pk_add_f32 v[16:17], v[140:141], v[148:149]
	v_pk_fma_f32 v[20:21], v[134:135], v[138:139], v[18:19] neg_lo:[0,0,1] neg_hi:[0,0,1]
	v_pk_fma_f32 v[18:19], v[134:135], v[138:139], v[18:19] op_sel_hi:[1,0,1]
	v_pk_add_f32 v[16:17], v[16:17], v[150:151]
	v_mov_b32_e32 v21, v19
	v_pk_add_f32 v[16:17], v[16:17], v[20:21]
	s_waitcnt vmcnt(3) lgkmcnt(3)
	v_pk_mul_f32 v[18:19], v[2:3], v[144:145] op_sel:[1,1] op_sel_hi:[0,1]
	v_pk_fma_f32 v[20:21], v[2:3], v[144:145], v[18:19] neg_lo:[0,0,1] neg_hi:[0,0,1]
	v_pk_fma_f32 v[2:3], v[2:3], v[144:145], v[18:19] op_sel_hi:[1,0,1]
	s_nop 0
	v_mov_b32_e32 v21, v3
	v_pk_add_f32 v[2:3], v[16:17], v[20:21]
	v_mov_b32_e32 v16, v147
	v_pk_mul_f32 v[16:17], v[4:5], v[16:17] op_sel:[1,0] op_sel_hi:[0,0]
	v_pk_fma_f32 v[18:19], v[4:5], v[146:147], v[16:17] neg_lo:[0,0,1] neg_hi:[0,0,1]
	v_pk_fma_f32 v[4:5], v[4:5], v[146:147], v[16:17] op_sel_hi:[1,0,1]
	s_nop 0
	v_mov_b32_e32 v19, v5
	s_waitcnt vmcnt(2) lgkmcnt(2)
	v_pk_mul_f32 v[4:5], v[6:7], v[248:249] op_sel:[1,1] op_sel_hi:[0,1]
	v_pk_fma_f32 v[16:17], v[6:7], v[248:249], v[4:5] neg_lo:[0,0,1] neg_hi:[0,0,1]
	v_pk_fma_f32 v[4:5], v[6:7], v[248:249], v[4:5] op_sel_hi:[1,0,1]
	v_pk_add_f32 v[2:3], v[2:3], v[18:19]
	v_mov_b32_e32 v4, v251
	v_mov_b32_e32 v17, v5
	v_pk_mul_f32 v[4:5], v[8:9], v[4:5] op_sel:[1,0] op_sel_hi:[0,0]
	v_pk_fma_f32 v[6:7], v[8:9], v[250:251], v[4:5] neg_lo:[0,0,1] neg_hi:[0,0,1]
	v_pk_fma_f32 v[4:5], v[8:9], v[250:251], v[4:5] op_sel_hi:[1,0,1]
	v_pk_add_f32 v[2:3], v[2:3], v[16:17]
	v_mov_b32_e32 v7, v5
	s_waitcnt vmcnt(1) lgkmcnt(1)
	v_pk_mul_f32 v[4:5], v[10:11], v[252:253] op_sel:[1,1] op_sel_hi:[0,1]
	v_pk_add_f32 v[2:3], v[2:3], v[6:7]
	v_pk_fma_f32 v[6:7], v[10:11], v[252:253], v[4:5] neg_lo:[0,0,1] neg_hi:[0,0,1]
	v_pk_fma_f32 v[4:5], v[10:11], v[252:253], v[4:5] op_sel_hi:[1,0,1]
	s_nop 0
	v_mov_b32_e32 v4, v255
	v_mov_b32_e32 v7, v5
	v_pk_mul_f32 v[4:5], v[12:13], v[4:5] op_sel:[1,0] op_sel_hi:[0,0]
	v_pk_add_f32 v[2:3], v[2:3], v[6:7]
	v_pk_fma_f32 v[6:7], v[12:13], v[254:255], v[4:5] neg_lo:[0,0,1] neg_hi:[0,0,1]
	v_pk_fma_f32 v[4:5], v[12:13], v[254:255], v[4:5] op_sel_hi:[1,0,1]
	s_nop 0
	v_mov_b32_e32 v7, v5
	s_waitcnt vmcnt(0) lgkmcnt(0)
	v_pk_mul_f32 v[4:5], v[14:15], v[152:153] op_sel:[1,1] op_sel_hi:[0,1]
	v_pk_add_f32 v[2:3], v[2:3], v[6:7]
	v_pk_fma_f32 v[6:7], v[14:15], v[152:153], v[4:5] neg_lo:[0,0,1] neg_hi:[0,0,1]
	v_pk_fma_f32 v[4:5], v[14:15], v[152:153], v[4:5] op_sel_hi:[1,0,1]
	s_nop 0
	v_mov_b32_e32 v7, v5
	scratch_load_dwordx2 v[4:5], off, off offset:88
	v_pk_add_f32 v[2:3], v[2:3], v[6:7]
	s_waitcnt vmcnt(0)
	v_pk_add_f32 v[2:3], v[4:5], v[2:3] neg_lo:[0,1] neg_hi:[0,1]
	scratch_store_dwordx2 off, v[2:3], off offset:88
	s_and_saveexec_b64 s[0:1], vcc
	s_cbranch_execz .LBB116_311
; %bb.310:
	scratch_load_dwordx2 v[2:3], off, off offset:80
	v_mov_b32_e32 v103, v102
	scratch_store_dwordx2 off, v[102:103], off offset:80
	s_waitcnt vmcnt(1)
	ds_write_b64 v1, v[2:3]
.LBB116_311:
	s_or_b64 exec, exec, s[0:1]
	s_waitcnt lgkmcnt(0)
	; wave barrier
	scratch_load_dwordx4 v[6:9], off, off offset:88
	scratch_load_dwordx4 v[14:17], off, off offset:104
	;; [unrolled: 1-line block ×10, first 2 shown]
	ds_read2_b64 v[2:5], v102 offset0:65 offset1:66
	scratch_load_dwordx4 v[86:89], off, off offset:248
	scratch_load_dwordx4 v[94:97], off, off offset:264
	;; [unrolled: 1-line block ×7, first 2 shown]
	v_cmp_lt_u32_e32 vcc, 9, v0
	s_waitcnt vmcnt(16) lgkmcnt(0)
	v_mul_f32_e32 v10, v2, v7
	v_fmac_f32_e32 v10, v3, v6
	v_mul_f32_e32 v11, v4, v9
	v_add_f32_e32 v10, 0, v10
	v_fmac_f32_e32 v11, v5, v8
	v_add_f32_e32 v18, v10, v11
	ds_read2_b64 v[10:13], v102 offset0:67 offset1:68
	v_mul_f32_e32 v3, v3, v7
	v_fma_f32 v2, v2, v6, -v3
	v_mul_f32_e32 v3, v5, v9
	v_add_f32_e32 v2, 0, v2
	s_waitcnt vmcnt(15) lgkmcnt(0)
	v_mul_f32_e32 v19, v10, v15
	v_fmac_f32_e32 v19, v11, v14
	v_add_f32_e32 v18, v18, v19
	v_mul_f32_e32 v19, v12, v17
	v_fmac_f32_e32 v19, v13, v16
	v_add_f32_e32 v26, v18, v19
	ds_read2_b64 v[18:21], v102 offset0:69 offset1:70
	v_fma_f32 v3, v4, v8, -v3
	v_add_f32_e32 v2, v2, v3
	v_mul_f32_e32 v3, v11, v15
	v_fma_f32 v3, v10, v14, -v3
	s_waitcnt vmcnt(14) lgkmcnt(0)
	v_mul_f32_e32 v27, v18, v23
	v_fmac_f32_e32 v27, v19, v22
	v_add_f32_e32 v26, v26, v27
	v_mul_f32_e32 v27, v20, v25
	v_fmac_f32_e32 v27, v21, v24
	v_add_f32_e32 v34, v26, v27
	ds_read2_b64 v[26:29], v102 offset0:71 offset1:72
	v_add_f32_e32 v2, v2, v3
	v_mul_f32_e32 v3, v13, v17
	v_fma_f32 v3, v12, v16, -v3
	v_add_f32_e32 v2, v2, v3
	s_waitcnt vmcnt(13) lgkmcnt(0)
	v_mul_f32_e32 v35, v26, v31
	v_fmac_f32_e32 v35, v27, v30
	v_add_f32_e32 v34, v34, v35
	v_mul_f32_e32 v35, v28, v33
	v_fmac_f32_e32 v35, v29, v32
	v_add_f32_e32 v42, v34, v35
	ds_read2_b64 v[34:37], v102 offset0:73 offset1:74
	v_mul_f32_e32 v3, v19, v23
	v_fma_f32 v3, v18, v22, -v3
	v_add_f32_e32 v2, v2, v3
	v_mul_f32_e32 v3, v21, v25
	s_waitcnt vmcnt(12) lgkmcnt(0)
	v_mul_f32_e32 v43, v34, v39
	v_fmac_f32_e32 v43, v35, v38
	v_add_f32_e32 v42, v42, v43
	v_mul_f32_e32 v43, v36, v41
	v_fmac_f32_e32 v43, v37, v40
	v_add_f32_e32 v50, v42, v43
	ds_read2_b64 v[42:45], v102 offset0:75 offset1:76
	v_fma_f32 v3, v20, v24, -v3
	v_add_f32_e32 v2, v2, v3
	v_mul_f32_e32 v3, v27, v31
	v_fma_f32 v3, v26, v30, -v3
	s_waitcnt vmcnt(11) lgkmcnt(0)
	v_mul_f32_e32 v51, v42, v47
	v_fmac_f32_e32 v51, v43, v46
	v_add_f32_e32 v50, v50, v51
	v_mul_f32_e32 v51, v44, v49
	v_fmac_f32_e32 v51, v45, v48
	v_add_f32_e32 v58, v50, v51
	ds_read2_b64 v[50:53], v102 offset0:77 offset1:78
	v_add_f32_e32 v2, v2, v3
	v_mul_f32_e32 v3, v29, v33
	v_fma_f32 v3, v28, v32, -v3
	v_add_f32_e32 v2, v2, v3
	s_waitcnt vmcnt(10) lgkmcnt(0)
	v_mul_f32_e32 v59, v50, v55
	v_fmac_f32_e32 v59, v51, v54
	v_add_f32_e32 v58, v58, v59
	v_mul_f32_e32 v59, v52, v57
	v_fmac_f32_e32 v59, v53, v56
	v_add_f32_e32 v66, v58, v59
	ds_read2_b64 v[58:61], v102 offset0:79 offset1:80
	v_mul_f32_e32 v3, v35, v39
	v_fma_f32 v3, v34, v38, -v3
	v_add_f32_e32 v2, v2, v3
	v_mul_f32_e32 v3, v37, v41
	;; [unrolled: 36-line block ×4, first 2 shown]
	s_waitcnt vmcnt(3) lgkmcnt(0)
	v_mul_f32_e32 v116, v108, v113
	v_fmac_f32_e32 v116, v109, v112
	v_add_f32_e32 v103, v103, v116
	v_mul_f32_e32 v116, v110, v115
	v_fmac_f32_e32 v116, v111, v114
	v_add_f32_e32 v103, v103, v116
	ds_read2_b64 v[116:119], v102 offset0:93 offset1:94
	v_fma_f32 v3, v68, v72, -v3
	v_add_f32_e32 v2, v2, v3
	v_mul_f32_e32 v3, v75, v79
	v_fma_f32 v3, v74, v78, -v3
	s_waitcnt vmcnt(2) lgkmcnt(0)
	v_mul_f32_e32 v124, v116, v121
	v_fmac_f32_e32 v124, v117, v120
	v_add_f32_e32 v103, v103, v124
	v_mul_f32_e32 v124, v118, v123
	v_fmac_f32_e32 v124, v119, v122
	v_add_f32_e32 v103, v103, v124
	ds_read2_b64 v[124:127], v102 offset0:95 offset1:96
	v_add_f32_e32 v2, v2, v3
	v_mul_f32_e32 v3, v77, v81
	v_fma_f32 v3, v76, v80, -v3
	v_add_f32_e32 v2, v2, v3
	s_waitcnt vmcnt(1) lgkmcnt(0)
	v_mul_f32_e32 v132, v124, v129
	v_fmac_f32_e32 v132, v125, v128
	v_add_f32_e32 v103, v103, v132
	v_mul_f32_e32 v132, v126, v131
	v_fmac_f32_e32 v132, v127, v130
	v_add_f32_e32 v141, v103, v132
	ds_read2_b64 v[132:135], v102 offset0:97 offset1:98
	scratch_load_dwordx4 v[144:147], off, off offset:360
	scratch_load_dwordx4 v[248:251], off, off offset:376
	;; [unrolled: 1-line block ×4, first 2 shown]
	v_mul_f32_e32 v3, v83, v87
	v_fma_f32 v3, v82, v86, -v3
	v_add_f32_e32 v2, v2, v3
	v_mul_f32_e32 v3, v85, v89
	v_fma_f32 v3, v84, v88, -v3
	v_add_f32_e32 v2, v2, v3
	;; [unrolled: 3-line block ×12, first 2 shown]
	s_waitcnt vmcnt(4) lgkmcnt(0)
	v_mul_f32_e32 v2, v133, v137
	v_fma_f32 v152, v132, v136, -v2
	v_mul_f32_e32 v2, v135, v139
	v_fma_f32 v154, v134, v138, -v2
	ds_read2_b64 v[2:5], v102 offset0:99 offset1:100
	ds_read2_b64 v[6:9], v102 offset0:101 offset1:102
	;; [unrolled: 1-line block ×4, first 2 shown]
	v_mul_f32_e32 v153, v132, v137
	v_fmac_f32_e32 v153, v133, v136
	v_mul_f32_e32 v155, v134, v139
	v_fmac_f32_e32 v155, v135, v138
	v_pk_add_f32 v[18:19], v[140:141], v[152:153]
	s_waitcnt vmcnt(3) lgkmcnt(3)
	v_pk_mul_f32 v[20:21], v[2:3], v[144:145] op_sel:[1,1] op_sel_hi:[0,1]
	v_pk_fma_f32 v[22:23], v[2:3], v[144:145], v[20:21] neg_lo:[0,0,1] neg_hi:[0,0,1]
	v_pk_fma_f32 v[2:3], v[2:3], v[144:145], v[20:21] op_sel_hi:[1,0,1]
	v_pk_add_f32 v[18:19], v[18:19], v[154:155]
	v_mov_b32_e32 v23, v3
	v_pk_add_f32 v[2:3], v[18:19], v[22:23]
	v_mov_b32_e32 v18, v147
	v_pk_mul_f32 v[18:19], v[4:5], v[18:19] op_sel:[1,0] op_sel_hi:[0,0]
	v_pk_fma_f32 v[20:21], v[4:5], v[146:147], v[18:19] neg_lo:[0,0,1] neg_hi:[0,0,1]
	v_pk_fma_f32 v[4:5], v[4:5], v[146:147], v[18:19] op_sel_hi:[1,0,1]
	s_nop 0
	v_mov_b32_e32 v21, v5
	s_waitcnt vmcnt(2) lgkmcnt(2)
	v_pk_mul_f32 v[4:5], v[6:7], v[248:249] op_sel:[1,1] op_sel_hi:[0,1]
	v_pk_fma_f32 v[18:19], v[6:7], v[248:249], v[4:5] neg_lo:[0,0,1] neg_hi:[0,0,1]
	v_pk_fma_f32 v[4:5], v[6:7], v[248:249], v[4:5] op_sel_hi:[1,0,1]
	v_pk_add_f32 v[2:3], v[2:3], v[20:21]
	v_mov_b32_e32 v4, v251
	v_mov_b32_e32 v19, v5
	v_pk_mul_f32 v[4:5], v[8:9], v[4:5] op_sel:[1,0] op_sel_hi:[0,0]
	v_pk_fma_f32 v[6:7], v[8:9], v[250:251], v[4:5] neg_lo:[0,0,1] neg_hi:[0,0,1]
	v_pk_fma_f32 v[4:5], v[8:9], v[250:251], v[4:5] op_sel_hi:[1,0,1]
	v_pk_add_f32 v[2:3], v[2:3], v[18:19]
	v_mov_b32_e32 v7, v5
	s_waitcnt vmcnt(1) lgkmcnt(1)
	v_pk_mul_f32 v[4:5], v[10:11], v[252:253] op_sel:[1,1] op_sel_hi:[0,1]
	v_pk_add_f32 v[2:3], v[2:3], v[6:7]
	v_pk_fma_f32 v[6:7], v[10:11], v[252:253], v[4:5] neg_lo:[0,0,1] neg_hi:[0,0,1]
	v_pk_fma_f32 v[4:5], v[10:11], v[252:253], v[4:5] op_sel_hi:[1,0,1]
	s_nop 0
	v_mov_b32_e32 v4, v255
	v_mov_b32_e32 v7, v5
	v_pk_mul_f32 v[4:5], v[12:13], v[4:5] op_sel:[1,0] op_sel_hi:[0,0]
	v_pk_add_f32 v[2:3], v[2:3], v[6:7]
	v_pk_fma_f32 v[6:7], v[12:13], v[254:255], v[4:5] neg_lo:[0,0,1] neg_hi:[0,0,1]
	v_pk_fma_f32 v[4:5], v[12:13], v[254:255], v[4:5] op_sel_hi:[1,0,1]
	s_nop 0
	v_mov_b32_e32 v7, v5
	s_waitcnt vmcnt(0) lgkmcnt(0)
	v_pk_mul_f32 v[4:5], v[14:15], v[148:149] op_sel:[1,1] op_sel_hi:[0,1]
	v_pk_add_f32 v[2:3], v[2:3], v[6:7]
	v_pk_fma_f32 v[6:7], v[14:15], v[148:149], v[4:5] neg_lo:[0,0,1] neg_hi:[0,0,1]
	v_pk_fma_f32 v[4:5], v[14:15], v[148:149], v[4:5] op_sel_hi:[1,0,1]
	s_nop 0
	v_mov_b32_e32 v4, v151
	v_mov_b32_e32 v7, v5
	v_pk_mul_f32 v[4:5], v[16:17], v[4:5] op_sel:[1,0] op_sel_hi:[0,0]
	v_pk_add_f32 v[2:3], v[2:3], v[6:7]
	v_pk_fma_f32 v[6:7], v[16:17], v[150:151], v[4:5] neg_lo:[0,0,1] neg_hi:[0,0,1]
	v_pk_fma_f32 v[4:5], v[16:17], v[150:151], v[4:5] op_sel_hi:[1,0,1]
	s_nop 0
	v_mov_b32_e32 v7, v5
	scratch_load_dwordx2 v[4:5], off, off offset:80
	v_pk_add_f32 v[2:3], v[2:3], v[6:7]
	s_waitcnt vmcnt(0)
	v_pk_add_f32 v[2:3], v[4:5], v[2:3] neg_lo:[0,1] neg_hi:[0,1]
	scratch_store_dwordx2 off, v[2:3], off offset:80
	s_and_saveexec_b64 s[0:1], vcc
	s_cbranch_execz .LBB116_313
; %bb.312:
	scratch_load_dwordx2 v[2:3], off, off offset:72
	v_mov_b32_e32 v4, 0
	v_mov_b32_e32 v5, v4
	scratch_store_dwordx2 off, v[4:5], off offset:72
	s_waitcnt vmcnt(1)
	ds_write_b64 v1, v[2:3]
.LBB116_313:
	s_or_b64 exec, exec, s[0:1]
	v_mov_b32_e32 v102, 0
	s_waitcnt lgkmcnt(0)
	; wave barrier
	ds_read_b128 v[14:17], v102 offset:512
	ds_read_b128 v[10:13], v102 offset:528
	;; [unrolled: 1-line block ×4, first 2 shown]
	scratch_load_dwordx4 v[18:21], off, off offset:80
	scratch_load_dwordx4 v[38:41], off, off offset:144
	;; [unrolled: 1-line block ×12, first 2 shown]
	v_cmp_lt_u32_e32 vcc, 8, v0
	scratch_load_dwordx4 v[46:49], off, off offset:160
	scratch_load_dwordx4 v[54:57], off, off offset:176
	;; [unrolled: 1-line block ×3, first 2 shown]
	ds_read_b128 v[144:147], v102 offset:784
	s_waitcnt vmcnt(14) lgkmcnt(4)
	v_mul_f32_e32 v22, v14, v19
	v_fmac_f32_e32 v22, v15, v18
	v_mul_f32_e32 v23, v16, v21
	v_add_f32_e32 v22, 0, v22
	v_fmac_f32_e32 v23, v17, v20
	v_add_f32_e32 v26, v22, v23
	scratch_load_dwordx4 v[22:25], off, off offset:96
	v_mul_f32_e32 v15, v15, v19
	v_fma_f32 v14, v14, v18, -v15
	v_mul_f32_e32 v15, v17, v21
	v_add_f32_e32 v14, 0, v14
	v_fma_f32 v15, v16, v20, -v15
	v_add_f32_e32 v14, v14, v15
	s_waitcnt vmcnt(4)
	v_mov_b32_e32 v18, v151
	s_waitcnt lgkmcnt(0)
	v_mul_f32_e32 v159, v144, v149
	v_pk_mul_f32 v[18:19], v[146:147], v[18:19] op_sel:[1,0] op_sel_hi:[0,0]
	v_fmac_f32_e32 v159, v145, v148
	v_pk_fma_f32 v[20:21], v[146:147], v[150:151], v[18:19] neg_lo:[0,0,1] neg_hi:[0,0,1]
	v_pk_fma_f32 v[18:19], v[146:147], v[150:151], v[18:19] op_sel_hi:[1,0,1]
	s_waitcnt vmcnt(0)
	v_mul_f32_e32 v27, v10, v23
	v_fmac_f32_e32 v27, v11, v22
	v_add_f32_e32 v26, v26, v27
	v_mul_f32_e32 v27, v12, v25
	v_fmac_f32_e32 v27, v13, v24
	v_add_f32_e32 v30, v26, v27
	scratch_load_dwordx4 v[26:29], off, off offset:112
	v_mul_f32_e32 v11, v11, v23
	v_fma_f32 v10, v10, v22, -v11
	v_mul_f32_e32 v11, v13, v25
	v_add_f32_e32 v10, v14, v10
	v_fma_f32 v11, v12, v24, -v11
	v_add_f32_e32 v10, v10, v11
	v_mov_b32_e32 v21, v19
	s_waitcnt vmcnt(0)
	v_mul_f32_e32 v31, v6, v27
	v_fmac_f32_e32 v31, v7, v26
	v_add_f32_e32 v30, v30, v31
	v_mul_f32_e32 v31, v8, v29
	v_fmac_f32_e32 v31, v9, v28
	v_add_f32_e32 v34, v30, v31
	scratch_load_dwordx4 v[30:33], off, off offset:128
	v_mul_f32_e32 v7, v7, v27
	v_fma_f32 v6, v6, v26, -v7
	v_mul_f32_e32 v7, v9, v29
	v_add_f32_e32 v6, v10, v6
	v_fma_f32 v7, v8, v28, -v7
	v_add_f32_e32 v6, v6, v7
	s_waitcnt vmcnt(0)
	v_mul_f32_e32 v35, v2, v31
	v_fmac_f32_e32 v35, v3, v30
	v_add_f32_e32 v34, v34, v35
	v_mul_f32_e32 v35, v4, v33
	v_fmac_f32_e32 v35, v5, v32
	v_add_f32_e32 v42, v34, v35
	ds_read_b128 v[34:37], v102 offset:576
	v_mul_f32_e32 v3, v3, v31
	v_fma_f32 v2, v2, v30, -v3
	v_mul_f32_e32 v3, v5, v33
	v_add_f32_e32 v2, v6, v2
	s_waitcnt lgkmcnt(0)
	v_mul_f32_e32 v43, v34, v39
	v_fmac_f32_e32 v43, v35, v38
	v_add_f32_e32 v42, v42, v43
	v_mul_f32_e32 v43, v36, v41
	v_fmac_f32_e32 v43, v37, v40
	v_add_f32_e32 v50, v42, v43
	ds_read_b128 v[42:45], v102 offset:592
	v_fma_f32 v3, v4, v32, -v3
	v_add_f32_e32 v2, v2, v3
	v_mul_f32_e32 v3, v35, v39
	v_fma_f32 v3, v34, v38, -v3
	s_waitcnt lgkmcnt(0)
	v_mul_f32_e32 v51, v42, v47
	v_fmac_f32_e32 v51, v43, v46
	v_add_f32_e32 v50, v50, v51
	v_mul_f32_e32 v51, v44, v49
	v_fmac_f32_e32 v51, v45, v48
	v_add_f32_e32 v58, v50, v51
	ds_read_b128 v[50:53], v102 offset:608
	v_add_f32_e32 v2, v2, v3
	v_mul_f32_e32 v3, v37, v41
	v_fma_f32 v3, v36, v40, -v3
	v_add_f32_e32 v2, v2, v3
	s_waitcnt lgkmcnt(0)
	v_mul_f32_e32 v59, v50, v55
	v_fmac_f32_e32 v59, v51, v54
	v_add_f32_e32 v58, v58, v59
	v_mul_f32_e32 v59, v52, v57
	v_fmac_f32_e32 v59, v53, v56
	v_add_f32_e32 v66, v58, v59
	ds_read_b128 v[58:61], v102 offset:624
	v_mul_f32_e32 v3, v43, v47
	v_fma_f32 v3, v42, v46, -v3
	v_add_f32_e32 v2, v2, v3
	v_mul_f32_e32 v3, v45, v49
	s_waitcnt lgkmcnt(0)
	v_mul_f32_e32 v67, v58, v63
	v_fmac_f32_e32 v67, v59, v62
	v_add_f32_e32 v66, v66, v67
	v_mul_f32_e32 v67, v60, v65
	v_fmac_f32_e32 v67, v61, v64
	v_add_f32_e32 v74, v66, v67
	ds_read_b128 v[66:69], v102 offset:640
	v_fma_f32 v3, v44, v48, -v3
	v_add_f32_e32 v2, v2, v3
	v_mul_f32_e32 v3, v51, v55
	v_fma_f32 v3, v50, v54, -v3
	s_waitcnt lgkmcnt(0)
	v_mul_f32_e32 v75, v66, v71
	v_fmac_f32_e32 v75, v67, v70
	v_add_f32_e32 v74, v74, v75
	v_mul_f32_e32 v75, v68, v73
	v_fmac_f32_e32 v75, v69, v72
	v_add_f32_e32 v82, v74, v75
	ds_read_b128 v[74:77], v102 offset:656
	v_add_f32_e32 v2, v2, v3
	v_mul_f32_e32 v3, v53, v57
	v_fma_f32 v3, v52, v56, -v3
	v_add_f32_e32 v2, v2, v3
	s_waitcnt lgkmcnt(0)
	v_mul_f32_e32 v83, v74, v79
	v_fmac_f32_e32 v83, v75, v78
	v_add_f32_e32 v82, v82, v83
	v_mul_f32_e32 v83, v76, v81
	v_fmac_f32_e32 v83, v77, v80
	v_add_f32_e32 v90, v82, v83
	ds_read_b128 v[82:85], v102 offset:672
	v_mul_f32_e32 v3, v59, v63
	v_fma_f32 v3, v58, v62, -v3
	v_add_f32_e32 v2, v2, v3
	v_mul_f32_e32 v3, v61, v65
	;; [unrolled: 36-line block ×3, first 2 shown]
	s_waitcnt lgkmcnt(0)
	v_mul_f32_e32 v116, v108, v113
	v_fmac_f32_e32 v116, v109, v112
	v_add_f32_e32 v103, v103, v116
	v_mul_f32_e32 v116, v110, v115
	v_fmac_f32_e32 v116, v111, v114
	v_add_f32_e32 v103, v103, v116
	ds_read_b128 v[116:119], v102 offset:736
	v_fma_f32 v3, v76, v80, -v3
	v_add_f32_e32 v2, v2, v3
	v_mul_f32_e32 v3, v83, v87
	v_fma_f32 v3, v82, v86, -v3
	s_waitcnt lgkmcnt(0)
	v_mul_f32_e32 v124, v116, v121
	v_fmac_f32_e32 v124, v117, v120
	v_add_f32_e32 v103, v103, v124
	v_mul_f32_e32 v124, v118, v123
	v_fmac_f32_e32 v124, v119, v122
	v_add_f32_e32 v103, v103, v124
	ds_read_b128 v[124:127], v102 offset:752
	v_add_f32_e32 v2, v2, v3
	v_mul_f32_e32 v3, v85, v89
	v_fma_f32 v3, v84, v88, -v3
	v_add_f32_e32 v2, v2, v3
	s_waitcnt lgkmcnt(0)
	v_mul_f32_e32 v132, v124, v129
	v_fmac_f32_e32 v132, v125, v128
	v_add_f32_e32 v103, v103, v132
	v_mul_f32_e32 v132, v126, v131
	v_fmac_f32_e32 v132, v127, v130
	v_add_f32_e32 v103, v103, v132
	ds_read_b128 v[132:135], v102 offset:768
	scratch_load_dwordx4 v[248:251], off, off offset:368
	scratch_load_dwordx4 v[252:255], off, off offset:384
	;; [unrolled: 1-line block ×3, first 2 shown]
	scratch_load_dwordx2 v[160:161], off, off offset:416
	v_mul_f32_e32 v3, v91, v95
	v_fma_f32 v3, v90, v94, -v3
	v_add_f32_e32 v2, v2, v3
	v_mul_f32_e32 v3, v93, v97
	v_fma_f32 v3, v92, v96, -v3
	v_add_f32_e32 v2, v2, v3
	;; [unrolled: 3-line block ×9, first 2 shown]
	v_mul_f32_e32 v3, v127, v131
	v_fma_f32 v3, v126, v130, -v3
	s_waitcnt lgkmcnt(0)
	v_mul_f32_e32 v140, v132, v137
	v_add_f32_e32 v2, v2, v3
	v_mul_f32_e32 v3, v133, v137
	v_fmac_f32_e32 v140, v133, v136
	v_fma_f32 v3, v132, v136, -v3
	v_add_f32_e32 v141, v103, v140
	v_add_f32_e32 v140, v2, v3
	v_mul_f32_e32 v2, v135, v139
	v_mul_f32_e32 v157, v134, v139
	v_fma_f32 v156, v134, v138, -v2
	v_mul_f32_e32 v2, v145, v149
	v_fmac_f32_e32 v157, v135, v138
	v_fma_f32 v158, v144, v148, -v2
	ds_read_b128 v[2:5], v102 offset:800
	ds_read_b128 v[6:9], v102 offset:816
	;; [unrolled: 1-line block ×3, first 2 shown]
	ds_read_b64 v[14:15], v102 offset:848
	v_pk_add_f32 v[16:17], v[140:141], v[156:157]
	s_waitcnt vmcnt(3) lgkmcnt(3)
	v_pk_mul_f32 v[18:19], v[2:3], v[248:249] op_sel:[1,1] op_sel_hi:[0,1]
	v_pk_add_f32 v[16:17], v[16:17], v[158:159]
	s_nop 0
	v_pk_add_f32 v[16:17], v[16:17], v[20:21]
	v_pk_fma_f32 v[20:21], v[2:3], v[248:249], v[18:19] neg_lo:[0,0,1] neg_hi:[0,0,1]
	v_pk_fma_f32 v[2:3], v[2:3], v[248:249], v[18:19] op_sel_hi:[1,0,1]
	s_nop 0
	v_mov_b32_e32 v21, v3
	v_pk_add_f32 v[2:3], v[16:17], v[20:21]
	v_mov_b32_e32 v16, v251
	v_pk_mul_f32 v[16:17], v[4:5], v[16:17] op_sel:[1,0] op_sel_hi:[0,0]
	v_pk_fma_f32 v[18:19], v[4:5], v[250:251], v[16:17] neg_lo:[0,0,1] neg_hi:[0,0,1]
	v_pk_fma_f32 v[4:5], v[4:5], v[250:251], v[16:17] op_sel_hi:[1,0,1]
	s_nop 0
	v_mov_b32_e32 v19, v5
	s_waitcnt vmcnt(2) lgkmcnt(2)
	v_pk_mul_f32 v[4:5], v[6:7], v[252:253] op_sel:[1,1] op_sel_hi:[0,1]
	v_pk_fma_f32 v[16:17], v[6:7], v[252:253], v[4:5] neg_lo:[0,0,1] neg_hi:[0,0,1]
	v_pk_fma_f32 v[4:5], v[6:7], v[252:253], v[4:5] op_sel_hi:[1,0,1]
	v_pk_add_f32 v[2:3], v[2:3], v[18:19]
	v_mov_b32_e32 v4, v255
	v_mov_b32_e32 v17, v5
	v_pk_mul_f32 v[4:5], v[8:9], v[4:5] op_sel:[1,0] op_sel_hi:[0,0]
	v_pk_fma_f32 v[6:7], v[8:9], v[254:255], v[4:5] neg_lo:[0,0,1] neg_hi:[0,0,1]
	v_pk_fma_f32 v[4:5], v[8:9], v[254:255], v[4:5] op_sel_hi:[1,0,1]
	v_pk_add_f32 v[2:3], v[2:3], v[16:17]
	v_mov_b32_e32 v7, v5
	s_waitcnt vmcnt(1) lgkmcnt(1)
	v_pk_mul_f32 v[4:5], v[10:11], v[152:153] op_sel:[1,1] op_sel_hi:[0,1]
	v_pk_add_f32 v[2:3], v[2:3], v[6:7]
	v_pk_fma_f32 v[6:7], v[10:11], v[152:153], v[4:5] neg_lo:[0,0,1] neg_hi:[0,0,1]
	v_pk_fma_f32 v[4:5], v[10:11], v[152:153], v[4:5] op_sel_hi:[1,0,1]
	s_nop 0
	v_mov_b32_e32 v4, v155
	v_mov_b32_e32 v7, v5
	v_pk_mul_f32 v[4:5], v[12:13], v[4:5] op_sel:[1,0] op_sel_hi:[0,0]
	v_pk_add_f32 v[2:3], v[2:3], v[6:7]
	v_pk_fma_f32 v[6:7], v[12:13], v[154:155], v[4:5] neg_lo:[0,0,1] neg_hi:[0,0,1]
	v_pk_fma_f32 v[4:5], v[12:13], v[154:155], v[4:5] op_sel_hi:[1,0,1]
	s_nop 0
	v_mov_b32_e32 v7, v5
	s_waitcnt vmcnt(0) lgkmcnt(0)
	v_pk_mul_f32 v[4:5], v[14:15], v[160:161] op_sel:[1,1] op_sel_hi:[0,1]
	v_pk_add_f32 v[2:3], v[2:3], v[6:7]
	v_pk_fma_f32 v[6:7], v[14:15], v[160:161], v[4:5] neg_lo:[0,0,1] neg_hi:[0,0,1]
	v_pk_fma_f32 v[4:5], v[14:15], v[160:161], v[4:5] op_sel_hi:[1,0,1]
	s_nop 0
	v_mov_b32_e32 v7, v5
	scratch_load_dwordx2 v[4:5], off, off offset:72
	v_pk_add_f32 v[2:3], v[2:3], v[6:7]
	s_waitcnt vmcnt(0)
	v_pk_add_f32 v[2:3], v[4:5], v[2:3] neg_lo:[0,1] neg_hi:[0,1]
	scratch_store_dwordx2 off, v[2:3], off offset:72
	s_and_saveexec_b64 s[0:1], vcc
	s_cbranch_execz .LBB116_315
; %bb.314:
	scratch_load_dwordx2 v[2:3], off, off offset:64
	v_mov_b32_e32 v103, v102
	scratch_store_dwordx2 off, v[102:103], off offset:64
	s_waitcnt vmcnt(1)
	ds_write_b64 v1, v[2:3]
.LBB116_315:
	s_or_b64 exec, exec, s[0:1]
	s_waitcnt lgkmcnt(0)
	; wave barrier
	scratch_load_dwordx4 v[6:9], off, off offset:72
	scratch_load_dwordx4 v[14:17], off, off offset:88
	;; [unrolled: 1-line block ×10, first 2 shown]
	ds_read2_b64 v[2:5], v102 offset0:63 offset1:64
	ds_read2_b64 v[144:147], v102 offset0:97 offset1:98
	scratch_load_dwordx4 v[86:89], off, off offset:232
	scratch_load_dwordx4 v[94:97], off, off offset:248
	;; [unrolled: 1-line block ×8, first 2 shown]
	v_cmp_lt_u32_e32 vcc, 7, v0
	s_waitcnt vmcnt(17) lgkmcnt(1)
	v_mul_f32_e32 v10, v2, v7
	v_fmac_f32_e32 v10, v3, v6
	v_mul_f32_e32 v11, v4, v9
	v_add_f32_e32 v10, 0, v10
	v_fmac_f32_e32 v11, v5, v8
	v_add_f32_e32 v18, v10, v11
	ds_read2_b64 v[10:13], v102 offset0:65 offset1:66
	v_mul_f32_e32 v3, v3, v7
	v_fma_f32 v2, v2, v6, -v3
	v_mul_f32_e32 v3, v5, v9
	v_add_f32_e32 v2, 0, v2
	s_waitcnt vmcnt(16) lgkmcnt(0)
	v_mul_f32_e32 v19, v10, v15
	v_fmac_f32_e32 v19, v11, v14
	v_add_f32_e32 v18, v18, v19
	v_mul_f32_e32 v19, v12, v17
	v_fmac_f32_e32 v19, v13, v16
	v_add_f32_e32 v26, v18, v19
	ds_read2_b64 v[18:21], v102 offset0:67 offset1:68
	v_fma_f32 v3, v4, v8, -v3
	v_add_f32_e32 v2, v2, v3
	v_mul_f32_e32 v3, v11, v15
	v_fma_f32 v3, v10, v14, -v3
	s_waitcnt vmcnt(15) lgkmcnt(0)
	v_mul_f32_e32 v27, v18, v23
	v_fmac_f32_e32 v27, v19, v22
	v_add_f32_e32 v26, v26, v27
	v_mul_f32_e32 v27, v20, v25
	v_fmac_f32_e32 v27, v21, v24
	v_add_f32_e32 v34, v26, v27
	ds_read2_b64 v[26:29], v102 offset0:69 offset1:70
	v_add_f32_e32 v2, v2, v3
	v_mul_f32_e32 v3, v13, v17
	v_fma_f32 v3, v12, v16, -v3
	v_add_f32_e32 v2, v2, v3
	s_waitcnt vmcnt(14) lgkmcnt(0)
	v_mul_f32_e32 v35, v26, v31
	v_fmac_f32_e32 v35, v27, v30
	v_add_f32_e32 v34, v34, v35
	v_mul_f32_e32 v35, v28, v33
	v_fmac_f32_e32 v35, v29, v32
	v_add_f32_e32 v42, v34, v35
	ds_read2_b64 v[34:37], v102 offset0:71 offset1:72
	v_mul_f32_e32 v3, v19, v23
	v_fma_f32 v3, v18, v22, -v3
	v_add_f32_e32 v2, v2, v3
	v_mul_f32_e32 v3, v21, v25
	s_waitcnt vmcnt(13) lgkmcnt(0)
	v_mul_f32_e32 v43, v34, v39
	v_fmac_f32_e32 v43, v35, v38
	v_add_f32_e32 v42, v42, v43
	v_mul_f32_e32 v43, v36, v41
	v_fmac_f32_e32 v43, v37, v40
	v_add_f32_e32 v50, v42, v43
	ds_read2_b64 v[42:45], v102 offset0:73 offset1:74
	v_fma_f32 v3, v20, v24, -v3
	v_add_f32_e32 v2, v2, v3
	v_mul_f32_e32 v3, v27, v31
	v_fma_f32 v3, v26, v30, -v3
	s_waitcnt vmcnt(12) lgkmcnt(0)
	v_mul_f32_e32 v51, v42, v47
	v_fmac_f32_e32 v51, v43, v46
	v_add_f32_e32 v50, v50, v51
	v_mul_f32_e32 v51, v44, v49
	v_fmac_f32_e32 v51, v45, v48
	v_add_f32_e32 v58, v50, v51
	ds_read2_b64 v[50:53], v102 offset0:75 offset1:76
	v_add_f32_e32 v2, v2, v3
	v_mul_f32_e32 v3, v29, v33
	v_fma_f32 v3, v28, v32, -v3
	v_add_f32_e32 v2, v2, v3
	s_waitcnt vmcnt(11) lgkmcnt(0)
	v_mul_f32_e32 v59, v50, v55
	v_fmac_f32_e32 v59, v51, v54
	v_add_f32_e32 v58, v58, v59
	v_mul_f32_e32 v59, v52, v57
	v_fmac_f32_e32 v59, v53, v56
	v_add_f32_e32 v66, v58, v59
	ds_read2_b64 v[58:61], v102 offset0:77 offset1:78
	v_mul_f32_e32 v3, v35, v39
	v_fma_f32 v3, v34, v38, -v3
	v_add_f32_e32 v2, v2, v3
	v_mul_f32_e32 v3, v37, v41
	;; [unrolled: 36-line block ×4, first 2 shown]
	s_waitcnt vmcnt(4) lgkmcnt(0)
	v_mul_f32_e32 v116, v108, v113
	v_fmac_f32_e32 v116, v109, v112
	v_add_f32_e32 v103, v103, v116
	v_mul_f32_e32 v116, v110, v115
	v_fmac_f32_e32 v116, v111, v114
	v_add_f32_e32 v103, v103, v116
	ds_read2_b64 v[116:119], v102 offset0:91 offset1:92
	v_fma_f32 v3, v68, v72, -v3
	v_add_f32_e32 v2, v2, v3
	v_mul_f32_e32 v3, v75, v79
	v_fma_f32 v3, v74, v78, -v3
	s_waitcnt vmcnt(3) lgkmcnt(0)
	v_mul_f32_e32 v124, v116, v121
	v_fmac_f32_e32 v124, v117, v120
	v_add_f32_e32 v103, v103, v124
	v_mul_f32_e32 v124, v118, v123
	v_fmac_f32_e32 v124, v119, v122
	v_add_f32_e32 v103, v103, v124
	ds_read2_b64 v[124:127], v102 offset0:93 offset1:94
	v_add_f32_e32 v2, v2, v3
	v_mul_f32_e32 v3, v77, v81
	v_fma_f32 v3, v76, v80, -v3
	v_add_f32_e32 v2, v2, v3
	s_waitcnt vmcnt(2) lgkmcnt(0)
	v_mul_f32_e32 v132, v124, v129
	v_fmac_f32_e32 v132, v125, v128
	v_add_f32_e32 v103, v103, v132
	v_mul_f32_e32 v132, v126, v131
	v_fmac_f32_e32 v132, v127, v130
	v_add_f32_e32 v103, v103, v132
	ds_read2_b64 v[132:135], v102 offset0:95 offset1:96
	scratch_load_dwordx4 v[152:155], off, off offset:360
	scratch_load_dwordx4 v[248:251], off, off offset:376
	scratch_load_dwordx4 v[252:255], off, off offset:392
	scratch_load_dwordx4 v[156:159], off, off offset:408
	v_mul_f32_e32 v3, v83, v87
	v_fma_f32 v3, v82, v86, -v3
	v_add_f32_e32 v2, v2, v3
	v_mul_f32_e32 v3, v85, v89
	v_fma_f32 v3, v84, v88, -v3
	v_add_f32_e32 v2, v2, v3
	;; [unrolled: 3-line block ×11, first 2 shown]
	v_mul_f32_e32 v3, v127, v131
	v_fma_f32 v3, v126, v130, -v3
	s_waitcnt vmcnt(5) lgkmcnt(0)
	v_mul_f32_e32 v140, v132, v137
	v_add_f32_e32 v2, v2, v3
	v_mul_f32_e32 v3, v133, v137
	v_fmac_f32_e32 v140, v133, v136
	v_fma_f32 v3, v132, v136, -v3
	v_add_f32_e32 v103, v103, v140
	v_mul_f32_e32 v140, v134, v139
	v_add_f32_e32 v2, v2, v3
	v_mul_f32_e32 v3, v135, v139
	v_fmac_f32_e32 v140, v135, v138
	v_fma_f32 v3, v134, v138, -v3
	v_add_f32_e32 v141, v103, v140
	v_add_f32_e32 v140, v2, v3
	s_waitcnt vmcnt(4)
	v_mul_f32_e32 v2, v145, v149
	v_fma_f32 v160, v144, v148, -v2
	v_mul_f32_e32 v2, v147, v151
	v_fma_f32 v162, v146, v150, -v2
	ds_read2_b64 v[2:5], v102 offset0:99 offset1:100
	ds_read2_b64 v[6:9], v102 offset0:101 offset1:102
	;; [unrolled: 1-line block ×4, first 2 shown]
	v_mul_f32_e32 v161, v144, v149
	v_fmac_f32_e32 v161, v145, v148
	v_mul_f32_e32 v163, v146, v151
	v_fmac_f32_e32 v163, v147, v150
	v_pk_add_f32 v[18:19], v[140:141], v[160:161]
	s_waitcnt vmcnt(3) lgkmcnt(3)
	v_pk_mul_f32 v[20:21], v[2:3], v[152:153] op_sel:[1,1] op_sel_hi:[0,1]
	v_pk_fma_f32 v[22:23], v[2:3], v[152:153], v[20:21] neg_lo:[0,0,1] neg_hi:[0,0,1]
	v_pk_fma_f32 v[2:3], v[2:3], v[152:153], v[20:21] op_sel_hi:[1,0,1]
	v_pk_add_f32 v[18:19], v[18:19], v[162:163]
	v_mov_b32_e32 v23, v3
	v_pk_add_f32 v[2:3], v[18:19], v[22:23]
	v_mov_b32_e32 v18, v155
	v_pk_mul_f32 v[18:19], v[4:5], v[18:19] op_sel:[1,0] op_sel_hi:[0,0]
	v_pk_fma_f32 v[20:21], v[4:5], v[154:155], v[18:19] neg_lo:[0,0,1] neg_hi:[0,0,1]
	v_pk_fma_f32 v[4:5], v[4:5], v[154:155], v[18:19] op_sel_hi:[1,0,1]
	s_nop 0
	v_mov_b32_e32 v21, v5
	s_waitcnt vmcnt(2) lgkmcnt(2)
	v_pk_mul_f32 v[4:5], v[6:7], v[248:249] op_sel:[1,1] op_sel_hi:[0,1]
	v_pk_fma_f32 v[18:19], v[6:7], v[248:249], v[4:5] neg_lo:[0,0,1] neg_hi:[0,0,1]
	v_pk_fma_f32 v[4:5], v[6:7], v[248:249], v[4:5] op_sel_hi:[1,0,1]
	v_pk_add_f32 v[2:3], v[2:3], v[20:21]
	v_mov_b32_e32 v4, v251
	v_mov_b32_e32 v19, v5
	v_pk_mul_f32 v[4:5], v[8:9], v[4:5] op_sel:[1,0] op_sel_hi:[0,0]
	v_pk_fma_f32 v[6:7], v[8:9], v[250:251], v[4:5] neg_lo:[0,0,1] neg_hi:[0,0,1]
	v_pk_fma_f32 v[4:5], v[8:9], v[250:251], v[4:5] op_sel_hi:[1,0,1]
	v_pk_add_f32 v[2:3], v[2:3], v[18:19]
	v_mov_b32_e32 v7, v5
	s_waitcnt vmcnt(1) lgkmcnt(1)
	v_pk_mul_f32 v[4:5], v[10:11], v[252:253] op_sel:[1,1] op_sel_hi:[0,1]
	v_pk_add_f32 v[2:3], v[2:3], v[6:7]
	v_pk_fma_f32 v[6:7], v[10:11], v[252:253], v[4:5] neg_lo:[0,0,1] neg_hi:[0,0,1]
	v_pk_fma_f32 v[4:5], v[10:11], v[252:253], v[4:5] op_sel_hi:[1,0,1]
	s_nop 0
	v_mov_b32_e32 v4, v255
	v_mov_b32_e32 v7, v5
	v_pk_mul_f32 v[4:5], v[12:13], v[4:5] op_sel:[1,0] op_sel_hi:[0,0]
	v_pk_add_f32 v[2:3], v[2:3], v[6:7]
	v_pk_fma_f32 v[6:7], v[12:13], v[254:255], v[4:5] neg_lo:[0,0,1] neg_hi:[0,0,1]
	v_pk_fma_f32 v[4:5], v[12:13], v[254:255], v[4:5] op_sel_hi:[1,0,1]
	s_nop 0
	v_mov_b32_e32 v7, v5
	s_waitcnt vmcnt(0) lgkmcnt(0)
	v_pk_mul_f32 v[4:5], v[14:15], v[156:157] op_sel:[1,1] op_sel_hi:[0,1]
	v_pk_add_f32 v[2:3], v[2:3], v[6:7]
	v_pk_fma_f32 v[6:7], v[14:15], v[156:157], v[4:5] neg_lo:[0,0,1] neg_hi:[0,0,1]
	v_pk_fma_f32 v[4:5], v[14:15], v[156:157], v[4:5] op_sel_hi:[1,0,1]
	s_nop 0
	v_mov_b32_e32 v4, v159
	v_mov_b32_e32 v7, v5
	v_pk_mul_f32 v[4:5], v[16:17], v[4:5] op_sel:[1,0] op_sel_hi:[0,0]
	v_pk_add_f32 v[2:3], v[2:3], v[6:7]
	v_pk_fma_f32 v[6:7], v[16:17], v[158:159], v[4:5] neg_lo:[0,0,1] neg_hi:[0,0,1]
	v_pk_fma_f32 v[4:5], v[16:17], v[158:159], v[4:5] op_sel_hi:[1,0,1]
	s_nop 0
	v_mov_b32_e32 v7, v5
	scratch_load_dwordx2 v[4:5], off, off offset:64
	v_pk_add_f32 v[2:3], v[2:3], v[6:7]
	s_waitcnt vmcnt(0)
	v_pk_add_f32 v[2:3], v[4:5], v[2:3] neg_lo:[0,1] neg_hi:[0,1]
	scratch_store_dwordx2 off, v[2:3], off offset:64
	s_and_saveexec_b64 s[0:1], vcc
	s_cbranch_execz .LBB116_317
; %bb.316:
	scratch_load_dwordx2 v[2:3], off, off offset:56
	v_mov_b32_e32 v4, 0
	v_mov_b32_e32 v5, v4
	scratch_store_dwordx2 off, v[4:5], off offset:56
	s_waitcnt vmcnt(1)
	ds_write_b64 v1, v[2:3]
.LBB116_317:
	s_or_b64 exec, exec, s[0:1]
	v_mov_b32_e32 v110, 0
	s_waitcnt lgkmcnt(0)
	; wave barrier
	ds_read_b128 v[14:17], v110 offset:496
	ds_read_b128 v[10:13], v110 offset:512
	;; [unrolled: 1-line block ×4, first 2 shown]
	scratch_load_dwordx4 v[18:21], off, off offset:64
	scratch_load_dwordx4 v[38:41], off, off offset:128
	;; [unrolled: 1-line block ×13, first 2 shown]
	v_cmp_lt_u32_e32 vcc, 6, v0
	scratch_load_dwordx4 v[46:49], off, off offset:144
	scratch_load_dwordx4 v[54:57], off, off offset:160
	;; [unrolled: 1-line block ×3, first 2 shown]
	ds_read_b128 v[144:147], v110 offset:768
	ds_read_b128 v[152:155], v110 offset:784
	s_waitcnt vmcnt(15) lgkmcnt(5)
	v_mul_f32_e32 v22, v14, v19
	v_fmac_f32_e32 v22, v15, v18
	v_mul_f32_e32 v23, v16, v21
	v_add_f32_e32 v22, 0, v22
	v_fmac_f32_e32 v23, v17, v20
	v_add_f32_e32 v26, v22, v23
	scratch_load_dwordx4 v[22:25], off, off offset:80
	v_mul_f32_e32 v15, v15, v19
	v_fma_f32 v14, v14, v18, -v15
	v_mul_f32_e32 v15, v17, v21
	v_add_f32_e32 v14, 0, v14
	v_fma_f32 v15, v16, v20, -v15
	v_add_f32_e32 v14, v14, v15
	s_waitcnt vmcnt(5) lgkmcnt(1)
	v_mul_f32_e32 v165, v146, v151
	s_waitcnt vmcnt(4)
	v_mov_b32_e32 v18, v159
	v_fmac_f32_e32 v165, v147, v150
	s_waitcnt lgkmcnt(0)
	v_mul_f32_e32 v167, v152, v157
	v_pk_mul_f32 v[18:19], v[154:155], v[18:19] op_sel:[1,0] op_sel_hi:[0,0]
	v_fmac_f32_e32 v167, v153, v156
	v_pk_fma_f32 v[20:21], v[154:155], v[158:159], v[18:19] neg_lo:[0,0,1] neg_hi:[0,0,1]
	v_pk_fma_f32 v[18:19], v[154:155], v[158:159], v[18:19] op_sel_hi:[1,0,1]
	s_waitcnt vmcnt(0)
	v_mul_f32_e32 v27, v10, v23
	v_fmac_f32_e32 v27, v11, v22
	v_add_f32_e32 v26, v26, v27
	v_mul_f32_e32 v27, v12, v25
	v_fmac_f32_e32 v27, v13, v24
	v_add_f32_e32 v30, v26, v27
	scratch_load_dwordx4 v[26:29], off, off offset:96
	v_mul_f32_e32 v11, v11, v23
	v_fma_f32 v10, v10, v22, -v11
	v_mul_f32_e32 v11, v13, v25
	v_add_f32_e32 v10, v14, v10
	v_fma_f32 v11, v12, v24, -v11
	v_add_f32_e32 v10, v10, v11
	v_mov_b32_e32 v21, v19
	s_waitcnt vmcnt(0)
	v_mul_f32_e32 v31, v6, v27
	v_fmac_f32_e32 v31, v7, v26
	v_add_f32_e32 v30, v30, v31
	v_mul_f32_e32 v31, v8, v29
	v_fmac_f32_e32 v31, v9, v28
	v_add_f32_e32 v34, v30, v31
	scratch_load_dwordx4 v[30:33], off, off offset:112
	v_mul_f32_e32 v7, v7, v27
	v_fma_f32 v6, v6, v26, -v7
	v_mul_f32_e32 v7, v9, v29
	v_add_f32_e32 v6, v10, v6
	v_fma_f32 v7, v8, v28, -v7
	v_add_f32_e32 v6, v6, v7
	s_waitcnt vmcnt(0)
	v_mul_f32_e32 v35, v2, v31
	v_fmac_f32_e32 v35, v3, v30
	v_add_f32_e32 v34, v34, v35
	v_mul_f32_e32 v35, v4, v33
	v_fmac_f32_e32 v35, v5, v32
	v_add_f32_e32 v42, v34, v35
	ds_read_b128 v[34:37], v110 offset:560
	v_mul_f32_e32 v3, v3, v31
	v_fma_f32 v2, v2, v30, -v3
	v_mul_f32_e32 v3, v5, v33
	v_add_f32_e32 v2, v6, v2
	s_waitcnt lgkmcnt(0)
	v_mul_f32_e32 v43, v34, v39
	v_fmac_f32_e32 v43, v35, v38
	v_add_f32_e32 v42, v42, v43
	v_mul_f32_e32 v43, v36, v41
	v_fmac_f32_e32 v43, v37, v40
	v_add_f32_e32 v50, v42, v43
	ds_read_b128 v[42:45], v110 offset:576
	v_fma_f32 v3, v4, v32, -v3
	v_add_f32_e32 v2, v2, v3
	v_mul_f32_e32 v3, v35, v39
	v_fma_f32 v3, v34, v38, -v3
	s_waitcnt lgkmcnt(0)
	v_mul_f32_e32 v51, v42, v47
	v_fmac_f32_e32 v51, v43, v46
	v_add_f32_e32 v50, v50, v51
	v_mul_f32_e32 v51, v44, v49
	v_fmac_f32_e32 v51, v45, v48
	v_add_f32_e32 v58, v50, v51
	ds_read_b128 v[50:53], v110 offset:592
	v_add_f32_e32 v2, v2, v3
	v_mul_f32_e32 v3, v37, v41
	v_fma_f32 v3, v36, v40, -v3
	v_add_f32_e32 v2, v2, v3
	s_waitcnt lgkmcnt(0)
	v_mul_f32_e32 v59, v50, v55
	v_fmac_f32_e32 v59, v51, v54
	v_add_f32_e32 v58, v58, v59
	v_mul_f32_e32 v59, v52, v57
	v_fmac_f32_e32 v59, v53, v56
	v_add_f32_e32 v66, v58, v59
	ds_read_b128 v[58:61], v110 offset:608
	v_mul_f32_e32 v3, v43, v47
	v_fma_f32 v3, v42, v46, -v3
	v_add_f32_e32 v2, v2, v3
	v_mul_f32_e32 v3, v45, v49
	s_waitcnt lgkmcnt(0)
	v_mul_f32_e32 v67, v58, v63
	v_fmac_f32_e32 v67, v59, v62
	v_add_f32_e32 v66, v66, v67
	v_mul_f32_e32 v67, v60, v65
	v_fmac_f32_e32 v67, v61, v64
	v_add_f32_e32 v74, v66, v67
	ds_read_b128 v[66:69], v110 offset:624
	v_fma_f32 v3, v44, v48, -v3
	v_add_f32_e32 v2, v2, v3
	v_mul_f32_e32 v3, v51, v55
	v_fma_f32 v3, v50, v54, -v3
	s_waitcnt lgkmcnt(0)
	v_mul_f32_e32 v75, v66, v71
	v_fmac_f32_e32 v75, v67, v70
	v_add_f32_e32 v74, v74, v75
	v_mul_f32_e32 v75, v68, v73
	v_fmac_f32_e32 v75, v69, v72
	v_add_f32_e32 v82, v74, v75
	ds_read_b128 v[74:77], v110 offset:640
	v_add_f32_e32 v2, v2, v3
	v_mul_f32_e32 v3, v53, v57
	v_fma_f32 v3, v52, v56, -v3
	v_add_f32_e32 v2, v2, v3
	s_waitcnt lgkmcnt(0)
	v_mul_f32_e32 v83, v74, v79
	v_fmac_f32_e32 v83, v75, v78
	v_add_f32_e32 v82, v82, v83
	v_mul_f32_e32 v83, v76, v81
	v_fmac_f32_e32 v83, v77, v80
	v_add_f32_e32 v90, v82, v83
	ds_read_b128 v[82:85], v110 offset:656
	v_mul_f32_e32 v3, v59, v63
	v_fma_f32 v3, v58, v62, -v3
	v_add_f32_e32 v2, v2, v3
	v_mul_f32_e32 v3, v61, v65
	;; [unrolled: 36-line block ×3, first 2 shown]
	s_waitcnt lgkmcnt(0)
	v_mul_f32_e32 v116, v106, v113
	v_fmac_f32_e32 v116, v107, v112
	v_add_f32_e32 v111, v111, v116
	v_mul_f32_e32 v116, v108, v115
	v_fmac_f32_e32 v116, v109, v114
	v_add_f32_e32 v111, v111, v116
	ds_read_b128 v[116:119], v110 offset:720
	v_fma_f32 v3, v76, v80, -v3
	v_add_f32_e32 v2, v2, v3
	v_mul_f32_e32 v3, v83, v87
	v_fma_f32 v3, v82, v86, -v3
	s_waitcnt lgkmcnt(0)
	v_mul_f32_e32 v124, v116, v121
	v_fmac_f32_e32 v124, v117, v120
	v_add_f32_e32 v111, v111, v124
	v_mul_f32_e32 v124, v118, v123
	v_fmac_f32_e32 v124, v119, v122
	v_add_f32_e32 v111, v111, v124
	ds_read_b128 v[124:127], v110 offset:736
	v_add_f32_e32 v2, v2, v3
	v_mul_f32_e32 v3, v85, v89
	v_fma_f32 v3, v84, v88, -v3
	v_add_f32_e32 v2, v2, v3
	s_waitcnt lgkmcnt(0)
	v_mul_f32_e32 v132, v124, v129
	v_fmac_f32_e32 v132, v125, v128
	v_add_f32_e32 v111, v111, v132
	v_mul_f32_e32 v132, v126, v131
	v_fmac_f32_e32 v132, v127, v130
	v_add_f32_e32 v111, v111, v132
	ds_read_b128 v[132:135], v110 offset:752
	scratch_load_dwordx4 v[248:251], off, off offset:368
	scratch_load_dwordx4 v[252:255], off, off offset:384
	;; [unrolled: 1-line block ×3, first 2 shown]
	scratch_load_dwordx2 v[168:169], off, off offset:416
	v_mul_f32_e32 v3, v91, v95
	v_fma_f32 v3, v90, v94, -v3
	v_add_f32_e32 v2, v2, v3
	v_mul_f32_e32 v3, v93, v97
	v_fma_f32 v3, v92, v96, -v3
	v_add_f32_e32 v2, v2, v3
	;; [unrolled: 3-line block ×9, first 2 shown]
	v_mul_f32_e32 v3, v127, v131
	v_fma_f32 v3, v126, v130, -v3
	s_waitcnt lgkmcnt(0)
	v_mul_f32_e32 v140, v132, v137
	v_add_f32_e32 v2, v2, v3
	v_mul_f32_e32 v3, v133, v137
	v_fmac_f32_e32 v140, v133, v136
	v_fma_f32 v3, v132, v136, -v3
	v_add_f32_e32 v111, v111, v140
	v_mul_f32_e32 v140, v134, v139
	v_add_f32_e32 v2, v2, v3
	v_mul_f32_e32 v3, v135, v139
	v_fmac_f32_e32 v140, v135, v138
	v_fma_f32 v3, v134, v138, -v3
	v_add_f32_e32 v111, v111, v140
	;; [unrolled: 6-line block ×3, first 2 shown]
	v_add_f32_e32 v140, v2, v3
	v_mul_f32_e32 v2, v147, v151
	v_fma_f32 v164, v146, v150, -v2
	v_mul_f32_e32 v2, v153, v157
	v_fma_f32 v166, v152, v156, -v2
	ds_read_b128 v[2:5], v110 offset:800
	ds_read_b128 v[6:9], v110 offset:816
	;; [unrolled: 1-line block ×3, first 2 shown]
	ds_read_b64 v[14:15], v110 offset:848
	v_pk_add_f32 v[16:17], v[140:141], v[164:165]
	s_waitcnt vmcnt(3) lgkmcnt(3)
	v_pk_mul_f32 v[18:19], v[2:3], v[248:249] op_sel:[1,1] op_sel_hi:[0,1]
	v_pk_add_f32 v[16:17], v[16:17], v[166:167]
	s_nop 0
	v_pk_add_f32 v[16:17], v[16:17], v[20:21]
	v_pk_fma_f32 v[20:21], v[2:3], v[248:249], v[18:19] neg_lo:[0,0,1] neg_hi:[0,0,1]
	v_pk_fma_f32 v[2:3], v[2:3], v[248:249], v[18:19] op_sel_hi:[1,0,1]
	s_nop 0
	v_mov_b32_e32 v21, v3
	v_pk_add_f32 v[2:3], v[16:17], v[20:21]
	v_mov_b32_e32 v16, v251
	v_pk_mul_f32 v[16:17], v[4:5], v[16:17] op_sel:[1,0] op_sel_hi:[0,0]
	v_pk_fma_f32 v[18:19], v[4:5], v[250:251], v[16:17] neg_lo:[0,0,1] neg_hi:[0,0,1]
	v_pk_fma_f32 v[4:5], v[4:5], v[250:251], v[16:17] op_sel_hi:[1,0,1]
	s_nop 0
	v_mov_b32_e32 v19, v5
	s_waitcnt vmcnt(2) lgkmcnt(2)
	v_pk_mul_f32 v[4:5], v[6:7], v[252:253] op_sel:[1,1] op_sel_hi:[0,1]
	v_pk_fma_f32 v[16:17], v[6:7], v[252:253], v[4:5] neg_lo:[0,0,1] neg_hi:[0,0,1]
	v_pk_fma_f32 v[4:5], v[6:7], v[252:253], v[4:5] op_sel_hi:[1,0,1]
	v_pk_add_f32 v[2:3], v[2:3], v[18:19]
	v_mov_b32_e32 v4, v255
	v_mov_b32_e32 v17, v5
	v_pk_mul_f32 v[4:5], v[8:9], v[4:5] op_sel:[1,0] op_sel_hi:[0,0]
	v_pk_fma_f32 v[6:7], v[8:9], v[254:255], v[4:5] neg_lo:[0,0,1] neg_hi:[0,0,1]
	v_pk_fma_f32 v[4:5], v[8:9], v[254:255], v[4:5] op_sel_hi:[1,0,1]
	v_pk_add_f32 v[2:3], v[2:3], v[16:17]
	v_mov_b32_e32 v7, v5
	s_waitcnt vmcnt(1) lgkmcnt(1)
	v_pk_mul_f32 v[4:5], v[10:11], v[160:161] op_sel:[1,1] op_sel_hi:[0,1]
	v_pk_add_f32 v[2:3], v[2:3], v[6:7]
	v_pk_fma_f32 v[6:7], v[10:11], v[160:161], v[4:5] neg_lo:[0,0,1] neg_hi:[0,0,1]
	v_pk_fma_f32 v[4:5], v[10:11], v[160:161], v[4:5] op_sel_hi:[1,0,1]
	s_nop 0
	v_mov_b32_e32 v4, v163
	v_mov_b32_e32 v7, v5
	v_pk_mul_f32 v[4:5], v[12:13], v[4:5] op_sel:[1,0] op_sel_hi:[0,0]
	v_pk_add_f32 v[2:3], v[2:3], v[6:7]
	v_pk_fma_f32 v[6:7], v[12:13], v[162:163], v[4:5] neg_lo:[0,0,1] neg_hi:[0,0,1]
	v_pk_fma_f32 v[4:5], v[12:13], v[162:163], v[4:5] op_sel_hi:[1,0,1]
	s_nop 0
	v_mov_b32_e32 v7, v5
	s_waitcnt vmcnt(0) lgkmcnt(0)
	v_pk_mul_f32 v[4:5], v[14:15], v[168:169] op_sel:[1,1] op_sel_hi:[0,1]
	v_pk_add_f32 v[2:3], v[2:3], v[6:7]
	v_pk_fma_f32 v[6:7], v[14:15], v[168:169], v[4:5] neg_lo:[0,0,1] neg_hi:[0,0,1]
	v_pk_fma_f32 v[4:5], v[14:15], v[168:169], v[4:5] op_sel_hi:[1,0,1]
	s_nop 0
	v_mov_b32_e32 v7, v5
	scratch_load_dwordx2 v[4:5], off, off offset:56
	v_pk_add_f32 v[2:3], v[2:3], v[6:7]
	s_waitcnt vmcnt(0)
	v_pk_add_f32 v[2:3], v[4:5], v[2:3] neg_lo:[0,1] neg_hi:[0,1]
	scratch_store_dwordx2 off, v[2:3], off offset:56
	s_and_saveexec_b64 s[0:1], vcc
	s_cbranch_execz .LBB116_319
; %bb.318:
	scratch_load_dwordx2 v[2:3], off, off offset:48
	v_mov_b32_e32 v111, v110
	scratch_store_dwordx2 off, v[110:111], off offset:48
	s_waitcnt vmcnt(1)
	ds_write_b64 v1, v[2:3]
.LBB116_319:
	s_or_b64 exec, exec, s[0:1]
	s_waitcnt lgkmcnt(0)
	; wave barrier
	scratch_load_dwordx4 v[6:9], off, off offset:56
	scratch_load_dwordx4 v[14:17], off, off offset:72
	;; [unrolled: 1-line block ×10, first 2 shown]
	ds_read2_b64 v[2:5], v110 offset0:61 offset1:62
	ds_read2_b64 v[144:147], v110 offset0:95 offset1:96
	scratch_load_dwordx4 v[86:89], off, off offset:216
	scratch_load_dwordx4 v[94:97], off, off offset:232
	;; [unrolled: 1-line block ×9, first 2 shown]
	v_cmp_lt_u32_e32 vcc, 5, v0
	ds_read2_b64 v[152:155], v110 offset0:97 offset1:98
	s_waitcnt vmcnt(18) lgkmcnt(2)
	v_mul_f32_e32 v10, v2, v7
	v_fmac_f32_e32 v10, v3, v6
	v_mul_f32_e32 v11, v4, v9
	v_add_f32_e32 v10, 0, v10
	v_fmac_f32_e32 v11, v5, v8
	v_add_f32_e32 v18, v10, v11
	ds_read2_b64 v[10:13], v110 offset0:63 offset1:64
	v_mul_f32_e32 v3, v3, v7
	v_fma_f32 v2, v2, v6, -v3
	v_mul_f32_e32 v3, v5, v9
	v_add_f32_e32 v2, 0, v2
	s_waitcnt vmcnt(17) lgkmcnt(0)
	v_mul_f32_e32 v19, v10, v15
	v_fmac_f32_e32 v19, v11, v14
	v_add_f32_e32 v18, v18, v19
	v_mul_f32_e32 v19, v12, v17
	v_fmac_f32_e32 v19, v13, v16
	v_add_f32_e32 v26, v18, v19
	ds_read2_b64 v[18:21], v110 offset0:65 offset1:66
	v_fma_f32 v3, v4, v8, -v3
	v_add_f32_e32 v2, v2, v3
	v_mul_f32_e32 v3, v11, v15
	v_fma_f32 v3, v10, v14, -v3
	s_waitcnt vmcnt(16) lgkmcnt(0)
	v_mul_f32_e32 v27, v18, v23
	v_fmac_f32_e32 v27, v19, v22
	v_add_f32_e32 v26, v26, v27
	v_mul_f32_e32 v27, v20, v25
	v_fmac_f32_e32 v27, v21, v24
	v_add_f32_e32 v34, v26, v27
	ds_read2_b64 v[26:29], v110 offset0:67 offset1:68
	v_add_f32_e32 v2, v2, v3
	v_mul_f32_e32 v3, v13, v17
	v_fma_f32 v3, v12, v16, -v3
	v_add_f32_e32 v2, v2, v3
	s_waitcnt vmcnt(15) lgkmcnt(0)
	v_mul_f32_e32 v35, v26, v31
	v_fmac_f32_e32 v35, v27, v30
	v_add_f32_e32 v34, v34, v35
	v_mul_f32_e32 v35, v28, v33
	v_fmac_f32_e32 v35, v29, v32
	v_add_f32_e32 v42, v34, v35
	ds_read2_b64 v[34:37], v110 offset0:69 offset1:70
	v_mul_f32_e32 v3, v19, v23
	v_fma_f32 v3, v18, v22, -v3
	v_add_f32_e32 v2, v2, v3
	v_mul_f32_e32 v3, v21, v25
	s_waitcnt vmcnt(14) lgkmcnt(0)
	v_mul_f32_e32 v43, v34, v39
	v_fmac_f32_e32 v43, v35, v38
	v_add_f32_e32 v42, v42, v43
	v_mul_f32_e32 v43, v36, v41
	v_fmac_f32_e32 v43, v37, v40
	v_add_f32_e32 v50, v42, v43
	ds_read2_b64 v[42:45], v110 offset0:71 offset1:72
	v_fma_f32 v3, v20, v24, -v3
	v_add_f32_e32 v2, v2, v3
	v_mul_f32_e32 v3, v27, v31
	v_fma_f32 v3, v26, v30, -v3
	s_waitcnt vmcnt(13) lgkmcnt(0)
	v_mul_f32_e32 v51, v42, v47
	v_fmac_f32_e32 v51, v43, v46
	v_add_f32_e32 v50, v50, v51
	v_mul_f32_e32 v51, v44, v49
	v_fmac_f32_e32 v51, v45, v48
	v_add_f32_e32 v58, v50, v51
	ds_read2_b64 v[50:53], v110 offset0:73 offset1:74
	v_add_f32_e32 v2, v2, v3
	v_mul_f32_e32 v3, v29, v33
	v_fma_f32 v3, v28, v32, -v3
	v_add_f32_e32 v2, v2, v3
	s_waitcnt vmcnt(12) lgkmcnt(0)
	v_mul_f32_e32 v59, v50, v55
	v_fmac_f32_e32 v59, v51, v54
	v_add_f32_e32 v58, v58, v59
	v_mul_f32_e32 v59, v52, v57
	v_fmac_f32_e32 v59, v53, v56
	v_add_f32_e32 v66, v58, v59
	ds_read2_b64 v[58:61], v110 offset0:75 offset1:76
	v_mul_f32_e32 v3, v35, v39
	v_fma_f32 v3, v34, v38, -v3
	v_add_f32_e32 v2, v2, v3
	v_mul_f32_e32 v3, v37, v41
	;; [unrolled: 36-line block ×4, first 2 shown]
	s_waitcnt vmcnt(5) lgkmcnt(0)
	v_mul_f32_e32 v116, v106, v113
	v_fmac_f32_e32 v116, v107, v112
	v_add_f32_e32 v111, v111, v116
	v_mul_f32_e32 v116, v108, v115
	v_fmac_f32_e32 v116, v109, v114
	v_add_f32_e32 v111, v111, v116
	ds_read2_b64 v[116:119], v110 offset0:89 offset1:90
	v_fma_f32 v3, v68, v72, -v3
	v_add_f32_e32 v2, v2, v3
	v_mul_f32_e32 v3, v75, v79
	v_fma_f32 v3, v74, v78, -v3
	s_waitcnt vmcnt(4) lgkmcnt(0)
	v_mul_f32_e32 v124, v116, v121
	v_fmac_f32_e32 v124, v117, v120
	v_add_f32_e32 v111, v111, v124
	v_mul_f32_e32 v124, v118, v123
	v_fmac_f32_e32 v124, v119, v122
	v_add_f32_e32 v111, v111, v124
	ds_read2_b64 v[124:127], v110 offset0:91 offset1:92
	v_add_f32_e32 v2, v2, v3
	v_mul_f32_e32 v3, v77, v81
	v_fma_f32 v3, v76, v80, -v3
	v_add_f32_e32 v2, v2, v3
	s_waitcnt vmcnt(3) lgkmcnt(0)
	v_mul_f32_e32 v132, v124, v129
	v_fmac_f32_e32 v132, v125, v128
	v_add_f32_e32 v111, v111, v132
	v_mul_f32_e32 v132, v126, v131
	v_fmac_f32_e32 v132, v127, v130
	v_add_f32_e32 v111, v111, v132
	ds_read2_b64 v[132:135], v110 offset0:93 offset1:94
	scratch_load_dwordx4 v[160:163], off, off offset:360
	scratch_load_dwordx4 v[248:251], off, off offset:376
	;; [unrolled: 1-line block ×4, first 2 shown]
	v_mul_f32_e32 v3, v83, v87
	v_fma_f32 v3, v82, v86, -v3
	v_add_f32_e32 v2, v2, v3
	v_mul_f32_e32 v3, v85, v89
	v_fma_f32 v3, v84, v88, -v3
	v_add_f32_e32 v2, v2, v3
	v_mul_f32_e32 v3, v91, v95
	v_fma_f32 v3, v90, v94, -v3
	v_add_f32_e32 v2, v2, v3
	v_mul_f32_e32 v3, v93, v97
	v_fma_f32 v3, v92, v96, -v3
	v_add_f32_e32 v2, v2, v3
	v_mul_f32_e32 v3, v99, v103
	v_fma_f32 v3, v98, v102, -v3
	v_add_f32_e32 v2, v2, v3
	v_mul_f32_e32 v3, v101, v105
	v_fma_f32 v3, v100, v104, -v3
	v_add_f32_e32 v2, v2, v3
	v_mul_f32_e32 v3, v107, v113
	v_fma_f32 v3, v106, v112, -v3
	v_add_f32_e32 v2, v2, v3
	v_mul_f32_e32 v3, v109, v115
	v_fma_f32 v3, v108, v114, -v3
	v_add_f32_e32 v2, v2, v3
	v_mul_f32_e32 v3, v117, v121
	v_fma_f32 v3, v116, v120, -v3
	v_add_f32_e32 v2, v2, v3
	v_mul_f32_e32 v3, v119, v123
	v_fma_f32 v3, v118, v122, -v3
	v_add_f32_e32 v2, v2, v3
	v_mul_f32_e32 v3, v125, v129
	v_fma_f32 v3, v124, v128, -v3
	v_add_f32_e32 v2, v2, v3
	v_mul_f32_e32 v3, v127, v131
	v_fma_f32 v3, v126, v130, -v3
	s_waitcnt vmcnt(6) lgkmcnt(0)
	v_mul_f32_e32 v140, v132, v137
	v_add_f32_e32 v2, v2, v3
	v_mul_f32_e32 v3, v133, v137
	v_fmac_f32_e32 v140, v133, v136
	v_fma_f32 v3, v132, v136, -v3
	v_add_f32_e32 v111, v111, v140
	v_mul_f32_e32 v140, v134, v139
	v_add_f32_e32 v2, v2, v3
	v_mul_f32_e32 v3, v135, v139
	v_fmac_f32_e32 v140, v135, v138
	v_fma_f32 v3, v134, v138, -v3
	v_add_f32_e32 v111, v111, v140
	s_waitcnt vmcnt(5)
	v_mul_f32_e32 v140, v144, v149
	v_add_f32_e32 v2, v2, v3
	v_mul_f32_e32 v3, v145, v149
	v_fmac_f32_e32 v140, v145, v148
	v_fma_f32 v3, v144, v148, -v3
	v_add_f32_e32 v111, v111, v140
	v_mul_f32_e32 v140, v146, v151
	v_add_f32_e32 v2, v2, v3
	v_mul_f32_e32 v3, v147, v151
	v_fmac_f32_e32 v140, v147, v150
	v_fma_f32 v3, v146, v150, -v3
	v_add_f32_e32 v141, v111, v140
	v_add_f32_e32 v140, v2, v3
	s_waitcnt vmcnt(4)
	v_mul_f32_e32 v2, v153, v157
	v_fma_f32 v168, v152, v156, -v2
	v_mul_f32_e32 v2, v155, v159
	v_fma_f32 v170, v154, v158, -v2
	ds_read2_b64 v[2:5], v110 offset0:99 offset1:100
	ds_read2_b64 v[6:9], v110 offset0:101 offset1:102
	;; [unrolled: 1-line block ×4, first 2 shown]
	v_mul_f32_e32 v169, v152, v157
	v_fmac_f32_e32 v169, v153, v156
	v_mul_f32_e32 v171, v154, v159
	v_fmac_f32_e32 v171, v155, v158
	v_pk_add_f32 v[18:19], v[140:141], v[168:169]
	s_waitcnt vmcnt(3) lgkmcnt(3)
	v_pk_mul_f32 v[20:21], v[2:3], v[160:161] op_sel:[1,1] op_sel_hi:[0,1]
	v_pk_fma_f32 v[22:23], v[2:3], v[160:161], v[20:21] neg_lo:[0,0,1] neg_hi:[0,0,1]
	v_pk_fma_f32 v[2:3], v[2:3], v[160:161], v[20:21] op_sel_hi:[1,0,1]
	v_pk_add_f32 v[18:19], v[18:19], v[170:171]
	v_mov_b32_e32 v23, v3
	v_pk_add_f32 v[2:3], v[18:19], v[22:23]
	v_mov_b32_e32 v18, v163
	v_pk_mul_f32 v[18:19], v[4:5], v[18:19] op_sel:[1,0] op_sel_hi:[0,0]
	v_pk_fma_f32 v[20:21], v[4:5], v[162:163], v[18:19] neg_lo:[0,0,1] neg_hi:[0,0,1]
	v_pk_fma_f32 v[4:5], v[4:5], v[162:163], v[18:19] op_sel_hi:[1,0,1]
	s_nop 0
	v_mov_b32_e32 v21, v5
	s_waitcnt vmcnt(2) lgkmcnt(2)
	v_pk_mul_f32 v[4:5], v[6:7], v[248:249] op_sel:[1,1] op_sel_hi:[0,1]
	v_pk_fma_f32 v[18:19], v[6:7], v[248:249], v[4:5] neg_lo:[0,0,1] neg_hi:[0,0,1]
	v_pk_fma_f32 v[4:5], v[6:7], v[248:249], v[4:5] op_sel_hi:[1,0,1]
	v_pk_add_f32 v[2:3], v[2:3], v[20:21]
	v_mov_b32_e32 v4, v251
	v_mov_b32_e32 v19, v5
	v_pk_mul_f32 v[4:5], v[8:9], v[4:5] op_sel:[1,0] op_sel_hi:[0,0]
	v_pk_fma_f32 v[6:7], v[8:9], v[250:251], v[4:5] neg_lo:[0,0,1] neg_hi:[0,0,1]
	v_pk_fma_f32 v[4:5], v[8:9], v[250:251], v[4:5] op_sel_hi:[1,0,1]
	v_pk_add_f32 v[2:3], v[2:3], v[18:19]
	v_mov_b32_e32 v7, v5
	s_waitcnt vmcnt(1) lgkmcnt(1)
	v_pk_mul_f32 v[4:5], v[10:11], v[252:253] op_sel:[1,1] op_sel_hi:[0,1]
	v_pk_add_f32 v[2:3], v[2:3], v[6:7]
	v_pk_fma_f32 v[6:7], v[10:11], v[252:253], v[4:5] neg_lo:[0,0,1] neg_hi:[0,0,1]
	v_pk_fma_f32 v[4:5], v[10:11], v[252:253], v[4:5] op_sel_hi:[1,0,1]
	s_nop 0
	v_mov_b32_e32 v4, v255
	v_mov_b32_e32 v7, v5
	v_pk_mul_f32 v[4:5], v[12:13], v[4:5] op_sel:[1,0] op_sel_hi:[0,0]
	v_pk_add_f32 v[2:3], v[2:3], v[6:7]
	v_pk_fma_f32 v[6:7], v[12:13], v[254:255], v[4:5] neg_lo:[0,0,1] neg_hi:[0,0,1]
	v_pk_fma_f32 v[4:5], v[12:13], v[254:255], v[4:5] op_sel_hi:[1,0,1]
	s_nop 0
	v_mov_b32_e32 v7, v5
	s_waitcnt vmcnt(0) lgkmcnt(0)
	v_pk_mul_f32 v[4:5], v[14:15], v[164:165] op_sel:[1,1] op_sel_hi:[0,1]
	v_pk_add_f32 v[2:3], v[2:3], v[6:7]
	v_pk_fma_f32 v[6:7], v[14:15], v[164:165], v[4:5] neg_lo:[0,0,1] neg_hi:[0,0,1]
	v_pk_fma_f32 v[4:5], v[14:15], v[164:165], v[4:5] op_sel_hi:[1,0,1]
	s_nop 0
	v_mov_b32_e32 v4, v167
	v_mov_b32_e32 v7, v5
	v_pk_mul_f32 v[4:5], v[16:17], v[4:5] op_sel:[1,0] op_sel_hi:[0,0]
	v_pk_add_f32 v[2:3], v[2:3], v[6:7]
	v_pk_fma_f32 v[6:7], v[16:17], v[166:167], v[4:5] neg_lo:[0,0,1] neg_hi:[0,0,1]
	v_pk_fma_f32 v[4:5], v[16:17], v[166:167], v[4:5] op_sel_hi:[1,0,1]
	s_nop 0
	v_mov_b32_e32 v7, v5
	scratch_load_dwordx2 v[4:5], off, off offset:48
	v_pk_add_f32 v[2:3], v[2:3], v[6:7]
	s_waitcnt vmcnt(0)
	v_pk_add_f32 v[2:3], v[4:5], v[2:3] neg_lo:[0,1] neg_hi:[0,1]
	scratch_store_dwordx2 off, v[2:3], off offset:48
	s_and_saveexec_b64 s[0:1], vcc
	s_cbranch_execz .LBB116_321
; %bb.320:
	scratch_load_dwordx2 v[2:3], off, off offset:40
	v_mov_b32_e32 v4, 0
	v_mov_b32_e32 v5, v4
	scratch_store_dwordx2 off, v[4:5], off offset:40
	s_waitcnt vmcnt(1)
	ds_write_b64 v1, v[2:3]
.LBB116_321:
	s_or_b64 exec, exec, s[0:1]
	v_mov_b32_e32 v118, 0
	s_waitcnt lgkmcnt(0)
	; wave barrier
	ds_read_b128 v[14:17], v118 offset:480
	ds_read_b128 v[10:13], v118 offset:496
	;; [unrolled: 1-line block ×4, first 2 shown]
	scratch_load_dwordx4 v[18:21], off, off offset:48
	scratch_load_dwordx4 v[38:41], off, off offset:112
	;; [unrolled: 1-line block ×14, first 2 shown]
	v_cmp_lt_u32_e32 vcc, 4, v0
	scratch_load_dwordx4 v[46:49], off, off offset:128
	scratch_load_dwordx4 v[54:57], off, off offset:144
	;; [unrolled: 1-line block ×3, first 2 shown]
	ds_read_b128 v[144:147], v118 offset:752
	ds_read_b128 v[152:155], v118 offset:768
	;; [unrolled: 1-line block ×3, first 2 shown]
	s_waitcnt vmcnt(16) lgkmcnt(6)
	v_mul_f32_e32 v22, v14, v19
	v_fmac_f32_e32 v22, v15, v18
	v_mul_f32_e32 v23, v16, v21
	v_add_f32_e32 v22, 0, v22
	v_fmac_f32_e32 v23, v17, v20
	v_add_f32_e32 v26, v22, v23
	scratch_load_dwordx4 v[22:25], off, off offset:64
	v_mul_f32_e32 v15, v15, v19
	v_fma_f32 v14, v14, v18, -v15
	v_mul_f32_e32 v15, v17, v21
	v_add_f32_e32 v14, 0, v14
	v_fma_f32 v15, v16, v20, -v15
	v_add_f32_e32 v14, v14, v15
	s_waitcnt vmcnt(5) lgkmcnt(1)
	v_mul_f32_e32 v173, v154, v159
	s_waitcnt vmcnt(4)
	v_mov_b32_e32 v18, v167
	v_fmac_f32_e32 v173, v155, v158
	s_waitcnt lgkmcnt(0)
	v_mul_f32_e32 v175, v160, v165
	v_pk_mul_f32 v[18:19], v[162:163], v[18:19] op_sel:[1,0] op_sel_hi:[0,0]
	v_fmac_f32_e32 v175, v161, v164
	v_pk_fma_f32 v[20:21], v[162:163], v[166:167], v[18:19] neg_lo:[0,0,1] neg_hi:[0,0,1]
	v_pk_fma_f32 v[18:19], v[162:163], v[166:167], v[18:19] op_sel_hi:[1,0,1]
	s_waitcnt vmcnt(0)
	v_mul_f32_e32 v27, v10, v23
	v_fmac_f32_e32 v27, v11, v22
	v_add_f32_e32 v26, v26, v27
	v_mul_f32_e32 v27, v12, v25
	v_fmac_f32_e32 v27, v13, v24
	v_add_f32_e32 v30, v26, v27
	scratch_load_dwordx4 v[26:29], off, off offset:80
	v_mul_f32_e32 v11, v11, v23
	v_fma_f32 v10, v10, v22, -v11
	v_mul_f32_e32 v11, v13, v25
	v_add_f32_e32 v10, v14, v10
	v_fma_f32 v11, v12, v24, -v11
	v_add_f32_e32 v10, v10, v11
	v_mov_b32_e32 v21, v19
	s_waitcnt vmcnt(0)
	v_mul_f32_e32 v31, v6, v27
	v_fmac_f32_e32 v31, v7, v26
	v_add_f32_e32 v30, v30, v31
	v_mul_f32_e32 v31, v8, v29
	v_fmac_f32_e32 v31, v9, v28
	v_add_f32_e32 v34, v30, v31
	scratch_load_dwordx4 v[30:33], off, off offset:96
	v_mul_f32_e32 v7, v7, v27
	v_fma_f32 v6, v6, v26, -v7
	v_mul_f32_e32 v7, v9, v29
	v_add_f32_e32 v6, v10, v6
	v_fma_f32 v7, v8, v28, -v7
	v_add_f32_e32 v6, v6, v7
	s_waitcnt vmcnt(0)
	v_mul_f32_e32 v35, v2, v31
	v_fmac_f32_e32 v35, v3, v30
	v_add_f32_e32 v34, v34, v35
	v_mul_f32_e32 v35, v4, v33
	v_fmac_f32_e32 v35, v5, v32
	v_add_f32_e32 v42, v34, v35
	ds_read_b128 v[34:37], v118 offset:544
	v_mul_f32_e32 v3, v3, v31
	v_fma_f32 v2, v2, v30, -v3
	v_mul_f32_e32 v3, v5, v33
	v_add_f32_e32 v2, v6, v2
	s_waitcnt lgkmcnt(0)
	v_mul_f32_e32 v43, v34, v39
	v_fmac_f32_e32 v43, v35, v38
	v_add_f32_e32 v42, v42, v43
	v_mul_f32_e32 v43, v36, v41
	v_fmac_f32_e32 v43, v37, v40
	v_add_f32_e32 v50, v42, v43
	ds_read_b128 v[42:45], v118 offset:560
	v_fma_f32 v3, v4, v32, -v3
	v_add_f32_e32 v2, v2, v3
	v_mul_f32_e32 v3, v35, v39
	v_fma_f32 v3, v34, v38, -v3
	s_waitcnt lgkmcnt(0)
	v_mul_f32_e32 v51, v42, v47
	v_fmac_f32_e32 v51, v43, v46
	v_add_f32_e32 v50, v50, v51
	v_mul_f32_e32 v51, v44, v49
	v_fmac_f32_e32 v51, v45, v48
	v_add_f32_e32 v58, v50, v51
	ds_read_b128 v[50:53], v118 offset:576
	v_add_f32_e32 v2, v2, v3
	v_mul_f32_e32 v3, v37, v41
	v_fma_f32 v3, v36, v40, -v3
	v_add_f32_e32 v2, v2, v3
	s_waitcnt lgkmcnt(0)
	v_mul_f32_e32 v59, v50, v55
	v_fmac_f32_e32 v59, v51, v54
	v_add_f32_e32 v58, v58, v59
	v_mul_f32_e32 v59, v52, v57
	v_fmac_f32_e32 v59, v53, v56
	v_add_f32_e32 v66, v58, v59
	ds_read_b128 v[58:61], v118 offset:592
	v_mul_f32_e32 v3, v43, v47
	v_fma_f32 v3, v42, v46, -v3
	v_add_f32_e32 v2, v2, v3
	v_mul_f32_e32 v3, v45, v49
	s_waitcnt lgkmcnt(0)
	v_mul_f32_e32 v67, v58, v63
	v_fmac_f32_e32 v67, v59, v62
	v_add_f32_e32 v66, v66, v67
	v_mul_f32_e32 v67, v60, v65
	v_fmac_f32_e32 v67, v61, v64
	v_add_f32_e32 v74, v66, v67
	ds_read_b128 v[66:69], v118 offset:608
	v_fma_f32 v3, v44, v48, -v3
	v_add_f32_e32 v2, v2, v3
	v_mul_f32_e32 v3, v51, v55
	v_fma_f32 v3, v50, v54, -v3
	s_waitcnt lgkmcnt(0)
	v_mul_f32_e32 v75, v66, v71
	v_fmac_f32_e32 v75, v67, v70
	v_add_f32_e32 v74, v74, v75
	v_mul_f32_e32 v75, v68, v73
	v_fmac_f32_e32 v75, v69, v72
	v_add_f32_e32 v82, v74, v75
	ds_read_b128 v[74:77], v118 offset:624
	v_add_f32_e32 v2, v2, v3
	v_mul_f32_e32 v3, v53, v57
	v_fma_f32 v3, v52, v56, -v3
	v_add_f32_e32 v2, v2, v3
	s_waitcnt lgkmcnt(0)
	v_mul_f32_e32 v83, v74, v79
	v_fmac_f32_e32 v83, v75, v78
	v_add_f32_e32 v82, v82, v83
	v_mul_f32_e32 v83, v76, v81
	v_fmac_f32_e32 v83, v77, v80
	v_add_f32_e32 v90, v82, v83
	ds_read_b128 v[82:85], v118 offset:640
	v_mul_f32_e32 v3, v59, v63
	v_fma_f32 v3, v58, v62, -v3
	v_add_f32_e32 v2, v2, v3
	v_mul_f32_e32 v3, v61, v65
	;; [unrolled: 36-line block ×3, first 2 shown]
	s_waitcnt lgkmcnt(0)
	v_mul_f32_e32 v115, v106, v111
	v_fmac_f32_e32 v115, v107, v110
	v_add_f32_e32 v114, v114, v115
	v_mul_f32_e32 v115, v108, v113
	v_fmac_f32_e32 v115, v109, v112
	v_add_f32_e32 v119, v114, v115
	ds_read_b128 v[114:117], v118 offset:704
	v_fma_f32 v3, v76, v80, -v3
	v_add_f32_e32 v2, v2, v3
	v_mul_f32_e32 v3, v83, v87
	v_fma_f32 v3, v82, v86, -v3
	s_waitcnt lgkmcnt(0)
	v_mul_f32_e32 v124, v114, v121
	v_fmac_f32_e32 v124, v115, v120
	v_add_f32_e32 v119, v119, v124
	v_mul_f32_e32 v124, v116, v123
	v_fmac_f32_e32 v124, v117, v122
	v_add_f32_e32 v119, v119, v124
	ds_read_b128 v[124:127], v118 offset:720
	v_add_f32_e32 v2, v2, v3
	v_mul_f32_e32 v3, v85, v89
	v_fma_f32 v3, v84, v88, -v3
	v_add_f32_e32 v2, v2, v3
	s_waitcnt lgkmcnt(0)
	v_mul_f32_e32 v132, v124, v129
	v_fmac_f32_e32 v132, v125, v128
	v_add_f32_e32 v119, v119, v132
	v_mul_f32_e32 v132, v126, v131
	v_fmac_f32_e32 v132, v127, v130
	v_add_f32_e32 v119, v119, v132
	ds_read_b128 v[132:135], v118 offset:736
	scratch_load_dwordx4 v[248:251], off, off offset:368
	scratch_load_dwordx4 v[252:255], off, off offset:384
	;; [unrolled: 1-line block ×3, first 2 shown]
	scratch_load_dwordx2 v[176:177], off, off offset:416
	v_mul_f32_e32 v3, v91, v95
	v_fma_f32 v3, v90, v94, -v3
	v_add_f32_e32 v2, v2, v3
	v_mul_f32_e32 v3, v93, v97
	v_fma_f32 v3, v92, v96, -v3
	v_add_f32_e32 v2, v2, v3
	;; [unrolled: 3-line block ×9, first 2 shown]
	v_mul_f32_e32 v3, v127, v131
	v_fma_f32 v3, v126, v130, -v3
	s_waitcnt lgkmcnt(0)
	v_mul_f32_e32 v140, v132, v137
	v_add_f32_e32 v2, v2, v3
	v_mul_f32_e32 v3, v133, v137
	v_fmac_f32_e32 v140, v133, v136
	v_fma_f32 v3, v132, v136, -v3
	v_add_f32_e32 v119, v119, v140
	v_mul_f32_e32 v140, v134, v139
	v_add_f32_e32 v2, v2, v3
	v_mul_f32_e32 v3, v135, v139
	v_fmac_f32_e32 v140, v135, v138
	v_fma_f32 v3, v134, v138, -v3
	v_add_f32_e32 v119, v119, v140
	;; [unrolled: 6-line block ×5, first 2 shown]
	v_add_f32_e32 v140, v2, v3
	v_mul_f32_e32 v2, v155, v159
	v_fma_f32 v172, v154, v158, -v2
	v_mul_f32_e32 v2, v161, v165
	v_fma_f32 v174, v160, v164, -v2
	ds_read_b128 v[2:5], v118 offset:800
	ds_read_b128 v[6:9], v118 offset:816
	;; [unrolled: 1-line block ×3, first 2 shown]
	ds_read_b64 v[14:15], v118 offset:848
	v_pk_add_f32 v[16:17], v[140:141], v[172:173]
	s_waitcnt vmcnt(3) lgkmcnt(3)
	v_pk_mul_f32 v[18:19], v[2:3], v[248:249] op_sel:[1,1] op_sel_hi:[0,1]
	v_pk_add_f32 v[16:17], v[16:17], v[174:175]
	s_nop 0
	v_pk_add_f32 v[16:17], v[16:17], v[20:21]
	v_pk_fma_f32 v[20:21], v[2:3], v[248:249], v[18:19] neg_lo:[0,0,1] neg_hi:[0,0,1]
	v_pk_fma_f32 v[2:3], v[2:3], v[248:249], v[18:19] op_sel_hi:[1,0,1]
	s_nop 0
	v_mov_b32_e32 v21, v3
	v_pk_add_f32 v[2:3], v[16:17], v[20:21]
	v_mov_b32_e32 v16, v251
	v_pk_mul_f32 v[16:17], v[4:5], v[16:17] op_sel:[1,0] op_sel_hi:[0,0]
	v_pk_fma_f32 v[18:19], v[4:5], v[250:251], v[16:17] neg_lo:[0,0,1] neg_hi:[0,0,1]
	v_pk_fma_f32 v[4:5], v[4:5], v[250:251], v[16:17] op_sel_hi:[1,0,1]
	s_nop 0
	v_mov_b32_e32 v19, v5
	s_waitcnt vmcnt(2) lgkmcnt(2)
	v_pk_mul_f32 v[4:5], v[6:7], v[252:253] op_sel:[1,1] op_sel_hi:[0,1]
	v_pk_fma_f32 v[16:17], v[6:7], v[252:253], v[4:5] neg_lo:[0,0,1] neg_hi:[0,0,1]
	v_pk_fma_f32 v[4:5], v[6:7], v[252:253], v[4:5] op_sel_hi:[1,0,1]
	v_pk_add_f32 v[2:3], v[2:3], v[18:19]
	v_mov_b32_e32 v4, v255
	v_mov_b32_e32 v17, v5
	v_pk_mul_f32 v[4:5], v[8:9], v[4:5] op_sel:[1,0] op_sel_hi:[0,0]
	v_pk_fma_f32 v[6:7], v[8:9], v[254:255], v[4:5] neg_lo:[0,0,1] neg_hi:[0,0,1]
	v_pk_fma_f32 v[4:5], v[8:9], v[254:255], v[4:5] op_sel_hi:[1,0,1]
	v_pk_add_f32 v[2:3], v[2:3], v[16:17]
	v_mov_b32_e32 v7, v5
	s_waitcnt vmcnt(1) lgkmcnt(1)
	v_pk_mul_f32 v[4:5], v[10:11], v[168:169] op_sel:[1,1] op_sel_hi:[0,1]
	v_pk_add_f32 v[2:3], v[2:3], v[6:7]
	v_pk_fma_f32 v[6:7], v[10:11], v[168:169], v[4:5] neg_lo:[0,0,1] neg_hi:[0,0,1]
	v_pk_fma_f32 v[4:5], v[10:11], v[168:169], v[4:5] op_sel_hi:[1,0,1]
	s_nop 0
	v_mov_b32_e32 v4, v171
	v_mov_b32_e32 v7, v5
	v_pk_mul_f32 v[4:5], v[12:13], v[4:5] op_sel:[1,0] op_sel_hi:[0,0]
	v_pk_add_f32 v[2:3], v[2:3], v[6:7]
	v_pk_fma_f32 v[6:7], v[12:13], v[170:171], v[4:5] neg_lo:[0,0,1] neg_hi:[0,0,1]
	v_pk_fma_f32 v[4:5], v[12:13], v[170:171], v[4:5] op_sel_hi:[1,0,1]
	s_nop 0
	v_mov_b32_e32 v7, v5
	s_waitcnt vmcnt(0) lgkmcnt(0)
	v_pk_mul_f32 v[4:5], v[14:15], v[176:177] op_sel:[1,1] op_sel_hi:[0,1]
	v_pk_add_f32 v[2:3], v[2:3], v[6:7]
	v_pk_fma_f32 v[6:7], v[14:15], v[176:177], v[4:5] neg_lo:[0,0,1] neg_hi:[0,0,1]
	v_pk_fma_f32 v[4:5], v[14:15], v[176:177], v[4:5] op_sel_hi:[1,0,1]
	s_nop 0
	v_mov_b32_e32 v7, v5
	scratch_load_dwordx2 v[4:5], off, off offset:40
	v_pk_add_f32 v[2:3], v[2:3], v[6:7]
	s_waitcnt vmcnt(0)
	v_pk_add_f32 v[2:3], v[4:5], v[2:3] neg_lo:[0,1] neg_hi:[0,1]
	scratch_store_dwordx2 off, v[2:3], off offset:40
	s_and_saveexec_b64 s[0:1], vcc
	s_cbranch_execz .LBB116_323
; %bb.322:
	scratch_load_dwordx2 v[2:3], off, off offset:32
	v_mov_b32_e32 v119, v118
	scratch_store_dwordx2 off, v[118:119], off offset:32
	s_waitcnt vmcnt(1)
	ds_write_b64 v1, v[2:3]
.LBB116_323:
	s_or_b64 exec, exec, s[0:1]
	s_waitcnt lgkmcnt(0)
	; wave barrier
	scratch_load_dwordx4 v[6:9], off, off offset:40
	scratch_load_dwordx4 v[14:17], off, off offset:56
	;; [unrolled: 1-line block ×10, first 2 shown]
	ds_read2_b64 v[2:5], v118 offset0:59 offset1:60
	ds_read2_b64 v[144:147], v118 offset0:93 offset1:94
	scratch_load_dwordx4 v[86:89], off, off offset:200
	scratch_load_dwordx4 v[94:97], off, off offset:216
	;; [unrolled: 1-line block ×10, first 2 shown]
	v_cmp_lt_u32_e32 vcc, 3, v0
	ds_read2_b64 v[152:155], v118 offset0:95 offset1:96
	ds_read2_b64 v[160:163], v118 offset0:97 offset1:98
	s_waitcnt vmcnt(19) lgkmcnt(3)
	v_mul_f32_e32 v10, v2, v7
	v_fmac_f32_e32 v10, v3, v6
	v_mul_f32_e32 v11, v4, v9
	v_add_f32_e32 v10, 0, v10
	v_fmac_f32_e32 v11, v5, v8
	v_add_f32_e32 v18, v10, v11
	ds_read2_b64 v[10:13], v118 offset0:61 offset1:62
	v_mul_f32_e32 v3, v3, v7
	v_fma_f32 v2, v2, v6, -v3
	v_mul_f32_e32 v3, v5, v9
	v_add_f32_e32 v2, 0, v2
	s_waitcnt vmcnt(18) lgkmcnt(0)
	v_mul_f32_e32 v19, v10, v15
	v_fmac_f32_e32 v19, v11, v14
	v_add_f32_e32 v18, v18, v19
	v_mul_f32_e32 v19, v12, v17
	v_fmac_f32_e32 v19, v13, v16
	v_add_f32_e32 v26, v18, v19
	ds_read2_b64 v[18:21], v118 offset0:63 offset1:64
	v_fma_f32 v3, v4, v8, -v3
	v_add_f32_e32 v2, v2, v3
	v_mul_f32_e32 v3, v11, v15
	v_fma_f32 v3, v10, v14, -v3
	s_waitcnt vmcnt(17) lgkmcnt(0)
	v_mul_f32_e32 v27, v18, v23
	v_fmac_f32_e32 v27, v19, v22
	v_add_f32_e32 v26, v26, v27
	v_mul_f32_e32 v27, v20, v25
	v_fmac_f32_e32 v27, v21, v24
	v_add_f32_e32 v34, v26, v27
	ds_read2_b64 v[26:29], v118 offset0:65 offset1:66
	v_add_f32_e32 v2, v2, v3
	v_mul_f32_e32 v3, v13, v17
	v_fma_f32 v3, v12, v16, -v3
	v_add_f32_e32 v2, v2, v3
	s_waitcnt vmcnt(16) lgkmcnt(0)
	v_mul_f32_e32 v35, v26, v31
	v_fmac_f32_e32 v35, v27, v30
	v_add_f32_e32 v34, v34, v35
	v_mul_f32_e32 v35, v28, v33
	v_fmac_f32_e32 v35, v29, v32
	v_add_f32_e32 v42, v34, v35
	ds_read2_b64 v[34:37], v118 offset0:67 offset1:68
	v_mul_f32_e32 v3, v19, v23
	v_fma_f32 v3, v18, v22, -v3
	v_add_f32_e32 v2, v2, v3
	v_mul_f32_e32 v3, v21, v25
	s_waitcnt vmcnt(15) lgkmcnt(0)
	v_mul_f32_e32 v43, v34, v39
	v_fmac_f32_e32 v43, v35, v38
	v_add_f32_e32 v42, v42, v43
	v_mul_f32_e32 v43, v36, v41
	v_fmac_f32_e32 v43, v37, v40
	v_add_f32_e32 v50, v42, v43
	ds_read2_b64 v[42:45], v118 offset0:69 offset1:70
	v_fma_f32 v3, v20, v24, -v3
	v_add_f32_e32 v2, v2, v3
	v_mul_f32_e32 v3, v27, v31
	v_fma_f32 v3, v26, v30, -v3
	s_waitcnt vmcnt(14) lgkmcnt(0)
	v_mul_f32_e32 v51, v42, v47
	v_fmac_f32_e32 v51, v43, v46
	v_add_f32_e32 v50, v50, v51
	v_mul_f32_e32 v51, v44, v49
	v_fmac_f32_e32 v51, v45, v48
	v_add_f32_e32 v58, v50, v51
	ds_read2_b64 v[50:53], v118 offset0:71 offset1:72
	v_add_f32_e32 v2, v2, v3
	v_mul_f32_e32 v3, v29, v33
	v_fma_f32 v3, v28, v32, -v3
	v_add_f32_e32 v2, v2, v3
	s_waitcnt vmcnt(13) lgkmcnt(0)
	v_mul_f32_e32 v59, v50, v55
	v_fmac_f32_e32 v59, v51, v54
	v_add_f32_e32 v58, v58, v59
	v_mul_f32_e32 v59, v52, v57
	v_fmac_f32_e32 v59, v53, v56
	v_add_f32_e32 v66, v58, v59
	ds_read2_b64 v[58:61], v118 offset0:73 offset1:74
	v_mul_f32_e32 v3, v35, v39
	v_fma_f32 v3, v34, v38, -v3
	v_add_f32_e32 v2, v2, v3
	v_mul_f32_e32 v3, v37, v41
	;; [unrolled: 36-line block ×4, first 2 shown]
	s_waitcnt vmcnt(6) lgkmcnt(0)
	v_mul_f32_e32 v115, v106, v111
	v_fmac_f32_e32 v115, v107, v110
	v_add_f32_e32 v114, v114, v115
	v_mul_f32_e32 v115, v108, v113
	v_fmac_f32_e32 v115, v109, v112
	v_add_f32_e32 v119, v114, v115
	ds_read2_b64 v[114:117], v118 offset0:87 offset1:88
	v_fma_f32 v3, v68, v72, -v3
	v_add_f32_e32 v2, v2, v3
	v_mul_f32_e32 v3, v75, v79
	v_fma_f32 v3, v74, v78, -v3
	s_waitcnt vmcnt(5) lgkmcnt(0)
	v_mul_f32_e32 v124, v114, v121
	v_fmac_f32_e32 v124, v115, v120
	v_add_f32_e32 v119, v119, v124
	v_mul_f32_e32 v124, v116, v123
	v_fmac_f32_e32 v124, v117, v122
	v_add_f32_e32 v119, v119, v124
	ds_read2_b64 v[124:127], v118 offset0:89 offset1:90
	v_add_f32_e32 v2, v2, v3
	v_mul_f32_e32 v3, v77, v81
	v_fma_f32 v3, v76, v80, -v3
	v_add_f32_e32 v2, v2, v3
	s_waitcnt vmcnt(4) lgkmcnt(0)
	v_mul_f32_e32 v132, v124, v129
	v_fmac_f32_e32 v132, v125, v128
	v_add_f32_e32 v119, v119, v132
	v_mul_f32_e32 v132, v126, v131
	v_fmac_f32_e32 v132, v127, v130
	v_add_f32_e32 v119, v119, v132
	ds_read2_b64 v[132:135], v118 offset0:91 offset1:92
	scratch_load_dwordx4 v[168:171], off, off offset:360
	scratch_load_dwordx4 v[248:251], off, off offset:376
	;; [unrolled: 1-line block ×4, first 2 shown]
	v_mul_f32_e32 v3, v83, v87
	v_fma_f32 v3, v82, v86, -v3
	v_add_f32_e32 v2, v2, v3
	v_mul_f32_e32 v3, v85, v89
	v_fma_f32 v3, v84, v88, -v3
	v_add_f32_e32 v2, v2, v3
	;; [unrolled: 3-line block ×11, first 2 shown]
	v_mul_f32_e32 v3, v127, v131
	v_fma_f32 v3, v126, v130, -v3
	s_waitcnt vmcnt(7) lgkmcnt(0)
	v_mul_f32_e32 v140, v132, v137
	v_add_f32_e32 v2, v2, v3
	v_mul_f32_e32 v3, v133, v137
	v_fmac_f32_e32 v140, v133, v136
	v_fma_f32 v3, v132, v136, -v3
	v_add_f32_e32 v119, v119, v140
	v_mul_f32_e32 v140, v134, v139
	v_add_f32_e32 v2, v2, v3
	v_mul_f32_e32 v3, v135, v139
	v_fmac_f32_e32 v140, v135, v138
	v_fma_f32 v3, v134, v138, -v3
	v_add_f32_e32 v119, v119, v140
	s_waitcnt vmcnt(6)
	v_mul_f32_e32 v140, v144, v149
	v_add_f32_e32 v2, v2, v3
	v_mul_f32_e32 v3, v145, v149
	v_fmac_f32_e32 v140, v145, v148
	v_fma_f32 v3, v144, v148, -v3
	v_add_f32_e32 v119, v119, v140
	v_mul_f32_e32 v140, v146, v151
	v_add_f32_e32 v2, v2, v3
	v_mul_f32_e32 v3, v147, v151
	v_fmac_f32_e32 v140, v147, v150
	v_fma_f32 v3, v146, v150, -v3
	v_add_f32_e32 v119, v119, v140
	s_waitcnt vmcnt(5)
	v_mul_f32_e32 v140, v152, v157
	v_add_f32_e32 v2, v2, v3
	v_mul_f32_e32 v3, v153, v157
	v_fmac_f32_e32 v140, v153, v156
	v_fma_f32 v3, v152, v156, -v3
	v_add_f32_e32 v119, v119, v140
	v_mul_f32_e32 v140, v154, v159
	v_add_f32_e32 v2, v2, v3
	v_mul_f32_e32 v3, v155, v159
	v_fmac_f32_e32 v140, v155, v158
	v_fma_f32 v3, v154, v158, -v3
	v_add_f32_e32 v141, v119, v140
	v_add_f32_e32 v140, v2, v3
	s_waitcnt vmcnt(4)
	v_mul_f32_e32 v2, v161, v165
	v_fma_f32 v176, v160, v164, -v2
	v_mul_f32_e32 v2, v163, v167
	v_fma_f32 v178, v162, v166, -v2
	ds_read2_b64 v[2:5], v118 offset0:99 offset1:100
	ds_read2_b64 v[6:9], v118 offset0:101 offset1:102
	;; [unrolled: 1-line block ×4, first 2 shown]
	v_mul_f32_e32 v177, v160, v165
	v_fmac_f32_e32 v177, v161, v164
	v_mul_f32_e32 v179, v162, v167
	s_waitcnt vmcnt(3) lgkmcnt(3)
	v_pk_mul_f32 v[20:21], v[2:3], v[168:169] op_sel:[1,1] op_sel_hi:[0,1]
	v_fmac_f32_e32 v179, v163, v166
	v_pk_add_f32 v[18:19], v[140:141], v[176:177]
	v_pk_fma_f32 v[22:23], v[2:3], v[168:169], v[20:21] neg_lo:[0,0,1] neg_hi:[0,0,1]
	v_pk_fma_f32 v[2:3], v[2:3], v[168:169], v[20:21] op_sel_hi:[1,0,1]
	v_pk_add_f32 v[18:19], v[18:19], v[178:179]
	v_mov_b32_e32 v23, v3
	v_pk_add_f32 v[2:3], v[18:19], v[22:23]
	v_mov_b32_e32 v18, v171
	v_pk_mul_f32 v[18:19], v[4:5], v[18:19] op_sel:[1,0] op_sel_hi:[0,0]
	v_pk_fma_f32 v[20:21], v[4:5], v[170:171], v[18:19] neg_lo:[0,0,1] neg_hi:[0,0,1]
	v_pk_fma_f32 v[4:5], v[4:5], v[170:171], v[18:19] op_sel_hi:[1,0,1]
	s_nop 0
	v_mov_b32_e32 v21, v5
	s_waitcnt vmcnt(2) lgkmcnt(2)
	v_pk_mul_f32 v[4:5], v[6:7], v[248:249] op_sel:[1,1] op_sel_hi:[0,1]
	v_pk_fma_f32 v[18:19], v[6:7], v[248:249], v[4:5] neg_lo:[0,0,1] neg_hi:[0,0,1]
	v_pk_fma_f32 v[4:5], v[6:7], v[248:249], v[4:5] op_sel_hi:[1,0,1]
	v_pk_add_f32 v[2:3], v[2:3], v[20:21]
	v_mov_b32_e32 v4, v251
	v_mov_b32_e32 v19, v5
	v_pk_mul_f32 v[4:5], v[8:9], v[4:5] op_sel:[1,0] op_sel_hi:[0,0]
	v_pk_fma_f32 v[6:7], v[8:9], v[250:251], v[4:5] neg_lo:[0,0,1] neg_hi:[0,0,1]
	v_pk_fma_f32 v[4:5], v[8:9], v[250:251], v[4:5] op_sel_hi:[1,0,1]
	v_pk_add_f32 v[2:3], v[2:3], v[18:19]
	v_mov_b32_e32 v7, v5
	s_waitcnt vmcnt(1) lgkmcnt(1)
	v_pk_mul_f32 v[4:5], v[10:11], v[252:253] op_sel:[1,1] op_sel_hi:[0,1]
	v_pk_add_f32 v[2:3], v[2:3], v[6:7]
	v_pk_fma_f32 v[6:7], v[10:11], v[252:253], v[4:5] neg_lo:[0,0,1] neg_hi:[0,0,1]
	v_pk_fma_f32 v[4:5], v[10:11], v[252:253], v[4:5] op_sel_hi:[1,0,1]
	s_nop 0
	v_mov_b32_e32 v4, v255
	v_mov_b32_e32 v7, v5
	v_pk_mul_f32 v[4:5], v[12:13], v[4:5] op_sel:[1,0] op_sel_hi:[0,0]
	v_pk_add_f32 v[2:3], v[2:3], v[6:7]
	v_pk_fma_f32 v[6:7], v[12:13], v[254:255], v[4:5] neg_lo:[0,0,1] neg_hi:[0,0,1]
	v_pk_fma_f32 v[4:5], v[12:13], v[254:255], v[4:5] op_sel_hi:[1,0,1]
	s_nop 0
	v_mov_b32_e32 v7, v5
	s_waitcnt vmcnt(0) lgkmcnt(0)
	v_pk_mul_f32 v[4:5], v[14:15], v[172:173] op_sel:[1,1] op_sel_hi:[0,1]
	v_pk_add_f32 v[2:3], v[2:3], v[6:7]
	v_pk_fma_f32 v[6:7], v[14:15], v[172:173], v[4:5] neg_lo:[0,0,1] neg_hi:[0,0,1]
	v_pk_fma_f32 v[4:5], v[14:15], v[172:173], v[4:5] op_sel_hi:[1,0,1]
	s_nop 0
	v_mov_b32_e32 v4, v175
	v_mov_b32_e32 v7, v5
	v_pk_mul_f32 v[4:5], v[16:17], v[4:5] op_sel:[1,0] op_sel_hi:[0,0]
	v_pk_add_f32 v[2:3], v[2:3], v[6:7]
	v_pk_fma_f32 v[6:7], v[16:17], v[174:175], v[4:5] neg_lo:[0,0,1] neg_hi:[0,0,1]
	v_pk_fma_f32 v[4:5], v[16:17], v[174:175], v[4:5] op_sel_hi:[1,0,1]
	s_nop 0
	v_mov_b32_e32 v7, v5
	scratch_load_dwordx2 v[4:5], off, off offset:32
	v_pk_add_f32 v[2:3], v[2:3], v[6:7]
	s_waitcnt vmcnt(0)
	v_pk_add_f32 v[2:3], v[4:5], v[2:3] neg_lo:[0,1] neg_hi:[0,1]
	scratch_store_dwordx2 off, v[2:3], off offset:32
	s_and_saveexec_b64 s[0:1], vcc
	s_cbranch_execz .LBB116_325
; %bb.324:
	scratch_load_dwordx2 v[2:3], off, off offset:24
	v_mov_b32_e32 v4, 0
	v_mov_b32_e32 v5, v4
	scratch_store_dwordx2 off, v[4:5], off offset:24
	s_waitcnt vmcnt(1)
	ds_write_b64 v1, v[2:3]
.LBB116_325:
	s_or_b64 exec, exec, s[0:1]
	v_mov_b32_e32 v134, 0
	s_waitcnt lgkmcnt(0)
	; wave barrier
	ds_read_b128 v[14:17], v134 offset:464
	ds_read_b128 v[10:13], v134 offset:480
	ds_read_b128 v[6:9], v134 offset:496
	ds_read_b128 v[2:5], v134 offset:512
	scratch_load_dwordx4 v[18:21], off, off offset:32
	scratch_load_dwordx4 v[38:41], off, off offset:96
	scratch_load_dwordx4 v[70:73], off, off offset:160
	scratch_load_dwordx4 v[78:81], off, off offset:176
	scratch_load_dwordx4 v[86:89], off, off offset:192
	scratch_load_dwordx4 v[94:97], off, off offset:208
	scratch_load_dwordx4 v[102:105], off, off offset:224
	scratch_load_dwordx4 v[110:113], off, off offset:240
	scratch_load_dwordx4 v[118:121], off, off offset:256
	scratch_load_dwordx4 v[126:129], off, off offset:272
	scratch_load_dwordx4 v[136:139], off, off offset:288
	scratch_load_dwordx4 v[148:151], off, off offset:304
	scratch_load_dwordx4 v[156:159], off, off offset:320
	scratch_load_dwordx4 v[164:167], off, off offset:336
	scratch_load_dwordx4 v[172:175], off, off offset:352
	v_cmp_lt_u32_e32 vcc, 2, v0
	scratch_load_dwordx4 v[46:49], off, off offset:112
	scratch_load_dwordx4 v[54:57], off, off offset:128
	;; [unrolled: 1-line block ×3, first 2 shown]
	ds_read_b128 v[144:147], v134 offset:736
	ds_read_b128 v[152:155], v134 offset:752
	;; [unrolled: 1-line block ×4, first 2 shown]
	s_waitcnt vmcnt(17) lgkmcnt(7)
	v_mul_f32_e32 v22, v14, v19
	v_fmac_f32_e32 v22, v15, v18
	v_mul_f32_e32 v23, v16, v21
	v_add_f32_e32 v22, 0, v22
	v_fmac_f32_e32 v23, v17, v20
	v_add_f32_e32 v26, v22, v23
	scratch_load_dwordx4 v[22:25], off, off offset:48
	v_mul_f32_e32 v15, v15, v19
	v_fma_f32 v14, v14, v18, -v15
	v_mul_f32_e32 v15, v17, v21
	v_add_f32_e32 v14, 0, v14
	v_fma_f32 v15, v16, v20, -v15
	v_add_f32_e32 v14, v14, v15
	s_waitcnt vmcnt(5) lgkmcnt(1)
	v_mul_f32_e32 v181, v162, v167
	s_waitcnt vmcnt(4)
	v_mov_b32_e32 v18, v175
	v_fmac_f32_e32 v181, v163, v166
	s_waitcnt lgkmcnt(0)
	v_mul_f32_e32 v183, v168, v173
	v_pk_mul_f32 v[18:19], v[170:171], v[18:19] op_sel:[1,0] op_sel_hi:[0,0]
	v_fmac_f32_e32 v183, v169, v172
	v_pk_fma_f32 v[20:21], v[170:171], v[174:175], v[18:19] neg_lo:[0,0,1] neg_hi:[0,0,1]
	v_pk_fma_f32 v[18:19], v[170:171], v[174:175], v[18:19] op_sel_hi:[1,0,1]
	s_waitcnt vmcnt(0)
	v_mul_f32_e32 v27, v10, v23
	v_fmac_f32_e32 v27, v11, v22
	v_add_f32_e32 v26, v26, v27
	v_mul_f32_e32 v27, v12, v25
	v_fmac_f32_e32 v27, v13, v24
	v_add_f32_e32 v30, v26, v27
	scratch_load_dwordx4 v[26:29], off, off offset:64
	v_mul_f32_e32 v11, v11, v23
	v_fma_f32 v10, v10, v22, -v11
	v_mul_f32_e32 v11, v13, v25
	v_add_f32_e32 v10, v14, v10
	v_fma_f32 v11, v12, v24, -v11
	v_add_f32_e32 v10, v10, v11
	v_mov_b32_e32 v21, v19
	s_waitcnt vmcnt(0)
	v_mul_f32_e32 v31, v6, v27
	v_fmac_f32_e32 v31, v7, v26
	v_add_f32_e32 v30, v30, v31
	v_mul_f32_e32 v31, v8, v29
	v_fmac_f32_e32 v31, v9, v28
	v_add_f32_e32 v34, v30, v31
	scratch_load_dwordx4 v[30:33], off, off offset:80
	v_mul_f32_e32 v7, v7, v27
	v_fma_f32 v6, v6, v26, -v7
	v_mul_f32_e32 v7, v9, v29
	v_add_f32_e32 v6, v10, v6
	v_fma_f32 v7, v8, v28, -v7
	v_add_f32_e32 v6, v6, v7
	s_waitcnt vmcnt(0)
	v_mul_f32_e32 v35, v2, v31
	v_fmac_f32_e32 v35, v3, v30
	v_add_f32_e32 v34, v34, v35
	v_mul_f32_e32 v35, v4, v33
	v_fmac_f32_e32 v35, v5, v32
	v_add_f32_e32 v42, v34, v35
	ds_read_b128 v[34:37], v134 offset:528
	v_mul_f32_e32 v3, v3, v31
	v_fma_f32 v2, v2, v30, -v3
	v_mul_f32_e32 v3, v5, v33
	v_add_f32_e32 v2, v6, v2
	s_waitcnt lgkmcnt(0)
	v_mul_f32_e32 v43, v34, v39
	v_fmac_f32_e32 v43, v35, v38
	v_add_f32_e32 v42, v42, v43
	v_mul_f32_e32 v43, v36, v41
	v_fmac_f32_e32 v43, v37, v40
	v_add_f32_e32 v50, v42, v43
	ds_read_b128 v[42:45], v134 offset:544
	v_fma_f32 v3, v4, v32, -v3
	v_add_f32_e32 v2, v2, v3
	v_mul_f32_e32 v3, v35, v39
	v_fma_f32 v3, v34, v38, -v3
	s_waitcnt lgkmcnt(0)
	v_mul_f32_e32 v51, v42, v47
	v_fmac_f32_e32 v51, v43, v46
	v_add_f32_e32 v50, v50, v51
	v_mul_f32_e32 v51, v44, v49
	v_fmac_f32_e32 v51, v45, v48
	v_add_f32_e32 v58, v50, v51
	ds_read_b128 v[50:53], v134 offset:560
	v_add_f32_e32 v2, v2, v3
	v_mul_f32_e32 v3, v37, v41
	v_fma_f32 v3, v36, v40, -v3
	v_add_f32_e32 v2, v2, v3
	s_waitcnt lgkmcnt(0)
	v_mul_f32_e32 v59, v50, v55
	v_fmac_f32_e32 v59, v51, v54
	v_add_f32_e32 v58, v58, v59
	v_mul_f32_e32 v59, v52, v57
	v_fmac_f32_e32 v59, v53, v56
	v_add_f32_e32 v66, v58, v59
	ds_read_b128 v[58:61], v134 offset:576
	v_mul_f32_e32 v3, v43, v47
	v_fma_f32 v3, v42, v46, -v3
	v_add_f32_e32 v2, v2, v3
	v_mul_f32_e32 v3, v45, v49
	s_waitcnt lgkmcnt(0)
	v_mul_f32_e32 v67, v58, v63
	v_fmac_f32_e32 v67, v59, v62
	v_add_f32_e32 v66, v66, v67
	v_mul_f32_e32 v67, v60, v65
	v_fmac_f32_e32 v67, v61, v64
	v_add_f32_e32 v74, v66, v67
	ds_read_b128 v[66:69], v134 offset:592
	v_fma_f32 v3, v44, v48, -v3
	v_add_f32_e32 v2, v2, v3
	v_mul_f32_e32 v3, v51, v55
	v_fma_f32 v3, v50, v54, -v3
	s_waitcnt lgkmcnt(0)
	v_mul_f32_e32 v75, v66, v71
	v_fmac_f32_e32 v75, v67, v70
	v_add_f32_e32 v74, v74, v75
	v_mul_f32_e32 v75, v68, v73
	v_fmac_f32_e32 v75, v69, v72
	v_add_f32_e32 v82, v74, v75
	ds_read_b128 v[74:77], v134 offset:608
	v_add_f32_e32 v2, v2, v3
	v_mul_f32_e32 v3, v53, v57
	v_fma_f32 v3, v52, v56, -v3
	v_add_f32_e32 v2, v2, v3
	s_waitcnt lgkmcnt(0)
	v_mul_f32_e32 v83, v74, v79
	v_fmac_f32_e32 v83, v75, v78
	v_add_f32_e32 v82, v82, v83
	v_mul_f32_e32 v83, v76, v81
	v_fmac_f32_e32 v83, v77, v80
	v_add_f32_e32 v90, v82, v83
	ds_read_b128 v[82:85], v134 offset:624
	v_mul_f32_e32 v3, v59, v63
	v_fma_f32 v3, v58, v62, -v3
	v_add_f32_e32 v2, v2, v3
	v_mul_f32_e32 v3, v61, v65
	;; [unrolled: 36-line block ×3, first 2 shown]
	s_waitcnt lgkmcnt(0)
	v_mul_f32_e32 v115, v106, v111
	v_fmac_f32_e32 v115, v107, v110
	v_add_f32_e32 v114, v114, v115
	v_mul_f32_e32 v115, v108, v113
	v_fmac_f32_e32 v115, v109, v112
	v_add_f32_e32 v122, v114, v115
	ds_read_b128 v[114:117], v134 offset:688
	v_fma_f32 v3, v76, v80, -v3
	v_add_f32_e32 v2, v2, v3
	v_mul_f32_e32 v3, v83, v87
	v_fma_f32 v3, v82, v86, -v3
	s_waitcnt lgkmcnt(0)
	v_mul_f32_e32 v123, v114, v119
	v_fmac_f32_e32 v123, v115, v118
	v_add_f32_e32 v122, v122, v123
	v_mul_f32_e32 v123, v116, v121
	v_fmac_f32_e32 v123, v117, v120
	v_add_f32_e32 v130, v122, v123
	ds_read_b128 v[122:125], v134 offset:704
	v_add_f32_e32 v2, v2, v3
	v_mul_f32_e32 v3, v85, v89
	v_fma_f32 v3, v84, v88, -v3
	v_add_f32_e32 v2, v2, v3
	s_waitcnt lgkmcnt(0)
	v_mul_f32_e32 v131, v122, v127
	v_fmac_f32_e32 v131, v123, v126
	v_add_f32_e32 v130, v130, v131
	v_mul_f32_e32 v131, v124, v129
	v_fmac_f32_e32 v131, v125, v128
	v_add_f32_e32 v135, v130, v131
	ds_read_b128 v[130:133], v134 offset:720
	scratch_load_dwordx4 v[248:251], off, off offset:368
	scratch_load_dwordx4 v[252:255], off, off offset:384
	;; [unrolled: 1-line block ×3, first 2 shown]
	scratch_load_dwordx2 v[184:185], off, off offset:416
	v_mul_f32_e32 v3, v91, v95
	v_fma_f32 v3, v90, v94, -v3
	v_add_f32_e32 v2, v2, v3
	v_mul_f32_e32 v3, v93, v97
	v_fma_f32 v3, v92, v96, -v3
	v_add_f32_e32 v2, v2, v3
	v_mul_f32_e32 v3, v99, v103
	v_fma_f32 v3, v98, v102, -v3
	v_add_f32_e32 v2, v2, v3
	v_mul_f32_e32 v3, v101, v105
	v_fma_f32 v3, v100, v104, -v3
	v_add_f32_e32 v2, v2, v3
	v_mul_f32_e32 v3, v107, v111
	v_fma_f32 v3, v106, v110, -v3
	v_add_f32_e32 v2, v2, v3
	v_mul_f32_e32 v3, v109, v113
	v_fma_f32 v3, v108, v112, -v3
	v_add_f32_e32 v2, v2, v3
	v_mul_f32_e32 v3, v115, v119
	v_fma_f32 v3, v114, v118, -v3
	v_add_f32_e32 v2, v2, v3
	v_mul_f32_e32 v3, v117, v121
	v_fma_f32 v3, v116, v120, -v3
	v_add_f32_e32 v2, v2, v3
	v_mul_f32_e32 v3, v123, v127
	v_fma_f32 v3, v122, v126, -v3
	v_add_f32_e32 v2, v2, v3
	v_mul_f32_e32 v3, v125, v129
	v_fma_f32 v3, v124, v128, -v3
	s_waitcnt lgkmcnt(0)
	v_mul_f32_e32 v140, v130, v137
	v_add_f32_e32 v2, v2, v3
	v_mul_f32_e32 v3, v131, v137
	v_fmac_f32_e32 v140, v131, v136
	v_fma_f32 v3, v130, v136, -v3
	v_add_f32_e32 v135, v135, v140
	v_mul_f32_e32 v140, v132, v139
	v_add_f32_e32 v2, v2, v3
	v_mul_f32_e32 v3, v133, v139
	v_fmac_f32_e32 v140, v133, v138
	v_fma_f32 v3, v132, v138, -v3
	v_add_f32_e32 v135, v135, v140
	;; [unrolled: 6-line block ×7, first 2 shown]
	v_add_f32_e32 v140, v2, v3
	v_mul_f32_e32 v2, v163, v167
	v_fma_f32 v180, v162, v166, -v2
	v_mul_f32_e32 v2, v169, v173
	v_fma_f32 v182, v168, v172, -v2
	ds_read_b128 v[2:5], v134 offset:800
	ds_read_b128 v[6:9], v134 offset:816
	;; [unrolled: 1-line block ×3, first 2 shown]
	ds_read_b64 v[14:15], v134 offset:848
	v_pk_add_f32 v[16:17], v[140:141], v[180:181]
	s_waitcnt vmcnt(3) lgkmcnt(3)
	v_pk_mul_f32 v[18:19], v[2:3], v[248:249] op_sel:[1,1] op_sel_hi:[0,1]
	v_pk_add_f32 v[16:17], v[16:17], v[182:183]
	s_nop 0
	v_pk_add_f32 v[16:17], v[16:17], v[20:21]
	v_pk_fma_f32 v[20:21], v[2:3], v[248:249], v[18:19] neg_lo:[0,0,1] neg_hi:[0,0,1]
	v_pk_fma_f32 v[2:3], v[2:3], v[248:249], v[18:19] op_sel_hi:[1,0,1]
	s_nop 0
	v_mov_b32_e32 v21, v3
	v_pk_add_f32 v[2:3], v[16:17], v[20:21]
	v_mov_b32_e32 v16, v251
	v_pk_mul_f32 v[16:17], v[4:5], v[16:17] op_sel:[1,0] op_sel_hi:[0,0]
	v_pk_fma_f32 v[18:19], v[4:5], v[250:251], v[16:17] neg_lo:[0,0,1] neg_hi:[0,0,1]
	v_pk_fma_f32 v[4:5], v[4:5], v[250:251], v[16:17] op_sel_hi:[1,0,1]
	s_nop 0
	v_mov_b32_e32 v19, v5
	s_waitcnt vmcnt(2) lgkmcnt(2)
	v_pk_mul_f32 v[4:5], v[6:7], v[252:253] op_sel:[1,1] op_sel_hi:[0,1]
	v_pk_fma_f32 v[16:17], v[6:7], v[252:253], v[4:5] neg_lo:[0,0,1] neg_hi:[0,0,1]
	v_pk_fma_f32 v[4:5], v[6:7], v[252:253], v[4:5] op_sel_hi:[1,0,1]
	v_pk_add_f32 v[2:3], v[2:3], v[18:19]
	v_mov_b32_e32 v4, v255
	v_mov_b32_e32 v17, v5
	v_pk_mul_f32 v[4:5], v[8:9], v[4:5] op_sel:[1,0] op_sel_hi:[0,0]
	v_pk_fma_f32 v[6:7], v[8:9], v[254:255], v[4:5] neg_lo:[0,0,1] neg_hi:[0,0,1]
	v_pk_fma_f32 v[4:5], v[8:9], v[254:255], v[4:5] op_sel_hi:[1,0,1]
	v_pk_add_f32 v[2:3], v[2:3], v[16:17]
	v_mov_b32_e32 v7, v5
	s_waitcnt vmcnt(1) lgkmcnt(1)
	v_pk_mul_f32 v[4:5], v[10:11], v[176:177] op_sel:[1,1] op_sel_hi:[0,1]
	v_pk_add_f32 v[2:3], v[2:3], v[6:7]
	v_pk_fma_f32 v[6:7], v[10:11], v[176:177], v[4:5] neg_lo:[0,0,1] neg_hi:[0,0,1]
	v_pk_fma_f32 v[4:5], v[10:11], v[176:177], v[4:5] op_sel_hi:[1,0,1]
	s_nop 0
	v_mov_b32_e32 v4, v179
	v_mov_b32_e32 v7, v5
	v_pk_mul_f32 v[4:5], v[12:13], v[4:5] op_sel:[1,0] op_sel_hi:[0,0]
	v_pk_add_f32 v[2:3], v[2:3], v[6:7]
	v_pk_fma_f32 v[6:7], v[12:13], v[178:179], v[4:5] neg_lo:[0,0,1] neg_hi:[0,0,1]
	v_pk_fma_f32 v[4:5], v[12:13], v[178:179], v[4:5] op_sel_hi:[1,0,1]
	s_nop 0
	v_mov_b32_e32 v7, v5
	s_waitcnt vmcnt(0) lgkmcnt(0)
	v_pk_mul_f32 v[4:5], v[14:15], v[184:185] op_sel:[1,1] op_sel_hi:[0,1]
	v_pk_add_f32 v[2:3], v[2:3], v[6:7]
	v_pk_fma_f32 v[6:7], v[14:15], v[184:185], v[4:5] neg_lo:[0,0,1] neg_hi:[0,0,1]
	v_pk_fma_f32 v[4:5], v[14:15], v[184:185], v[4:5] op_sel_hi:[1,0,1]
	s_nop 0
	v_mov_b32_e32 v7, v5
	scratch_load_dwordx2 v[4:5], off, off offset:24
	v_pk_add_f32 v[2:3], v[2:3], v[6:7]
	s_waitcnt vmcnt(0)
	v_pk_add_f32 v[2:3], v[4:5], v[2:3] neg_lo:[0,1] neg_hi:[0,1]
	scratch_store_dwordx2 off, v[2:3], off offset:24
	s_and_saveexec_b64 s[0:1], vcc
	s_cbranch_execz .LBB116_327
; %bb.326:
	scratch_load_dwordx2 v[2:3], off, off offset:16
	v_mov_b32_e32 v135, v134
	scratch_store_dwordx2 off, v[134:135], off offset:16
	s_waitcnt vmcnt(1)
	ds_write_b64 v1, v[2:3]
.LBB116_327:
	s_or_b64 exec, exec, s[0:1]
	s_waitcnt lgkmcnt(0)
	; wave barrier
	scratch_load_dwordx4 v[6:9], off, off offset:24
	scratch_load_dwordx4 v[14:17], off, off offset:40
	;; [unrolled: 1-line block ×10, first 2 shown]
	ds_read2_b64 v[2:5], v134 offset0:57 offset1:58
	ds_read2_b64 v[144:147], v134 offset0:91 offset1:92
	scratch_load_dwordx4 v[86:89], off, off offset:184
	scratch_load_dwordx4 v[94:97], off, off offset:200
	;; [unrolled: 1-line block ×11, first 2 shown]
	v_cmp_lt_u32_e32 vcc, 1, v0
	ds_read2_b64 v[152:155], v134 offset0:93 offset1:94
	ds_read2_b64 v[160:163], v134 offset0:95 offset1:96
	ds_read2_b64 v[168:171], v134 offset0:97 offset1:98
	s_waitcnt vmcnt(20) lgkmcnt(4)
	v_mul_f32_e32 v10, v2, v7
	v_fmac_f32_e32 v10, v3, v6
	v_mul_f32_e32 v11, v4, v9
	v_add_f32_e32 v10, 0, v10
	v_fmac_f32_e32 v11, v5, v8
	v_add_f32_e32 v18, v10, v11
	ds_read2_b64 v[10:13], v134 offset0:59 offset1:60
	v_mul_f32_e32 v3, v3, v7
	v_fma_f32 v2, v2, v6, -v3
	v_mul_f32_e32 v3, v5, v9
	v_add_f32_e32 v2, 0, v2
	s_waitcnt vmcnt(19) lgkmcnt(0)
	v_mul_f32_e32 v19, v10, v15
	v_fmac_f32_e32 v19, v11, v14
	v_add_f32_e32 v18, v18, v19
	v_mul_f32_e32 v19, v12, v17
	v_fmac_f32_e32 v19, v13, v16
	v_add_f32_e32 v26, v18, v19
	ds_read2_b64 v[18:21], v134 offset0:61 offset1:62
	v_fma_f32 v3, v4, v8, -v3
	v_add_f32_e32 v2, v2, v3
	v_mul_f32_e32 v3, v11, v15
	v_fma_f32 v3, v10, v14, -v3
	s_waitcnt vmcnt(18) lgkmcnt(0)
	v_mul_f32_e32 v27, v18, v23
	v_fmac_f32_e32 v27, v19, v22
	v_add_f32_e32 v26, v26, v27
	v_mul_f32_e32 v27, v20, v25
	v_fmac_f32_e32 v27, v21, v24
	v_add_f32_e32 v34, v26, v27
	ds_read2_b64 v[26:29], v134 offset0:63 offset1:64
	v_add_f32_e32 v2, v2, v3
	v_mul_f32_e32 v3, v13, v17
	v_fma_f32 v3, v12, v16, -v3
	v_add_f32_e32 v2, v2, v3
	s_waitcnt vmcnt(17) lgkmcnt(0)
	v_mul_f32_e32 v35, v26, v31
	v_fmac_f32_e32 v35, v27, v30
	v_add_f32_e32 v34, v34, v35
	v_mul_f32_e32 v35, v28, v33
	v_fmac_f32_e32 v35, v29, v32
	v_add_f32_e32 v42, v34, v35
	ds_read2_b64 v[34:37], v134 offset0:65 offset1:66
	v_mul_f32_e32 v3, v19, v23
	v_fma_f32 v3, v18, v22, -v3
	v_add_f32_e32 v2, v2, v3
	v_mul_f32_e32 v3, v21, v25
	s_waitcnt vmcnt(16) lgkmcnt(0)
	v_mul_f32_e32 v43, v34, v39
	v_fmac_f32_e32 v43, v35, v38
	v_add_f32_e32 v42, v42, v43
	v_mul_f32_e32 v43, v36, v41
	v_fmac_f32_e32 v43, v37, v40
	v_add_f32_e32 v50, v42, v43
	ds_read2_b64 v[42:45], v134 offset0:67 offset1:68
	v_fma_f32 v3, v20, v24, -v3
	v_add_f32_e32 v2, v2, v3
	v_mul_f32_e32 v3, v27, v31
	v_fma_f32 v3, v26, v30, -v3
	s_waitcnt vmcnt(15) lgkmcnt(0)
	v_mul_f32_e32 v51, v42, v47
	v_fmac_f32_e32 v51, v43, v46
	v_add_f32_e32 v50, v50, v51
	v_mul_f32_e32 v51, v44, v49
	v_fmac_f32_e32 v51, v45, v48
	v_add_f32_e32 v58, v50, v51
	ds_read2_b64 v[50:53], v134 offset0:69 offset1:70
	v_add_f32_e32 v2, v2, v3
	v_mul_f32_e32 v3, v29, v33
	v_fma_f32 v3, v28, v32, -v3
	v_add_f32_e32 v2, v2, v3
	s_waitcnt vmcnt(14) lgkmcnt(0)
	v_mul_f32_e32 v59, v50, v55
	v_fmac_f32_e32 v59, v51, v54
	v_add_f32_e32 v58, v58, v59
	v_mul_f32_e32 v59, v52, v57
	v_fmac_f32_e32 v59, v53, v56
	v_add_f32_e32 v66, v58, v59
	ds_read2_b64 v[58:61], v134 offset0:71 offset1:72
	v_mul_f32_e32 v3, v35, v39
	v_fma_f32 v3, v34, v38, -v3
	v_add_f32_e32 v2, v2, v3
	v_mul_f32_e32 v3, v37, v41
	;; [unrolled: 36-line block ×4, first 2 shown]
	s_waitcnt vmcnt(7) lgkmcnt(0)
	v_mul_f32_e32 v115, v106, v111
	v_fmac_f32_e32 v115, v107, v110
	v_add_f32_e32 v114, v114, v115
	v_mul_f32_e32 v115, v108, v113
	v_fmac_f32_e32 v115, v109, v112
	v_add_f32_e32 v122, v114, v115
	ds_read2_b64 v[114:117], v134 offset0:85 offset1:86
	v_fma_f32 v3, v68, v72, -v3
	v_add_f32_e32 v2, v2, v3
	v_mul_f32_e32 v3, v75, v79
	v_fma_f32 v3, v74, v78, -v3
	s_waitcnt vmcnt(6) lgkmcnt(0)
	v_mul_f32_e32 v123, v114, v119
	v_fmac_f32_e32 v123, v115, v118
	v_add_f32_e32 v122, v122, v123
	v_mul_f32_e32 v123, v116, v121
	v_fmac_f32_e32 v123, v117, v120
	v_add_f32_e32 v130, v122, v123
	ds_read2_b64 v[122:125], v134 offset0:87 offset1:88
	v_add_f32_e32 v2, v2, v3
	v_mul_f32_e32 v3, v77, v81
	v_fma_f32 v3, v76, v80, -v3
	v_add_f32_e32 v2, v2, v3
	s_waitcnt vmcnt(5) lgkmcnt(0)
	v_mul_f32_e32 v131, v122, v127
	v_fmac_f32_e32 v131, v123, v126
	v_add_f32_e32 v130, v130, v131
	v_mul_f32_e32 v131, v124, v129
	v_fmac_f32_e32 v131, v125, v128
	v_add_f32_e32 v135, v130, v131
	ds_read2_b64 v[130:133], v134 offset0:89 offset1:90
	scratch_load_dwordx4 v[176:179], off, off offset:360
	scratch_load_dwordx4 v[248:251], off, off offset:376
	;; [unrolled: 1-line block ×4, first 2 shown]
	v_mul_f32_e32 v3, v83, v87
	v_fma_f32 v3, v82, v86, -v3
	v_add_f32_e32 v2, v2, v3
	v_mul_f32_e32 v3, v85, v89
	v_fma_f32 v3, v84, v88, -v3
	v_add_f32_e32 v2, v2, v3
	;; [unrolled: 3-line block ×11, first 2 shown]
	v_mul_f32_e32 v3, v125, v129
	v_fma_f32 v3, v124, v128, -v3
	s_waitcnt vmcnt(8) lgkmcnt(0)
	v_mul_f32_e32 v140, v130, v137
	v_add_f32_e32 v2, v2, v3
	v_mul_f32_e32 v3, v131, v137
	v_fmac_f32_e32 v140, v131, v136
	v_fma_f32 v3, v130, v136, -v3
	v_add_f32_e32 v135, v135, v140
	v_mul_f32_e32 v140, v132, v139
	v_add_f32_e32 v2, v2, v3
	v_mul_f32_e32 v3, v133, v139
	v_fmac_f32_e32 v140, v133, v138
	v_fma_f32 v3, v132, v138, -v3
	v_add_f32_e32 v135, v135, v140
	s_waitcnt vmcnt(7)
	v_mul_f32_e32 v140, v144, v149
	v_add_f32_e32 v2, v2, v3
	v_mul_f32_e32 v3, v145, v149
	v_fmac_f32_e32 v140, v145, v148
	v_fma_f32 v3, v144, v148, -v3
	v_add_f32_e32 v135, v135, v140
	v_mul_f32_e32 v140, v146, v151
	v_add_f32_e32 v2, v2, v3
	v_mul_f32_e32 v3, v147, v151
	v_fmac_f32_e32 v140, v147, v150
	v_fma_f32 v3, v146, v150, -v3
	v_add_f32_e32 v135, v135, v140
	s_waitcnt vmcnt(6)
	;; [unrolled: 13-line block ×3, first 2 shown]
	v_mul_f32_e32 v140, v160, v165
	v_add_f32_e32 v2, v2, v3
	v_mul_f32_e32 v3, v161, v165
	v_fmac_f32_e32 v140, v161, v164
	v_fma_f32 v3, v160, v164, -v3
	v_add_f32_e32 v135, v135, v140
	v_mul_f32_e32 v140, v162, v167
	v_add_f32_e32 v2, v2, v3
	v_mul_f32_e32 v3, v163, v167
	v_fmac_f32_e32 v140, v163, v166
	v_fma_f32 v3, v162, v166, -v3
	v_add_f32_e32 v141, v135, v140
	v_add_f32_e32 v140, v2, v3
	s_waitcnt vmcnt(4)
	v_mul_f32_e32 v2, v169, v173
	v_fma_f32 v184, v168, v172, -v2
	v_mul_f32_e32 v2, v171, v175
	v_fma_f32 v186, v170, v174, -v2
	ds_read2_b64 v[2:5], v134 offset0:99 offset1:100
	ds_read2_b64 v[6:9], v134 offset0:101 offset1:102
	;; [unrolled: 1-line block ×4, first 2 shown]
	v_mul_f32_e32 v185, v168, v173
	v_fmac_f32_e32 v185, v169, v172
	v_mul_f32_e32 v187, v170, v175
	s_waitcnt vmcnt(3) lgkmcnt(3)
	v_pk_mul_f32 v[20:21], v[2:3], v[176:177] op_sel:[1,1] op_sel_hi:[0,1]
	v_fmac_f32_e32 v187, v171, v174
	v_pk_add_f32 v[18:19], v[140:141], v[184:185]
	v_pk_fma_f32 v[22:23], v[2:3], v[176:177], v[20:21] neg_lo:[0,0,1] neg_hi:[0,0,1]
	v_pk_fma_f32 v[2:3], v[2:3], v[176:177], v[20:21] op_sel_hi:[1,0,1]
	v_pk_add_f32 v[18:19], v[18:19], v[186:187]
	v_mov_b32_e32 v23, v3
	v_pk_add_f32 v[2:3], v[18:19], v[22:23]
	v_mov_b32_e32 v18, v179
	v_pk_mul_f32 v[18:19], v[4:5], v[18:19] op_sel:[1,0] op_sel_hi:[0,0]
	v_pk_fma_f32 v[20:21], v[4:5], v[178:179], v[18:19] neg_lo:[0,0,1] neg_hi:[0,0,1]
	v_pk_fma_f32 v[4:5], v[4:5], v[178:179], v[18:19] op_sel_hi:[1,0,1]
	s_nop 0
	v_mov_b32_e32 v21, v5
	s_waitcnt vmcnt(2) lgkmcnt(2)
	v_pk_mul_f32 v[4:5], v[6:7], v[248:249] op_sel:[1,1] op_sel_hi:[0,1]
	v_pk_fma_f32 v[18:19], v[6:7], v[248:249], v[4:5] neg_lo:[0,0,1] neg_hi:[0,0,1]
	v_pk_fma_f32 v[4:5], v[6:7], v[248:249], v[4:5] op_sel_hi:[1,0,1]
	v_pk_add_f32 v[2:3], v[2:3], v[20:21]
	v_mov_b32_e32 v4, v251
	v_mov_b32_e32 v19, v5
	v_pk_mul_f32 v[4:5], v[8:9], v[4:5] op_sel:[1,0] op_sel_hi:[0,0]
	v_pk_fma_f32 v[6:7], v[8:9], v[250:251], v[4:5] neg_lo:[0,0,1] neg_hi:[0,0,1]
	v_pk_fma_f32 v[4:5], v[8:9], v[250:251], v[4:5] op_sel_hi:[1,0,1]
	v_pk_add_f32 v[2:3], v[2:3], v[18:19]
	v_mov_b32_e32 v7, v5
	s_waitcnt vmcnt(1) lgkmcnt(1)
	v_pk_mul_f32 v[4:5], v[10:11], v[252:253] op_sel:[1,1] op_sel_hi:[0,1]
	v_pk_add_f32 v[2:3], v[2:3], v[6:7]
	v_pk_fma_f32 v[6:7], v[10:11], v[252:253], v[4:5] neg_lo:[0,0,1] neg_hi:[0,0,1]
	v_pk_fma_f32 v[4:5], v[10:11], v[252:253], v[4:5] op_sel_hi:[1,0,1]
	s_nop 0
	v_mov_b32_e32 v4, v255
	v_mov_b32_e32 v7, v5
	v_pk_mul_f32 v[4:5], v[12:13], v[4:5] op_sel:[1,0] op_sel_hi:[0,0]
	v_pk_add_f32 v[2:3], v[2:3], v[6:7]
	v_pk_fma_f32 v[6:7], v[12:13], v[254:255], v[4:5] neg_lo:[0,0,1] neg_hi:[0,0,1]
	v_pk_fma_f32 v[4:5], v[12:13], v[254:255], v[4:5] op_sel_hi:[1,0,1]
	s_nop 0
	v_mov_b32_e32 v7, v5
	s_waitcnt vmcnt(0) lgkmcnt(0)
	v_pk_mul_f32 v[4:5], v[14:15], v[180:181] op_sel:[1,1] op_sel_hi:[0,1]
	v_pk_add_f32 v[2:3], v[2:3], v[6:7]
	v_pk_fma_f32 v[6:7], v[14:15], v[180:181], v[4:5] neg_lo:[0,0,1] neg_hi:[0,0,1]
	v_pk_fma_f32 v[4:5], v[14:15], v[180:181], v[4:5] op_sel_hi:[1,0,1]
	s_nop 0
	v_mov_b32_e32 v4, v183
	v_mov_b32_e32 v7, v5
	v_pk_mul_f32 v[4:5], v[16:17], v[4:5] op_sel:[1,0] op_sel_hi:[0,0]
	v_pk_add_f32 v[2:3], v[2:3], v[6:7]
	v_pk_fma_f32 v[6:7], v[16:17], v[182:183], v[4:5] neg_lo:[0,0,1] neg_hi:[0,0,1]
	v_pk_fma_f32 v[4:5], v[16:17], v[182:183], v[4:5] op_sel_hi:[1,0,1]
	s_nop 0
	v_mov_b32_e32 v7, v5
	scratch_load_dwordx2 v[4:5], off, off offset:16
	v_pk_add_f32 v[2:3], v[2:3], v[6:7]
	s_waitcnt vmcnt(0)
	v_pk_add_f32 v[2:3], v[4:5], v[2:3] neg_lo:[0,1] neg_hi:[0,1]
	scratch_store_dwordx2 off, v[2:3], off offset:16
	s_and_saveexec_b64 s[0:1], vcc
	s_cbranch_execz .LBB116_329
; %bb.328:
	scratch_load_dwordx2 v[2:3], off, off offset:8
	v_mov_b32_e32 v4, 0
	v_mov_b32_e32 v5, v4
	scratch_store_dwordx2 off, v[4:5], off offset:8
	s_waitcnt vmcnt(1)
	ds_write_b64 v1, v[2:3]
.LBB116_329:
	s_or_b64 exec, exec, s[0:1]
	v_mov_b32_e32 v248, 0
	s_waitcnt lgkmcnt(0)
	; wave barrier
	ds_read_b128 v[14:17], v248 offset:448
	ds_read_b128 v[10:13], v248 offset:464
	;; [unrolled: 1-line block ×4, first 2 shown]
	scratch_load_dwordx4 v[18:21], off, off offset:16
	scratch_load_dwordx4 v[38:41], off, off offset:80
	;; [unrolled: 1-line block ×16, first 2 shown]
	v_cmp_ne_u32_e32 vcc, 0, v0
	scratch_load_dwordx4 v[46:49], off, off offset:96
	scratch_load_dwordx4 v[54:57], off, off offset:112
	;; [unrolled: 1-line block ×3, first 2 shown]
	s_waitcnt vmcnt(18) lgkmcnt(3)
	v_mul_f32_e32 v22, v14, v19
	v_fmac_f32_e32 v22, v15, v18
	v_mul_f32_e32 v23, v16, v21
	v_add_f32_e32 v22, 0, v22
	v_fmac_f32_e32 v23, v17, v20
	v_add_f32_e32 v26, v22, v23
	scratch_load_dwordx4 v[22:25], off, off offset:32
	v_mul_f32_e32 v15, v15, v19
	v_fma_f32 v14, v14, v18, -v15
	v_mul_f32_e32 v15, v17, v21
	v_add_f32_e32 v14, 0, v14
	v_fma_f32 v15, v16, v20, -v15
	v_add_f32_e32 v14, v14, v15
	s_waitcnt vmcnt(4)
	v_mov_b32_e32 v18, v179
	s_waitcnt vmcnt(0) lgkmcnt(2)
	v_mul_f32_e32 v27, v10, v23
	v_fmac_f32_e32 v27, v11, v22
	v_add_f32_e32 v26, v26, v27
	v_mul_f32_e32 v27, v12, v25
	v_fmac_f32_e32 v27, v13, v24
	v_add_f32_e32 v30, v26, v27
	scratch_load_dwordx4 v[26:29], off, off offset:48
	v_mul_f32_e32 v11, v11, v23
	v_fma_f32 v10, v10, v22, -v11
	v_mul_f32_e32 v11, v13, v25
	v_add_f32_e32 v10, v14, v10
	v_fma_f32 v11, v12, v24, -v11
	v_add_f32_e32 v10, v10, v11
	s_waitcnt vmcnt(0) lgkmcnt(1)
	v_mul_f32_e32 v31, v6, v27
	v_fmac_f32_e32 v31, v7, v26
	v_add_f32_e32 v30, v30, v31
	v_mul_f32_e32 v31, v8, v29
	v_fmac_f32_e32 v31, v9, v28
	v_add_f32_e32 v34, v30, v31
	scratch_load_dwordx4 v[30:33], off, off offset:64
	v_mul_f32_e32 v7, v7, v27
	v_fma_f32 v6, v6, v26, -v7
	v_mul_f32_e32 v7, v9, v29
	v_add_f32_e32 v6, v10, v6
	v_fma_f32 v7, v8, v28, -v7
	v_add_f32_e32 v6, v6, v7
	s_waitcnt vmcnt(0) lgkmcnt(0)
	v_mul_f32_e32 v35, v2, v31
	v_fmac_f32_e32 v35, v3, v30
	v_add_f32_e32 v34, v34, v35
	v_mul_f32_e32 v35, v4, v33
	v_fmac_f32_e32 v35, v5, v32
	v_add_f32_e32 v42, v34, v35
	ds_read_b128 v[34:37], v248 offset:512
	v_mul_f32_e32 v3, v3, v31
	v_fma_f32 v2, v2, v30, -v3
	v_mul_f32_e32 v3, v5, v33
	v_add_f32_e32 v2, v6, v2
	s_waitcnt lgkmcnt(0)
	v_mul_f32_e32 v43, v34, v39
	v_fmac_f32_e32 v43, v35, v38
	v_add_f32_e32 v42, v42, v43
	v_mul_f32_e32 v43, v36, v41
	v_fmac_f32_e32 v43, v37, v40
	v_add_f32_e32 v50, v42, v43
	ds_read_b128 v[42:45], v248 offset:528
	v_fma_f32 v3, v4, v32, -v3
	v_add_f32_e32 v2, v2, v3
	v_mul_f32_e32 v3, v35, v39
	v_fma_f32 v3, v34, v38, -v3
	s_waitcnt lgkmcnt(0)
	v_mul_f32_e32 v51, v42, v47
	v_fmac_f32_e32 v51, v43, v46
	v_add_f32_e32 v50, v50, v51
	v_mul_f32_e32 v51, v44, v49
	v_fmac_f32_e32 v51, v45, v48
	v_add_f32_e32 v58, v50, v51
	ds_read_b128 v[50:53], v248 offset:544
	v_add_f32_e32 v2, v2, v3
	v_mul_f32_e32 v3, v37, v41
	v_fma_f32 v3, v36, v40, -v3
	v_add_f32_e32 v2, v2, v3
	s_waitcnt lgkmcnt(0)
	v_mul_f32_e32 v59, v50, v55
	v_fmac_f32_e32 v59, v51, v54
	v_add_f32_e32 v58, v58, v59
	v_mul_f32_e32 v59, v52, v57
	v_fmac_f32_e32 v59, v53, v56
	v_add_f32_e32 v66, v58, v59
	ds_read_b128 v[58:61], v248 offset:560
	v_mul_f32_e32 v3, v43, v47
	v_fma_f32 v3, v42, v46, -v3
	v_add_f32_e32 v2, v2, v3
	v_mul_f32_e32 v3, v45, v49
	s_waitcnt lgkmcnt(0)
	v_mul_f32_e32 v67, v58, v63
	v_fmac_f32_e32 v67, v59, v62
	v_add_f32_e32 v66, v66, v67
	v_mul_f32_e32 v67, v60, v65
	v_fmac_f32_e32 v67, v61, v64
	v_add_f32_e32 v74, v66, v67
	ds_read_b128 v[66:69], v248 offset:576
	v_fma_f32 v3, v44, v48, -v3
	v_add_f32_e32 v2, v2, v3
	v_mul_f32_e32 v3, v51, v55
	v_fma_f32 v3, v50, v54, -v3
	s_waitcnt lgkmcnt(0)
	v_mul_f32_e32 v75, v66, v71
	v_fmac_f32_e32 v75, v67, v70
	v_add_f32_e32 v74, v74, v75
	v_mul_f32_e32 v75, v68, v73
	v_fmac_f32_e32 v75, v69, v72
	v_add_f32_e32 v82, v74, v75
	ds_read_b128 v[74:77], v248 offset:592
	v_add_f32_e32 v2, v2, v3
	v_mul_f32_e32 v3, v53, v57
	v_fma_f32 v3, v52, v56, -v3
	v_add_f32_e32 v2, v2, v3
	s_waitcnt lgkmcnt(0)
	v_mul_f32_e32 v83, v74, v79
	v_fmac_f32_e32 v83, v75, v78
	v_add_f32_e32 v82, v82, v83
	v_mul_f32_e32 v83, v76, v81
	v_fmac_f32_e32 v83, v77, v80
	v_add_f32_e32 v90, v82, v83
	ds_read_b128 v[82:85], v248 offset:608
	v_mul_f32_e32 v3, v59, v63
	v_fma_f32 v3, v58, v62, -v3
	v_add_f32_e32 v2, v2, v3
	v_mul_f32_e32 v3, v61, v65
	;; [unrolled: 36-line block ×5, first 2 shown]
	s_waitcnt lgkmcnt(0)
	v_mul_f32_e32 v165, v156, v161
	v_fmac_f32_e32 v165, v157, v160
	v_add_f32_e32 v164, v164, v165
	v_mul_f32_e32 v165, v158, v163
	v_fmac_f32_e32 v165, v159, v162
	v_add_f32_e32 v172, v164, v165
	ds_read_b128 v[164:167], v248 offset:768
	v_fma_f32 v3, v108, v112, -v3
	v_add_f32_e32 v2, v2, v3
	v_mul_f32_e32 v3, v115, v119
	v_fma_f32 v3, v114, v118, -v3
	s_waitcnt lgkmcnt(0)
	v_mul_f32_e32 v173, v164, v169
	v_fmac_f32_e32 v173, v165, v168
	v_add_f32_e32 v189, v172, v173
	ds_read_b128 v[172:175], v248 offset:784
	scratch_load_dwordx4 v[180:183], off, off offset:368
	scratch_load_dwordx4 v[250:253], off, off offset:384
	scratch_load_dwordx4 v[184:187], off, off offset:400
	scratch_load_dwordx2 v[192:193], off, off offset:416
	v_add_f32_e32 v2, v2, v3
	v_mul_f32_e32 v3, v117, v121
	v_fma_f32 v3, v116, v120, -v3
	v_add_f32_e32 v2, v2, v3
	v_mul_f32_e32 v3, v123, v127
	v_fma_f32 v3, v122, v126, -v3
	v_add_f32_e32 v2, v2, v3
	v_mul_f32_e32 v3, v125, v129
	v_fma_f32 v3, v124, v128, -v3
	v_add_f32_e32 v2, v2, v3
	v_mul_f32_e32 v3, v131, v135
	v_fma_f32 v3, v130, v134, -v3
	v_add_f32_e32 v2, v2, v3
	v_mul_f32_e32 v3, v133, v137
	v_fma_f32 v3, v132, v136, -v3
	v_add_f32_e32 v2, v2, v3
	v_mul_f32_e32 v3, v139, v145
	v_fma_f32 v3, v138, v144, -v3
	v_add_f32_e32 v2, v2, v3
	v_mul_f32_e32 v3, v141, v147
	v_fma_f32 v3, v140, v146, -v3
	v_add_f32_e32 v2, v2, v3
	v_mul_f32_e32 v3, v149, v153
	v_fma_f32 v3, v148, v152, -v3
	v_add_f32_e32 v2, v2, v3
	v_mul_f32_e32 v3, v151, v155
	v_fma_f32 v3, v150, v154, -v3
	v_add_f32_e32 v2, v2, v3
	v_mul_f32_e32 v3, v157, v161
	v_fma_f32 v3, v156, v160, -v3
	v_add_f32_e32 v2, v2, v3
	v_mul_f32_e32 v3, v159, v163
	v_fma_f32 v3, v158, v162, -v3
	v_add_f32_e32 v2, v2, v3
	v_mul_f32_e32 v3, v165, v169
	v_fma_f32 v3, v164, v168, -v3
	v_add_f32_e32 v188, v2, v3
	v_mul_f32_e32 v2, v167, v171
	v_mul_f32_e32 v191, v166, v171
	v_fma_f32 v190, v166, v170, -v2
	s_waitcnt lgkmcnt(0)
	v_mul_f32_e32 v2, v173, v177
	v_fmac_f32_e32 v191, v167, v170
	v_mul_f32_e32 v255, v172, v177
	v_fma_f32 v254, v172, v176, -v2
	ds_read_b128 v[2:5], v248 offset:800
	ds_read_b128 v[6:9], v248 offset:816
	;; [unrolled: 1-line block ×3, first 2 shown]
	ds_read_b64 v[14:15], v248 offset:848
	v_pk_mul_f32 v[18:19], v[174:175], v[18:19] op_sel:[1,0] op_sel_hi:[0,0]
	v_fmac_f32_e32 v255, v173, v176
	v_pk_add_f32 v[16:17], v[188:189], v[190:191]
	v_pk_fma_f32 v[20:21], v[174:175], v[178:179], v[18:19] neg_lo:[0,0,1] neg_hi:[0,0,1]
	v_pk_fma_f32 v[18:19], v[174:175], v[178:179], v[18:19] op_sel_hi:[1,0,1]
	v_pk_add_f32 v[16:17], v[16:17], v[254:255]
	v_mov_b32_e32 v21, v19
	v_pk_add_f32 v[16:17], v[16:17], v[20:21]
	s_waitcnt vmcnt(3) lgkmcnt(3)
	v_pk_mul_f32 v[18:19], v[2:3], v[180:181] op_sel:[1,1] op_sel_hi:[0,1]
	v_pk_fma_f32 v[20:21], v[2:3], v[180:181], v[18:19] neg_lo:[0,0,1] neg_hi:[0,0,1]
	v_pk_fma_f32 v[2:3], v[2:3], v[180:181], v[18:19] op_sel_hi:[1,0,1]
	s_nop 0
	v_mov_b32_e32 v21, v3
	v_pk_add_f32 v[2:3], v[16:17], v[20:21]
	v_mov_b32_e32 v16, v183
	v_pk_mul_f32 v[16:17], v[4:5], v[16:17] op_sel:[1,0] op_sel_hi:[0,0]
	v_pk_fma_f32 v[18:19], v[4:5], v[182:183], v[16:17] neg_lo:[0,0,1] neg_hi:[0,0,1]
	v_pk_fma_f32 v[4:5], v[4:5], v[182:183], v[16:17] op_sel_hi:[1,0,1]
	s_nop 0
	v_mov_b32_e32 v19, v5
	s_waitcnt vmcnt(2) lgkmcnt(2)
	v_pk_mul_f32 v[4:5], v[6:7], v[250:251] op_sel:[1,1] op_sel_hi:[0,1]
	v_pk_fma_f32 v[16:17], v[6:7], v[250:251], v[4:5] neg_lo:[0,0,1] neg_hi:[0,0,1]
	v_pk_fma_f32 v[4:5], v[6:7], v[250:251], v[4:5] op_sel_hi:[1,0,1]
	v_pk_add_f32 v[2:3], v[2:3], v[18:19]
	v_mov_b32_e32 v4, v253
	v_mov_b32_e32 v17, v5
	v_pk_mul_f32 v[4:5], v[8:9], v[4:5] op_sel:[1,0] op_sel_hi:[0,0]
	v_pk_fma_f32 v[6:7], v[8:9], v[252:253], v[4:5] neg_lo:[0,0,1] neg_hi:[0,0,1]
	v_pk_fma_f32 v[4:5], v[8:9], v[252:253], v[4:5] op_sel_hi:[1,0,1]
	v_pk_add_f32 v[2:3], v[2:3], v[16:17]
	v_mov_b32_e32 v7, v5
	s_waitcnt vmcnt(1) lgkmcnt(1)
	v_pk_mul_f32 v[4:5], v[10:11], v[184:185] op_sel:[1,1] op_sel_hi:[0,1]
	v_pk_add_f32 v[2:3], v[2:3], v[6:7]
	v_pk_fma_f32 v[6:7], v[10:11], v[184:185], v[4:5] neg_lo:[0,0,1] neg_hi:[0,0,1]
	v_pk_fma_f32 v[4:5], v[10:11], v[184:185], v[4:5] op_sel_hi:[1,0,1]
	s_nop 0
	v_mov_b32_e32 v4, v187
	v_mov_b32_e32 v7, v5
	v_pk_mul_f32 v[4:5], v[12:13], v[4:5] op_sel:[1,0] op_sel_hi:[0,0]
	v_pk_add_f32 v[2:3], v[2:3], v[6:7]
	v_pk_fma_f32 v[6:7], v[12:13], v[186:187], v[4:5] neg_lo:[0,0,1] neg_hi:[0,0,1]
	v_pk_fma_f32 v[4:5], v[12:13], v[186:187], v[4:5] op_sel_hi:[1,0,1]
	s_nop 0
	v_mov_b32_e32 v7, v5
	s_waitcnt vmcnt(0) lgkmcnt(0)
	v_pk_mul_f32 v[4:5], v[14:15], v[192:193] op_sel:[1,1] op_sel_hi:[0,1]
	v_pk_add_f32 v[2:3], v[2:3], v[6:7]
	v_pk_fma_f32 v[6:7], v[14:15], v[192:193], v[4:5] neg_lo:[0,0,1] neg_hi:[0,0,1]
	v_pk_fma_f32 v[4:5], v[14:15], v[192:193], v[4:5] op_sel_hi:[1,0,1]
	s_nop 0
	v_mov_b32_e32 v7, v5
	scratch_load_dwordx2 v[4:5], off, off offset:8
	v_pk_add_f32 v[2:3], v[2:3], v[6:7]
	s_waitcnt vmcnt(0)
	v_pk_add_f32 v[2:3], v[4:5], v[2:3] neg_lo:[0,1] neg_hi:[0,1]
	scratch_store_dwordx2 off, v[2:3], off offset:8
	s_and_saveexec_b64 s[0:1], vcc
	s_cbranch_execz .LBB116_331
; %bb.330:
	scratch_load_dwordx2 v[2:3], off, off
	v_mov_b32_e32 v249, v248
	scratch_store_dwordx2 off, v[248:249], off
	s_waitcnt vmcnt(1)
	ds_write_b64 v1, v[2:3]
.LBB116_331:
	s_or_b64 exec, exec, s[0:1]
	s_waitcnt lgkmcnt(0)
	; wave barrier
	scratch_load_dwordx4 v[4:7], off, off offset:8
	scratch_load_dwordx4 v[12:15], off, off offset:24
	;; [unrolled: 1-line block ×10, first 2 shown]
	ds_read2_b64 v[0:3], v248 offset0:55 offset1:56
	ds_read2_b64 v[148:151], v248 offset0:91 offset1:92
	scratch_load_dwordx4 v[84:87], off, off offset:168
	scratch_load_dwordx4 v[92:95], off, off offset:184
	;; [unrolled: 1-line block ×12, first 2 shown]
	s_and_b64 vcc, exec, s[10:11]
	ds_read2_b64 v[156:159], v248 offset0:93 offset1:94
	ds_read2_b64 v[164:167], v248 offset0:95 offset1:96
	;; [unrolled: 1-line block ×3, first 2 shown]
	s_waitcnt vmcnt(21) lgkmcnt(4)
	v_mul_f32_e32 v8, v0, v5
	v_fmac_f32_e32 v8, v1, v4
	v_mul_f32_e32 v9, v2, v7
	v_add_f32_e32 v8, 0, v8
	v_fmac_f32_e32 v9, v3, v6
	v_add_f32_e32 v16, v8, v9
	ds_read2_b64 v[8:11], v248 offset0:57 offset1:58
	v_mul_f32_e32 v1, v1, v5
	v_fma_f32 v0, v0, v4, -v1
	v_mul_f32_e32 v1, v3, v7
	v_add_f32_e32 v0, 0, v0
	s_waitcnt vmcnt(20) lgkmcnt(0)
	v_mul_f32_e32 v17, v8, v13
	v_fmac_f32_e32 v17, v9, v12
	v_add_f32_e32 v16, v16, v17
	v_mul_f32_e32 v17, v10, v15
	v_fmac_f32_e32 v17, v11, v14
	v_add_f32_e32 v24, v16, v17
	ds_read2_b64 v[16:19], v248 offset0:59 offset1:60
	v_fma_f32 v1, v2, v6, -v1
	v_add_f32_e32 v0, v0, v1
	v_mul_f32_e32 v1, v9, v13
	v_fma_f32 v1, v8, v12, -v1
	s_waitcnt vmcnt(19) lgkmcnt(0)
	v_mul_f32_e32 v25, v16, v21
	v_fmac_f32_e32 v25, v17, v20
	v_add_f32_e32 v24, v24, v25
	v_mul_f32_e32 v25, v18, v23
	v_fmac_f32_e32 v25, v19, v22
	v_add_f32_e32 v32, v24, v25
	ds_read2_b64 v[24:27], v248 offset0:61 offset1:62
	v_add_f32_e32 v0, v0, v1
	v_mul_f32_e32 v1, v11, v15
	v_fma_f32 v1, v10, v14, -v1
	v_add_f32_e32 v0, v0, v1
	s_waitcnt vmcnt(18) lgkmcnt(0)
	v_mul_f32_e32 v33, v24, v29
	v_fmac_f32_e32 v33, v25, v28
	v_add_f32_e32 v32, v32, v33
	v_mul_f32_e32 v33, v26, v31
	v_fmac_f32_e32 v33, v27, v30
	v_add_f32_e32 v40, v32, v33
	ds_read2_b64 v[32:35], v248 offset0:63 offset1:64
	v_mul_f32_e32 v1, v17, v21
	v_fma_f32 v1, v16, v20, -v1
	v_add_f32_e32 v0, v0, v1
	v_mul_f32_e32 v1, v19, v23
	s_waitcnt vmcnt(17) lgkmcnt(0)
	v_mul_f32_e32 v41, v32, v37
	v_fmac_f32_e32 v41, v33, v36
	v_add_f32_e32 v40, v40, v41
	v_mul_f32_e32 v41, v34, v39
	v_fmac_f32_e32 v41, v35, v38
	v_add_f32_e32 v48, v40, v41
	ds_read2_b64 v[40:43], v248 offset0:65 offset1:66
	v_fma_f32 v1, v18, v22, -v1
	v_add_f32_e32 v0, v0, v1
	v_mul_f32_e32 v1, v25, v29
	v_fma_f32 v1, v24, v28, -v1
	s_waitcnt vmcnt(16) lgkmcnt(0)
	v_mul_f32_e32 v49, v40, v45
	v_fmac_f32_e32 v49, v41, v44
	v_add_f32_e32 v48, v48, v49
	v_mul_f32_e32 v49, v42, v47
	v_fmac_f32_e32 v49, v43, v46
	v_add_f32_e32 v56, v48, v49
	ds_read2_b64 v[48:51], v248 offset0:67 offset1:68
	v_add_f32_e32 v0, v0, v1
	v_mul_f32_e32 v1, v27, v31
	v_fma_f32 v1, v26, v30, -v1
	v_add_f32_e32 v0, v0, v1
	s_waitcnt vmcnt(15) lgkmcnt(0)
	v_mul_f32_e32 v57, v48, v53
	v_fmac_f32_e32 v57, v49, v52
	v_add_f32_e32 v56, v56, v57
	v_mul_f32_e32 v57, v50, v55
	v_fmac_f32_e32 v57, v51, v54
	v_add_f32_e32 v64, v56, v57
	ds_read2_b64 v[56:59], v248 offset0:69 offset1:70
	v_mul_f32_e32 v1, v33, v37
	v_fma_f32 v1, v32, v36, -v1
	v_add_f32_e32 v0, v0, v1
	v_mul_f32_e32 v1, v35, v39
	;; [unrolled: 36-line block ×5, first 2 shown]
	s_waitcnt vmcnt(5) lgkmcnt(0)
	v_mul_f32_e32 v137, v128, v133
	v_fmac_f32_e32 v137, v129, v132
	v_add_f32_e32 v136, v136, v137
	v_mul_f32_e32 v137, v130, v135
	v_fmac_f32_e32 v137, v131, v134
	v_add_f32_e32 v140, v136, v137
	ds_read2_b64 v[136:139], v248 offset0:89 offset1:90
	scratch_load_dwordx4 v[180:183], off, off offset:360
	scratch_load_dwordx4 v[184:187], off, off offset:376
	;; [unrolled: 1-line block ×4, first 2 shown]
	v_fma_f32 v1, v82, v86, -v1
	v_add_f32_e32 v0, v0, v1
	v_mul_f32_e32 v1, v89, v93
	v_fma_f32 v1, v88, v92, -v1
	v_add_f32_e32 v0, v0, v1
	v_mul_f32_e32 v1, v91, v95
	;; [unrolled: 3-line block ×12, first 2 shown]
	v_fma_f32 v1, v130, v134, -v1
	s_waitcnt vmcnt(8) lgkmcnt(0)
	v_mul_f32_e32 v141, v136, v145
	v_add_f32_e32 v0, v0, v1
	v_mul_f32_e32 v1, v137, v145
	v_fmac_f32_e32 v141, v137, v144
	v_fma_f32 v1, v136, v144, -v1
	v_add_f32_e32 v140, v140, v141
	v_mul_f32_e32 v141, v138, v147
	v_add_f32_e32 v0, v0, v1
	v_mul_f32_e32 v1, v139, v147
	v_fmac_f32_e32 v141, v139, v146
	v_fma_f32 v1, v138, v146, -v1
	v_add_f32_e32 v140, v140, v141
	s_waitcnt vmcnt(7)
	v_mul_f32_e32 v141, v148, v153
	v_add_f32_e32 v0, v0, v1
	v_mul_f32_e32 v1, v149, v153
	v_fmac_f32_e32 v141, v149, v152
	v_fma_f32 v1, v148, v152, -v1
	v_add_f32_e32 v140, v140, v141
	v_mul_f32_e32 v141, v150, v155
	v_add_f32_e32 v0, v0, v1
	v_mul_f32_e32 v1, v151, v155
	v_fmac_f32_e32 v141, v151, v154
	v_fma_f32 v1, v150, v154, -v1
	v_add_f32_e32 v140, v140, v141
	s_waitcnt vmcnt(6)
	;; [unrolled: 13-line block ×3, first 2 shown]
	v_mul_f32_e32 v141, v164, v169
	v_add_f32_e32 v0, v0, v1
	v_mul_f32_e32 v1, v165, v169
	v_fmac_f32_e32 v141, v165, v168
	v_fma_f32 v1, v164, v168, -v1
	v_add_f32_e32 v140, v140, v141
	v_mul_f32_e32 v141, v166, v171
	v_add_f32_e32 v0, v0, v1
	v_mul_f32_e32 v1, v167, v171
	v_fmac_f32_e32 v141, v167, v170
	v_fma_f32 v1, v166, v170, -v1
	v_add_f32_e32 v141, v140, v141
	v_add_f32_e32 v140, v0, v1
	s_waitcnt vmcnt(4)
	v_mul_f32_e32 v0, v173, v177
	v_fma_f32 v192, v172, v176, -v0
	v_mul_f32_e32 v0, v175, v179
	v_fma_f32 v254, v174, v178, -v0
	ds_read2_b64 v[0:3], v248 offset0:99 offset1:100
	ds_read2_b64 v[4:7], v248 offset0:101 offset1:102
	;; [unrolled: 1-line block ×4, first 2 shown]
	v_mul_f32_e32 v193, v172, v177
	v_fmac_f32_e32 v193, v173, v176
	v_mul_f32_e32 v255, v174, v179
	s_waitcnt vmcnt(3) lgkmcnt(3)
	v_pk_mul_f32 v[18:19], v[0:1], v[180:181] op_sel:[1,1] op_sel_hi:[0,1]
	v_fmac_f32_e32 v255, v175, v178
	v_pk_add_f32 v[16:17], v[140:141], v[192:193]
	v_pk_fma_f32 v[20:21], v[0:1], v[180:181], v[18:19] neg_lo:[0,0,1] neg_hi:[0,0,1]
	v_pk_fma_f32 v[0:1], v[0:1], v[180:181], v[18:19] op_sel_hi:[1,0,1]
	v_pk_add_f32 v[16:17], v[16:17], v[254:255]
	v_mov_b32_e32 v21, v1
	v_pk_add_f32 v[0:1], v[16:17], v[20:21]
	v_mov_b32_e32 v16, v183
	v_pk_mul_f32 v[16:17], v[2:3], v[16:17] op_sel:[1,0] op_sel_hi:[0,0]
	v_pk_fma_f32 v[18:19], v[2:3], v[182:183], v[16:17] neg_lo:[0,0,1] neg_hi:[0,0,1]
	v_pk_fma_f32 v[2:3], v[2:3], v[182:183], v[16:17] op_sel_hi:[1,0,1]
	s_nop 0
	v_mov_b32_e32 v19, v3
	s_waitcnt vmcnt(2) lgkmcnt(2)
	v_pk_mul_f32 v[2:3], v[4:5], v[184:185] op_sel:[1,1] op_sel_hi:[0,1]
	v_pk_fma_f32 v[16:17], v[4:5], v[184:185], v[2:3] neg_lo:[0,0,1] neg_hi:[0,0,1]
	v_pk_fma_f32 v[2:3], v[4:5], v[184:185], v[2:3] op_sel_hi:[1,0,1]
	v_pk_add_f32 v[0:1], v[0:1], v[18:19]
	v_mov_b32_e32 v2, v187
	v_mov_b32_e32 v17, v3
	v_pk_mul_f32 v[2:3], v[6:7], v[2:3] op_sel:[1,0] op_sel_hi:[0,0]
	v_pk_fma_f32 v[4:5], v[6:7], v[186:187], v[2:3] neg_lo:[0,0,1] neg_hi:[0,0,1]
	v_pk_fma_f32 v[2:3], v[6:7], v[186:187], v[2:3] op_sel_hi:[1,0,1]
	v_pk_add_f32 v[0:1], v[0:1], v[16:17]
	v_mov_b32_e32 v5, v3
	s_waitcnt vmcnt(1) lgkmcnt(1)
	v_pk_mul_f32 v[2:3], v[8:9], v[250:251] op_sel:[1,1] op_sel_hi:[0,1]
	v_pk_add_f32 v[0:1], v[0:1], v[4:5]
	v_pk_fma_f32 v[4:5], v[8:9], v[250:251], v[2:3] neg_lo:[0,0,1] neg_hi:[0,0,1]
	v_pk_fma_f32 v[2:3], v[8:9], v[250:251], v[2:3] op_sel_hi:[1,0,1]
	s_nop 0
	v_mov_b32_e32 v2, v253
	v_mov_b32_e32 v5, v3
	v_pk_mul_f32 v[2:3], v[10:11], v[2:3] op_sel:[1,0] op_sel_hi:[0,0]
	v_pk_add_f32 v[0:1], v[0:1], v[4:5]
	v_pk_fma_f32 v[4:5], v[10:11], v[252:253], v[2:3] neg_lo:[0,0,1] neg_hi:[0,0,1]
	v_pk_fma_f32 v[2:3], v[10:11], v[252:253], v[2:3] op_sel_hi:[1,0,1]
	s_nop 0
	v_mov_b32_e32 v5, v3
	s_waitcnt vmcnt(0) lgkmcnt(0)
	v_pk_mul_f32 v[2:3], v[12:13], v[188:189] op_sel:[1,1] op_sel_hi:[0,1]
	v_pk_add_f32 v[0:1], v[0:1], v[4:5]
	v_pk_fma_f32 v[4:5], v[12:13], v[188:189], v[2:3] neg_lo:[0,0,1] neg_hi:[0,0,1]
	v_pk_fma_f32 v[2:3], v[12:13], v[188:189], v[2:3] op_sel_hi:[1,0,1]
	s_nop 0
	v_mov_b32_e32 v2, v191
	v_mov_b32_e32 v5, v3
	v_pk_mul_f32 v[2:3], v[14:15], v[2:3] op_sel:[1,0] op_sel_hi:[0,0]
	v_pk_add_f32 v[0:1], v[0:1], v[4:5]
	v_pk_fma_f32 v[4:5], v[14:15], v[190:191], v[2:3] neg_lo:[0,0,1] neg_hi:[0,0,1]
	v_pk_fma_f32 v[2:3], v[14:15], v[190:191], v[2:3] op_sel_hi:[1,0,1]
	s_nop 0
	v_mov_b32_e32 v5, v3
	scratch_load_dwordx2 v[2:3], off, off
	v_pk_add_f32 v[0:1], v[0:1], v[4:5]
	s_waitcnt vmcnt(0)
	v_pk_add_f32 v[0:1], v[2:3], v[0:1] neg_lo:[0,1] neg_hi:[0,1]
	scratch_store_dwordx2 off, v[0:1], off
	s_cbranch_vccz .LBB116_436
; %bb.332:
	v_mov_b32_e32 v0, 0
	global_load_dword v1, v0, s[8:9] offset:204
	s_waitcnt vmcnt(0)
	v_readfirstlane_b32 s0, v1
	s_add_i32 s0, s0, -1
	s_cmp_lg_u32 s0, 51
	s_cbranch_scc0 .LBB116_334
; %bb.333:
	s_lshl_b32 s0, s0, 3
	s_nop 0
	scratch_load_dwordx2 v[2:3], off, s0
	scratch_load_dwordx2 v[4:5], off, off offset:408
	s_waitcnt vmcnt(1)
	scratch_store_dwordx2 off, v[2:3], off offset:408
	s_waitcnt vmcnt(1)
	scratch_store_dwordx2 off, v[4:5], s0
.LBB116_334:
	global_load_dword v0, v0, s[8:9] offset:200
	s_waitcnt vmcnt(0)
	v_readfirstlane_b32 s0, v0
	s_add_i32 s0, s0, -1
	s_cmp_eq_u32 s0, 50
	s_cbranch_scc1 .LBB116_336
; %bb.335:
	s_lshl_b32 s0, s0, 3
	s_nop 0
	scratch_load_dwordx2 v[0:1], off, s0
	scratch_load_dwordx2 v[2:3], off, off offset:400
	s_waitcnt vmcnt(1)
	scratch_store_dwordx2 off, v[0:1], off offset:400
	s_waitcnt vmcnt(1)
	scratch_store_dwordx2 off, v[2:3], s0
.LBB116_336:
	v_mov_b32_e32 v0, 0
	global_load_dword v1, v0, s[8:9] offset:196
	s_waitcnt vmcnt(0)
	v_readfirstlane_b32 s0, v1
	s_add_i32 s0, s0, -1
	s_cmp_eq_u32 s0, 49
	s_cbranch_scc1 .LBB116_338
; %bb.337:
	s_lshl_b32 s0, s0, 3
	s_nop 0
	scratch_load_dwordx2 v[2:3], off, s0
	scratch_load_dwordx2 v[4:5], off, off offset:392
	s_waitcnt vmcnt(1)
	scratch_store_dwordx2 off, v[2:3], off offset:392
	s_waitcnt vmcnt(1)
	scratch_store_dwordx2 off, v[4:5], s0
.LBB116_338:
	global_load_dword v0, v0, s[8:9] offset:192
	s_waitcnt vmcnt(0)
	v_readfirstlane_b32 s0, v0
	s_add_i32 s0, s0, -1
	s_cmp_eq_u32 s0, 48
	s_cbranch_scc1 .LBB116_340
; %bb.339:
	s_lshl_b32 s0, s0, 3
	s_nop 0
	scratch_load_dwordx2 v[0:1], off, s0
	scratch_load_dwordx2 v[2:3], off, off offset:384
	s_waitcnt vmcnt(1)
	scratch_store_dwordx2 off, v[0:1], off offset:384
	s_waitcnt vmcnt(1)
	scratch_store_dwordx2 off, v[2:3], s0
.LBB116_340:
	v_mov_b32_e32 v0, 0
	global_load_dword v1, v0, s[8:9] offset:188
	s_waitcnt vmcnt(0)
	v_readfirstlane_b32 s0, v1
	s_add_i32 s0, s0, -1
	s_cmp_eq_u32 s0, 47
	s_cbranch_scc1 .LBB116_342
; %bb.341:
	s_lshl_b32 s0, s0, 3
	s_nop 0
	scratch_load_dwordx2 v[2:3], off, s0
	scratch_load_dwordx2 v[4:5], off, off offset:376
	s_waitcnt vmcnt(1)
	scratch_store_dwordx2 off, v[2:3], off offset:376
	s_waitcnt vmcnt(1)
	scratch_store_dwordx2 off, v[4:5], s0
.LBB116_342:
	;; [unrolled: 33-line block ×25, first 2 shown]
	global_load_dword v2, v0, s[8:9]
	s_nop 0
	scratch_load_dwordx2 v[0:1], off, off
	s_waitcnt vmcnt(1)
	v_readfirstlane_b32 s0, v2
	s_add_i32 s0, s0, -1
	s_cmp_eq_u32 s0, 0
	s_cbranch_scc1 .LBB116_436
; %bb.435:
	s_lshl_b32 s0, s0, 3
	s_nop 0
	scratch_load_dwordx2 v[2:3], off, s0
	s_waitcnt vmcnt(0)
	scratch_store_dwordx2 off, v[2:3], off
	scratch_store_dwordx2 off, v[0:1], s0
	scratch_load_dwordx2 v[0:1], off, off
.LBB116_436:
	s_waitcnt vmcnt(0)
	flat_store_dwordx2 v[142:143], v[0:1]
	scratch_load_dwordx2 v[0:1], off, off offset:8
	v_accvgpr_read_b32 v3, a1
	v_accvgpr_read_b32 v2, a0
	s_waitcnt vmcnt(0)
	flat_store_dwordx2 v[2:3], v[0:1]
	scratch_load_dwordx2 v[0:1], off, off offset:16
	v_accvgpr_read_b32 v2, a2
	v_accvgpr_read_b32 v3, a3
	;; [unrolled: 5-line block ×25, first 2 shown]
	s_waitcnt vmcnt(0)
	flat_store_dwordx2 v[2:3], v[0:1]
	scratch_load_dwordx2 v[0:1], off, off offset:208
	s_waitcnt vmcnt(0)
	flat_store_dwordx2 v[194:195], v[0:1]
	scratch_load_dwordx2 v[0:1], off, off offset:216
	;; [unrolled: 3-line block ×27, first 2 shown]
	s_waitcnt vmcnt(0)
	flat_store_dwordx2 v[246:247], v[0:1]
	s_endpgm
	.section	.rodata,"a",@progbits
	.p2align	6, 0x0
	.amdhsa_kernel _ZN9rocsolver6v33100L18getri_kernel_smallILi53E19rocblas_complex_numIfEPKPS3_EEvT1_iilPiilS8_bb
		.amdhsa_group_segment_fixed_size 856
		.amdhsa_private_segment_fixed_size 432
		.amdhsa_kernarg_size 60
		.amdhsa_user_sgpr_count 2
		.amdhsa_user_sgpr_dispatch_ptr 0
		.amdhsa_user_sgpr_queue_ptr 0
		.amdhsa_user_sgpr_kernarg_segment_ptr 1
		.amdhsa_user_sgpr_dispatch_id 0
		.amdhsa_user_sgpr_kernarg_preload_length 0
		.amdhsa_user_sgpr_kernarg_preload_offset 0
		.amdhsa_user_sgpr_private_segment_size 0
		.amdhsa_uses_dynamic_stack 0
		.amdhsa_enable_private_segment 1
		.amdhsa_system_sgpr_workgroup_id_x 1
		.amdhsa_system_sgpr_workgroup_id_y 0
		.amdhsa_system_sgpr_workgroup_id_z 0
		.amdhsa_system_sgpr_workgroup_info 0
		.amdhsa_system_vgpr_workitem_id 0
		.amdhsa_next_free_vgpr 306
		.amdhsa_next_free_sgpr 17
		.amdhsa_accum_offset 256
		.amdhsa_reserve_vcc 1
		.amdhsa_float_round_mode_32 0
		.amdhsa_float_round_mode_16_64 0
		.amdhsa_float_denorm_mode_32 3
		.amdhsa_float_denorm_mode_16_64 3
		.amdhsa_dx10_clamp 1
		.amdhsa_ieee_mode 1
		.amdhsa_fp16_overflow 0
		.amdhsa_tg_split 0
		.amdhsa_exception_fp_ieee_invalid_op 0
		.amdhsa_exception_fp_denorm_src 0
		.amdhsa_exception_fp_ieee_div_zero 0
		.amdhsa_exception_fp_ieee_overflow 0
		.amdhsa_exception_fp_ieee_underflow 0
		.amdhsa_exception_fp_ieee_inexact 0
		.amdhsa_exception_int_div_zero 0
	.end_amdhsa_kernel
	.section	.text._ZN9rocsolver6v33100L18getri_kernel_smallILi53E19rocblas_complex_numIfEPKPS3_EEvT1_iilPiilS8_bb,"axG",@progbits,_ZN9rocsolver6v33100L18getri_kernel_smallILi53E19rocblas_complex_numIfEPKPS3_EEvT1_iilPiilS8_bb,comdat
.Lfunc_end116:
	.size	_ZN9rocsolver6v33100L18getri_kernel_smallILi53E19rocblas_complex_numIfEPKPS3_EEvT1_iilPiilS8_bb, .Lfunc_end116-_ZN9rocsolver6v33100L18getri_kernel_smallILi53E19rocblas_complex_numIfEPKPS3_EEvT1_iilPiilS8_bb
                                        ; -- End function
	.set _ZN9rocsolver6v33100L18getri_kernel_smallILi53E19rocblas_complex_numIfEPKPS3_EEvT1_iilPiilS8_bb.num_vgpr, 256
	.set _ZN9rocsolver6v33100L18getri_kernel_smallILi53E19rocblas_complex_numIfEPKPS3_EEvT1_iilPiilS8_bb.num_agpr, 50
	.set _ZN9rocsolver6v33100L18getri_kernel_smallILi53E19rocblas_complex_numIfEPKPS3_EEvT1_iilPiilS8_bb.numbered_sgpr, 17
	.set _ZN9rocsolver6v33100L18getri_kernel_smallILi53E19rocblas_complex_numIfEPKPS3_EEvT1_iilPiilS8_bb.num_named_barrier, 0
	.set _ZN9rocsolver6v33100L18getri_kernel_smallILi53E19rocblas_complex_numIfEPKPS3_EEvT1_iilPiilS8_bb.private_seg_size, 432
	.set _ZN9rocsolver6v33100L18getri_kernel_smallILi53E19rocblas_complex_numIfEPKPS3_EEvT1_iilPiilS8_bb.uses_vcc, 1
	.set _ZN9rocsolver6v33100L18getri_kernel_smallILi53E19rocblas_complex_numIfEPKPS3_EEvT1_iilPiilS8_bb.uses_flat_scratch, 0
	.set _ZN9rocsolver6v33100L18getri_kernel_smallILi53E19rocblas_complex_numIfEPKPS3_EEvT1_iilPiilS8_bb.has_dyn_sized_stack, 0
	.set _ZN9rocsolver6v33100L18getri_kernel_smallILi53E19rocblas_complex_numIfEPKPS3_EEvT1_iilPiilS8_bb.has_recursion, 0
	.set _ZN9rocsolver6v33100L18getri_kernel_smallILi53E19rocblas_complex_numIfEPKPS3_EEvT1_iilPiilS8_bb.has_indirect_call, 0
	.section	.AMDGPU.csdata,"",@progbits
; Kernel info:
; codeLenInByte = 81664
; TotalNumSgprs: 23
; NumVgprs: 256
; NumAgprs: 50
; TotalNumVgprs: 306
; ScratchSize: 432
; MemoryBound: 0
; FloatMode: 240
; IeeeMode: 1
; LDSByteSize: 856 bytes/workgroup (compile time only)
; SGPRBlocks: 2
; VGPRBlocks: 38
; NumSGPRsForWavesPerEU: 23
; NumVGPRsForWavesPerEU: 306
; AccumOffset: 256
; Occupancy: 1
; WaveLimiterHint : 1
; COMPUTE_PGM_RSRC2:SCRATCH_EN: 1
; COMPUTE_PGM_RSRC2:USER_SGPR: 2
; COMPUTE_PGM_RSRC2:TRAP_HANDLER: 0
; COMPUTE_PGM_RSRC2:TGID_X_EN: 1
; COMPUTE_PGM_RSRC2:TGID_Y_EN: 0
; COMPUTE_PGM_RSRC2:TGID_Z_EN: 0
; COMPUTE_PGM_RSRC2:TIDIG_COMP_CNT: 0
; COMPUTE_PGM_RSRC3_GFX90A:ACCUM_OFFSET: 63
; COMPUTE_PGM_RSRC3_GFX90A:TG_SPLIT: 0
	.section	.text._ZN9rocsolver6v33100L18getri_kernel_smallILi54E19rocblas_complex_numIfEPKPS3_EEvT1_iilPiilS8_bb,"axG",@progbits,_ZN9rocsolver6v33100L18getri_kernel_smallILi54E19rocblas_complex_numIfEPKPS3_EEvT1_iilPiilS8_bb,comdat
	.globl	_ZN9rocsolver6v33100L18getri_kernel_smallILi54E19rocblas_complex_numIfEPKPS3_EEvT1_iilPiilS8_bb ; -- Begin function _ZN9rocsolver6v33100L18getri_kernel_smallILi54E19rocblas_complex_numIfEPKPS3_EEvT1_iilPiilS8_bb
	.p2align	8
	.type	_ZN9rocsolver6v33100L18getri_kernel_smallILi54E19rocblas_complex_numIfEPKPS3_EEvT1_iilPiilS8_bb,@function
_ZN9rocsolver6v33100L18getri_kernel_smallILi54E19rocblas_complex_numIfEPKPS3_EEvT1_iilPiilS8_bb: ; @_ZN9rocsolver6v33100L18getri_kernel_smallILi54E19rocblas_complex_numIfEPKPS3_EEvT1_iilPiilS8_bb
; %bb.0:
	v_cmp_gt_u32_e32 vcc, 54, v0
	s_and_saveexec_b64 s[4:5], vcc
	s_cbranch_execz .LBB117_230
; %bb.1:
	s_load_dword s14, s[0:1], 0x38
	s_load_dwordx2 s[8:9], s[0:1], 0x0
	s_load_dwordx4 s[4:7], s[0:1], 0x28
	s_waitcnt lgkmcnt(0)
	s_bitcmp1_b32 s14, 8
	s_cselect_b64 s[10:11], -1, 0
	s_ashr_i32 s3, s2, 31
	s_lshl_b64 s[12:13], s[2:3], 3
	s_add_u32 s8, s8, s12
	s_addc_u32 s9, s9, s13
	s_load_dwordx2 s[12:13], s[8:9], 0x0
	s_bfe_u32 s8, s14, 0x10008
	s_cmp_eq_u32 s8, 0
                                        ; implicit-def: $sgpr8_sgpr9
	s_cbranch_scc1 .LBB117_3
; %bb.2:
	s_load_dword s8, s[0:1], 0x20
	s_load_dwordx2 s[14:15], s[0:1], 0x18
	s_mul_i32 s9, s4, s3
	s_mul_hi_u32 s16, s4, s2
	s_add_i32 s16, s16, s9
	s_mul_i32 s5, s5, s2
	s_add_i32 s5, s16, s5
	s_mul_i32 s4, s4, s2
	s_waitcnt lgkmcnt(0)
	s_ashr_i32 s9, s8, 31
	s_lshl_b64 s[4:5], s[4:5], 2
	s_add_u32 s14, s14, s4
	s_addc_u32 s15, s15, s5
	s_lshl_b64 s[4:5], s[8:9], 2
	s_add_u32 s8, s14, s4
	s_addc_u32 s9, s15, s5
.LBB117_3:
	s_load_dwordx2 s[4:5], s[0:1], 0x8
	s_load_dword s14, s[0:1], 0x38
	v_lshlrev_b32_e32 v2, 3, v0
	v_mov_b32_e32 v3, 0
	s_waitcnt lgkmcnt(0)
	s_ashr_i32 s1, s4, 31
	s_mov_b32 s0, s4
	s_lshl_b64 s[0:1], s[0:1], 3
	s_add_u32 s0, s12, s0
	s_addc_u32 s1, s13, s1
	v_lshl_add_u64 v[148:149], s[0:1], 0, v[2:3]
	flat_load_dwordx2 v[4:5], v[148:149]
	s_mov_b32 s12, s5
	s_ashr_i32 s13, s5, 31
	v_lshl_add_u64 v[6:7], s[12:13], 3, v[148:149]
	v_accvgpr_write_b32 a0, v6
	s_add_i32 s4, s5, s5
	v_accvgpr_write_b32 a1, v7
	s_bitcmp0_b32 s14, 0
	s_waitcnt vmcnt(0) lgkmcnt(0)
	scratch_store_dwordx2 off, v[4:5], off
	flat_load_dwordx2 v[4:5], v[6:7]
	v_add_u32_e32 v6, s4, v0
	v_ashrrev_i32_e32 v7, 31, v6
	v_lshl_add_u64 v[8:9], v[6:7], 3, s[0:1]
	v_add_u32_e32 v6, s5, v6
	v_accvgpr_write_b32 a2, v8
	v_ashrrev_i32_e32 v7, 31, v6
	v_accvgpr_write_b32 a3, v9
	s_waitcnt vmcnt(0) lgkmcnt(0)
	scratch_store_dwordx2 off, v[4:5], off offset:8
	flat_load_dwordx2 v[4:5], v[8:9]
	v_lshl_add_u64 v[8:9], v[6:7], 3, s[0:1]
	v_add_u32_e32 v6, s5, v6
	v_accvgpr_write_b32 a4, v8
	v_ashrrev_i32_e32 v7, 31, v6
	v_accvgpr_write_b32 a5, v9
	s_waitcnt vmcnt(0) lgkmcnt(0)
	scratch_store_dwordx2 off, v[4:5], off offset:16
	flat_load_dwordx2 v[4:5], v[8:9]
	v_lshl_add_u64 v[8:9], v[6:7], 3, s[0:1]
	v_add_u32_e32 v6, s5, v6
	v_accvgpr_write_b32 a6, v8
	v_ashrrev_i32_e32 v7, 31, v6
	v_accvgpr_write_b32 a7, v9
	s_waitcnt vmcnt(0) lgkmcnt(0)
	scratch_store_dwordx2 off, v[4:5], off offset:24
	flat_load_dwordx2 v[4:5], v[8:9]
	v_lshl_add_u64 v[8:9], v[6:7], 3, s[0:1]
	v_add_u32_e32 v6, s5, v6
	v_accvgpr_write_b32 a8, v8
	v_ashrrev_i32_e32 v7, 31, v6
	v_accvgpr_write_b32 a9, v9
	s_waitcnt vmcnt(0) lgkmcnt(0)
	scratch_store_dwordx2 off, v[4:5], off offset:32
	flat_load_dwordx2 v[4:5], v[8:9]
	v_lshl_add_u64 v[8:9], v[6:7], 3, s[0:1]
	v_add_u32_e32 v6, s5, v6
	v_accvgpr_write_b32 a11, v9
	v_ashrrev_i32_e32 v7, 31, v6
	v_accvgpr_write_b32 a10, v8
	s_waitcnt vmcnt(0) lgkmcnt(0)
	scratch_store_dwordx2 off, v[4:5], off offset:40
	flat_load_dwordx2 v[4:5], v[8:9]
	v_lshl_add_u64 v[8:9], v[6:7], 3, s[0:1]
	v_add_u32_e32 v6, s5, v6
	v_accvgpr_write_b32 a13, v9
	v_ashrrev_i32_e32 v7, 31, v6
	v_accvgpr_write_b32 a12, v8
	s_waitcnt vmcnt(0) lgkmcnt(0)
	scratch_store_dwordx2 off, v[4:5], off offset:48
	flat_load_dwordx2 v[4:5], v[8:9]
	v_lshl_add_u64 v[8:9], v[6:7], 3, s[0:1]
	v_add_u32_e32 v6, s5, v6
	v_accvgpr_write_b32 a15, v9
	v_ashrrev_i32_e32 v7, 31, v6
	v_accvgpr_write_b32 a14, v8
	s_waitcnt vmcnt(0) lgkmcnt(0)
	scratch_store_dwordx2 off, v[4:5], off offset:56
	flat_load_dwordx2 v[4:5], v[8:9]
	v_lshl_add_u64 v[8:9], v[6:7], 3, s[0:1]
	v_add_u32_e32 v6, s5, v6
	v_accvgpr_write_b32 a17, v9
	v_ashrrev_i32_e32 v7, 31, v6
	v_accvgpr_write_b32 a16, v8
	s_waitcnt vmcnt(0) lgkmcnt(0)
	scratch_store_dwordx2 off, v[4:5], off offset:64
	flat_load_dwordx2 v[4:5], v[8:9]
	v_lshl_add_u64 v[8:9], v[6:7], 3, s[0:1]
	v_add_u32_e32 v6, s5, v6
	v_accvgpr_write_b32 a19, v9
	v_ashrrev_i32_e32 v7, 31, v6
	v_accvgpr_write_b32 a18, v8
	s_waitcnt vmcnt(0) lgkmcnt(0)
	scratch_store_dwordx2 off, v[4:5], off offset:72
	flat_load_dwordx2 v[4:5], v[8:9]
	v_lshl_add_u64 v[8:9], v[6:7], 3, s[0:1]
	v_add_u32_e32 v6, s5, v6
	v_accvgpr_write_b32 a21, v9
	v_ashrrev_i32_e32 v7, 31, v6
	v_accvgpr_write_b32 a20, v8
	s_waitcnt vmcnt(0) lgkmcnt(0)
	scratch_store_dwordx2 off, v[4:5], off offset:80
	flat_load_dwordx2 v[4:5], v[8:9]
	v_lshl_add_u64 v[8:9], v[6:7], 3, s[0:1]
	v_add_u32_e32 v6, s5, v6
	v_accvgpr_write_b32 a23, v9
	v_ashrrev_i32_e32 v7, 31, v6
	v_accvgpr_write_b32 a22, v8
	s_waitcnt vmcnt(0) lgkmcnt(0)
	scratch_store_dwordx2 off, v[4:5], off offset:88
	flat_load_dwordx2 v[4:5], v[8:9]
	v_lshl_add_u64 v[8:9], v[6:7], 3, s[0:1]
	v_add_u32_e32 v6, s5, v6
	v_accvgpr_write_b32 a25, v9
	v_ashrrev_i32_e32 v7, 31, v6
	v_accvgpr_write_b32 a24, v8
	s_waitcnt vmcnt(0) lgkmcnt(0)
	scratch_store_dwordx2 off, v[4:5], off offset:96
	flat_load_dwordx2 v[4:5], v[8:9]
	v_lshl_add_u64 v[8:9], v[6:7], 3, s[0:1]
	v_add_u32_e32 v6, s5, v6
	v_accvgpr_write_b32 a27, v9
	v_ashrrev_i32_e32 v7, 31, v6
	v_accvgpr_write_b32 a26, v8
	s_waitcnt vmcnt(0) lgkmcnt(0)
	scratch_store_dwordx2 off, v[4:5], off offset:104
	flat_load_dwordx2 v[4:5], v[8:9]
	v_lshl_add_u64 v[8:9], v[6:7], 3, s[0:1]
	v_add_u32_e32 v6, s5, v6
	v_accvgpr_write_b32 a29, v9
	v_ashrrev_i32_e32 v7, 31, v6
	v_accvgpr_write_b32 a28, v8
	s_waitcnt vmcnt(0) lgkmcnt(0)
	scratch_store_dwordx2 off, v[4:5], off offset:112
	flat_load_dwordx2 v[4:5], v[8:9]
	v_lshl_add_u64 v[8:9], v[6:7], 3, s[0:1]
	v_add_u32_e32 v6, s5, v6
	v_accvgpr_write_b32 a31, v9
	v_ashrrev_i32_e32 v7, 31, v6
	v_accvgpr_write_b32 a30, v8
	s_waitcnt vmcnt(0) lgkmcnt(0)
	scratch_store_dwordx2 off, v[4:5], off offset:120
	flat_load_dwordx2 v[4:5], v[8:9]
	v_lshl_add_u64 v[8:9], v[6:7], 3, s[0:1]
	v_add_u32_e32 v6, s5, v6
	v_accvgpr_write_b32 a33, v9
	v_ashrrev_i32_e32 v7, 31, v6
	v_accvgpr_write_b32 a32, v8
	s_waitcnt vmcnt(0) lgkmcnt(0)
	scratch_store_dwordx2 off, v[4:5], off offset:128
	flat_load_dwordx2 v[4:5], v[8:9]
	v_lshl_add_u64 v[8:9], v[6:7], 3, s[0:1]
	v_add_u32_e32 v6, s5, v6
	v_accvgpr_write_b32 a35, v9
	v_ashrrev_i32_e32 v7, 31, v6
	v_accvgpr_write_b32 a34, v8
	s_waitcnt vmcnt(0) lgkmcnt(0)
	scratch_store_dwordx2 off, v[4:5], off offset:136
	flat_load_dwordx2 v[4:5], v[8:9]
	v_lshl_add_u64 v[8:9], v[6:7], 3, s[0:1]
	v_add_u32_e32 v6, s5, v6
	v_accvgpr_write_b32 a37, v9
	v_ashrrev_i32_e32 v7, 31, v6
	v_accvgpr_write_b32 a36, v8
	s_waitcnt vmcnt(0) lgkmcnt(0)
	scratch_store_dwordx2 off, v[4:5], off offset:144
	flat_load_dwordx2 v[4:5], v[8:9]
	v_lshl_add_u64 v[8:9], v[6:7], 3, s[0:1]
	v_add_u32_e32 v6, s5, v6
	v_accvgpr_write_b32 a39, v9
	v_ashrrev_i32_e32 v7, 31, v6
	v_accvgpr_write_b32 a38, v8
	s_waitcnt vmcnt(0) lgkmcnt(0)
	scratch_store_dwordx2 off, v[4:5], off offset:152
	flat_load_dwordx2 v[4:5], v[8:9]
	v_lshl_add_u64 v[8:9], v[6:7], 3, s[0:1]
	v_add_u32_e32 v6, s5, v6
	v_accvgpr_write_b32 a41, v9
	v_ashrrev_i32_e32 v7, 31, v6
	v_accvgpr_write_b32 a40, v8
	s_waitcnt vmcnt(0) lgkmcnt(0)
	scratch_store_dwordx2 off, v[4:5], off offset:160
	flat_load_dwordx2 v[4:5], v[8:9]
	v_lshl_add_u64 v[8:9], v[6:7], 3, s[0:1]
	v_add_u32_e32 v6, s5, v6
	v_accvgpr_write_b32 a43, v9
	v_ashrrev_i32_e32 v7, 31, v6
	v_accvgpr_write_b32 a42, v8
	s_waitcnt vmcnt(0) lgkmcnt(0)
	scratch_store_dwordx2 off, v[4:5], off offset:168
	flat_load_dwordx2 v[4:5], v[8:9]
	v_lshl_add_u64 v[8:9], v[6:7], 3, s[0:1]
	v_add_u32_e32 v6, s5, v6
	v_accvgpr_write_b32 a45, v9
	v_ashrrev_i32_e32 v7, 31, v6
	v_accvgpr_write_b32 a44, v8
	s_waitcnt vmcnt(0) lgkmcnt(0)
	scratch_store_dwordx2 off, v[4:5], off offset:176
	flat_load_dwordx2 v[4:5], v[8:9]
	v_lshl_add_u64 v[8:9], v[6:7], 3, s[0:1]
	v_add_u32_e32 v6, s5, v6
	v_accvgpr_write_b32 a47, v9
	v_ashrrev_i32_e32 v7, 31, v6
	v_accvgpr_write_b32 a46, v8
	s_waitcnt vmcnt(0) lgkmcnt(0)
	scratch_store_dwordx2 off, v[4:5], off offset:184
	flat_load_dwordx2 v[4:5], v[8:9]
	v_lshl_add_u64 v[8:9], v[6:7], 3, s[0:1]
	v_add_u32_e32 v6, s5, v6
	v_accvgpr_write_b32 a49, v9
	v_ashrrev_i32_e32 v7, 31, v6
	v_accvgpr_write_b32 a48, v8
	s_waitcnt vmcnt(0) lgkmcnt(0)
	scratch_store_dwordx2 off, v[4:5], off offset:192
	flat_load_dwordx2 v[4:5], v[8:9]
	v_lshl_add_u64 v[8:9], v[6:7], 3, s[0:1]
	v_add_u32_e32 v6, s5, v6
	v_accvgpr_write_b32 a51, v9
	v_ashrrev_i32_e32 v7, 31, v6
	v_accvgpr_write_b32 a50, v8
	s_waitcnt vmcnt(0) lgkmcnt(0)
	scratch_store_dwordx2 off, v[4:5], off offset:200
	flat_load_dwordx2 v[4:5], v[8:9]
	v_lshl_add_u64 v[8:9], v[6:7], 3, s[0:1]
	v_add_u32_e32 v6, s5, v6
	v_accvgpr_write_b32 a53, v9
	v_ashrrev_i32_e32 v7, 31, v6
	v_accvgpr_write_b32 a52, v8
	s_waitcnt vmcnt(0) lgkmcnt(0)
	scratch_store_dwordx2 off, v[4:5], off offset:208
	flat_load_dwordx2 v[4:5], v[8:9]
	v_lshl_add_u64 v[8:9], v[6:7], 3, s[0:1]
	v_add_u32_e32 v6, s5, v6
	v_accvgpr_write_b32 a55, v9
	v_ashrrev_i32_e32 v7, 31, v6
	v_accvgpr_write_b32 a54, v8
	s_waitcnt vmcnt(0) lgkmcnt(0)
	scratch_store_dwordx2 off, v[4:5], off offset:216
	flat_load_dwordx2 v[4:5], v[8:9]
	v_lshl_add_u64 v[8:9], v[6:7], 3, s[0:1]
	v_add_u32_e32 v6, s5, v6
	v_ashrrev_i32_e32 v7, 31, v6
	v_lshl_add_u64 v[208:209], v[6:7], 3, s[0:1]
	v_add_u32_e32 v6, s5, v6
	v_ashrrev_i32_e32 v7, 31, v6
	;; [unrolled: 3-line block ×24, first 2 shown]
	v_lshl_add_u64 v[254:255], v[6:7], 3, s[0:1]
	v_accvgpr_write_b32 a57, v9
	v_accvgpr_write_b32 a56, v8
	s_mov_b64 s[4:5], -1
	s_waitcnt vmcnt(0) lgkmcnt(0)
	scratch_store_dwordx2 off, v[4:5], off offset:224
	flat_load_dwordx2 v[4:5], v[8:9]
	s_waitcnt vmcnt(0) lgkmcnt(0)
	scratch_store_dwordx2 off, v[4:5], off offset:232
	flat_load_dwordx2 v[4:5], v[208:209]
	;; [unrolled: 3-line block ×25, first 2 shown]
	s_waitcnt vmcnt(0) lgkmcnt(0)
	scratch_store_dwordx2 off, v[4:5], off offset:424
	s_cbranch_scc1 .LBB117_228
; %bb.4:
	v_cmp_eq_u32_e64 s[0:1], 0, v0
	s_and_saveexec_b64 s[4:5], s[0:1]
; %bb.5:
	v_mov_b32_e32 v1, 0
	ds_write_b32 v1, v1 offset:864
; %bb.6:
	s_or_b64 exec, exec, s[4:5]
	s_waitcnt lgkmcnt(0)
	; wave barrier
	scratch_load_dwordx2 v[4:5], v2, off
	s_waitcnt vmcnt(0)
	v_cmp_eq_f32_e32 vcc, 0, v4
	v_cmp_eq_f32_e64 s[4:5], 0, v5
	s_and_b64 s[4:5], vcc, s[4:5]
	s_and_saveexec_b64 s[12:13], s[4:5]
	s_cbranch_execz .LBB117_10
; %bb.7:
	v_mov_b32_e32 v1, 0
	ds_read_b32 v4, v1 offset:864
	v_add_u32_e32 v3, 1, v0
	s_waitcnt lgkmcnt(0)
	v_readfirstlane_b32 s4, v4
	s_cmp_eq_u32 s4, 0
	s_cselect_b64 s[14:15], -1, 0
	v_cmp_gt_i32_e32 vcc, s4, v3
	s_or_b64 s[14:15], s[14:15], vcc
	s_and_b64 exec, exec, s[14:15]
	s_cbranch_execz .LBB117_10
; %bb.8:
	s_mov_b64 s[14:15], 0
	v_mov_b32_e32 v4, s4
.LBB117_9:                              ; =>This Inner Loop Header: Depth=1
	ds_cmpst_rtn_b32 v4, v1, v4, v3 offset:864
	s_waitcnt lgkmcnt(0)
	v_cmp_ne_u32_e32 vcc, 0, v4
	v_cmp_le_i32_e64 s[4:5], v4, v3
	s_and_b64 s[4:5], vcc, s[4:5]
	s_and_b64 s[4:5], exec, s[4:5]
	s_or_b64 s[14:15], s[4:5], s[14:15]
	s_andn2_b64 exec, exec, s[14:15]
	s_cbranch_execnz .LBB117_9
.LBB117_10:
	s_or_b64 exec, exec, s[12:13]
	v_mov_b32_e32 v3, 0
	; wave barrier
	ds_read_b32 v1, v3 offset:864
	s_and_saveexec_b64 s[4:5], s[0:1]
	s_cbranch_execz .LBB117_12
; %bb.11:
	s_lshl_b64 s[12:13], s[2:3], 2
	s_add_u32 s12, s6, s12
	s_addc_u32 s13, s7, s13
	s_waitcnt lgkmcnt(0)
	global_store_dword v3, v1, s[12:13]
.LBB117_12:
	s_or_b64 exec, exec, s[4:5]
	s_waitcnt lgkmcnt(0)
	v_cmp_ne_u32_e32 vcc, 0, v1
	s_mov_b64 s[4:5], 0
	s_cbranch_vccnz .LBB117_228
; %bb.13:
	v_mov_b32_e32 v3, v2
	scratch_load_dwordx2 v[4:5], v3, off
                                        ; implicit-def: $vgpr7
                                        ; implicit-def: $vgpr8
	s_waitcnt vmcnt(0)
	v_cmp_ngt_f32_e64 s[4:5], |v4|, |v5|
	s_and_saveexec_b64 s[12:13], s[4:5]
	s_xor_b64 s[4:5], exec, s[12:13]
	s_cbranch_execz .LBB117_15
; %bb.14:
	v_div_scale_f32 v1, s[12:13], v5, v5, v4
	v_rcp_f32_e32 v6, v1
	v_div_scale_f32 v7, vcc, v4, v5, v4
	v_fma_f32 v8, -v1, v6, 1.0
	v_fmac_f32_e32 v6, v8, v6
	v_mul_f32_e32 v8, v7, v6
	v_fma_f32 v9, -v1, v8, v7
	v_fmac_f32_e32 v8, v9, v6
	v_fma_f32 v1, -v1, v8, v7
	v_div_fmas_f32 v1, v1, v6, v8
	v_div_fixup_f32 v1, v1, v5, v4
	v_fmac_f32_e32 v5, v4, v1
	v_div_scale_f32 v4, s[12:13], v5, v5, -1.0
	v_rcp_f32_e32 v6, v4
	s_nop 0
	v_fma_f32 v7, -v4, v6, 1.0
	v_fmac_f32_e32 v6, v7, v6
	v_div_scale_f32 v7, vcc, -1.0, v5, -1.0
	v_mul_f32_e32 v8, v7, v6
	v_fma_f32 v9, -v4, v8, v7
	v_fmac_f32_e32 v8, v9, v6
	v_fma_f32 v4, -v4, v8, v7
	v_div_fmas_f32 v4, v4, v6, v8
	v_div_fixup_f32 v7, v4, v5, -1.0
	v_mul_f32_e32 v8, v1, v7
	v_xor_b32_e32 v6, 0x80000000, v8
                                        ; implicit-def: $vgpr4_vgpr5
.LBB117_15:
	s_andn2_saveexec_b64 s[4:5], s[4:5]
	s_cbranch_execz .LBB117_17
; %bb.16:
	v_div_scale_f32 v1, s[12:13], v4, v4, v5
	v_rcp_f32_e32 v6, v1
	v_div_scale_f32 v7, vcc, v5, v4, v5
	v_fma_f32 v8, -v1, v6, 1.0
	v_fmac_f32_e32 v6, v8, v6
	v_mul_f32_e32 v8, v7, v6
	v_fma_f32 v9, -v1, v8, v7
	v_fmac_f32_e32 v8, v9, v6
	v_fma_f32 v1, -v1, v8, v7
	v_div_fmas_f32 v1, v1, v6, v8
	v_div_fixup_f32 v1, v1, v4, v5
	v_fmac_f32_e32 v4, v5, v1
	v_div_scale_f32 v5, s[12:13], v4, v4, 1.0
	v_rcp_f32_e32 v6, v5
	s_nop 0
	v_fma_f32 v7, -v5, v6, 1.0
	v_fmac_f32_e32 v6, v7, v6
	v_div_scale_f32 v7, vcc, 1.0, v4, 1.0
	v_mul_f32_e32 v8, v7, v6
	v_fma_f32 v9, -v5, v8, v7
	v_fmac_f32_e32 v8, v9, v6
	v_fma_f32 v5, -v5, v8, v7
	v_div_fmas_f32 v5, v5, v6, v8
	v_div_fixup_f32 v6, v5, v4, 1.0
	v_xor_b32_e32 v8, 0x80000000, v6
	v_mul_f32_e64 v7, v1, -v6
.LBB117_17:
	s_or_b64 exec, exec, s[4:5]
	scratch_store_dwordx2 v3, v[6:7], off
	scratch_load_dwordx2 v[4:5], off, off offset:8
	v_xor_b32_e32 v9, 0x80000000, v7
	v_add_u32_e32 v1, 0x1b0, v2
	s_waitcnt vmcnt(0)
	ds_write2_b64 v2, v[8:9], v[4:5] offset1:54
	s_waitcnt lgkmcnt(0)
	; wave barrier
	s_and_saveexec_b64 s[4:5], s[0:1]
	s_cbranch_execz .LBB117_19
; %bb.18:
	scratch_load_dwordx2 v[4:5], v3, off
	ds_read_b64 v[6:7], v1
	v_mov_b32_e32 v8, 0
	ds_read_b64 v[8:9], v8 offset:8
	s_waitcnt vmcnt(0) lgkmcnt(1)
	v_pk_mul_f32 v[10:11], v[6:7], v[4:5] op_sel:[1,1] op_sel_hi:[0,1]
	v_pk_fma_f32 v[12:13], v[6:7], v[4:5], v[10:11] neg_lo:[0,0,1] neg_hi:[0,0,1]
	v_pk_fma_f32 v[4:5], v[6:7], v[4:5], v[10:11] op_sel_hi:[1,0,1]
	s_nop 0
	v_mov_b32_e32 v13, v5
	v_pk_add_f32 v[4:5], v[12:13], 0 op_sel_hi:[1,0]
	s_waitcnt lgkmcnt(0)
	v_pk_mul_f32 v[6:7], v[4:5], v[8:9] op_sel:[1,1] op_sel_hi:[0,1]
	v_pk_fma_f32 v[10:11], v[4:5], v[8:9], v[6:7] neg_lo:[0,0,1] neg_hi:[0,0,1]
	v_pk_fma_f32 v[4:5], v[4:5], v[8:9], v[6:7] op_sel_hi:[1,0,1]
	s_nop 0
	v_mov_b32_e32 v11, v5
	scratch_store_dwordx2 off, v[10:11], off offset:8
.LBB117_19:
	s_or_b64 exec, exec, s[4:5]
	; wave barrier
	scratch_load_dwordx2 v[4:5], off, off offset:16
	v_cmp_gt_u32_e32 vcc, 2, v0
	s_waitcnt vmcnt(0)
	ds_write_b64 v1, v[4:5]
	s_waitcnt lgkmcnt(0)
	; wave barrier
	s_and_saveexec_b64 s[4:5], vcc
	s_cbranch_execz .LBB117_23
; %bb.20:
	scratch_load_dwordx2 v[4:5], v3, off
	ds_read_b64 v[6:7], v1
	s_waitcnt vmcnt(0) lgkmcnt(0)
	v_pk_mul_f32 v[8:9], v[6:7], v[4:5] op_sel:[1,1] op_sel_hi:[0,1]
	v_pk_fma_f32 v[10:11], v[6:7], v[4:5], v[8:9] neg_lo:[0,0,1] neg_hi:[0,0,1]
	v_pk_fma_f32 v[4:5], v[6:7], v[4:5], v[8:9] op_sel_hi:[1,0,1]
	s_nop 0
	v_mov_b32_e32 v11, v5
	v_pk_add_f32 v[4:5], v[10:11], 0 op_sel_hi:[1,0]
	s_and_saveexec_b64 s[12:13], s[0:1]
	s_cbranch_execz .LBB117_22
; %bb.21:
	scratch_load_dwordx2 v[6:7], off, off offset:8
	v_mov_b32_e32 v3, 0
	ds_read_b64 v[8:9], v3 offset:440
	s_waitcnt vmcnt(0) lgkmcnt(0)
	v_pk_mul_f32 v[10:11], v[8:9], v[6:7] op_sel:[1,1] op_sel_hi:[0,1]
	v_pk_fma_f32 v[12:13], v[8:9], v[6:7], v[10:11] neg_lo:[0,0,1] neg_hi:[0,0,1]
	v_pk_fma_f32 v[6:7], v[8:9], v[6:7], v[10:11] op_sel_hi:[1,0,1]
	s_nop 0
	v_mov_b32_e32 v13, v7
	v_pk_add_f32 v[4:5], v[4:5], v[12:13]
.LBB117_22:
	s_or_b64 exec, exec, s[12:13]
	v_mov_b32_e32 v3, 0
	ds_read_b64 v[6:7], v3 offset:16
	s_waitcnt lgkmcnt(0)
	v_pk_mul_f32 v[8:9], v[4:5], v[6:7] op_sel:[1,1] op_sel_hi:[0,1]
	v_pk_fma_f32 v[10:11], v[4:5], v[6:7], v[8:9] neg_lo:[0,0,1] neg_hi:[0,0,1]
	v_pk_fma_f32 v[4:5], v[4:5], v[6:7], v[8:9] op_sel_hi:[1,0,1]
	s_nop 0
	v_mov_b32_e32 v11, v5
	scratch_store_dwordx2 off, v[10:11], off offset:16
.LBB117_23:
	s_or_b64 exec, exec, s[4:5]
	; wave barrier
	scratch_load_dwordx2 v[4:5], off, off offset:24
	v_cmp_gt_u32_e32 vcc, 3, v0
	v_add_u32_e32 v6, -1, v0
	s_waitcnt vmcnt(0)
	ds_write_b64 v1, v[4:5]
	s_waitcnt lgkmcnt(0)
	; wave barrier
	s_and_saveexec_b64 s[0:1], vcc
	s_cbranch_execz .LBB117_27
; %bb.24:
	v_mov_b32_e32 v4, 0
	v_add_u32_e32 v3, -1, v0
	v_add_u32_e32 v7, 0x1b0, v2
	v_mov_b32_e32 v8, v2
	s_mov_b64 s[4:5], 0
	v_mov_b32_e32 v5, v4
.LBB117_25:                             ; =>This Inner Loop Header: Depth=1
	scratch_load_dwordx2 v[10:11], v8, off
	ds_read_b64 v[12:13], v7
	v_add_u32_e32 v3, 1, v3
	v_cmp_lt_u32_e32 vcc, 1, v3
	v_add_u32_e32 v7, 8, v7
	v_add_u32_e32 v8, 8, v8
	s_or_b64 s[4:5], vcc, s[4:5]
	s_waitcnt vmcnt(0) lgkmcnt(0)
	v_pk_mul_f32 v[14:15], v[12:13], v[10:11] op_sel:[1,1] op_sel_hi:[0,1]
	v_pk_fma_f32 v[16:17], v[12:13], v[10:11], v[14:15] neg_lo:[0,0,1] neg_hi:[0,0,1]
	v_pk_fma_f32 v[10:11], v[12:13], v[10:11], v[14:15] op_sel_hi:[1,0,1]
	s_nop 0
	v_mov_b32_e32 v17, v11
	v_pk_add_f32 v[4:5], v[4:5], v[16:17]
	s_andn2_b64 exec, exec, s[4:5]
	s_cbranch_execnz .LBB117_25
; %bb.26:
	s_or_b64 exec, exec, s[4:5]
	v_mov_b32_e32 v3, 0
	ds_read_b64 v[8:9], v3 offset:24
	s_waitcnt lgkmcnt(0)
	v_pk_mul_f32 v[10:11], v[4:5], v[8:9] op_sel:[1,1] op_sel_hi:[0,1]
	v_pk_fma_f32 v[12:13], v[4:5], v[8:9], v[10:11] neg_lo:[0,0,1] neg_hi:[0,0,1]
	v_pk_fma_f32 v[4:5], v[4:5], v[8:9], v[10:11] op_sel_hi:[1,0,1]
	s_nop 0
	v_mov_b32_e32 v13, v5
	scratch_store_dwordx2 off, v[12:13], off offset:24
.LBB117_27:
	s_or_b64 exec, exec, s[0:1]
	; wave barrier
	scratch_load_dwordx2 v[4:5], off, off offset:32
	v_cmp_gt_u32_e32 vcc, 4, v0
	s_waitcnt vmcnt(0)
	ds_write_b64 v1, v[4:5]
	s_waitcnt lgkmcnt(0)
	; wave barrier
	s_and_saveexec_b64 s[0:1], vcc
	s_cbranch_execz .LBB117_31
; %bb.28:
	v_mov_b32_e32 v4, 0
	v_add_u32_e32 v3, -1, v0
	v_add_u32_e32 v7, 0x1b0, v2
	v_mov_b32_e32 v8, v2
	s_mov_b64 s[4:5], 0
	v_mov_b32_e32 v5, v4
.LBB117_29:                             ; =>This Inner Loop Header: Depth=1
	scratch_load_dwordx2 v[10:11], v8, off
	ds_read_b64 v[12:13], v7
	v_add_u32_e32 v3, 1, v3
	v_cmp_lt_u32_e32 vcc, 2, v3
	v_add_u32_e32 v7, 8, v7
	v_add_u32_e32 v8, 8, v8
	s_or_b64 s[4:5], vcc, s[4:5]
	s_waitcnt vmcnt(0) lgkmcnt(0)
	v_pk_mul_f32 v[14:15], v[12:13], v[10:11] op_sel:[1,1] op_sel_hi:[0,1]
	v_pk_fma_f32 v[16:17], v[12:13], v[10:11], v[14:15] neg_lo:[0,0,1] neg_hi:[0,0,1]
	v_pk_fma_f32 v[10:11], v[12:13], v[10:11], v[14:15] op_sel_hi:[1,0,1]
	s_nop 0
	v_mov_b32_e32 v17, v11
	v_pk_add_f32 v[4:5], v[4:5], v[16:17]
	s_andn2_b64 exec, exec, s[4:5]
	s_cbranch_execnz .LBB117_29
; %bb.30:
	s_or_b64 exec, exec, s[4:5]
	v_mov_b32_e32 v3, 0
	ds_read_b64 v[8:9], v3 offset:32
	s_waitcnt lgkmcnt(0)
	v_pk_mul_f32 v[10:11], v[4:5], v[8:9] op_sel:[1,1] op_sel_hi:[0,1]
	v_pk_fma_f32 v[12:13], v[4:5], v[8:9], v[10:11] neg_lo:[0,0,1] neg_hi:[0,0,1]
	v_pk_fma_f32 v[4:5], v[4:5], v[8:9], v[10:11] op_sel_hi:[1,0,1]
	s_nop 0
	v_mov_b32_e32 v13, v5
	scratch_store_dwordx2 off, v[12:13], off offset:32
.LBB117_31:
	s_or_b64 exec, exec, s[0:1]
	; wave barrier
	scratch_load_dwordx2 v[4:5], off, off offset:40
	v_cmp_gt_u32_e32 vcc, 5, v0
	;; [unrolled: 46-line block ×19, first 2 shown]
	s_waitcnt vmcnt(0)
	ds_write_b64 v1, v[4:5]
	s_waitcnt lgkmcnt(0)
	; wave barrier
	s_and_saveexec_b64 s[0:1], vcc
	s_cbranch_execz .LBB117_103
; %bb.100:
	v_mov_b32_e32 v4, 0
	v_add_u32_e32 v3, -1, v0
	v_add_u32_e32 v7, 0x1b0, v2
	v_mov_b32_e32 v8, v2
	s_mov_b64 s[4:5], 0
	v_mov_b32_e32 v5, v4
.LBB117_101:                            ; =>This Inner Loop Header: Depth=1
	scratch_load_dwordx2 v[10:11], v8, off
	ds_read_b64 v[12:13], v7
	v_add_u32_e32 v3, 1, v3
	v_cmp_lt_u32_e32 vcc, 20, v3
	v_add_u32_e32 v7, 8, v7
	v_add_u32_e32 v8, 8, v8
	s_or_b64 s[4:5], vcc, s[4:5]
	s_waitcnt vmcnt(0) lgkmcnt(0)
	v_pk_mul_f32 v[14:15], v[12:13], v[10:11] op_sel:[1,1] op_sel_hi:[0,1]
	v_pk_fma_f32 v[16:17], v[12:13], v[10:11], v[14:15] neg_lo:[0,0,1] neg_hi:[0,0,1]
	v_pk_fma_f32 v[10:11], v[12:13], v[10:11], v[14:15] op_sel_hi:[1,0,1]
	s_nop 0
	v_mov_b32_e32 v17, v11
	v_pk_add_f32 v[4:5], v[4:5], v[16:17]
	s_andn2_b64 exec, exec, s[4:5]
	s_cbranch_execnz .LBB117_101
; %bb.102:
	s_or_b64 exec, exec, s[4:5]
	v_mov_b32_e32 v3, 0
	ds_read_b64 v[8:9], v3 offset:176
	s_waitcnt lgkmcnt(0)
	v_pk_mul_f32 v[10:11], v[4:5], v[8:9] op_sel:[1,1] op_sel_hi:[0,1]
	v_pk_fma_f32 v[12:13], v[4:5], v[8:9], v[10:11] neg_lo:[0,0,1] neg_hi:[0,0,1]
	v_pk_fma_f32 v[4:5], v[4:5], v[8:9], v[10:11] op_sel_hi:[1,0,1]
	s_nop 0
	v_mov_b32_e32 v13, v5
	scratch_store_dwordx2 off, v[12:13], off offset:176
.LBB117_103:
	s_or_b64 exec, exec, s[0:1]
	; wave barrier
	scratch_load_dwordx2 v[4:5], off, off offset:184
	v_cmp_gt_u32_e32 vcc, 23, v0
	s_waitcnt vmcnt(0)
	ds_write_b64 v1, v[4:5]
	s_waitcnt lgkmcnt(0)
	; wave barrier
	s_and_saveexec_b64 s[0:1], vcc
	s_cbranch_execz .LBB117_107
; %bb.104:
	v_mov_b32_e32 v4, 0
	v_add_u32_e32 v3, -1, v0
	v_add_u32_e32 v7, 0x1b0, v2
	v_mov_b32_e32 v8, v2
	s_mov_b64 s[4:5], 0
	v_mov_b32_e32 v5, v4
.LBB117_105:                            ; =>This Inner Loop Header: Depth=1
	scratch_load_dwordx2 v[10:11], v8, off
	ds_read_b64 v[12:13], v7
	v_add_u32_e32 v3, 1, v3
	v_cmp_lt_u32_e32 vcc, 21, v3
	v_add_u32_e32 v7, 8, v7
	v_add_u32_e32 v8, 8, v8
	s_or_b64 s[4:5], vcc, s[4:5]
	s_waitcnt vmcnt(0) lgkmcnt(0)
	v_pk_mul_f32 v[14:15], v[12:13], v[10:11] op_sel:[1,1] op_sel_hi:[0,1]
	v_pk_fma_f32 v[16:17], v[12:13], v[10:11], v[14:15] neg_lo:[0,0,1] neg_hi:[0,0,1]
	v_pk_fma_f32 v[10:11], v[12:13], v[10:11], v[14:15] op_sel_hi:[1,0,1]
	s_nop 0
	v_mov_b32_e32 v17, v11
	v_pk_add_f32 v[4:5], v[4:5], v[16:17]
	s_andn2_b64 exec, exec, s[4:5]
	s_cbranch_execnz .LBB117_105
; %bb.106:
	s_or_b64 exec, exec, s[4:5]
	v_mov_b32_e32 v3, 0
	ds_read_b64 v[8:9], v3 offset:184
	s_waitcnt lgkmcnt(0)
	v_pk_mul_f32 v[10:11], v[4:5], v[8:9] op_sel:[1,1] op_sel_hi:[0,1]
	v_pk_fma_f32 v[12:13], v[4:5], v[8:9], v[10:11] neg_lo:[0,0,1] neg_hi:[0,0,1]
	v_pk_fma_f32 v[4:5], v[4:5], v[8:9], v[10:11] op_sel_hi:[1,0,1]
	s_nop 0
	v_mov_b32_e32 v13, v5
	scratch_store_dwordx2 off, v[12:13], off offset:184
.LBB117_107:
	s_or_b64 exec, exec, s[0:1]
	; wave barrier
	scratch_load_dwordx2 v[4:5], off, off offset:192
	v_cmp_gt_u32_e32 vcc, 24, v0
	s_waitcnt vmcnt(0)
	ds_write_b64 v1, v[4:5]
	s_waitcnt lgkmcnt(0)
	; wave barrier
	s_and_saveexec_b64 s[0:1], vcc
	s_cbranch_execz .LBB117_111
; %bb.108:
	v_mov_b32_e32 v4, 0
	v_add_u32_e32 v3, -1, v0
	v_add_u32_e32 v7, 0x1b0, v2
	v_mov_b32_e32 v8, v2
	s_mov_b64 s[4:5], 0
	v_mov_b32_e32 v5, v4
.LBB117_109:                            ; =>This Inner Loop Header: Depth=1
	scratch_load_dwordx2 v[10:11], v8, off
	ds_read_b64 v[12:13], v7
	v_add_u32_e32 v3, 1, v3
	v_cmp_lt_u32_e32 vcc, 22, v3
	v_add_u32_e32 v7, 8, v7
	v_add_u32_e32 v8, 8, v8
	s_or_b64 s[4:5], vcc, s[4:5]
	s_waitcnt vmcnt(0) lgkmcnt(0)
	v_pk_mul_f32 v[14:15], v[12:13], v[10:11] op_sel:[1,1] op_sel_hi:[0,1]
	v_pk_fma_f32 v[16:17], v[12:13], v[10:11], v[14:15] neg_lo:[0,0,1] neg_hi:[0,0,1]
	v_pk_fma_f32 v[10:11], v[12:13], v[10:11], v[14:15] op_sel_hi:[1,0,1]
	s_nop 0
	v_mov_b32_e32 v17, v11
	v_pk_add_f32 v[4:5], v[4:5], v[16:17]
	s_andn2_b64 exec, exec, s[4:5]
	s_cbranch_execnz .LBB117_109
; %bb.110:
	s_or_b64 exec, exec, s[4:5]
	v_mov_b32_e32 v3, 0
	ds_read_b64 v[8:9], v3 offset:192
	s_waitcnt lgkmcnt(0)
	v_pk_mul_f32 v[10:11], v[4:5], v[8:9] op_sel:[1,1] op_sel_hi:[0,1]
	v_pk_fma_f32 v[12:13], v[4:5], v[8:9], v[10:11] neg_lo:[0,0,1] neg_hi:[0,0,1]
	v_pk_fma_f32 v[4:5], v[4:5], v[8:9], v[10:11] op_sel_hi:[1,0,1]
	s_nop 0
	v_mov_b32_e32 v13, v5
	scratch_store_dwordx2 off, v[12:13], off offset:192
.LBB117_111:
	s_or_b64 exec, exec, s[0:1]
	; wave barrier
	scratch_load_dwordx2 v[4:5], off, off offset:200
	v_cmp_gt_u32_e32 vcc, 25, v0
	s_waitcnt vmcnt(0)
	ds_write_b64 v1, v[4:5]
	s_waitcnt lgkmcnt(0)
	; wave barrier
	s_and_saveexec_b64 s[0:1], vcc
	s_cbranch_execz .LBB117_115
; %bb.112:
	v_mov_b32_e32 v4, 0
	v_add_u32_e32 v3, -1, v0
	v_add_u32_e32 v7, 0x1b0, v2
	v_mov_b32_e32 v8, v2
	s_mov_b64 s[4:5], 0
	v_mov_b32_e32 v5, v4
.LBB117_113:                            ; =>This Inner Loop Header: Depth=1
	scratch_load_dwordx2 v[10:11], v8, off
	ds_read_b64 v[12:13], v7
	v_add_u32_e32 v3, 1, v3
	v_cmp_lt_u32_e32 vcc, 23, v3
	v_add_u32_e32 v7, 8, v7
	v_add_u32_e32 v8, 8, v8
	s_or_b64 s[4:5], vcc, s[4:5]
	s_waitcnt vmcnt(0) lgkmcnt(0)
	v_pk_mul_f32 v[14:15], v[12:13], v[10:11] op_sel:[1,1] op_sel_hi:[0,1]
	v_pk_fma_f32 v[16:17], v[12:13], v[10:11], v[14:15] neg_lo:[0,0,1] neg_hi:[0,0,1]
	v_pk_fma_f32 v[10:11], v[12:13], v[10:11], v[14:15] op_sel_hi:[1,0,1]
	s_nop 0
	v_mov_b32_e32 v17, v11
	v_pk_add_f32 v[4:5], v[4:5], v[16:17]
	s_andn2_b64 exec, exec, s[4:5]
	s_cbranch_execnz .LBB117_113
; %bb.114:
	s_or_b64 exec, exec, s[4:5]
	v_mov_b32_e32 v3, 0
	ds_read_b64 v[8:9], v3 offset:200
	s_waitcnt lgkmcnt(0)
	v_pk_mul_f32 v[10:11], v[4:5], v[8:9] op_sel:[1,1] op_sel_hi:[0,1]
	v_pk_fma_f32 v[12:13], v[4:5], v[8:9], v[10:11] neg_lo:[0,0,1] neg_hi:[0,0,1]
	v_pk_fma_f32 v[4:5], v[4:5], v[8:9], v[10:11] op_sel_hi:[1,0,1]
	s_nop 0
	v_mov_b32_e32 v13, v5
	scratch_store_dwordx2 off, v[12:13], off offset:200
.LBB117_115:
	s_or_b64 exec, exec, s[0:1]
	; wave barrier
	scratch_load_dwordx2 v[4:5], off, off offset:208
	v_cmp_gt_u32_e32 vcc, 26, v0
	s_waitcnt vmcnt(0)
	ds_write_b64 v1, v[4:5]
	s_waitcnt lgkmcnt(0)
	; wave barrier
	s_and_saveexec_b64 s[0:1], vcc
	s_cbranch_execz .LBB117_119
; %bb.116:
	v_mov_b32_e32 v4, 0
	v_add_u32_e32 v3, -1, v0
	v_add_u32_e32 v7, 0x1b0, v2
	v_mov_b32_e32 v8, v2
	s_mov_b64 s[4:5], 0
	v_mov_b32_e32 v5, v4
.LBB117_117:                            ; =>This Inner Loop Header: Depth=1
	scratch_load_dwordx2 v[10:11], v8, off
	ds_read_b64 v[12:13], v7
	v_add_u32_e32 v3, 1, v3
	v_cmp_lt_u32_e32 vcc, 24, v3
	v_add_u32_e32 v7, 8, v7
	v_add_u32_e32 v8, 8, v8
	s_or_b64 s[4:5], vcc, s[4:5]
	s_waitcnt vmcnt(0) lgkmcnt(0)
	v_pk_mul_f32 v[14:15], v[12:13], v[10:11] op_sel:[1,1] op_sel_hi:[0,1]
	v_pk_fma_f32 v[16:17], v[12:13], v[10:11], v[14:15] neg_lo:[0,0,1] neg_hi:[0,0,1]
	v_pk_fma_f32 v[10:11], v[12:13], v[10:11], v[14:15] op_sel_hi:[1,0,1]
	s_nop 0
	v_mov_b32_e32 v17, v11
	v_pk_add_f32 v[4:5], v[4:5], v[16:17]
	s_andn2_b64 exec, exec, s[4:5]
	s_cbranch_execnz .LBB117_117
; %bb.118:
	s_or_b64 exec, exec, s[4:5]
	v_mov_b32_e32 v3, 0
	ds_read_b64 v[8:9], v3 offset:208
	s_waitcnt lgkmcnt(0)
	v_pk_mul_f32 v[10:11], v[4:5], v[8:9] op_sel:[1,1] op_sel_hi:[0,1]
	v_pk_fma_f32 v[12:13], v[4:5], v[8:9], v[10:11] neg_lo:[0,0,1] neg_hi:[0,0,1]
	v_pk_fma_f32 v[4:5], v[4:5], v[8:9], v[10:11] op_sel_hi:[1,0,1]
	s_nop 0
	v_mov_b32_e32 v13, v5
	scratch_store_dwordx2 off, v[12:13], off offset:208
.LBB117_119:
	s_or_b64 exec, exec, s[0:1]
	; wave barrier
	scratch_load_dwordx2 v[4:5], off, off offset:216
	v_cmp_gt_u32_e32 vcc, 27, v0
	s_waitcnt vmcnt(0)
	ds_write_b64 v1, v[4:5]
	s_waitcnt lgkmcnt(0)
	; wave barrier
	s_and_saveexec_b64 s[0:1], vcc
	s_cbranch_execz .LBB117_123
; %bb.120:
	v_mov_b32_e32 v4, 0
	v_add_u32_e32 v3, -1, v0
	v_add_u32_e32 v7, 0x1b0, v2
	v_mov_b32_e32 v8, v2
	s_mov_b64 s[4:5], 0
	v_mov_b32_e32 v5, v4
.LBB117_121:                            ; =>This Inner Loop Header: Depth=1
	scratch_load_dwordx2 v[10:11], v8, off
	ds_read_b64 v[12:13], v7
	v_add_u32_e32 v3, 1, v3
	v_cmp_lt_u32_e32 vcc, 25, v3
	v_add_u32_e32 v7, 8, v7
	v_add_u32_e32 v8, 8, v8
	s_or_b64 s[4:5], vcc, s[4:5]
	s_waitcnt vmcnt(0) lgkmcnt(0)
	v_pk_mul_f32 v[14:15], v[12:13], v[10:11] op_sel:[1,1] op_sel_hi:[0,1]
	v_pk_fma_f32 v[16:17], v[12:13], v[10:11], v[14:15] neg_lo:[0,0,1] neg_hi:[0,0,1]
	v_pk_fma_f32 v[10:11], v[12:13], v[10:11], v[14:15] op_sel_hi:[1,0,1]
	s_nop 0
	v_mov_b32_e32 v17, v11
	v_pk_add_f32 v[4:5], v[4:5], v[16:17]
	s_andn2_b64 exec, exec, s[4:5]
	s_cbranch_execnz .LBB117_121
; %bb.122:
	s_or_b64 exec, exec, s[4:5]
	v_mov_b32_e32 v3, 0
	ds_read_b64 v[8:9], v3 offset:216
	s_waitcnt lgkmcnt(0)
	v_pk_mul_f32 v[10:11], v[4:5], v[8:9] op_sel:[1,1] op_sel_hi:[0,1]
	v_pk_fma_f32 v[12:13], v[4:5], v[8:9], v[10:11] neg_lo:[0,0,1] neg_hi:[0,0,1]
	v_pk_fma_f32 v[4:5], v[4:5], v[8:9], v[10:11] op_sel_hi:[1,0,1]
	s_nop 0
	v_mov_b32_e32 v13, v5
	scratch_store_dwordx2 off, v[12:13], off offset:216
.LBB117_123:
	s_or_b64 exec, exec, s[0:1]
	; wave barrier
	scratch_load_dwordx2 v[4:5], off, off offset:224
	v_cmp_gt_u32_e32 vcc, 28, v0
	s_waitcnt vmcnt(0)
	ds_write_b64 v1, v[4:5]
	s_waitcnt lgkmcnt(0)
	; wave barrier
	s_and_saveexec_b64 s[0:1], vcc
	s_cbranch_execz .LBB117_127
; %bb.124:
	v_mov_b32_e32 v4, 0
	v_add_u32_e32 v3, -1, v0
	v_add_u32_e32 v7, 0x1b0, v2
	v_mov_b32_e32 v8, v2
	s_mov_b64 s[4:5], 0
	v_mov_b32_e32 v5, v4
.LBB117_125:                            ; =>This Inner Loop Header: Depth=1
	scratch_load_dwordx2 v[10:11], v8, off
	ds_read_b64 v[12:13], v7
	v_add_u32_e32 v3, 1, v3
	v_cmp_lt_u32_e32 vcc, 26, v3
	v_add_u32_e32 v7, 8, v7
	v_add_u32_e32 v8, 8, v8
	s_or_b64 s[4:5], vcc, s[4:5]
	s_waitcnt vmcnt(0) lgkmcnt(0)
	v_pk_mul_f32 v[14:15], v[12:13], v[10:11] op_sel:[1,1] op_sel_hi:[0,1]
	v_pk_fma_f32 v[16:17], v[12:13], v[10:11], v[14:15] neg_lo:[0,0,1] neg_hi:[0,0,1]
	v_pk_fma_f32 v[10:11], v[12:13], v[10:11], v[14:15] op_sel_hi:[1,0,1]
	s_nop 0
	v_mov_b32_e32 v17, v11
	v_pk_add_f32 v[4:5], v[4:5], v[16:17]
	s_andn2_b64 exec, exec, s[4:5]
	s_cbranch_execnz .LBB117_125
; %bb.126:
	s_or_b64 exec, exec, s[4:5]
	v_mov_b32_e32 v3, 0
	ds_read_b64 v[8:9], v3 offset:224
	s_waitcnt lgkmcnt(0)
	v_pk_mul_f32 v[10:11], v[4:5], v[8:9] op_sel:[1,1] op_sel_hi:[0,1]
	v_pk_fma_f32 v[12:13], v[4:5], v[8:9], v[10:11] neg_lo:[0,0,1] neg_hi:[0,0,1]
	v_pk_fma_f32 v[4:5], v[4:5], v[8:9], v[10:11] op_sel_hi:[1,0,1]
	s_nop 0
	v_mov_b32_e32 v13, v5
	scratch_store_dwordx2 off, v[12:13], off offset:224
.LBB117_127:
	s_or_b64 exec, exec, s[0:1]
	; wave barrier
	scratch_load_dwordx2 v[4:5], off, off offset:232
	v_cmp_gt_u32_e32 vcc, 29, v0
	s_waitcnt vmcnt(0)
	ds_write_b64 v1, v[4:5]
	s_waitcnt lgkmcnt(0)
	; wave barrier
	s_and_saveexec_b64 s[0:1], vcc
	s_cbranch_execz .LBB117_131
; %bb.128:
	v_mov_b32_e32 v4, 0
	v_add_u32_e32 v3, -1, v0
	v_add_u32_e32 v7, 0x1b0, v2
	v_mov_b32_e32 v8, v2
	s_mov_b64 s[4:5], 0
	v_mov_b32_e32 v5, v4
.LBB117_129:                            ; =>This Inner Loop Header: Depth=1
	scratch_load_dwordx2 v[10:11], v8, off
	ds_read_b64 v[12:13], v7
	v_add_u32_e32 v3, 1, v3
	v_cmp_lt_u32_e32 vcc, 27, v3
	v_add_u32_e32 v7, 8, v7
	v_add_u32_e32 v8, 8, v8
	s_or_b64 s[4:5], vcc, s[4:5]
	s_waitcnt vmcnt(0) lgkmcnt(0)
	v_pk_mul_f32 v[14:15], v[12:13], v[10:11] op_sel:[1,1] op_sel_hi:[0,1]
	v_pk_fma_f32 v[16:17], v[12:13], v[10:11], v[14:15] neg_lo:[0,0,1] neg_hi:[0,0,1]
	v_pk_fma_f32 v[10:11], v[12:13], v[10:11], v[14:15] op_sel_hi:[1,0,1]
	s_nop 0
	v_mov_b32_e32 v17, v11
	v_pk_add_f32 v[4:5], v[4:5], v[16:17]
	s_andn2_b64 exec, exec, s[4:5]
	s_cbranch_execnz .LBB117_129
; %bb.130:
	s_or_b64 exec, exec, s[4:5]
	v_mov_b32_e32 v3, 0
	ds_read_b64 v[8:9], v3 offset:232
	s_waitcnt lgkmcnt(0)
	v_pk_mul_f32 v[10:11], v[4:5], v[8:9] op_sel:[1,1] op_sel_hi:[0,1]
	v_pk_fma_f32 v[12:13], v[4:5], v[8:9], v[10:11] neg_lo:[0,0,1] neg_hi:[0,0,1]
	v_pk_fma_f32 v[4:5], v[4:5], v[8:9], v[10:11] op_sel_hi:[1,0,1]
	s_nop 0
	v_mov_b32_e32 v13, v5
	scratch_store_dwordx2 off, v[12:13], off offset:232
.LBB117_131:
	s_or_b64 exec, exec, s[0:1]
	; wave barrier
	scratch_load_dwordx2 v[4:5], off, off offset:240
	v_cmp_gt_u32_e32 vcc, 30, v0
	s_waitcnt vmcnt(0)
	ds_write_b64 v1, v[4:5]
	s_waitcnt lgkmcnt(0)
	; wave barrier
	s_and_saveexec_b64 s[0:1], vcc
	s_cbranch_execz .LBB117_135
; %bb.132:
	v_mov_b32_e32 v4, 0
	v_add_u32_e32 v3, -1, v0
	v_add_u32_e32 v7, 0x1b0, v2
	v_mov_b32_e32 v8, v2
	s_mov_b64 s[4:5], 0
	v_mov_b32_e32 v5, v4
.LBB117_133:                            ; =>This Inner Loop Header: Depth=1
	scratch_load_dwordx2 v[10:11], v8, off
	ds_read_b64 v[12:13], v7
	v_add_u32_e32 v3, 1, v3
	v_cmp_lt_u32_e32 vcc, 28, v3
	v_add_u32_e32 v7, 8, v7
	v_add_u32_e32 v8, 8, v8
	s_or_b64 s[4:5], vcc, s[4:5]
	s_waitcnt vmcnt(0) lgkmcnt(0)
	v_pk_mul_f32 v[14:15], v[12:13], v[10:11] op_sel:[1,1] op_sel_hi:[0,1]
	v_pk_fma_f32 v[16:17], v[12:13], v[10:11], v[14:15] neg_lo:[0,0,1] neg_hi:[0,0,1]
	v_pk_fma_f32 v[10:11], v[12:13], v[10:11], v[14:15] op_sel_hi:[1,0,1]
	s_nop 0
	v_mov_b32_e32 v17, v11
	v_pk_add_f32 v[4:5], v[4:5], v[16:17]
	s_andn2_b64 exec, exec, s[4:5]
	s_cbranch_execnz .LBB117_133
; %bb.134:
	s_or_b64 exec, exec, s[4:5]
	v_mov_b32_e32 v3, 0
	ds_read_b64 v[8:9], v3 offset:240
	s_waitcnt lgkmcnt(0)
	v_pk_mul_f32 v[10:11], v[4:5], v[8:9] op_sel:[1,1] op_sel_hi:[0,1]
	v_pk_fma_f32 v[12:13], v[4:5], v[8:9], v[10:11] neg_lo:[0,0,1] neg_hi:[0,0,1]
	v_pk_fma_f32 v[4:5], v[4:5], v[8:9], v[10:11] op_sel_hi:[1,0,1]
	s_nop 0
	v_mov_b32_e32 v13, v5
	scratch_store_dwordx2 off, v[12:13], off offset:240
.LBB117_135:
	s_or_b64 exec, exec, s[0:1]
	; wave barrier
	scratch_load_dwordx2 v[4:5], off, off offset:248
	v_cmp_gt_u32_e32 vcc, 31, v0
	s_waitcnt vmcnt(0)
	ds_write_b64 v1, v[4:5]
	s_waitcnt lgkmcnt(0)
	; wave barrier
	s_and_saveexec_b64 s[0:1], vcc
	s_cbranch_execz .LBB117_139
; %bb.136:
	v_mov_b32_e32 v4, 0
	v_add_u32_e32 v3, -1, v0
	v_add_u32_e32 v7, 0x1b0, v2
	v_mov_b32_e32 v8, v2
	s_mov_b64 s[4:5], 0
	v_mov_b32_e32 v5, v4
.LBB117_137:                            ; =>This Inner Loop Header: Depth=1
	scratch_load_dwordx2 v[10:11], v8, off
	ds_read_b64 v[12:13], v7
	v_add_u32_e32 v3, 1, v3
	v_cmp_lt_u32_e32 vcc, 29, v3
	v_add_u32_e32 v7, 8, v7
	v_add_u32_e32 v8, 8, v8
	s_or_b64 s[4:5], vcc, s[4:5]
	s_waitcnt vmcnt(0) lgkmcnt(0)
	v_pk_mul_f32 v[14:15], v[12:13], v[10:11] op_sel:[1,1] op_sel_hi:[0,1]
	v_pk_fma_f32 v[16:17], v[12:13], v[10:11], v[14:15] neg_lo:[0,0,1] neg_hi:[0,0,1]
	v_pk_fma_f32 v[10:11], v[12:13], v[10:11], v[14:15] op_sel_hi:[1,0,1]
	s_nop 0
	v_mov_b32_e32 v17, v11
	v_pk_add_f32 v[4:5], v[4:5], v[16:17]
	s_andn2_b64 exec, exec, s[4:5]
	s_cbranch_execnz .LBB117_137
; %bb.138:
	s_or_b64 exec, exec, s[4:5]
	v_mov_b32_e32 v3, 0
	ds_read_b64 v[8:9], v3 offset:248
	s_waitcnt lgkmcnt(0)
	v_pk_mul_f32 v[10:11], v[4:5], v[8:9] op_sel:[1,1] op_sel_hi:[0,1]
	v_pk_fma_f32 v[12:13], v[4:5], v[8:9], v[10:11] neg_lo:[0,0,1] neg_hi:[0,0,1]
	v_pk_fma_f32 v[4:5], v[4:5], v[8:9], v[10:11] op_sel_hi:[1,0,1]
	s_nop 0
	v_mov_b32_e32 v13, v5
	scratch_store_dwordx2 off, v[12:13], off offset:248
.LBB117_139:
	s_or_b64 exec, exec, s[0:1]
	; wave barrier
	scratch_load_dwordx2 v[4:5], off, off offset:256
	v_cmp_gt_u32_e32 vcc, 32, v0
	s_waitcnt vmcnt(0)
	ds_write_b64 v1, v[4:5]
	s_waitcnt lgkmcnt(0)
	; wave barrier
	s_and_saveexec_b64 s[0:1], vcc
	s_cbranch_execz .LBB117_143
; %bb.140:
	v_mov_b32_e32 v4, 0
	v_add_u32_e32 v3, -1, v0
	v_add_u32_e32 v7, 0x1b0, v2
	v_mov_b32_e32 v8, v2
	s_mov_b64 s[4:5], 0
	v_mov_b32_e32 v5, v4
.LBB117_141:                            ; =>This Inner Loop Header: Depth=1
	scratch_load_dwordx2 v[10:11], v8, off
	ds_read_b64 v[12:13], v7
	v_add_u32_e32 v3, 1, v3
	v_cmp_lt_u32_e32 vcc, 30, v3
	v_add_u32_e32 v7, 8, v7
	v_add_u32_e32 v8, 8, v8
	s_or_b64 s[4:5], vcc, s[4:5]
	s_waitcnt vmcnt(0) lgkmcnt(0)
	v_pk_mul_f32 v[14:15], v[12:13], v[10:11] op_sel:[1,1] op_sel_hi:[0,1]
	v_pk_fma_f32 v[16:17], v[12:13], v[10:11], v[14:15] neg_lo:[0,0,1] neg_hi:[0,0,1]
	v_pk_fma_f32 v[10:11], v[12:13], v[10:11], v[14:15] op_sel_hi:[1,0,1]
	s_nop 0
	v_mov_b32_e32 v17, v11
	v_pk_add_f32 v[4:5], v[4:5], v[16:17]
	s_andn2_b64 exec, exec, s[4:5]
	s_cbranch_execnz .LBB117_141
; %bb.142:
	s_or_b64 exec, exec, s[4:5]
	v_mov_b32_e32 v3, 0
	ds_read_b64 v[8:9], v3 offset:256
	s_waitcnt lgkmcnt(0)
	v_pk_mul_f32 v[10:11], v[4:5], v[8:9] op_sel:[1,1] op_sel_hi:[0,1]
	v_pk_fma_f32 v[12:13], v[4:5], v[8:9], v[10:11] neg_lo:[0,0,1] neg_hi:[0,0,1]
	v_pk_fma_f32 v[4:5], v[4:5], v[8:9], v[10:11] op_sel_hi:[1,0,1]
	s_nop 0
	v_mov_b32_e32 v13, v5
	scratch_store_dwordx2 off, v[12:13], off offset:256
.LBB117_143:
	s_or_b64 exec, exec, s[0:1]
	; wave barrier
	scratch_load_dwordx2 v[4:5], off, off offset:264
	v_cmp_gt_u32_e32 vcc, 33, v0
	s_waitcnt vmcnt(0)
	ds_write_b64 v1, v[4:5]
	s_waitcnt lgkmcnt(0)
	; wave barrier
	s_and_saveexec_b64 s[0:1], vcc
	s_cbranch_execz .LBB117_147
; %bb.144:
	v_mov_b32_e32 v4, 0
	v_add_u32_e32 v3, -1, v0
	v_add_u32_e32 v7, 0x1b0, v2
	v_mov_b32_e32 v8, v2
	s_mov_b64 s[4:5], 0
	v_mov_b32_e32 v5, v4
.LBB117_145:                            ; =>This Inner Loop Header: Depth=1
	scratch_load_dwordx2 v[10:11], v8, off
	ds_read_b64 v[12:13], v7
	v_add_u32_e32 v3, 1, v3
	v_cmp_lt_u32_e32 vcc, 31, v3
	v_add_u32_e32 v7, 8, v7
	v_add_u32_e32 v8, 8, v8
	s_or_b64 s[4:5], vcc, s[4:5]
	s_waitcnt vmcnt(0) lgkmcnt(0)
	v_pk_mul_f32 v[14:15], v[12:13], v[10:11] op_sel:[1,1] op_sel_hi:[0,1]
	v_pk_fma_f32 v[16:17], v[12:13], v[10:11], v[14:15] neg_lo:[0,0,1] neg_hi:[0,0,1]
	v_pk_fma_f32 v[10:11], v[12:13], v[10:11], v[14:15] op_sel_hi:[1,0,1]
	s_nop 0
	v_mov_b32_e32 v17, v11
	v_pk_add_f32 v[4:5], v[4:5], v[16:17]
	s_andn2_b64 exec, exec, s[4:5]
	s_cbranch_execnz .LBB117_145
; %bb.146:
	s_or_b64 exec, exec, s[4:5]
	v_mov_b32_e32 v3, 0
	ds_read_b64 v[8:9], v3 offset:264
	s_waitcnt lgkmcnt(0)
	v_pk_mul_f32 v[10:11], v[4:5], v[8:9] op_sel:[1,1] op_sel_hi:[0,1]
	v_pk_fma_f32 v[12:13], v[4:5], v[8:9], v[10:11] neg_lo:[0,0,1] neg_hi:[0,0,1]
	v_pk_fma_f32 v[4:5], v[4:5], v[8:9], v[10:11] op_sel_hi:[1,0,1]
	s_nop 0
	v_mov_b32_e32 v13, v5
	scratch_store_dwordx2 off, v[12:13], off offset:264
.LBB117_147:
	s_or_b64 exec, exec, s[0:1]
	; wave barrier
	scratch_load_dwordx2 v[4:5], off, off offset:272
	v_cmp_gt_u32_e32 vcc, 34, v0
	s_waitcnt vmcnt(0)
	ds_write_b64 v1, v[4:5]
	s_waitcnt lgkmcnt(0)
	; wave barrier
	s_and_saveexec_b64 s[0:1], vcc
	s_cbranch_execz .LBB117_151
; %bb.148:
	v_mov_b32_e32 v4, 0
	v_add_u32_e32 v3, -1, v0
	v_add_u32_e32 v7, 0x1b0, v2
	v_mov_b32_e32 v8, v2
	s_mov_b64 s[4:5], 0
	v_mov_b32_e32 v5, v4
.LBB117_149:                            ; =>This Inner Loop Header: Depth=1
	scratch_load_dwordx2 v[10:11], v8, off
	ds_read_b64 v[12:13], v7
	v_add_u32_e32 v3, 1, v3
	v_cmp_lt_u32_e32 vcc, 32, v3
	v_add_u32_e32 v7, 8, v7
	v_add_u32_e32 v8, 8, v8
	s_or_b64 s[4:5], vcc, s[4:5]
	s_waitcnt vmcnt(0) lgkmcnt(0)
	v_pk_mul_f32 v[14:15], v[12:13], v[10:11] op_sel:[1,1] op_sel_hi:[0,1]
	v_pk_fma_f32 v[16:17], v[12:13], v[10:11], v[14:15] neg_lo:[0,0,1] neg_hi:[0,0,1]
	v_pk_fma_f32 v[10:11], v[12:13], v[10:11], v[14:15] op_sel_hi:[1,0,1]
	s_nop 0
	v_mov_b32_e32 v17, v11
	v_pk_add_f32 v[4:5], v[4:5], v[16:17]
	s_andn2_b64 exec, exec, s[4:5]
	s_cbranch_execnz .LBB117_149
; %bb.150:
	s_or_b64 exec, exec, s[4:5]
	v_mov_b32_e32 v3, 0
	ds_read_b64 v[8:9], v3 offset:272
	s_waitcnt lgkmcnt(0)
	v_pk_mul_f32 v[10:11], v[4:5], v[8:9] op_sel:[1,1] op_sel_hi:[0,1]
	v_pk_fma_f32 v[12:13], v[4:5], v[8:9], v[10:11] neg_lo:[0,0,1] neg_hi:[0,0,1]
	v_pk_fma_f32 v[4:5], v[4:5], v[8:9], v[10:11] op_sel_hi:[1,0,1]
	s_nop 0
	v_mov_b32_e32 v13, v5
	scratch_store_dwordx2 off, v[12:13], off offset:272
.LBB117_151:
	s_or_b64 exec, exec, s[0:1]
	; wave barrier
	scratch_load_dwordx2 v[4:5], off, off offset:280
	v_cmp_gt_u32_e32 vcc, 35, v0
	s_waitcnt vmcnt(0)
	ds_write_b64 v1, v[4:5]
	s_waitcnt lgkmcnt(0)
	; wave barrier
	s_and_saveexec_b64 s[0:1], vcc
	s_cbranch_execz .LBB117_155
; %bb.152:
	v_mov_b32_e32 v4, 0
	v_add_u32_e32 v3, -1, v0
	v_add_u32_e32 v7, 0x1b0, v2
	v_mov_b32_e32 v8, v2
	s_mov_b64 s[4:5], 0
	v_mov_b32_e32 v5, v4
.LBB117_153:                            ; =>This Inner Loop Header: Depth=1
	scratch_load_dwordx2 v[10:11], v8, off
	ds_read_b64 v[12:13], v7
	v_add_u32_e32 v3, 1, v3
	v_cmp_lt_u32_e32 vcc, 33, v3
	v_add_u32_e32 v7, 8, v7
	v_add_u32_e32 v8, 8, v8
	s_or_b64 s[4:5], vcc, s[4:5]
	s_waitcnt vmcnt(0) lgkmcnt(0)
	v_pk_mul_f32 v[14:15], v[12:13], v[10:11] op_sel:[1,1] op_sel_hi:[0,1]
	v_pk_fma_f32 v[16:17], v[12:13], v[10:11], v[14:15] neg_lo:[0,0,1] neg_hi:[0,0,1]
	v_pk_fma_f32 v[10:11], v[12:13], v[10:11], v[14:15] op_sel_hi:[1,0,1]
	s_nop 0
	v_mov_b32_e32 v17, v11
	v_pk_add_f32 v[4:5], v[4:5], v[16:17]
	s_andn2_b64 exec, exec, s[4:5]
	s_cbranch_execnz .LBB117_153
; %bb.154:
	s_or_b64 exec, exec, s[4:5]
	v_mov_b32_e32 v3, 0
	ds_read_b64 v[8:9], v3 offset:280
	s_waitcnt lgkmcnt(0)
	v_pk_mul_f32 v[10:11], v[4:5], v[8:9] op_sel:[1,1] op_sel_hi:[0,1]
	v_pk_fma_f32 v[12:13], v[4:5], v[8:9], v[10:11] neg_lo:[0,0,1] neg_hi:[0,0,1]
	v_pk_fma_f32 v[4:5], v[4:5], v[8:9], v[10:11] op_sel_hi:[1,0,1]
	s_nop 0
	v_mov_b32_e32 v13, v5
	scratch_store_dwordx2 off, v[12:13], off offset:280
.LBB117_155:
	s_or_b64 exec, exec, s[0:1]
	; wave barrier
	scratch_load_dwordx2 v[4:5], off, off offset:288
	v_cmp_gt_u32_e32 vcc, 36, v0
	s_waitcnt vmcnt(0)
	ds_write_b64 v1, v[4:5]
	s_waitcnt lgkmcnt(0)
	; wave barrier
	s_and_saveexec_b64 s[0:1], vcc
	s_cbranch_execz .LBB117_159
; %bb.156:
	v_mov_b32_e32 v4, 0
	v_add_u32_e32 v3, -1, v0
	v_add_u32_e32 v7, 0x1b0, v2
	v_mov_b32_e32 v8, v2
	s_mov_b64 s[4:5], 0
	v_mov_b32_e32 v5, v4
.LBB117_157:                            ; =>This Inner Loop Header: Depth=1
	scratch_load_dwordx2 v[10:11], v8, off
	ds_read_b64 v[12:13], v7
	v_add_u32_e32 v3, 1, v3
	v_cmp_lt_u32_e32 vcc, 34, v3
	v_add_u32_e32 v7, 8, v7
	v_add_u32_e32 v8, 8, v8
	s_or_b64 s[4:5], vcc, s[4:5]
	s_waitcnt vmcnt(0) lgkmcnt(0)
	v_pk_mul_f32 v[14:15], v[12:13], v[10:11] op_sel:[1,1] op_sel_hi:[0,1]
	v_pk_fma_f32 v[16:17], v[12:13], v[10:11], v[14:15] neg_lo:[0,0,1] neg_hi:[0,0,1]
	v_pk_fma_f32 v[10:11], v[12:13], v[10:11], v[14:15] op_sel_hi:[1,0,1]
	s_nop 0
	v_mov_b32_e32 v17, v11
	v_pk_add_f32 v[4:5], v[4:5], v[16:17]
	s_andn2_b64 exec, exec, s[4:5]
	s_cbranch_execnz .LBB117_157
; %bb.158:
	s_or_b64 exec, exec, s[4:5]
	v_mov_b32_e32 v3, 0
	ds_read_b64 v[8:9], v3 offset:288
	s_waitcnt lgkmcnt(0)
	v_pk_mul_f32 v[10:11], v[4:5], v[8:9] op_sel:[1,1] op_sel_hi:[0,1]
	v_pk_fma_f32 v[12:13], v[4:5], v[8:9], v[10:11] neg_lo:[0,0,1] neg_hi:[0,0,1]
	v_pk_fma_f32 v[4:5], v[4:5], v[8:9], v[10:11] op_sel_hi:[1,0,1]
	s_nop 0
	v_mov_b32_e32 v13, v5
	scratch_store_dwordx2 off, v[12:13], off offset:288
.LBB117_159:
	s_or_b64 exec, exec, s[0:1]
	; wave barrier
	scratch_load_dwordx2 v[4:5], off, off offset:296
	v_cmp_gt_u32_e32 vcc, 37, v0
	s_waitcnt vmcnt(0)
	ds_write_b64 v1, v[4:5]
	s_waitcnt lgkmcnt(0)
	; wave barrier
	s_and_saveexec_b64 s[0:1], vcc
	s_cbranch_execz .LBB117_163
; %bb.160:
	v_mov_b32_e32 v4, 0
	v_add_u32_e32 v3, -1, v0
	v_add_u32_e32 v7, 0x1b0, v2
	v_mov_b32_e32 v8, v2
	s_mov_b64 s[4:5], 0
	v_mov_b32_e32 v5, v4
.LBB117_161:                            ; =>This Inner Loop Header: Depth=1
	scratch_load_dwordx2 v[10:11], v8, off
	ds_read_b64 v[12:13], v7
	v_add_u32_e32 v3, 1, v3
	v_cmp_lt_u32_e32 vcc, 35, v3
	v_add_u32_e32 v7, 8, v7
	v_add_u32_e32 v8, 8, v8
	s_or_b64 s[4:5], vcc, s[4:5]
	s_waitcnt vmcnt(0) lgkmcnt(0)
	v_pk_mul_f32 v[14:15], v[12:13], v[10:11] op_sel:[1,1] op_sel_hi:[0,1]
	v_pk_fma_f32 v[16:17], v[12:13], v[10:11], v[14:15] neg_lo:[0,0,1] neg_hi:[0,0,1]
	v_pk_fma_f32 v[10:11], v[12:13], v[10:11], v[14:15] op_sel_hi:[1,0,1]
	s_nop 0
	v_mov_b32_e32 v17, v11
	v_pk_add_f32 v[4:5], v[4:5], v[16:17]
	s_andn2_b64 exec, exec, s[4:5]
	s_cbranch_execnz .LBB117_161
; %bb.162:
	s_or_b64 exec, exec, s[4:5]
	v_mov_b32_e32 v3, 0
	ds_read_b64 v[8:9], v3 offset:296
	s_waitcnt lgkmcnt(0)
	v_pk_mul_f32 v[10:11], v[4:5], v[8:9] op_sel:[1,1] op_sel_hi:[0,1]
	v_pk_fma_f32 v[12:13], v[4:5], v[8:9], v[10:11] neg_lo:[0,0,1] neg_hi:[0,0,1]
	v_pk_fma_f32 v[4:5], v[4:5], v[8:9], v[10:11] op_sel_hi:[1,0,1]
	s_nop 0
	v_mov_b32_e32 v13, v5
	scratch_store_dwordx2 off, v[12:13], off offset:296
.LBB117_163:
	s_or_b64 exec, exec, s[0:1]
	; wave barrier
	scratch_load_dwordx2 v[4:5], off, off offset:304
	v_cmp_gt_u32_e32 vcc, 38, v0
	s_waitcnt vmcnt(0)
	ds_write_b64 v1, v[4:5]
	s_waitcnt lgkmcnt(0)
	; wave barrier
	s_and_saveexec_b64 s[0:1], vcc
	s_cbranch_execz .LBB117_167
; %bb.164:
	v_mov_b32_e32 v4, 0
	v_add_u32_e32 v3, -1, v0
	v_add_u32_e32 v7, 0x1b0, v2
	v_mov_b32_e32 v8, v2
	s_mov_b64 s[4:5], 0
	v_mov_b32_e32 v5, v4
.LBB117_165:                            ; =>This Inner Loop Header: Depth=1
	scratch_load_dwordx2 v[10:11], v8, off
	ds_read_b64 v[12:13], v7
	v_add_u32_e32 v3, 1, v3
	v_cmp_lt_u32_e32 vcc, 36, v3
	v_add_u32_e32 v7, 8, v7
	v_add_u32_e32 v8, 8, v8
	s_or_b64 s[4:5], vcc, s[4:5]
	s_waitcnt vmcnt(0) lgkmcnt(0)
	v_pk_mul_f32 v[14:15], v[12:13], v[10:11] op_sel:[1,1] op_sel_hi:[0,1]
	v_pk_fma_f32 v[16:17], v[12:13], v[10:11], v[14:15] neg_lo:[0,0,1] neg_hi:[0,0,1]
	v_pk_fma_f32 v[10:11], v[12:13], v[10:11], v[14:15] op_sel_hi:[1,0,1]
	s_nop 0
	v_mov_b32_e32 v17, v11
	v_pk_add_f32 v[4:5], v[4:5], v[16:17]
	s_andn2_b64 exec, exec, s[4:5]
	s_cbranch_execnz .LBB117_165
; %bb.166:
	s_or_b64 exec, exec, s[4:5]
	v_mov_b32_e32 v3, 0
	ds_read_b64 v[8:9], v3 offset:304
	s_waitcnt lgkmcnt(0)
	v_pk_mul_f32 v[10:11], v[4:5], v[8:9] op_sel:[1,1] op_sel_hi:[0,1]
	v_pk_fma_f32 v[12:13], v[4:5], v[8:9], v[10:11] neg_lo:[0,0,1] neg_hi:[0,0,1]
	v_pk_fma_f32 v[4:5], v[4:5], v[8:9], v[10:11] op_sel_hi:[1,0,1]
	s_nop 0
	v_mov_b32_e32 v13, v5
	scratch_store_dwordx2 off, v[12:13], off offset:304
.LBB117_167:
	s_or_b64 exec, exec, s[0:1]
	; wave barrier
	scratch_load_dwordx2 v[4:5], off, off offset:312
	v_cmp_gt_u32_e32 vcc, 39, v0
	s_waitcnt vmcnt(0)
	ds_write_b64 v1, v[4:5]
	s_waitcnt lgkmcnt(0)
	; wave barrier
	s_and_saveexec_b64 s[0:1], vcc
	s_cbranch_execz .LBB117_171
; %bb.168:
	v_mov_b32_e32 v4, 0
	v_add_u32_e32 v3, -1, v0
	v_add_u32_e32 v7, 0x1b0, v2
	v_mov_b32_e32 v8, v2
	s_mov_b64 s[4:5], 0
	v_mov_b32_e32 v5, v4
.LBB117_169:                            ; =>This Inner Loop Header: Depth=1
	scratch_load_dwordx2 v[10:11], v8, off
	ds_read_b64 v[12:13], v7
	v_add_u32_e32 v3, 1, v3
	v_cmp_lt_u32_e32 vcc, 37, v3
	v_add_u32_e32 v7, 8, v7
	v_add_u32_e32 v8, 8, v8
	s_or_b64 s[4:5], vcc, s[4:5]
	s_waitcnt vmcnt(0) lgkmcnt(0)
	v_pk_mul_f32 v[14:15], v[12:13], v[10:11] op_sel:[1,1] op_sel_hi:[0,1]
	v_pk_fma_f32 v[16:17], v[12:13], v[10:11], v[14:15] neg_lo:[0,0,1] neg_hi:[0,0,1]
	v_pk_fma_f32 v[10:11], v[12:13], v[10:11], v[14:15] op_sel_hi:[1,0,1]
	s_nop 0
	v_mov_b32_e32 v17, v11
	v_pk_add_f32 v[4:5], v[4:5], v[16:17]
	s_andn2_b64 exec, exec, s[4:5]
	s_cbranch_execnz .LBB117_169
; %bb.170:
	s_or_b64 exec, exec, s[4:5]
	v_mov_b32_e32 v3, 0
	ds_read_b64 v[8:9], v3 offset:312
	s_waitcnt lgkmcnt(0)
	v_pk_mul_f32 v[10:11], v[4:5], v[8:9] op_sel:[1,1] op_sel_hi:[0,1]
	v_pk_fma_f32 v[12:13], v[4:5], v[8:9], v[10:11] neg_lo:[0,0,1] neg_hi:[0,0,1]
	v_pk_fma_f32 v[4:5], v[4:5], v[8:9], v[10:11] op_sel_hi:[1,0,1]
	s_nop 0
	v_mov_b32_e32 v13, v5
	scratch_store_dwordx2 off, v[12:13], off offset:312
.LBB117_171:
	s_or_b64 exec, exec, s[0:1]
	; wave barrier
	scratch_load_dwordx2 v[4:5], off, off offset:320
	v_cmp_gt_u32_e32 vcc, 40, v0
	s_waitcnt vmcnt(0)
	ds_write_b64 v1, v[4:5]
	s_waitcnt lgkmcnt(0)
	; wave barrier
	s_and_saveexec_b64 s[0:1], vcc
	s_cbranch_execz .LBB117_175
; %bb.172:
	v_mov_b32_e32 v4, 0
	v_add_u32_e32 v3, -1, v0
	v_add_u32_e32 v7, 0x1b0, v2
	v_mov_b32_e32 v8, v2
	s_mov_b64 s[4:5], 0
	v_mov_b32_e32 v5, v4
.LBB117_173:                            ; =>This Inner Loop Header: Depth=1
	scratch_load_dwordx2 v[10:11], v8, off
	ds_read_b64 v[12:13], v7
	v_add_u32_e32 v3, 1, v3
	v_cmp_lt_u32_e32 vcc, 38, v3
	v_add_u32_e32 v7, 8, v7
	v_add_u32_e32 v8, 8, v8
	s_or_b64 s[4:5], vcc, s[4:5]
	s_waitcnt vmcnt(0) lgkmcnt(0)
	v_pk_mul_f32 v[14:15], v[12:13], v[10:11] op_sel:[1,1] op_sel_hi:[0,1]
	v_pk_fma_f32 v[16:17], v[12:13], v[10:11], v[14:15] neg_lo:[0,0,1] neg_hi:[0,0,1]
	v_pk_fma_f32 v[10:11], v[12:13], v[10:11], v[14:15] op_sel_hi:[1,0,1]
	s_nop 0
	v_mov_b32_e32 v17, v11
	v_pk_add_f32 v[4:5], v[4:5], v[16:17]
	s_andn2_b64 exec, exec, s[4:5]
	s_cbranch_execnz .LBB117_173
; %bb.174:
	s_or_b64 exec, exec, s[4:5]
	v_mov_b32_e32 v3, 0
	ds_read_b64 v[8:9], v3 offset:320
	s_waitcnt lgkmcnt(0)
	v_pk_mul_f32 v[10:11], v[4:5], v[8:9] op_sel:[1,1] op_sel_hi:[0,1]
	v_pk_fma_f32 v[12:13], v[4:5], v[8:9], v[10:11] neg_lo:[0,0,1] neg_hi:[0,0,1]
	v_pk_fma_f32 v[4:5], v[4:5], v[8:9], v[10:11] op_sel_hi:[1,0,1]
	s_nop 0
	v_mov_b32_e32 v13, v5
	scratch_store_dwordx2 off, v[12:13], off offset:320
.LBB117_175:
	s_or_b64 exec, exec, s[0:1]
	; wave barrier
	scratch_load_dwordx2 v[4:5], off, off offset:328
	v_cmp_gt_u32_e32 vcc, 41, v0
	s_waitcnt vmcnt(0)
	ds_write_b64 v1, v[4:5]
	s_waitcnt lgkmcnt(0)
	; wave barrier
	s_and_saveexec_b64 s[0:1], vcc
	s_cbranch_execz .LBB117_179
; %bb.176:
	v_mov_b32_e32 v4, 0
	v_add_u32_e32 v3, -1, v0
	v_add_u32_e32 v7, 0x1b0, v2
	v_mov_b32_e32 v8, v2
	s_mov_b64 s[4:5], 0
	v_mov_b32_e32 v5, v4
.LBB117_177:                            ; =>This Inner Loop Header: Depth=1
	scratch_load_dwordx2 v[10:11], v8, off
	ds_read_b64 v[12:13], v7
	v_add_u32_e32 v3, 1, v3
	v_cmp_lt_u32_e32 vcc, 39, v3
	v_add_u32_e32 v7, 8, v7
	v_add_u32_e32 v8, 8, v8
	s_or_b64 s[4:5], vcc, s[4:5]
	s_waitcnt vmcnt(0) lgkmcnt(0)
	v_pk_mul_f32 v[14:15], v[12:13], v[10:11] op_sel:[1,1] op_sel_hi:[0,1]
	v_pk_fma_f32 v[16:17], v[12:13], v[10:11], v[14:15] neg_lo:[0,0,1] neg_hi:[0,0,1]
	v_pk_fma_f32 v[10:11], v[12:13], v[10:11], v[14:15] op_sel_hi:[1,0,1]
	s_nop 0
	v_mov_b32_e32 v17, v11
	v_pk_add_f32 v[4:5], v[4:5], v[16:17]
	s_andn2_b64 exec, exec, s[4:5]
	s_cbranch_execnz .LBB117_177
; %bb.178:
	s_or_b64 exec, exec, s[4:5]
	v_mov_b32_e32 v3, 0
	ds_read_b64 v[8:9], v3 offset:328
	s_waitcnt lgkmcnt(0)
	v_pk_mul_f32 v[10:11], v[4:5], v[8:9] op_sel:[1,1] op_sel_hi:[0,1]
	v_pk_fma_f32 v[12:13], v[4:5], v[8:9], v[10:11] neg_lo:[0,0,1] neg_hi:[0,0,1]
	v_pk_fma_f32 v[4:5], v[4:5], v[8:9], v[10:11] op_sel_hi:[1,0,1]
	s_nop 0
	v_mov_b32_e32 v13, v5
	scratch_store_dwordx2 off, v[12:13], off offset:328
.LBB117_179:
	s_or_b64 exec, exec, s[0:1]
	; wave barrier
	scratch_load_dwordx2 v[4:5], off, off offset:336
	v_cmp_gt_u32_e32 vcc, 42, v0
	s_waitcnt vmcnt(0)
	ds_write_b64 v1, v[4:5]
	s_waitcnt lgkmcnt(0)
	; wave barrier
	s_and_saveexec_b64 s[0:1], vcc
	s_cbranch_execz .LBB117_183
; %bb.180:
	v_mov_b32_e32 v4, 0
	v_add_u32_e32 v3, -1, v0
	v_add_u32_e32 v7, 0x1b0, v2
	v_mov_b32_e32 v8, v2
	s_mov_b64 s[4:5], 0
	v_mov_b32_e32 v5, v4
.LBB117_181:                            ; =>This Inner Loop Header: Depth=1
	scratch_load_dwordx2 v[10:11], v8, off
	ds_read_b64 v[12:13], v7
	v_add_u32_e32 v3, 1, v3
	v_cmp_lt_u32_e32 vcc, 40, v3
	v_add_u32_e32 v7, 8, v7
	v_add_u32_e32 v8, 8, v8
	s_or_b64 s[4:5], vcc, s[4:5]
	s_waitcnt vmcnt(0) lgkmcnt(0)
	v_pk_mul_f32 v[14:15], v[12:13], v[10:11] op_sel:[1,1] op_sel_hi:[0,1]
	v_pk_fma_f32 v[16:17], v[12:13], v[10:11], v[14:15] neg_lo:[0,0,1] neg_hi:[0,0,1]
	v_pk_fma_f32 v[10:11], v[12:13], v[10:11], v[14:15] op_sel_hi:[1,0,1]
	s_nop 0
	v_mov_b32_e32 v17, v11
	v_pk_add_f32 v[4:5], v[4:5], v[16:17]
	s_andn2_b64 exec, exec, s[4:5]
	s_cbranch_execnz .LBB117_181
; %bb.182:
	s_or_b64 exec, exec, s[4:5]
	v_mov_b32_e32 v3, 0
	ds_read_b64 v[8:9], v3 offset:336
	s_waitcnt lgkmcnt(0)
	v_pk_mul_f32 v[10:11], v[4:5], v[8:9] op_sel:[1,1] op_sel_hi:[0,1]
	v_pk_fma_f32 v[12:13], v[4:5], v[8:9], v[10:11] neg_lo:[0,0,1] neg_hi:[0,0,1]
	v_pk_fma_f32 v[4:5], v[4:5], v[8:9], v[10:11] op_sel_hi:[1,0,1]
	s_nop 0
	v_mov_b32_e32 v13, v5
	scratch_store_dwordx2 off, v[12:13], off offset:336
.LBB117_183:
	s_or_b64 exec, exec, s[0:1]
	; wave barrier
	scratch_load_dwordx2 v[4:5], off, off offset:344
	v_cmp_gt_u32_e32 vcc, 43, v0
	s_waitcnt vmcnt(0)
	ds_write_b64 v1, v[4:5]
	s_waitcnt lgkmcnt(0)
	; wave barrier
	s_and_saveexec_b64 s[0:1], vcc
	s_cbranch_execz .LBB117_187
; %bb.184:
	v_mov_b32_e32 v4, 0
	v_add_u32_e32 v3, -1, v0
	v_add_u32_e32 v7, 0x1b0, v2
	v_mov_b32_e32 v8, v2
	s_mov_b64 s[4:5], 0
	v_mov_b32_e32 v5, v4
.LBB117_185:                            ; =>This Inner Loop Header: Depth=1
	scratch_load_dwordx2 v[10:11], v8, off
	ds_read_b64 v[12:13], v7
	v_add_u32_e32 v3, 1, v3
	v_cmp_lt_u32_e32 vcc, 41, v3
	v_add_u32_e32 v7, 8, v7
	v_add_u32_e32 v8, 8, v8
	s_or_b64 s[4:5], vcc, s[4:5]
	s_waitcnt vmcnt(0) lgkmcnt(0)
	v_pk_mul_f32 v[14:15], v[12:13], v[10:11] op_sel:[1,1] op_sel_hi:[0,1]
	v_pk_fma_f32 v[16:17], v[12:13], v[10:11], v[14:15] neg_lo:[0,0,1] neg_hi:[0,0,1]
	v_pk_fma_f32 v[10:11], v[12:13], v[10:11], v[14:15] op_sel_hi:[1,0,1]
	s_nop 0
	v_mov_b32_e32 v17, v11
	v_pk_add_f32 v[4:5], v[4:5], v[16:17]
	s_andn2_b64 exec, exec, s[4:5]
	s_cbranch_execnz .LBB117_185
; %bb.186:
	s_or_b64 exec, exec, s[4:5]
	v_mov_b32_e32 v3, 0
	ds_read_b64 v[8:9], v3 offset:344
	s_waitcnt lgkmcnt(0)
	v_pk_mul_f32 v[10:11], v[4:5], v[8:9] op_sel:[1,1] op_sel_hi:[0,1]
	v_pk_fma_f32 v[12:13], v[4:5], v[8:9], v[10:11] neg_lo:[0,0,1] neg_hi:[0,0,1]
	v_pk_fma_f32 v[4:5], v[4:5], v[8:9], v[10:11] op_sel_hi:[1,0,1]
	s_nop 0
	v_mov_b32_e32 v13, v5
	scratch_store_dwordx2 off, v[12:13], off offset:344
.LBB117_187:
	s_or_b64 exec, exec, s[0:1]
	; wave barrier
	scratch_load_dwordx2 v[4:5], off, off offset:352
	v_cmp_gt_u32_e32 vcc, 44, v0
	s_waitcnt vmcnt(0)
	ds_write_b64 v1, v[4:5]
	s_waitcnt lgkmcnt(0)
	; wave barrier
	s_and_saveexec_b64 s[0:1], vcc
	s_cbranch_execz .LBB117_191
; %bb.188:
	v_mov_b32_e32 v4, 0
	v_add_u32_e32 v3, -1, v0
	v_add_u32_e32 v7, 0x1b0, v2
	v_mov_b32_e32 v8, v2
	s_mov_b64 s[4:5], 0
	v_mov_b32_e32 v5, v4
.LBB117_189:                            ; =>This Inner Loop Header: Depth=1
	scratch_load_dwordx2 v[10:11], v8, off
	ds_read_b64 v[12:13], v7
	v_add_u32_e32 v3, 1, v3
	v_cmp_lt_u32_e32 vcc, 42, v3
	v_add_u32_e32 v7, 8, v7
	v_add_u32_e32 v8, 8, v8
	s_or_b64 s[4:5], vcc, s[4:5]
	s_waitcnt vmcnt(0) lgkmcnt(0)
	v_pk_mul_f32 v[14:15], v[12:13], v[10:11] op_sel:[1,1] op_sel_hi:[0,1]
	v_pk_fma_f32 v[16:17], v[12:13], v[10:11], v[14:15] neg_lo:[0,0,1] neg_hi:[0,0,1]
	v_pk_fma_f32 v[10:11], v[12:13], v[10:11], v[14:15] op_sel_hi:[1,0,1]
	s_nop 0
	v_mov_b32_e32 v17, v11
	v_pk_add_f32 v[4:5], v[4:5], v[16:17]
	s_andn2_b64 exec, exec, s[4:5]
	s_cbranch_execnz .LBB117_189
; %bb.190:
	s_or_b64 exec, exec, s[4:5]
	v_mov_b32_e32 v3, 0
	ds_read_b64 v[8:9], v3 offset:352
	s_waitcnt lgkmcnt(0)
	v_pk_mul_f32 v[10:11], v[4:5], v[8:9] op_sel:[1,1] op_sel_hi:[0,1]
	v_pk_fma_f32 v[12:13], v[4:5], v[8:9], v[10:11] neg_lo:[0,0,1] neg_hi:[0,0,1]
	v_pk_fma_f32 v[4:5], v[4:5], v[8:9], v[10:11] op_sel_hi:[1,0,1]
	s_nop 0
	v_mov_b32_e32 v13, v5
	scratch_store_dwordx2 off, v[12:13], off offset:352
.LBB117_191:
	s_or_b64 exec, exec, s[0:1]
	; wave barrier
	scratch_load_dwordx2 v[4:5], off, off offset:360
	v_cmp_gt_u32_e32 vcc, 45, v0
	s_waitcnt vmcnt(0)
	ds_write_b64 v1, v[4:5]
	s_waitcnt lgkmcnt(0)
	; wave barrier
	s_and_saveexec_b64 s[0:1], vcc
	s_cbranch_execz .LBB117_195
; %bb.192:
	v_mov_b32_e32 v4, 0
	v_add_u32_e32 v3, -1, v0
	v_add_u32_e32 v7, 0x1b0, v2
	v_mov_b32_e32 v8, v2
	s_mov_b64 s[4:5], 0
	v_mov_b32_e32 v5, v4
.LBB117_193:                            ; =>This Inner Loop Header: Depth=1
	scratch_load_dwordx2 v[10:11], v8, off
	ds_read_b64 v[12:13], v7
	v_add_u32_e32 v3, 1, v3
	v_cmp_lt_u32_e32 vcc, 43, v3
	v_add_u32_e32 v7, 8, v7
	v_add_u32_e32 v8, 8, v8
	s_or_b64 s[4:5], vcc, s[4:5]
	s_waitcnt vmcnt(0) lgkmcnt(0)
	v_pk_mul_f32 v[14:15], v[12:13], v[10:11] op_sel:[1,1] op_sel_hi:[0,1]
	v_pk_fma_f32 v[16:17], v[12:13], v[10:11], v[14:15] neg_lo:[0,0,1] neg_hi:[0,0,1]
	v_pk_fma_f32 v[10:11], v[12:13], v[10:11], v[14:15] op_sel_hi:[1,0,1]
	s_nop 0
	v_mov_b32_e32 v17, v11
	v_pk_add_f32 v[4:5], v[4:5], v[16:17]
	s_andn2_b64 exec, exec, s[4:5]
	s_cbranch_execnz .LBB117_193
; %bb.194:
	s_or_b64 exec, exec, s[4:5]
	v_mov_b32_e32 v3, 0
	ds_read_b64 v[8:9], v3 offset:360
	s_waitcnt lgkmcnt(0)
	v_pk_mul_f32 v[10:11], v[4:5], v[8:9] op_sel:[1,1] op_sel_hi:[0,1]
	v_pk_fma_f32 v[12:13], v[4:5], v[8:9], v[10:11] neg_lo:[0,0,1] neg_hi:[0,0,1]
	v_pk_fma_f32 v[4:5], v[4:5], v[8:9], v[10:11] op_sel_hi:[1,0,1]
	s_nop 0
	v_mov_b32_e32 v13, v5
	scratch_store_dwordx2 off, v[12:13], off offset:360
.LBB117_195:
	s_or_b64 exec, exec, s[0:1]
	; wave barrier
	scratch_load_dwordx2 v[4:5], off, off offset:368
	v_cmp_gt_u32_e32 vcc, 46, v0
	s_waitcnt vmcnt(0)
	ds_write_b64 v1, v[4:5]
	s_waitcnt lgkmcnt(0)
	; wave barrier
	s_and_saveexec_b64 s[0:1], vcc
	s_cbranch_execz .LBB117_199
; %bb.196:
	v_mov_b32_e32 v4, 0
	v_add_u32_e32 v3, -1, v0
	v_add_u32_e32 v7, 0x1b0, v2
	v_mov_b32_e32 v8, v2
	s_mov_b64 s[4:5], 0
	v_mov_b32_e32 v5, v4
.LBB117_197:                            ; =>This Inner Loop Header: Depth=1
	scratch_load_dwordx2 v[10:11], v8, off
	ds_read_b64 v[12:13], v7
	v_add_u32_e32 v3, 1, v3
	v_cmp_lt_u32_e32 vcc, 44, v3
	v_add_u32_e32 v7, 8, v7
	v_add_u32_e32 v8, 8, v8
	s_or_b64 s[4:5], vcc, s[4:5]
	s_waitcnt vmcnt(0) lgkmcnt(0)
	v_pk_mul_f32 v[14:15], v[12:13], v[10:11] op_sel:[1,1] op_sel_hi:[0,1]
	v_pk_fma_f32 v[16:17], v[12:13], v[10:11], v[14:15] neg_lo:[0,0,1] neg_hi:[0,0,1]
	v_pk_fma_f32 v[10:11], v[12:13], v[10:11], v[14:15] op_sel_hi:[1,0,1]
	s_nop 0
	v_mov_b32_e32 v17, v11
	v_pk_add_f32 v[4:5], v[4:5], v[16:17]
	s_andn2_b64 exec, exec, s[4:5]
	s_cbranch_execnz .LBB117_197
; %bb.198:
	s_or_b64 exec, exec, s[4:5]
	v_mov_b32_e32 v3, 0
	ds_read_b64 v[8:9], v3 offset:368
	s_waitcnt lgkmcnt(0)
	v_pk_mul_f32 v[10:11], v[4:5], v[8:9] op_sel:[1,1] op_sel_hi:[0,1]
	v_pk_fma_f32 v[12:13], v[4:5], v[8:9], v[10:11] neg_lo:[0,0,1] neg_hi:[0,0,1]
	v_pk_fma_f32 v[4:5], v[4:5], v[8:9], v[10:11] op_sel_hi:[1,0,1]
	s_nop 0
	v_mov_b32_e32 v13, v5
	scratch_store_dwordx2 off, v[12:13], off offset:368
.LBB117_199:
	s_or_b64 exec, exec, s[0:1]
	; wave barrier
	scratch_load_dwordx2 v[4:5], off, off offset:376
	v_cmp_gt_u32_e32 vcc, 47, v0
	s_waitcnt vmcnt(0)
	ds_write_b64 v1, v[4:5]
	s_waitcnt lgkmcnt(0)
	; wave barrier
	s_and_saveexec_b64 s[0:1], vcc
	s_cbranch_execz .LBB117_203
; %bb.200:
	v_mov_b32_e32 v4, 0
	v_add_u32_e32 v3, -1, v0
	v_add_u32_e32 v7, 0x1b0, v2
	v_mov_b32_e32 v8, v2
	s_mov_b64 s[4:5], 0
	v_mov_b32_e32 v5, v4
.LBB117_201:                            ; =>This Inner Loop Header: Depth=1
	scratch_load_dwordx2 v[10:11], v8, off
	ds_read_b64 v[12:13], v7
	v_add_u32_e32 v3, 1, v3
	v_cmp_lt_u32_e32 vcc, 45, v3
	v_add_u32_e32 v7, 8, v7
	v_add_u32_e32 v8, 8, v8
	s_or_b64 s[4:5], vcc, s[4:5]
	s_waitcnt vmcnt(0) lgkmcnt(0)
	v_pk_mul_f32 v[14:15], v[12:13], v[10:11] op_sel:[1,1] op_sel_hi:[0,1]
	v_pk_fma_f32 v[16:17], v[12:13], v[10:11], v[14:15] neg_lo:[0,0,1] neg_hi:[0,0,1]
	v_pk_fma_f32 v[10:11], v[12:13], v[10:11], v[14:15] op_sel_hi:[1,0,1]
	s_nop 0
	v_mov_b32_e32 v17, v11
	v_pk_add_f32 v[4:5], v[4:5], v[16:17]
	s_andn2_b64 exec, exec, s[4:5]
	s_cbranch_execnz .LBB117_201
; %bb.202:
	s_or_b64 exec, exec, s[4:5]
	v_mov_b32_e32 v3, 0
	ds_read_b64 v[8:9], v3 offset:376
	s_waitcnt lgkmcnt(0)
	v_pk_mul_f32 v[10:11], v[4:5], v[8:9] op_sel:[1,1] op_sel_hi:[0,1]
	v_pk_fma_f32 v[12:13], v[4:5], v[8:9], v[10:11] neg_lo:[0,0,1] neg_hi:[0,0,1]
	v_pk_fma_f32 v[4:5], v[4:5], v[8:9], v[10:11] op_sel_hi:[1,0,1]
	s_nop 0
	v_mov_b32_e32 v13, v5
	scratch_store_dwordx2 off, v[12:13], off offset:376
.LBB117_203:
	s_or_b64 exec, exec, s[0:1]
	; wave barrier
	scratch_load_dwordx2 v[4:5], off, off offset:384
	v_cmp_gt_u32_e32 vcc, 48, v0
	s_waitcnt vmcnt(0)
	ds_write_b64 v1, v[4:5]
	s_waitcnt lgkmcnt(0)
	; wave barrier
	s_and_saveexec_b64 s[0:1], vcc
	s_cbranch_execz .LBB117_207
; %bb.204:
	v_mov_b32_e32 v4, 0
	v_add_u32_e32 v3, -1, v0
	v_add_u32_e32 v7, 0x1b0, v2
	v_mov_b32_e32 v8, v2
	s_mov_b64 s[4:5], 0
	v_mov_b32_e32 v5, v4
.LBB117_205:                            ; =>This Inner Loop Header: Depth=1
	scratch_load_dwordx2 v[10:11], v8, off
	ds_read_b64 v[12:13], v7
	v_add_u32_e32 v3, 1, v3
	v_cmp_lt_u32_e32 vcc, 46, v3
	v_add_u32_e32 v7, 8, v7
	v_add_u32_e32 v8, 8, v8
	s_or_b64 s[4:5], vcc, s[4:5]
	s_waitcnt vmcnt(0) lgkmcnt(0)
	v_pk_mul_f32 v[14:15], v[12:13], v[10:11] op_sel:[1,1] op_sel_hi:[0,1]
	v_pk_fma_f32 v[16:17], v[12:13], v[10:11], v[14:15] neg_lo:[0,0,1] neg_hi:[0,0,1]
	v_pk_fma_f32 v[10:11], v[12:13], v[10:11], v[14:15] op_sel_hi:[1,0,1]
	s_nop 0
	v_mov_b32_e32 v17, v11
	v_pk_add_f32 v[4:5], v[4:5], v[16:17]
	s_andn2_b64 exec, exec, s[4:5]
	s_cbranch_execnz .LBB117_205
; %bb.206:
	s_or_b64 exec, exec, s[4:5]
	v_mov_b32_e32 v3, 0
	ds_read_b64 v[8:9], v3 offset:384
	s_waitcnt lgkmcnt(0)
	v_pk_mul_f32 v[10:11], v[4:5], v[8:9] op_sel:[1,1] op_sel_hi:[0,1]
	v_pk_fma_f32 v[12:13], v[4:5], v[8:9], v[10:11] neg_lo:[0,0,1] neg_hi:[0,0,1]
	v_pk_fma_f32 v[4:5], v[4:5], v[8:9], v[10:11] op_sel_hi:[1,0,1]
	s_nop 0
	v_mov_b32_e32 v13, v5
	scratch_store_dwordx2 off, v[12:13], off offset:384
.LBB117_207:
	s_or_b64 exec, exec, s[0:1]
	; wave barrier
	scratch_load_dwordx2 v[4:5], off, off offset:392
	v_cmp_gt_u32_e32 vcc, 49, v0
	s_waitcnt vmcnt(0)
	ds_write_b64 v1, v[4:5]
	s_waitcnt lgkmcnt(0)
	; wave barrier
	s_and_saveexec_b64 s[0:1], vcc
	s_cbranch_execz .LBB117_211
; %bb.208:
	v_mov_b32_e32 v4, 0
	v_add_u32_e32 v3, -1, v0
	v_add_u32_e32 v7, 0x1b0, v2
	v_mov_b32_e32 v8, v2
	s_mov_b64 s[4:5], 0
	v_mov_b32_e32 v5, v4
.LBB117_209:                            ; =>This Inner Loop Header: Depth=1
	scratch_load_dwordx2 v[10:11], v8, off
	ds_read_b64 v[12:13], v7
	v_add_u32_e32 v3, 1, v3
	v_cmp_lt_u32_e32 vcc, 47, v3
	v_add_u32_e32 v7, 8, v7
	v_add_u32_e32 v8, 8, v8
	s_or_b64 s[4:5], vcc, s[4:5]
	s_waitcnt vmcnt(0) lgkmcnt(0)
	v_pk_mul_f32 v[14:15], v[12:13], v[10:11] op_sel:[1,1] op_sel_hi:[0,1]
	v_pk_fma_f32 v[16:17], v[12:13], v[10:11], v[14:15] neg_lo:[0,0,1] neg_hi:[0,0,1]
	v_pk_fma_f32 v[10:11], v[12:13], v[10:11], v[14:15] op_sel_hi:[1,0,1]
	s_nop 0
	v_mov_b32_e32 v17, v11
	v_pk_add_f32 v[4:5], v[4:5], v[16:17]
	s_andn2_b64 exec, exec, s[4:5]
	s_cbranch_execnz .LBB117_209
; %bb.210:
	s_or_b64 exec, exec, s[4:5]
	v_mov_b32_e32 v3, 0
	ds_read_b64 v[8:9], v3 offset:392
	s_waitcnt lgkmcnt(0)
	v_pk_mul_f32 v[10:11], v[4:5], v[8:9] op_sel:[1,1] op_sel_hi:[0,1]
	v_pk_fma_f32 v[12:13], v[4:5], v[8:9], v[10:11] neg_lo:[0,0,1] neg_hi:[0,0,1]
	v_pk_fma_f32 v[4:5], v[4:5], v[8:9], v[10:11] op_sel_hi:[1,0,1]
	s_nop 0
	v_mov_b32_e32 v13, v5
	scratch_store_dwordx2 off, v[12:13], off offset:392
.LBB117_211:
	s_or_b64 exec, exec, s[0:1]
	; wave barrier
	scratch_load_dwordx2 v[4:5], off, off offset:400
	v_cmp_gt_u32_e32 vcc, 50, v0
	s_waitcnt vmcnt(0)
	ds_write_b64 v1, v[4:5]
	s_waitcnt lgkmcnt(0)
	; wave barrier
	s_and_saveexec_b64 s[0:1], vcc
	s_cbranch_execz .LBB117_215
; %bb.212:
	v_mov_b32_e32 v4, 0
	v_add_u32_e32 v3, -1, v0
	v_add_u32_e32 v7, 0x1b0, v2
	v_mov_b32_e32 v8, v2
	s_mov_b64 s[4:5], 0
	v_mov_b32_e32 v5, v4
.LBB117_213:                            ; =>This Inner Loop Header: Depth=1
	scratch_load_dwordx2 v[10:11], v8, off
	ds_read_b64 v[12:13], v7
	v_add_u32_e32 v3, 1, v3
	v_cmp_lt_u32_e32 vcc, 48, v3
	v_add_u32_e32 v7, 8, v7
	v_add_u32_e32 v8, 8, v8
	s_or_b64 s[4:5], vcc, s[4:5]
	s_waitcnt vmcnt(0) lgkmcnt(0)
	v_pk_mul_f32 v[14:15], v[12:13], v[10:11] op_sel:[1,1] op_sel_hi:[0,1]
	v_pk_fma_f32 v[16:17], v[12:13], v[10:11], v[14:15] neg_lo:[0,0,1] neg_hi:[0,0,1]
	v_pk_fma_f32 v[10:11], v[12:13], v[10:11], v[14:15] op_sel_hi:[1,0,1]
	s_nop 0
	v_mov_b32_e32 v17, v11
	v_pk_add_f32 v[4:5], v[4:5], v[16:17]
	s_andn2_b64 exec, exec, s[4:5]
	s_cbranch_execnz .LBB117_213
; %bb.214:
	s_or_b64 exec, exec, s[4:5]
	v_mov_b32_e32 v3, 0
	ds_read_b64 v[8:9], v3 offset:400
	s_waitcnt lgkmcnt(0)
	v_pk_mul_f32 v[10:11], v[4:5], v[8:9] op_sel:[1,1] op_sel_hi:[0,1]
	v_pk_fma_f32 v[12:13], v[4:5], v[8:9], v[10:11] neg_lo:[0,0,1] neg_hi:[0,0,1]
	v_pk_fma_f32 v[4:5], v[4:5], v[8:9], v[10:11] op_sel_hi:[1,0,1]
	s_nop 0
	v_mov_b32_e32 v13, v5
	scratch_store_dwordx2 off, v[12:13], off offset:400
.LBB117_215:
	s_or_b64 exec, exec, s[0:1]
	; wave barrier
	scratch_load_dwordx2 v[4:5], off, off offset:408
	v_cmp_gt_u32_e32 vcc, 51, v0
	s_waitcnt vmcnt(0)
	ds_write_b64 v1, v[4:5]
	s_waitcnt lgkmcnt(0)
	; wave barrier
	s_and_saveexec_b64 s[0:1], vcc
	s_cbranch_execz .LBB117_219
; %bb.216:
	v_mov_b32_e32 v4, 0
	v_add_u32_e32 v3, -1, v0
	v_add_u32_e32 v7, 0x1b0, v2
	v_mov_b32_e32 v8, v2
	s_mov_b64 s[4:5], 0
	v_mov_b32_e32 v5, v4
.LBB117_217:                            ; =>This Inner Loop Header: Depth=1
	scratch_load_dwordx2 v[10:11], v8, off
	ds_read_b64 v[12:13], v7
	v_add_u32_e32 v3, 1, v3
	v_cmp_lt_u32_e32 vcc, 49, v3
	v_add_u32_e32 v7, 8, v7
	v_add_u32_e32 v8, 8, v8
	s_or_b64 s[4:5], vcc, s[4:5]
	s_waitcnt vmcnt(0) lgkmcnt(0)
	v_pk_mul_f32 v[14:15], v[12:13], v[10:11] op_sel:[1,1] op_sel_hi:[0,1]
	v_pk_fma_f32 v[16:17], v[12:13], v[10:11], v[14:15] neg_lo:[0,0,1] neg_hi:[0,0,1]
	v_pk_fma_f32 v[10:11], v[12:13], v[10:11], v[14:15] op_sel_hi:[1,0,1]
	s_nop 0
	v_mov_b32_e32 v17, v11
	v_pk_add_f32 v[4:5], v[4:5], v[16:17]
	s_andn2_b64 exec, exec, s[4:5]
	s_cbranch_execnz .LBB117_217
; %bb.218:
	s_or_b64 exec, exec, s[4:5]
	v_mov_b32_e32 v3, 0
	ds_read_b64 v[8:9], v3 offset:408
	s_waitcnt lgkmcnt(0)
	v_pk_mul_f32 v[10:11], v[4:5], v[8:9] op_sel:[1,1] op_sel_hi:[0,1]
	v_pk_fma_f32 v[12:13], v[4:5], v[8:9], v[10:11] neg_lo:[0,0,1] neg_hi:[0,0,1]
	v_pk_fma_f32 v[4:5], v[4:5], v[8:9], v[10:11] op_sel_hi:[1,0,1]
	s_nop 0
	v_mov_b32_e32 v13, v5
	scratch_store_dwordx2 off, v[12:13], off offset:408
.LBB117_219:
	s_or_b64 exec, exec, s[0:1]
	; wave barrier
	scratch_load_dwordx2 v[4:5], off, off offset:416
	v_cmp_gt_u32_e32 vcc, 52, v0
	s_waitcnt vmcnt(0)
	ds_write_b64 v1, v[4:5]
	s_waitcnt lgkmcnt(0)
	; wave barrier
	s_and_saveexec_b64 s[0:1], vcc
	s_cbranch_execz .LBB117_223
; %bb.220:
	v_mov_b32_e32 v4, 0
	v_add_u32_e32 v3, -1, v0
	v_add_u32_e32 v7, 0x1b0, v2
	v_mov_b32_e32 v8, v2
	s_mov_b64 s[4:5], 0
	v_mov_b32_e32 v5, v4
.LBB117_221:                            ; =>This Inner Loop Header: Depth=1
	scratch_load_dwordx2 v[10:11], v8, off
	ds_read_b64 v[12:13], v7
	v_add_u32_e32 v3, 1, v3
	v_cmp_lt_u32_e32 vcc, 50, v3
	v_add_u32_e32 v7, 8, v7
	v_add_u32_e32 v8, 8, v8
	s_or_b64 s[4:5], vcc, s[4:5]
	s_waitcnt vmcnt(0) lgkmcnt(0)
	v_pk_mul_f32 v[14:15], v[12:13], v[10:11] op_sel:[1,1] op_sel_hi:[0,1]
	v_pk_fma_f32 v[16:17], v[12:13], v[10:11], v[14:15] neg_lo:[0,0,1] neg_hi:[0,0,1]
	v_pk_fma_f32 v[10:11], v[12:13], v[10:11], v[14:15] op_sel_hi:[1,0,1]
	s_nop 0
	v_mov_b32_e32 v17, v11
	v_pk_add_f32 v[4:5], v[4:5], v[16:17]
	s_andn2_b64 exec, exec, s[4:5]
	s_cbranch_execnz .LBB117_221
; %bb.222:
	s_or_b64 exec, exec, s[4:5]
	v_mov_b32_e32 v3, 0
	ds_read_b64 v[8:9], v3 offset:416
	s_waitcnt lgkmcnt(0)
	v_pk_mul_f32 v[10:11], v[4:5], v[8:9] op_sel:[1,1] op_sel_hi:[0,1]
	v_pk_fma_f32 v[12:13], v[4:5], v[8:9], v[10:11] neg_lo:[0,0,1] neg_hi:[0,0,1]
	v_pk_fma_f32 v[4:5], v[4:5], v[8:9], v[10:11] op_sel_hi:[1,0,1]
	s_nop 0
	v_mov_b32_e32 v13, v5
	scratch_store_dwordx2 off, v[12:13], off offset:416
.LBB117_223:
	s_or_b64 exec, exec, s[0:1]
	; wave barrier
	scratch_load_dwordx2 v[4:5], off, off offset:424
	v_cmp_ne_u32_e32 vcc, 53, v0
	s_waitcnt vmcnt(0)
	ds_write_b64 v1, v[4:5]
	s_waitcnt lgkmcnt(0)
	; wave barrier
	s_and_saveexec_b64 s[0:1], vcc
	s_cbranch_execz .LBB117_227
; %bb.224:
	v_add_u32_e32 v1, 0x1b0, v2
	v_mov_b32_e32 v4, v2
	v_mov_b32_e32 v2, 0
	s_mov_b64 s[4:5], 0
	v_mov_b32_e32 v3, v2
.LBB117_225:                            ; =>This Inner Loop Header: Depth=1
	scratch_load_dwordx2 v[8:9], v4, off
	ds_read_b64 v[10:11], v1
	v_add_u32_e32 v6, 1, v6
	v_cmp_lt_u32_e32 vcc, 51, v6
	v_add_u32_e32 v1, 8, v1
	v_add_u32_e32 v4, 8, v4
	s_or_b64 s[4:5], vcc, s[4:5]
	s_waitcnt vmcnt(0) lgkmcnt(0)
	v_pk_mul_f32 v[12:13], v[10:11], v[8:9] op_sel:[1,1] op_sel_hi:[0,1]
	v_pk_fma_f32 v[14:15], v[10:11], v[8:9], v[12:13] neg_lo:[0,0,1] neg_hi:[0,0,1]
	v_pk_fma_f32 v[8:9], v[10:11], v[8:9], v[12:13] op_sel_hi:[1,0,1]
	s_nop 0
	v_mov_b32_e32 v15, v9
	v_pk_add_f32 v[2:3], v[2:3], v[14:15]
	s_andn2_b64 exec, exec, s[4:5]
	s_cbranch_execnz .LBB117_225
; %bb.226:
	s_or_b64 exec, exec, s[4:5]
	v_mov_b32_e32 v1, 0
	ds_read_b64 v[4:5], v1 offset:424
	s_waitcnt lgkmcnt(0)
	v_pk_mul_f32 v[6:7], v[2:3], v[4:5] op_sel:[1,1] op_sel_hi:[0,1]
	v_pk_fma_f32 v[8:9], v[2:3], v[4:5], v[6:7] neg_lo:[0,0,1] neg_hi:[0,0,1]
	v_pk_fma_f32 v[2:3], v[2:3], v[4:5], v[6:7] op_sel_hi:[1,0,1]
	s_nop 0
	v_mov_b32_e32 v9, v3
	scratch_store_dwordx2 off, v[8:9], off offset:424
.LBB117_227:
	s_or_b64 exec, exec, s[0:1]
	s_mov_b64 s[4:5], -1
	; wave barrier
.LBB117_228:
	s_and_b64 vcc, exec, s[4:5]
	s_cbranch_vccz .LBB117_230
; %bb.229:
	s_lshl_b64 s[0:1], s[2:3], 2
	s_add_u32 s0, s6, s0
	s_addc_u32 s1, s7, s1
	v_mov_b32_e32 v1, 0
	global_load_dword v1, v1, s[0:1]
	s_waitcnt vmcnt(0)
	v_cmp_ne_u32_e32 vcc, 0, v1
	s_cbranch_vccz .LBB117_231
.LBB117_230:
	s_endpgm
.LBB117_231:
	v_mov_b32_e32 v1, 0x1b0
	v_lshl_add_u32 v1, v0, 3, v1
	v_cmp_eq_u32_e32 vcc, 53, v0
	s_and_saveexec_b64 s[0:1], vcc
	s_cbranch_execz .LBB117_233
; %bb.232:
	scratch_load_dwordx2 v[2:3], off, off offset:416
	v_mov_b32_e32 v4, 0
	v_mov_b32_e32 v5, v4
	scratch_store_dwordx2 off, v[4:5], off offset:416
	s_waitcnt vmcnt(1)
	ds_write_b64 v1, v[2:3]
.LBB117_233:
	s_or_b64 exec, exec, s[0:1]
	s_waitcnt lgkmcnt(0)
	; wave barrier
	scratch_load_dwordx2 v[4:5], off, off offset:424
	scratch_load_dwordx2 v[6:7], off, off offset:416
	v_mov_b32_e32 v2, 0
	ds_read_b64 v[8:9], v2 offset:856
	v_cmp_lt_u32_e32 vcc, 51, v0
	s_waitcnt vmcnt(1) lgkmcnt(0)
	v_pk_mul_f32 v[10:11], v[8:9], v[4:5] op_sel:[1,1] op_sel_hi:[0,1]
	v_pk_fma_f32 v[12:13], v[8:9], v[4:5], v[10:11] neg_lo:[0,0,1] neg_hi:[0,0,1]
	v_pk_fma_f32 v[4:5], v[8:9], v[4:5], v[10:11] op_sel_hi:[1,0,1]
	s_nop 0
	v_mov_b32_e32 v13, v5
	v_pk_add_f32 v[4:5], v[12:13], 0 op_sel_hi:[1,0]
	s_waitcnt vmcnt(0)
	v_pk_add_f32 v[4:5], v[6:7], v[4:5] neg_lo:[0,1] neg_hi:[0,1]
	scratch_store_dwordx2 off, v[4:5], off offset:416
	s_and_saveexec_b64 s[0:1], vcc
	s_cbranch_execz .LBB117_235
; %bb.234:
	scratch_load_dwordx2 v[4:5], off, off offset:408
	v_mov_b32_e32 v3, v2
	scratch_store_dwordx2 off, v[2:3], off offset:408
	s_waitcnt vmcnt(1)
	ds_write_b64 v1, v[4:5]
.LBB117_235:
	s_or_b64 exec, exec, s[0:1]
	s_waitcnt lgkmcnt(0)
	; wave barrier
	scratch_load_dwordx4 v[4:7], off, off offset:416
	scratch_load_dwordx2 v[12:13], off, off offset:408
	ds_read_b128 v[8:11], v2 offset:848
	v_cmp_lt_u32_e32 vcc, 50, v0
	s_waitcnt vmcnt(1) lgkmcnt(0)
	v_pk_mul_f32 v[2:3], v[8:9], v[4:5] op_sel:[1,1] op_sel_hi:[0,1]
	v_mov_b32_e32 v14, v7
	v_pk_fma_f32 v[16:17], v[8:9], v[4:5], v[2:3] neg_lo:[0,0,1] neg_hi:[0,0,1]
	v_pk_fma_f32 v[2:3], v[8:9], v[4:5], v[2:3] op_sel_hi:[1,0,1]
	v_pk_mul_f32 v[4:5], v[10:11], v[14:15] op_sel:[1,0] op_sel_hi:[0,0]
	v_mov_b32_e32 v17, v3
	v_pk_fma_f32 v[2:3], v[10:11], v[6:7], v[4:5] neg_lo:[0,0,1] neg_hi:[0,0,1]
	v_pk_fma_f32 v[4:5], v[10:11], v[6:7], v[4:5] op_sel_hi:[1,0,1]
	v_pk_add_f32 v[6:7], v[16:17], 0 op_sel_hi:[1,0]
	v_mov_b32_e32 v3, v5
	v_pk_add_f32 v[2:3], v[6:7], v[2:3]
	s_waitcnt vmcnt(0)
	v_pk_add_f32 v[2:3], v[12:13], v[2:3] neg_lo:[0,1] neg_hi:[0,1]
	scratch_store_dwordx2 off, v[2:3], off offset:408
	s_and_saveexec_b64 s[0:1], vcc
	s_cbranch_execz .LBB117_237
; %bb.236:
	scratch_load_dwordx2 v[2:3], off, off offset:400
	v_mov_b32_e32 v4, 0
	v_mov_b32_e32 v5, v4
	scratch_store_dwordx2 off, v[4:5], off offset:400
	s_waitcnt vmcnt(1)
	ds_write_b64 v1, v[2:3]
.LBB117_237:
	s_or_b64 exec, exec, s[0:1]
	s_waitcnt lgkmcnt(0)
	; wave barrier
	scratch_load_dwordx4 v[4:7], off, off offset:408
	scratch_load_dwordx2 v[12:13], off, off offset:424
	v_mov_b32_e32 v2, 0
	ds_read2_b64 v[8:11], v2 offset0:105 offset1:106
	ds_read_b64 v[14:15], v2 offset:856
	v_cmp_lt_u32_e32 vcc, 49, v0
	s_waitcnt vmcnt(1) lgkmcnt(1)
	v_pk_mul_f32 v[16:17], v[8:9], v[4:5] op_sel:[1,1] op_sel_hi:[0,1]
	v_pk_fma_f32 v[18:19], v[8:9], v[4:5], v[16:17] neg_lo:[0,0,1] neg_hi:[0,0,1]
	v_pk_fma_f32 v[4:5], v[8:9], v[4:5], v[16:17] op_sel_hi:[1,0,1]
	v_mov_b32_e32 v8, v7
	v_pk_mul_f32 v[8:9], v[10:11], v[8:9] op_sel:[1,0] op_sel_hi:[0,0]
	v_pk_fma_f32 v[16:17], v[10:11], v[6:7], v[8:9] neg_lo:[0,0,1] neg_hi:[0,0,1]
	v_pk_fma_f32 v[6:7], v[10:11], v[6:7], v[8:9] op_sel_hi:[1,0,1]
	v_mov_b32_e32 v19, v5
	v_mov_b32_e32 v17, v7
	s_waitcnt vmcnt(0) lgkmcnt(0)
	v_pk_mul_f32 v[6:7], v[14:15], v[12:13] op_sel:[1,1] op_sel_hi:[0,1]
	v_pk_fma_f32 v[8:9], v[14:15], v[12:13], v[6:7] neg_lo:[0,0,1] neg_hi:[0,0,1]
	v_pk_fma_f32 v[6:7], v[14:15], v[12:13], v[6:7] op_sel_hi:[1,0,1]
	v_pk_add_f32 v[4:5], v[18:19], 0 op_sel_hi:[1,0]
	v_mov_b32_e32 v9, v7
	scratch_load_dwordx2 v[6:7], off, off offset:400
	v_pk_add_f32 v[4:5], v[4:5], v[16:17]
	s_nop 0
	v_pk_add_f32 v[4:5], v[4:5], v[8:9]
	s_waitcnt vmcnt(0)
	v_pk_add_f32 v[4:5], v[6:7], v[4:5] neg_lo:[0,1] neg_hi:[0,1]
	scratch_store_dwordx2 off, v[4:5], off offset:400
	s_and_saveexec_b64 s[0:1], vcc
	s_cbranch_execz .LBB117_239
; %bb.238:
	scratch_load_dwordx2 v[4:5], off, off offset:392
	v_mov_b32_e32 v3, v2
	scratch_store_dwordx2 off, v[2:3], off offset:392
	s_waitcnt vmcnt(1)
	ds_write_b64 v1, v[4:5]
.LBB117_239:
	s_or_b64 exec, exec, s[0:1]
	s_waitcnt lgkmcnt(0)
	; wave barrier
	scratch_load_dwordx4 v[4:7], off, off offset:400
	scratch_load_dwordx4 v[8:11], off, off offset:416
	scratch_load_dwordx2 v[20:21], off, off offset:392
	ds_read_b128 v[12:15], v2 offset:832
	ds_read_b128 v[16:19], v2 offset:848
	v_cmp_lt_u32_e32 vcc, 48, v0
	s_waitcnt vmcnt(2) lgkmcnt(1)
	v_pk_mul_f32 v[2:3], v[12:13], v[4:5] op_sel:[1,1] op_sel_hi:[0,1]
	v_mov_b32_e32 v22, v7
	s_waitcnt vmcnt(1) lgkmcnt(0)
	v_pk_mul_f32 v[24:25], v[16:17], v[8:9] op_sel:[1,1] op_sel_hi:[0,1]
	v_mov_b32_e32 v26, v11
	v_pk_fma_f32 v[28:29], v[12:13], v[4:5], v[2:3] neg_lo:[0,0,1] neg_hi:[0,0,1]
	v_pk_fma_f32 v[2:3], v[12:13], v[4:5], v[2:3] op_sel_hi:[1,0,1]
	v_pk_mul_f32 v[4:5], v[14:15], v[22:23] op_sel:[1,0] op_sel_hi:[0,0]
	v_pk_fma_f32 v[12:13], v[16:17], v[8:9], v[24:25] neg_lo:[0,0,1] neg_hi:[0,0,1]
	v_pk_fma_f32 v[8:9], v[16:17], v[8:9], v[24:25] op_sel_hi:[1,0,1]
	v_pk_mul_f32 v[16:17], v[18:19], v[26:27] op_sel:[1,0] op_sel_hi:[0,0]
	v_mov_b32_e32 v29, v3
	v_pk_fma_f32 v[2:3], v[14:15], v[6:7], v[4:5] neg_lo:[0,0,1] neg_hi:[0,0,1]
	v_pk_fma_f32 v[4:5], v[14:15], v[6:7], v[4:5] op_sel_hi:[1,0,1]
	v_mov_b32_e32 v13, v9
	v_pk_fma_f32 v[6:7], v[18:19], v[10:11], v[16:17] neg_lo:[0,0,1] neg_hi:[0,0,1]
	v_pk_fma_f32 v[8:9], v[18:19], v[10:11], v[16:17] op_sel_hi:[1,0,1]
	v_pk_add_f32 v[10:11], v[28:29], 0 op_sel_hi:[1,0]
	v_mov_b32_e32 v3, v5
	v_pk_add_f32 v[2:3], v[10:11], v[2:3]
	v_mov_b32_e32 v7, v9
	v_pk_add_f32 v[2:3], v[2:3], v[12:13]
	s_nop 0
	v_pk_add_f32 v[2:3], v[2:3], v[6:7]
	s_waitcnt vmcnt(0)
	v_pk_add_f32 v[2:3], v[20:21], v[2:3] neg_lo:[0,1] neg_hi:[0,1]
	scratch_store_dwordx2 off, v[2:3], off offset:392
	s_and_saveexec_b64 s[0:1], vcc
	s_cbranch_execz .LBB117_241
; %bb.240:
	scratch_load_dwordx2 v[2:3], off, off offset:384
	v_mov_b32_e32 v4, 0
	v_mov_b32_e32 v5, v4
	scratch_store_dwordx2 off, v[4:5], off offset:384
	s_waitcnt vmcnt(1)
	ds_write_b64 v1, v[2:3]
.LBB117_241:
	s_or_b64 exec, exec, s[0:1]
	s_waitcnt lgkmcnt(0)
	; wave barrier
	scratch_load_dwordx4 v[4:7], off, off offset:392
	scratch_load_dwordx4 v[8:11], off, off offset:408
	scratch_load_dwordx2 v[20:21], off, off offset:424
	scratch_load_dwordx2 v[22:23], off, off offset:384
	v_mov_b32_e32 v2, 0
	ds_read2_b64 v[12:15], v2 offset0:103 offset1:104
	ds_read2_b64 v[16:19], v2 offset0:105 offset1:106
	ds_read_b64 v[24:25], v2 offset:856
	v_cmp_lt_u32_e32 vcc, 47, v0
	s_waitcnt vmcnt(3) lgkmcnt(2)
	v_pk_mul_f32 v[26:27], v[12:13], v[4:5] op_sel:[1,1] op_sel_hi:[0,1]
	v_mov_b32_e32 v28, v7
	v_pk_fma_f32 v[36:37], v[12:13], v[4:5], v[26:27] neg_lo:[0,0,1] neg_hi:[0,0,1]
	v_pk_fma_f32 v[4:5], v[12:13], v[4:5], v[26:27] op_sel_hi:[1,0,1]
	v_pk_mul_f32 v[12:13], v[14:15], v[28:29] op_sel:[1,0] op_sel_hi:[0,0]
	s_waitcnt vmcnt(2) lgkmcnt(1)
	v_pk_mul_f32 v[30:31], v[16:17], v[8:9] op_sel:[1,1] op_sel_hi:[0,1]
	v_mov_b32_e32 v32, v11
	v_mov_b32_e32 v37, v5
	v_pk_fma_f32 v[4:5], v[14:15], v[6:7], v[12:13] neg_lo:[0,0,1] neg_hi:[0,0,1]
	v_pk_fma_f32 v[6:7], v[14:15], v[6:7], v[12:13] op_sel_hi:[1,0,1]
	v_pk_fma_f32 v[26:27], v[16:17], v[8:9], v[30:31] neg_lo:[0,0,1] neg_hi:[0,0,1]
	v_pk_fma_f32 v[8:9], v[16:17], v[8:9], v[30:31] op_sel_hi:[1,0,1]
	v_pk_mul_f32 v[16:17], v[18:19], v[32:33] op_sel:[1,0] op_sel_hi:[0,0]
	v_pk_add_f32 v[12:13], v[36:37], 0 op_sel_hi:[1,0]
	v_mov_b32_e32 v5, v7
	s_waitcnt vmcnt(1) lgkmcnt(0)
	v_pk_mul_f32 v[34:35], v[24:25], v[20:21] op_sel:[1,1] op_sel_hi:[0,1]
	v_mov_b32_e32 v27, v9
	v_pk_fma_f32 v[8:9], v[18:19], v[10:11], v[16:17] neg_lo:[0,0,1] neg_hi:[0,0,1]
	v_pk_fma_f32 v[10:11], v[18:19], v[10:11], v[16:17] op_sel_hi:[1,0,1]
	v_pk_add_f32 v[4:5], v[12:13], v[4:5]
	v_pk_fma_f32 v[28:29], v[24:25], v[20:21], v[34:35] neg_lo:[0,0,1] neg_hi:[0,0,1]
	v_pk_fma_f32 v[20:21], v[24:25], v[20:21], v[34:35] op_sel_hi:[1,0,1]
	v_mov_b32_e32 v9, v11
	v_pk_add_f32 v[4:5], v[4:5], v[26:27]
	v_mov_b32_e32 v29, v21
	v_pk_add_f32 v[4:5], v[4:5], v[8:9]
	s_nop 0
	v_pk_add_f32 v[4:5], v[4:5], v[28:29]
	s_waitcnt vmcnt(0)
	v_pk_add_f32 v[4:5], v[22:23], v[4:5] neg_lo:[0,1] neg_hi:[0,1]
	scratch_store_dwordx2 off, v[4:5], off offset:384
	s_and_saveexec_b64 s[0:1], vcc
	s_cbranch_execz .LBB117_243
; %bb.242:
	scratch_load_dwordx2 v[4:5], off, off offset:376
	v_mov_b32_e32 v3, v2
	scratch_store_dwordx2 off, v[2:3], off offset:376
	s_waitcnt vmcnt(1)
	ds_write_b64 v1, v[4:5]
.LBB117_243:
	s_or_b64 exec, exec, s[0:1]
	s_waitcnt lgkmcnt(0)
	; wave barrier
	scratch_load_dwordx4 v[4:7], off, off offset:384
	scratch_load_dwordx4 v[8:11], off, off offset:400
	;; [unrolled: 1-line block ×3, first 2 shown]
	scratch_load_dwordx2 v[28:29], off, off offset:376
	ds_read_b128 v[16:19], v2 offset:816
	ds_read_b128 v[20:23], v2 offset:832
	;; [unrolled: 1-line block ×3, first 2 shown]
	v_cmp_lt_u32_e32 vcc, 46, v0
	s_waitcnt vmcnt(3) lgkmcnt(2)
	v_pk_mul_f32 v[2:3], v[16:17], v[4:5] op_sel:[1,1] op_sel_hi:[0,1]
	v_mov_b32_e32 v30, v7
	s_waitcnt vmcnt(2) lgkmcnt(1)
	v_pk_mul_f32 v[32:33], v[20:21], v[8:9] op_sel:[1,1] op_sel_hi:[0,1]
	v_mov_b32_e32 v34, v11
	;; [unrolled: 3-line block ×3, first 2 shown]
	v_pk_fma_f32 v[40:41], v[16:17], v[4:5], v[2:3] neg_lo:[0,0,1] neg_hi:[0,0,1]
	v_pk_fma_f32 v[2:3], v[16:17], v[4:5], v[2:3] op_sel_hi:[1,0,1]
	v_pk_mul_f32 v[4:5], v[18:19], v[30:31] op_sel:[1,0] op_sel_hi:[0,0]
	v_pk_fma_f32 v[16:17], v[20:21], v[8:9], v[32:33] neg_lo:[0,0,1] neg_hi:[0,0,1]
	v_pk_fma_f32 v[8:9], v[20:21], v[8:9], v[32:33] op_sel_hi:[1,0,1]
	v_pk_mul_f32 v[20:21], v[22:23], v[34:35] op_sel:[1,0] op_sel_hi:[0,0]
	;; [unrolled: 3-line block ×3, first 2 shown]
	v_mov_b32_e32 v41, v3
	v_pk_fma_f32 v[2:3], v[18:19], v[6:7], v[4:5] neg_lo:[0,0,1] neg_hi:[0,0,1]
	v_pk_fma_f32 v[4:5], v[18:19], v[6:7], v[4:5] op_sel_hi:[1,0,1]
	v_mov_b32_e32 v17, v9
	v_pk_fma_f32 v[6:7], v[22:23], v[10:11], v[20:21] neg_lo:[0,0,1] neg_hi:[0,0,1]
	v_pk_fma_f32 v[8:9], v[22:23], v[10:11], v[20:21] op_sel_hi:[1,0,1]
	;; [unrolled: 3-line block ×3, first 2 shown]
	v_pk_add_f32 v[14:15], v[40:41], 0 op_sel_hi:[1,0]
	v_mov_b32_e32 v3, v5
	v_pk_add_f32 v[2:3], v[14:15], v[2:3]
	v_mov_b32_e32 v7, v9
	v_pk_add_f32 v[2:3], v[2:3], v[16:17]
	;; [unrolled: 2-line block ×3, first 2 shown]
	s_nop 0
	v_pk_add_f32 v[2:3], v[2:3], v[30:31]
	s_nop 0
	v_pk_add_f32 v[2:3], v[2:3], v[10:11]
	s_waitcnt vmcnt(0)
	v_pk_add_f32 v[2:3], v[28:29], v[2:3] neg_lo:[0,1] neg_hi:[0,1]
	scratch_store_dwordx2 off, v[2:3], off offset:376
	s_and_saveexec_b64 s[0:1], vcc
	s_cbranch_execz .LBB117_245
; %bb.244:
	scratch_load_dwordx2 v[2:3], off, off offset:368
	v_mov_b32_e32 v4, 0
	v_mov_b32_e32 v5, v4
	scratch_store_dwordx2 off, v[4:5], off offset:368
	s_waitcnt vmcnt(1)
	ds_write_b64 v1, v[2:3]
.LBB117_245:
	s_or_b64 exec, exec, s[0:1]
	s_waitcnt lgkmcnt(0)
	; wave barrier
	scratch_load_dwordx4 v[4:7], off, off offset:376
	scratch_load_dwordx4 v[8:11], off, off offset:392
	;; [unrolled: 1-line block ×3, first 2 shown]
	scratch_load_dwordx2 v[28:29], off, off offset:424
	scratch_load_dwordx2 v[30:31], off, off offset:368
	v_mov_b32_e32 v2, 0
	ds_read2_b64 v[16:19], v2 offset0:101 offset1:102
	ds_read2_b64 v[20:23], v2 offset0:103 offset1:104
	;; [unrolled: 1-line block ×3, first 2 shown]
	ds_read_b64 v[32:33], v2 offset:856
	v_cmp_lt_u32_e32 vcc, 45, v0
	s_waitcnt vmcnt(4) lgkmcnt(3)
	v_pk_mul_f32 v[34:35], v[16:17], v[4:5] op_sel:[1,1] op_sel_hi:[0,1]
	v_mov_b32_e32 v36, v7
	v_pk_fma_f32 v[48:49], v[16:17], v[4:5], v[34:35] neg_lo:[0,0,1] neg_hi:[0,0,1]
	v_pk_fma_f32 v[4:5], v[16:17], v[4:5], v[34:35] op_sel_hi:[1,0,1]
	v_pk_mul_f32 v[16:17], v[18:19], v[36:37] op_sel:[1,0] op_sel_hi:[0,0]
	s_waitcnt vmcnt(3) lgkmcnt(2)
	v_pk_mul_f32 v[38:39], v[20:21], v[8:9] op_sel:[1,1] op_sel_hi:[0,1]
	v_mov_b32_e32 v40, v11
	v_mov_b32_e32 v49, v5
	v_pk_fma_f32 v[4:5], v[18:19], v[6:7], v[16:17] neg_lo:[0,0,1] neg_hi:[0,0,1]
	v_pk_fma_f32 v[6:7], v[18:19], v[6:7], v[16:17] op_sel_hi:[1,0,1]
	v_pk_fma_f32 v[34:35], v[20:21], v[8:9], v[38:39] neg_lo:[0,0,1] neg_hi:[0,0,1]
	v_pk_fma_f32 v[8:9], v[20:21], v[8:9], v[38:39] op_sel_hi:[1,0,1]
	v_pk_mul_f32 v[20:21], v[22:23], v[40:41] op_sel:[1,0] op_sel_hi:[0,0]
	v_pk_add_f32 v[16:17], v[48:49], 0 op_sel_hi:[1,0]
	v_mov_b32_e32 v5, v7
	s_waitcnt vmcnt(2) lgkmcnt(1)
	v_pk_mul_f32 v[42:43], v[24:25], v[12:13] op_sel:[1,1] op_sel_hi:[0,1]
	v_mov_b32_e32 v44, v15
	v_mov_b32_e32 v35, v9
	v_pk_fma_f32 v[8:9], v[22:23], v[10:11], v[20:21] neg_lo:[0,0,1] neg_hi:[0,0,1]
	v_pk_fma_f32 v[10:11], v[22:23], v[10:11], v[20:21] op_sel_hi:[1,0,1]
	v_pk_add_f32 v[4:5], v[16:17], v[4:5]
	v_pk_fma_f32 v[36:37], v[24:25], v[12:13], v[42:43] neg_lo:[0,0,1] neg_hi:[0,0,1]
	v_pk_fma_f32 v[12:13], v[24:25], v[12:13], v[42:43] op_sel_hi:[1,0,1]
	v_pk_mul_f32 v[24:25], v[26:27], v[44:45] op_sel:[1,0] op_sel_hi:[0,0]
	v_mov_b32_e32 v9, v11
	v_pk_add_f32 v[4:5], v[4:5], v[34:35]
	s_waitcnt vmcnt(1) lgkmcnt(0)
	v_pk_mul_f32 v[46:47], v[32:33], v[28:29] op_sel:[1,1] op_sel_hi:[0,1]
	v_mov_b32_e32 v37, v13
	v_pk_fma_f32 v[12:13], v[26:27], v[14:15], v[24:25] neg_lo:[0,0,1] neg_hi:[0,0,1]
	v_pk_fma_f32 v[14:15], v[26:27], v[14:15], v[24:25] op_sel_hi:[1,0,1]
	v_pk_add_f32 v[4:5], v[4:5], v[8:9]
	v_pk_fma_f32 v[38:39], v[32:33], v[28:29], v[46:47] neg_lo:[0,0,1] neg_hi:[0,0,1]
	v_pk_fma_f32 v[28:29], v[32:33], v[28:29], v[46:47] op_sel_hi:[1,0,1]
	v_mov_b32_e32 v13, v15
	v_pk_add_f32 v[4:5], v[4:5], v[36:37]
	v_mov_b32_e32 v39, v29
	v_pk_add_f32 v[4:5], v[4:5], v[12:13]
	s_nop 0
	v_pk_add_f32 v[4:5], v[4:5], v[38:39]
	s_waitcnt vmcnt(0)
	v_pk_add_f32 v[4:5], v[30:31], v[4:5] neg_lo:[0,1] neg_hi:[0,1]
	scratch_store_dwordx2 off, v[4:5], off offset:368
	s_and_saveexec_b64 s[0:1], vcc
	s_cbranch_execz .LBB117_247
; %bb.246:
	scratch_load_dwordx2 v[4:5], off, off offset:360
	v_mov_b32_e32 v3, v2
	scratch_store_dwordx2 off, v[2:3], off offset:360
	s_waitcnt vmcnt(1)
	ds_write_b64 v1, v[4:5]
.LBB117_247:
	s_or_b64 exec, exec, s[0:1]
	s_waitcnt lgkmcnt(0)
	; wave barrier
	scratch_load_dwordx4 v[4:7], off, off offset:368
	scratch_load_dwordx4 v[8:11], off, off offset:384
	;; [unrolled: 1-line block ×4, first 2 shown]
	scratch_load_dwordx2 v[36:37], off, off offset:360
	ds_read_b128 v[20:23], v2 offset:800
	ds_read_b128 v[24:27], v2 offset:816
	;; [unrolled: 1-line block ×4, first 2 shown]
	v_cmp_lt_u32_e32 vcc, 44, v0
	s_waitcnt vmcnt(4) lgkmcnt(3)
	v_pk_mul_f32 v[2:3], v[20:21], v[4:5] op_sel:[1,1] op_sel_hi:[0,1]
	v_mov_b32_e32 v38, v7
	s_waitcnt vmcnt(3) lgkmcnt(2)
	v_pk_mul_f32 v[40:41], v[24:25], v[8:9] op_sel:[1,1] op_sel_hi:[0,1]
	v_mov_b32_e32 v42, v11
	;; [unrolled: 3-line block ×4, first 2 shown]
	v_pk_fma_f32 v[52:53], v[20:21], v[4:5], v[2:3] neg_lo:[0,0,1] neg_hi:[0,0,1]
	v_pk_fma_f32 v[2:3], v[20:21], v[4:5], v[2:3] op_sel_hi:[1,0,1]
	v_pk_mul_f32 v[4:5], v[22:23], v[38:39] op_sel:[1,0] op_sel_hi:[0,0]
	v_pk_fma_f32 v[20:21], v[24:25], v[8:9], v[40:41] neg_lo:[0,0,1] neg_hi:[0,0,1]
	v_pk_fma_f32 v[8:9], v[24:25], v[8:9], v[40:41] op_sel_hi:[1,0,1]
	v_pk_mul_f32 v[24:25], v[26:27], v[42:43] op_sel:[1,0] op_sel_hi:[0,0]
	;; [unrolled: 3-line block ×4, first 2 shown]
	v_mov_b32_e32 v53, v3
	v_pk_fma_f32 v[2:3], v[22:23], v[6:7], v[4:5] neg_lo:[0,0,1] neg_hi:[0,0,1]
	v_pk_fma_f32 v[4:5], v[22:23], v[6:7], v[4:5] op_sel_hi:[1,0,1]
	v_mov_b32_e32 v21, v9
	v_pk_fma_f32 v[6:7], v[26:27], v[10:11], v[24:25] neg_lo:[0,0,1] neg_hi:[0,0,1]
	v_pk_fma_f32 v[8:9], v[26:27], v[10:11], v[24:25] op_sel_hi:[1,0,1]
	;; [unrolled: 3-line block ×4, first 2 shown]
	v_pk_add_f32 v[18:19], v[52:53], 0 op_sel_hi:[1,0]
	v_mov_b32_e32 v3, v5
	v_pk_add_f32 v[2:3], v[18:19], v[2:3]
	v_mov_b32_e32 v7, v9
	v_pk_add_f32 v[2:3], v[2:3], v[20:21]
	;; [unrolled: 2-line block ×4, first 2 shown]
	s_nop 0
	v_pk_add_f32 v[2:3], v[2:3], v[10:11]
	s_nop 0
	v_pk_add_f32 v[2:3], v[2:3], v[40:41]
	;; [unrolled: 2-line block ×3, first 2 shown]
	s_waitcnt vmcnt(0)
	v_pk_add_f32 v[2:3], v[36:37], v[2:3] neg_lo:[0,1] neg_hi:[0,1]
	scratch_store_dwordx2 off, v[2:3], off offset:360
	s_and_saveexec_b64 s[0:1], vcc
	s_cbranch_execz .LBB117_249
; %bb.248:
	scratch_load_dwordx2 v[2:3], off, off offset:352
	v_mov_b32_e32 v4, 0
	v_mov_b32_e32 v5, v4
	scratch_store_dwordx2 off, v[4:5], off offset:352
	s_waitcnt vmcnt(1)
	ds_write_b64 v1, v[2:3]
.LBB117_249:
	s_or_b64 exec, exec, s[0:1]
	s_waitcnt lgkmcnt(0)
	; wave barrier
	scratch_load_dwordx4 v[4:7], off, off offset:360
	scratch_load_dwordx4 v[8:11], off, off offset:376
	;; [unrolled: 1-line block ×4, first 2 shown]
	scratch_load_dwordx2 v[36:37], off, off offset:424
	scratch_load_dwordx2 v[38:39], off, off offset:352
	v_mov_b32_e32 v2, 0
	ds_read2_b64 v[20:23], v2 offset0:99 offset1:100
	ds_read2_b64 v[24:27], v2 offset0:101 offset1:102
	ds_read2_b64 v[28:31], v2 offset0:103 offset1:104
	ds_read2_b64 v[32:35], v2 offset0:105 offset1:106
	ds_read_b64 v[40:41], v2 offset:856
	v_cmp_lt_u32_e32 vcc, 43, v0
	s_waitcnt vmcnt(5) lgkmcnt(4)
	v_mul_f32_e32 v43, v20, v5
	v_mul_f32_e32 v3, v21, v5
	v_mov_b32_e32 v44, v7
	s_waitcnt vmcnt(4) lgkmcnt(3)
	v_pk_mul_f32 v[46:47], v[24:25], v[8:9] op_sel:[1,1] op_sel_hi:[0,1]
	v_mov_b32_e32 v48, v11
	s_waitcnt vmcnt(1) lgkmcnt(0)
	v_pk_mul_f32 v[58:59], v[40:41], v[36:37] op_sel:[1,1] op_sel_hi:[0,1]
	v_fmac_f32_e32 v43, v21, v4
	v_fma_f32 v42, v20, v4, -v3
	v_pk_mul_f32 v[4:5], v[22:23], v[44:45] op_sel:[1,0] op_sel_hi:[0,0]
	v_pk_fma_f32 v[20:21], v[24:25], v[8:9], v[46:47] neg_lo:[0,0,1] neg_hi:[0,0,1]
	v_pk_fma_f32 v[8:9], v[24:25], v[8:9], v[46:47] op_sel_hi:[1,0,1]
	v_pk_mul_f32 v[24:25], v[26:27], v[48:49] op_sel:[1,0] op_sel_hi:[0,0]
	v_pk_fma_f32 v[48:49], v[40:41], v[36:37], v[58:59] neg_lo:[0,0,1] neg_hi:[0,0,1]
	v_pk_fma_f32 v[36:37], v[40:41], v[36:37], v[58:59] op_sel_hi:[1,0,1]
	v_pk_add_f32 v[40:41], v[42:43], 0 op_sel_hi:[1,0]
	v_pk_fma_f32 v[42:43], v[22:23], v[6:7], v[4:5] neg_lo:[0,0,1] neg_hi:[0,0,1]
	v_pk_fma_f32 v[4:5], v[22:23], v[6:7], v[4:5] op_sel_hi:[1,0,1]
	v_pk_mul_f32 v[50:51], v[28:29], v[12:13] op_sel:[1,1] op_sel_hi:[0,1]
	v_mov_b32_e32 v43, v5
	v_mov_b32_e32 v52, v15
	;; [unrolled: 1-line block ×3, first 2 shown]
	v_pk_fma_f32 v[6:7], v[26:27], v[10:11], v[24:25] neg_lo:[0,0,1] neg_hi:[0,0,1]
	v_pk_fma_f32 v[8:9], v[26:27], v[10:11], v[24:25] op_sel_hi:[1,0,1]
	v_pk_add_f32 v[4:5], v[40:41], v[42:43]
	v_pk_fma_f32 v[44:45], v[28:29], v[12:13], v[50:51] neg_lo:[0,0,1] neg_hi:[0,0,1]
	v_pk_fma_f32 v[12:13], v[28:29], v[12:13], v[50:51] op_sel_hi:[1,0,1]
	v_pk_mul_f32 v[28:29], v[30:31], v[52:53] op_sel:[1,0] op_sel_hi:[0,0]
	v_mov_b32_e32 v7, v9
	v_pk_add_f32 v[4:5], v[4:5], v[20:21]
	v_pk_mul_f32 v[54:55], v[32:33], v[16:17] op_sel:[1,1] op_sel_hi:[0,1]
	v_mov_b32_e32 v56, v19
	v_mov_b32_e32 v45, v13
	v_pk_fma_f32 v[10:11], v[30:31], v[14:15], v[28:29] neg_lo:[0,0,1] neg_hi:[0,0,1]
	v_pk_fma_f32 v[12:13], v[30:31], v[14:15], v[28:29] op_sel_hi:[1,0,1]
	v_pk_add_f32 v[4:5], v[4:5], v[6:7]
	v_pk_fma_f32 v[46:47], v[32:33], v[16:17], v[54:55] neg_lo:[0,0,1] neg_hi:[0,0,1]
	v_pk_fma_f32 v[16:17], v[32:33], v[16:17], v[54:55] op_sel_hi:[1,0,1]
	v_pk_mul_f32 v[32:33], v[34:35], v[56:57] op_sel:[1,0] op_sel_hi:[0,0]
	v_mov_b32_e32 v11, v13
	v_pk_add_f32 v[4:5], v[4:5], v[44:45]
	v_mov_b32_e32 v47, v17
	v_pk_fma_f32 v[14:15], v[34:35], v[18:19], v[32:33] neg_lo:[0,0,1] neg_hi:[0,0,1]
	v_pk_fma_f32 v[16:17], v[34:35], v[18:19], v[32:33] op_sel_hi:[1,0,1]
	v_pk_add_f32 v[4:5], v[4:5], v[10:11]
	v_mov_b32_e32 v15, v17
	v_pk_add_f32 v[4:5], v[4:5], v[46:47]
	v_mov_b32_e32 v49, v37
	v_pk_add_f32 v[4:5], v[4:5], v[14:15]
	s_nop 0
	v_pk_add_f32 v[4:5], v[4:5], v[48:49]
	s_waitcnt vmcnt(0)
	v_pk_add_f32 v[4:5], v[38:39], v[4:5] neg_lo:[0,1] neg_hi:[0,1]
	scratch_store_dwordx2 off, v[4:5], off offset:352
	s_and_saveexec_b64 s[0:1], vcc
	s_cbranch_execz .LBB117_251
; %bb.250:
	scratch_load_dwordx2 v[4:5], off, off offset:344
	v_mov_b32_e32 v3, v2
	scratch_store_dwordx2 off, v[2:3], off offset:344
	s_waitcnt vmcnt(1)
	ds_write_b64 v1, v[4:5]
.LBB117_251:
	s_or_b64 exec, exec, s[0:1]
	s_waitcnt lgkmcnt(0)
	; wave barrier
	scratch_load_dwordx4 v[4:7], off, off offset:352
	scratch_load_dwordx4 v[8:11], off, off offset:368
	;; [unrolled: 1-line block ×5, first 2 shown]
	scratch_load_dwordx2 v[44:45], off, off offset:344
	ds_read_b128 v[24:27], v2 offset:784
	ds_read_b128 v[28:31], v2 offset:800
	;; [unrolled: 1-line block ×5, first 2 shown]
	v_cmp_lt_u32_e32 vcc, 42, v0
	s_waitcnt vmcnt(5) lgkmcnt(4)
	v_mul_f32_e32 v3, v24, v5
	v_mul_f32_e32 v2, v25, v5
	v_mul_f32_e32 v47, v26, v7
	v_mul_f32_e32 v5, v27, v7
	s_waitcnt vmcnt(4) lgkmcnt(3)
	v_pk_mul_f32 v[48:49], v[28:29], v[8:9] op_sel:[1,1] op_sel_hi:[0,1]
	v_mov_b32_e32 v50, v11
	v_fmac_f32_e32 v3, v25, v4
	v_fma_f32 v2, v24, v4, -v2
	v_fmac_f32_e32 v47, v27, v6
	v_fma_f32 v46, v26, v6, -v5
	v_pk_fma_f32 v[4:5], v[28:29], v[8:9], v[48:49] neg_lo:[0,0,1] neg_hi:[0,0,1]
	v_pk_fma_f32 v[6:7], v[28:29], v[8:9], v[48:49] op_sel_hi:[1,0,1]
	v_pk_mul_f32 v[8:9], v[30:31], v[50:51] op_sel:[1,0] op_sel_hi:[0,0]
	v_pk_add_f32 v[2:3], v[2:3], 0 op_sel_hi:[1,0]
	s_waitcnt vmcnt(3) lgkmcnt(2)
	v_pk_mul_f32 v[52:53], v[32:33], v[12:13] op_sel:[1,1] op_sel_hi:[0,1]
	v_mov_b32_e32 v54, v15
	v_mov_b32_e32 v5, v7
	v_pk_fma_f32 v[6:7], v[30:31], v[10:11], v[8:9] neg_lo:[0,0,1] neg_hi:[0,0,1]
	v_pk_fma_f32 v[8:9], v[30:31], v[10:11], v[8:9] op_sel_hi:[1,0,1]
	v_pk_add_f32 v[2:3], v[2:3], v[46:47]
	v_pk_fma_f32 v[24:25], v[32:33], v[12:13], v[52:53] neg_lo:[0,0,1] neg_hi:[0,0,1]
	v_pk_fma_f32 v[12:13], v[32:33], v[12:13], v[52:53] op_sel_hi:[1,0,1]
	v_pk_mul_f32 v[26:27], v[34:35], v[54:55] op_sel:[1,0] op_sel_hi:[0,0]
	v_mov_b32_e32 v7, v9
	v_pk_add_f32 v[2:3], v[2:3], v[4:5]
	s_waitcnt vmcnt(2) lgkmcnt(1)
	v_pk_mul_f32 v[56:57], v[36:37], v[16:17] op_sel:[1,1] op_sel_hi:[0,1]
	v_mov_b32_e32 v58, v19
	v_mov_b32_e32 v25, v13
	v_pk_fma_f32 v[10:11], v[34:35], v[14:15], v[26:27] neg_lo:[0,0,1] neg_hi:[0,0,1]
	v_pk_fma_f32 v[12:13], v[34:35], v[14:15], v[26:27] op_sel_hi:[1,0,1]
	v_pk_add_f32 v[2:3], v[2:3], v[6:7]
	v_pk_fma_f32 v[28:29], v[36:37], v[16:17], v[56:57] neg_lo:[0,0,1] neg_hi:[0,0,1]
	v_pk_fma_f32 v[16:17], v[36:37], v[16:17], v[56:57] op_sel_hi:[1,0,1]
	v_pk_mul_f32 v[32:33], v[38:39], v[58:59] op_sel:[1,0] op_sel_hi:[0,0]
	v_mov_b32_e32 v11, v13
	v_pk_add_f32 v[2:3], v[2:3], v[24:25]
	;; [unrolled: 12-line block ×3, first 2 shown]
	v_mov_b32_e32 v37, v21
	v_pk_fma_f32 v[18:19], v[42:43], v[22:23], v[40:41] neg_lo:[0,0,1] neg_hi:[0,0,1]
	v_pk_fma_f32 v[20:21], v[42:43], v[22:23], v[40:41] op_sel_hi:[1,0,1]
	v_pk_add_f32 v[2:3], v[2:3], v[14:15]
	v_mov_b32_e32 v19, v21
	v_pk_add_f32 v[2:3], v[2:3], v[36:37]
	s_nop 0
	v_pk_add_f32 v[2:3], v[2:3], v[18:19]
	s_waitcnt vmcnt(0)
	v_pk_add_f32 v[2:3], v[44:45], v[2:3] neg_lo:[0,1] neg_hi:[0,1]
	scratch_store_dwordx2 off, v[2:3], off offset:344
	s_and_saveexec_b64 s[0:1], vcc
	s_cbranch_execz .LBB117_253
; %bb.252:
	scratch_load_dwordx2 v[2:3], off, off offset:336
	v_mov_b32_e32 v4, 0
	v_mov_b32_e32 v5, v4
	scratch_store_dwordx2 off, v[4:5], off offset:336
	s_waitcnt vmcnt(1)
	ds_write_b64 v1, v[2:3]
.LBB117_253:
	s_or_b64 exec, exec, s[0:1]
	s_waitcnt lgkmcnt(0)
	; wave barrier
	scratch_load_dwordx4 v[8:11], off, off offset:344
	scratch_load_dwordx4 v[16:19], off, off offset:360
	v_mov_b32_e32 v2, 0
	ds_read2_b64 v[4:7], v2 offset0:97 offset1:98
	ds_read2_b64 v[12:15], v2 offset0:99 offset1:100
	scratch_load_dwordx4 v[20:23], off, off offset:376
	scratch_load_dwordx4 v[24:27], off, off offset:392
	scratch_load_dwordx4 v[28:31], off, off offset:408
	scratch_load_dwordx2 v[42:43], off, off offset:424
	v_cmp_lt_u32_e32 vcc, 41, v0
	s_waitcnt vmcnt(5) lgkmcnt(1)
	v_mul_f32_e32 v3, v4, v9
	v_fmac_f32_e32 v3, v5, v8
	v_add_f32_e32 v37, 0, v3
	v_mul_f32_e32 v3, v5, v9
	v_fma_f32 v3, v4, v8, -v3
	v_mul_f32_e32 v39, v6, v11
	v_add_f32_e32 v36, 0, v3
	v_mul_f32_e32 v3, v7, v11
	v_fmac_f32_e32 v39, v7, v10
	s_waitcnt vmcnt(4) lgkmcnt(0)
	v_mul_f32_e32 v41, v12, v17
	v_fma_f32 v38, v6, v10, -v3
	v_mul_f32_e32 v3, v13, v17
	v_fmac_f32_e32 v41, v13, v16
	v_fma_f32 v40, v12, v16, -v3
	v_pk_add_f32 v[16:17], v[36:37], v[38:39]
	v_mov_b32_e32 v36, v19
	v_pk_mul_f32 v[36:37], v[14:15], v[36:37] op_sel:[1,0] op_sel_hi:[0,0]
	ds_read2_b64 v[4:7], v2 offset0:101 offset1:102
	ds_read2_b64 v[8:11], v2 offset0:103 offset1:104
	;; [unrolled: 1-line block ×3, first 2 shown]
	ds_read_b64 v[12:13], v2 offset:856
	v_pk_fma_f32 v[38:39], v[14:15], v[18:19], v[36:37] neg_lo:[0,0,1] neg_hi:[0,0,1]
	v_pk_fma_f32 v[14:15], v[14:15], v[18:19], v[36:37] op_sel_hi:[1,0,1]
	v_pk_add_f32 v[16:17], v[16:17], v[40:41]
	v_mov_b32_e32 v39, v15
	v_pk_add_f32 v[14:15], v[16:17], v[38:39]
	s_waitcnt vmcnt(3) lgkmcnt(3)
	v_pk_mul_f32 v[16:17], v[4:5], v[20:21] op_sel:[1,1] op_sel_hi:[0,1]
	v_pk_fma_f32 v[18:19], v[4:5], v[20:21], v[16:17] neg_lo:[0,0,1] neg_hi:[0,0,1]
	v_pk_fma_f32 v[4:5], v[4:5], v[20:21], v[16:17] op_sel_hi:[1,0,1]
	s_nop 0
	v_mov_b32_e32 v19, v5
	v_pk_add_f32 v[4:5], v[14:15], v[18:19]
	v_mov_b32_e32 v14, v23
	v_pk_mul_f32 v[14:15], v[6:7], v[14:15] op_sel:[1,0] op_sel_hi:[0,0]
	v_pk_fma_f32 v[16:17], v[6:7], v[22:23], v[14:15] neg_lo:[0,0,1] neg_hi:[0,0,1]
	v_pk_fma_f32 v[6:7], v[6:7], v[22:23], v[14:15] op_sel_hi:[1,0,1]
	s_nop 0
	v_mov_b32_e32 v17, v7
	s_waitcnt vmcnt(2) lgkmcnt(2)
	v_pk_mul_f32 v[6:7], v[8:9], v[24:25] op_sel:[1,1] op_sel_hi:[0,1]
	v_pk_fma_f32 v[14:15], v[8:9], v[24:25], v[6:7] neg_lo:[0,0,1] neg_hi:[0,0,1]
	v_pk_fma_f32 v[6:7], v[8:9], v[24:25], v[6:7] op_sel_hi:[1,0,1]
	v_pk_add_f32 v[4:5], v[4:5], v[16:17]
	v_mov_b32_e32 v6, v27
	v_mov_b32_e32 v15, v7
	v_pk_mul_f32 v[6:7], v[10:11], v[6:7] op_sel:[1,0] op_sel_hi:[0,0]
	v_pk_fma_f32 v[8:9], v[10:11], v[26:27], v[6:7] neg_lo:[0,0,1] neg_hi:[0,0,1]
	v_pk_fma_f32 v[6:7], v[10:11], v[26:27], v[6:7] op_sel_hi:[1,0,1]
	v_pk_add_f32 v[4:5], v[4:5], v[14:15]
	v_mov_b32_e32 v9, v7
	s_waitcnt vmcnt(1) lgkmcnt(1)
	v_pk_mul_f32 v[6:7], v[32:33], v[28:29] op_sel:[1,1] op_sel_hi:[0,1]
	v_pk_add_f32 v[4:5], v[4:5], v[8:9]
	v_pk_fma_f32 v[8:9], v[32:33], v[28:29], v[6:7] neg_lo:[0,0,1] neg_hi:[0,0,1]
	v_pk_fma_f32 v[6:7], v[32:33], v[28:29], v[6:7] op_sel_hi:[1,0,1]
	s_nop 0
	v_mov_b32_e32 v6, v31
	v_mov_b32_e32 v9, v7
	v_pk_mul_f32 v[6:7], v[34:35], v[6:7] op_sel:[1,0] op_sel_hi:[0,0]
	v_pk_add_f32 v[4:5], v[4:5], v[8:9]
	v_pk_fma_f32 v[8:9], v[34:35], v[30:31], v[6:7] neg_lo:[0,0,1] neg_hi:[0,0,1]
	v_pk_fma_f32 v[6:7], v[34:35], v[30:31], v[6:7] op_sel_hi:[1,0,1]
	s_nop 0
	v_mov_b32_e32 v9, v7
	s_waitcnt vmcnt(0) lgkmcnt(0)
	v_pk_mul_f32 v[6:7], v[12:13], v[42:43] op_sel:[1,1] op_sel_hi:[0,1]
	v_pk_add_f32 v[4:5], v[4:5], v[8:9]
	v_pk_fma_f32 v[8:9], v[12:13], v[42:43], v[6:7] neg_lo:[0,0,1] neg_hi:[0,0,1]
	v_pk_fma_f32 v[6:7], v[12:13], v[42:43], v[6:7] op_sel_hi:[1,0,1]
	s_nop 0
	v_mov_b32_e32 v9, v7
	scratch_load_dwordx2 v[6:7], off, off offset:336
	v_pk_add_f32 v[4:5], v[4:5], v[8:9]
	s_waitcnt vmcnt(0)
	v_pk_add_f32 v[4:5], v[6:7], v[4:5] neg_lo:[0,1] neg_hi:[0,1]
	scratch_store_dwordx2 off, v[4:5], off offset:336
	s_and_saveexec_b64 s[0:1], vcc
	s_cbranch_execz .LBB117_255
; %bb.254:
	scratch_load_dwordx2 v[4:5], off, off offset:328
	v_mov_b32_e32 v3, v2
	scratch_store_dwordx2 off, v[2:3], off offset:328
	s_waitcnt vmcnt(1)
	ds_write_b64 v1, v[4:5]
.LBB117_255:
	s_or_b64 exec, exec, s[0:1]
	s_waitcnt lgkmcnt(0)
	; wave barrier
	ds_read_b128 v[4:7], v2 offset:768
	ds_read_b128 v[8:11], v2 offset:784
	;; [unrolled: 1-line block ×4, first 2 shown]
	scratch_load_dwordx4 v[20:23], off, off offset:336
	v_cmp_lt_u32_e32 vcc, 40, v0
	s_waitcnt vmcnt(0) lgkmcnt(3)
	v_mul_f32_e32 v3, v4, v21
	v_fmac_f32_e32 v3, v5, v20
	v_mul_f32_e32 v24, v6, v23
	v_add_f32_e32 v3, 0, v3
	v_fmac_f32_e32 v24, v7, v22
	v_add_f32_e32 v45, v3, v24
	scratch_load_dwordx4 v[24:27], off, off offset:352
	scratch_load_dwordx4 v[28:31], off, off offset:368
	;; [unrolled: 1-line block ×5, first 2 shown]
	v_mul_f32_e32 v3, v5, v21
	v_fma_f32 v3, v4, v20, -v3
	v_mul_f32_e32 v4, v7, v23
	v_fma_f32 v4, v6, v22, -v4
	v_add_f32_e32 v3, 0, v3
	v_add_f32_e32 v44, v3, v4
	s_waitcnt vmcnt(3) lgkmcnt(1)
	v_pk_mul_f32 v[20:21], v[12:13], v[28:29] op_sel:[1,1] op_sel_hi:[0,1]
	v_pk_fma_f32 v[22:23], v[12:13], v[28:29], v[20:21] neg_lo:[0,0,1] neg_hi:[0,0,1]
	v_pk_fma_f32 v[12:13], v[12:13], v[28:29], v[20:21] op_sel_hi:[1,0,1]
	v_mul_f32_e32 v47, v8, v25
	v_mov_b32_e32 v12, v31
	v_mul_f32_e32 v3, v9, v25
	v_mov_b32_e32 v23, v13
	v_pk_mul_f32 v[12:13], v[14:15], v[12:13] op_sel:[1,0] op_sel_hi:[0,0]
	v_fmac_f32_e32 v47, v9, v24
	v_mul_f32_e32 v49, v10, v27
	v_fma_f32 v46, v8, v24, -v3
	v_mul_f32_e32 v3, v11, v27
	v_pk_fma_f32 v[20:21], v[14:15], v[30:31], v[12:13] neg_lo:[0,0,1] neg_hi:[0,0,1]
	v_pk_fma_f32 v[12:13], v[14:15], v[30:31], v[12:13] op_sel_hi:[1,0,1]
	v_fmac_f32_e32 v49, v11, v26
	v_fma_f32 v48, v10, v26, -v3
	ds_read_b128 v[4:7], v2 offset:832
	ds_read_b128 v[8:11], v2 offset:848
	v_pk_add_f32 v[2:3], v[44:45], v[46:47]
	v_mov_b32_e32 v21, v13
	s_waitcnt vmcnt(2) lgkmcnt(2)
	v_pk_mul_f32 v[12:13], v[16:17], v[32:33] op_sel:[1,1] op_sel_hi:[0,1]
	v_pk_add_f32 v[2:3], v[2:3], v[48:49]
	v_pk_fma_f32 v[14:15], v[16:17], v[32:33], v[12:13] neg_lo:[0,0,1] neg_hi:[0,0,1]
	v_pk_fma_f32 v[12:13], v[16:17], v[32:33], v[12:13] op_sel_hi:[1,0,1]
	v_pk_add_f32 v[2:3], v[2:3], v[22:23]
	v_mov_b32_e32 v12, v35
	v_pk_add_f32 v[2:3], v[2:3], v[20:21]
	v_mov_b32_e32 v15, v13
	v_pk_mul_f32 v[12:13], v[18:19], v[12:13] op_sel:[1,0] op_sel_hi:[0,0]
	v_pk_add_f32 v[2:3], v[2:3], v[14:15]
	v_pk_fma_f32 v[14:15], v[18:19], v[34:35], v[12:13] neg_lo:[0,0,1] neg_hi:[0,0,1]
	v_pk_fma_f32 v[12:13], v[18:19], v[34:35], v[12:13] op_sel_hi:[1,0,1]
	s_nop 0
	v_mov_b32_e32 v15, v13
	s_waitcnt vmcnt(1) lgkmcnt(1)
	v_pk_mul_f32 v[12:13], v[4:5], v[36:37] op_sel:[1,1] op_sel_hi:[0,1]
	v_pk_add_f32 v[2:3], v[2:3], v[14:15]
	v_pk_fma_f32 v[14:15], v[4:5], v[36:37], v[12:13] neg_lo:[0,0,1] neg_hi:[0,0,1]
	v_pk_fma_f32 v[4:5], v[4:5], v[36:37], v[12:13] op_sel_hi:[1,0,1]
	s_nop 0
	v_mov_b32_e32 v4, v39
	v_mov_b32_e32 v15, v5
	v_pk_mul_f32 v[4:5], v[6:7], v[4:5] op_sel:[1,0] op_sel_hi:[0,0]
	v_pk_fma_f32 v[12:13], v[6:7], v[38:39], v[4:5] neg_lo:[0,0,1] neg_hi:[0,0,1]
	v_pk_fma_f32 v[4:5], v[6:7], v[38:39], v[4:5] op_sel_hi:[1,0,1]
	v_pk_add_f32 v[2:3], v[2:3], v[14:15]
	v_mov_b32_e32 v13, v5
	s_waitcnt vmcnt(0) lgkmcnt(0)
	v_pk_mul_f32 v[4:5], v[8:9], v[40:41] op_sel:[1,1] op_sel_hi:[0,1]
	v_pk_fma_f32 v[6:7], v[8:9], v[40:41], v[4:5] neg_lo:[0,0,1] neg_hi:[0,0,1]
	v_pk_fma_f32 v[4:5], v[8:9], v[40:41], v[4:5] op_sel_hi:[1,0,1]
	v_pk_add_f32 v[2:3], v[2:3], v[12:13]
	v_mov_b32_e32 v4, v43
	v_mov_b32_e32 v7, v5
	v_pk_mul_f32 v[4:5], v[10:11], v[4:5] op_sel:[1,0] op_sel_hi:[0,0]
	v_pk_add_f32 v[2:3], v[2:3], v[6:7]
	v_pk_fma_f32 v[6:7], v[10:11], v[42:43], v[4:5] neg_lo:[0,0,1] neg_hi:[0,0,1]
	v_pk_fma_f32 v[4:5], v[10:11], v[42:43], v[4:5] op_sel_hi:[1,0,1]
	s_nop 0
	v_mov_b32_e32 v7, v5
	scratch_load_dwordx2 v[4:5], off, off offset:328
	v_pk_add_f32 v[2:3], v[2:3], v[6:7]
	s_waitcnt vmcnt(0)
	v_pk_add_f32 v[2:3], v[4:5], v[2:3] neg_lo:[0,1] neg_hi:[0,1]
	scratch_store_dwordx2 off, v[2:3], off offset:328
	s_and_saveexec_b64 s[0:1], vcc
	s_cbranch_execz .LBB117_257
; %bb.256:
	scratch_load_dwordx2 v[2:3], off, off offset:320
	v_mov_b32_e32 v4, 0
	v_mov_b32_e32 v5, v4
	scratch_store_dwordx2 off, v[4:5], off offset:320
	s_waitcnt vmcnt(1)
	ds_write_b64 v1, v[2:3]
.LBB117_257:
	s_or_b64 exec, exec, s[0:1]
	s_waitcnt lgkmcnt(0)
	; wave barrier
	scratch_load_dwordx4 v[8:11], off, off offset:328
	scratch_load_dwordx4 v[16:19], off, off offset:344
	v_mov_b32_e32 v2, 0
	ds_read2_b64 v[4:7], v2 offset0:95 offset1:96
	scratch_load_dwordx4 v[24:27], off, off offset:360
	v_cmp_lt_u32_e32 vcc, 39, v0
	s_waitcnt vmcnt(2) lgkmcnt(0)
	v_mul_f32_e32 v3, v4, v9
	v_fmac_f32_e32 v3, v5, v8
	v_mul_f32_e32 v12, v6, v11
	v_add_f32_e32 v3, 0, v3
	v_fmac_f32_e32 v12, v7, v10
	v_add_f32_e32 v3, v3, v12
	ds_read2_b64 v[12:15], v2 offset0:97 offset1:98
	s_waitcnt vmcnt(1) lgkmcnt(0)
	v_mul_f32_e32 v20, v12, v17
	v_fmac_f32_e32 v20, v13, v16
	v_add_f32_e32 v41, v3, v20
	ds_read2_b64 v[20:23], v2 offset0:99 offset1:100
	scratch_load_dwordx4 v[28:31], off, off offset:376
	scratch_load_dwordx4 v[32:35], off, off offset:392
	;; [unrolled: 1-line block ×3, first 2 shown]
	scratch_load_dwordx2 v[46:47], off, off offset:424
	v_mul_f32_e32 v3, v5, v9
	v_fma_f32 v3, v4, v8, -v3
	v_mul_f32_e32 v4, v7, v11
	v_add_f32_e32 v3, 0, v3
	v_fma_f32 v4, v6, v10, -v4
	v_add_f32_e32 v3, v3, v4
	v_mul_f32_e32 v4, v13, v17
	v_fma_f32 v4, v12, v16, -v4
	v_add_f32_e32 v40, v3, v4
	v_mul_f32_e32 v3, v15, v19
	v_fma_f32 v42, v14, v18, -v3
	s_waitcnt vmcnt(4) lgkmcnt(0)
	v_mul_f32_e32 v3, v21, v25
	v_mul_f32_e32 v43, v14, v19
	;; [unrolled: 1-line block ×3, first 2 shown]
	v_fma_f32 v44, v20, v24, -v3
	v_mov_b32_e32 v20, v27
	v_fmac_f32_e32 v43, v15, v18
	v_fmac_f32_e32 v45, v21, v24
	ds_read2_b64 v[4:7], v2 offset0:101 offset1:102
	ds_read2_b64 v[8:11], v2 offset0:103 offset1:104
	;; [unrolled: 1-line block ×3, first 2 shown]
	ds_read_b64 v[16:17], v2 offset:856
	v_pk_mul_f32 v[20:21], v[22:23], v[20:21] op_sel:[1,0] op_sel_hi:[0,0]
	v_pk_fma_f32 v[24:25], v[22:23], v[26:27], v[20:21] neg_lo:[0,0,1] neg_hi:[0,0,1]
	v_pk_fma_f32 v[20:21], v[22:23], v[26:27], v[20:21] op_sel_hi:[1,0,1]
	v_pk_add_f32 v[18:19], v[40:41], v[42:43]
	v_mov_b32_e32 v25, v21
	v_pk_add_f32 v[18:19], v[18:19], v[44:45]
	s_waitcnt vmcnt(3) lgkmcnt(3)
	v_pk_mul_f32 v[20:21], v[4:5], v[28:29] op_sel:[1,1] op_sel_hi:[0,1]
	v_pk_fma_f32 v[22:23], v[4:5], v[28:29], v[20:21] neg_lo:[0,0,1] neg_hi:[0,0,1]
	v_pk_fma_f32 v[4:5], v[4:5], v[28:29], v[20:21] op_sel_hi:[1,0,1]
	v_pk_add_f32 v[18:19], v[18:19], v[24:25]
	v_mov_b32_e32 v23, v5
	v_pk_add_f32 v[4:5], v[18:19], v[22:23]
	v_mov_b32_e32 v18, v31
	v_pk_mul_f32 v[18:19], v[6:7], v[18:19] op_sel:[1,0] op_sel_hi:[0,0]
	v_pk_fma_f32 v[20:21], v[6:7], v[30:31], v[18:19] neg_lo:[0,0,1] neg_hi:[0,0,1]
	v_pk_fma_f32 v[6:7], v[6:7], v[30:31], v[18:19] op_sel_hi:[1,0,1]
	s_nop 0
	v_mov_b32_e32 v21, v7
	s_waitcnt vmcnt(2) lgkmcnt(2)
	v_pk_mul_f32 v[6:7], v[8:9], v[32:33] op_sel:[1,1] op_sel_hi:[0,1]
	v_pk_fma_f32 v[18:19], v[8:9], v[32:33], v[6:7] neg_lo:[0,0,1] neg_hi:[0,0,1]
	v_pk_fma_f32 v[6:7], v[8:9], v[32:33], v[6:7] op_sel_hi:[1,0,1]
	v_pk_add_f32 v[4:5], v[4:5], v[20:21]
	v_mov_b32_e32 v6, v35
	v_mov_b32_e32 v19, v7
	v_pk_mul_f32 v[6:7], v[10:11], v[6:7] op_sel:[1,0] op_sel_hi:[0,0]
	v_pk_fma_f32 v[8:9], v[10:11], v[34:35], v[6:7] neg_lo:[0,0,1] neg_hi:[0,0,1]
	v_pk_fma_f32 v[6:7], v[10:11], v[34:35], v[6:7] op_sel_hi:[1,0,1]
	v_pk_add_f32 v[4:5], v[4:5], v[18:19]
	v_mov_b32_e32 v9, v7
	s_waitcnt vmcnt(1) lgkmcnt(1)
	v_pk_mul_f32 v[6:7], v[12:13], v[36:37] op_sel:[1,1] op_sel_hi:[0,1]
	v_pk_add_f32 v[4:5], v[4:5], v[8:9]
	v_pk_fma_f32 v[8:9], v[12:13], v[36:37], v[6:7] neg_lo:[0,0,1] neg_hi:[0,0,1]
	v_pk_fma_f32 v[6:7], v[12:13], v[36:37], v[6:7] op_sel_hi:[1,0,1]
	s_nop 0
	v_mov_b32_e32 v6, v39
	v_mov_b32_e32 v9, v7
	v_pk_mul_f32 v[6:7], v[14:15], v[6:7] op_sel:[1,0] op_sel_hi:[0,0]
	v_pk_add_f32 v[4:5], v[4:5], v[8:9]
	v_pk_fma_f32 v[8:9], v[14:15], v[38:39], v[6:7] neg_lo:[0,0,1] neg_hi:[0,0,1]
	v_pk_fma_f32 v[6:7], v[14:15], v[38:39], v[6:7] op_sel_hi:[1,0,1]
	s_nop 0
	v_mov_b32_e32 v9, v7
	s_waitcnt vmcnt(0) lgkmcnt(0)
	v_pk_mul_f32 v[6:7], v[16:17], v[46:47] op_sel:[1,1] op_sel_hi:[0,1]
	v_pk_add_f32 v[4:5], v[4:5], v[8:9]
	v_pk_fma_f32 v[8:9], v[16:17], v[46:47], v[6:7] neg_lo:[0,0,1] neg_hi:[0,0,1]
	v_pk_fma_f32 v[6:7], v[16:17], v[46:47], v[6:7] op_sel_hi:[1,0,1]
	s_nop 0
	v_mov_b32_e32 v9, v7
	scratch_load_dwordx2 v[6:7], off, off offset:320
	v_pk_add_f32 v[4:5], v[4:5], v[8:9]
	s_waitcnt vmcnt(0)
	v_pk_add_f32 v[4:5], v[6:7], v[4:5] neg_lo:[0,1] neg_hi:[0,1]
	scratch_store_dwordx2 off, v[4:5], off offset:320
	s_and_saveexec_b64 s[0:1], vcc
	s_cbranch_execz .LBB117_259
; %bb.258:
	scratch_load_dwordx2 v[4:5], off, off offset:312
	v_mov_b32_e32 v3, v2
	scratch_store_dwordx2 off, v[2:3], off offset:312
	s_waitcnt vmcnt(1)
	ds_write_b64 v1, v[4:5]
.LBB117_259:
	s_or_b64 exec, exec, s[0:1]
	s_waitcnt lgkmcnt(0)
	; wave barrier
	ds_read_b128 v[4:7], v2 offset:752
	ds_read_b128 v[8:11], v2 offset:768
	;; [unrolled: 1-line block ×4, first 2 shown]
	scratch_load_dwordx4 v[20:23], off, off offset:320
	v_cmp_lt_u32_e32 vcc, 38, v0
	s_waitcnt vmcnt(0) lgkmcnt(3)
	v_mul_f32_e32 v3, v4, v21
	v_fmac_f32_e32 v3, v5, v20
	v_mul_f32_e32 v24, v6, v23
	v_add_f32_e32 v3, 0, v3
	v_fmac_f32_e32 v24, v7, v22
	v_add_f32_e32 v3, v3, v24
	scratch_load_dwordx4 v[24:27], off, off offset:336
	s_waitcnt vmcnt(0) lgkmcnt(2)
	v_mul_f32_e32 v28, v8, v25
	v_fmac_f32_e32 v28, v9, v24
	v_add_f32_e32 v3, v3, v28
	v_mul_f32_e32 v28, v10, v27
	v_fmac_f32_e32 v28, v11, v26
	v_add_f32_e32 v49, v3, v28
	scratch_load_dwordx4 v[28:31], off, off offset:352
	scratch_load_dwordx4 v[32:35], off, off offset:368
	;; [unrolled: 1-line block ×5, first 2 shown]
	v_mul_f32_e32 v3, v5, v21
	v_fma_f32 v3, v4, v20, -v3
	v_mul_f32_e32 v4, v7, v23
	v_add_f32_e32 v3, 0, v3
	v_fma_f32 v4, v6, v22, -v4
	v_add_f32_e32 v3, v3, v4
	v_mul_f32_e32 v4, v9, v25
	v_fma_f32 v4, v8, v24, -v4
	v_add_f32_e32 v3, v3, v4
	v_mul_f32_e32 v4, v11, v27
	v_fma_f32 v4, v10, v26, -v4
	v_add_f32_e32 v48, v3, v4
	s_waitcnt vmcnt(3) lgkmcnt(0)
	v_pk_mul_f32 v[20:21], v[16:17], v[32:33] op_sel:[1,1] op_sel_hi:[0,1]
	v_pk_fma_f32 v[22:23], v[16:17], v[32:33], v[20:21] neg_lo:[0,0,1] neg_hi:[0,0,1]
	v_mul_f32_e32 v3, v13, v29
	v_mul_f32_e32 v51, v12, v29
	;; [unrolled: 1-line block ×3, first 2 shown]
	v_fma_f32 v50, v12, v28, -v3
	v_mul_f32_e32 v3, v15, v31
	v_pk_fma_f32 v[16:17], v[16:17], v[32:33], v[20:21] op_sel_hi:[1,0,1]
	v_fmac_f32_e32 v51, v13, v28
	v_fmac_f32_e32 v53, v15, v30
	v_fma_f32 v52, v14, v30, -v3
	ds_read_b128 v[4:7], v2 offset:816
	ds_read_b128 v[8:11], v2 offset:832
	;; [unrolled: 1-line block ×3, first 2 shown]
	v_mov_b32_e32 v16, v35
	v_mov_b32_e32 v23, v17
	v_pk_mul_f32 v[16:17], v[18:19], v[16:17] op_sel:[1,0] op_sel_hi:[0,0]
	v_pk_fma_f32 v[20:21], v[18:19], v[34:35], v[16:17] neg_lo:[0,0,1] neg_hi:[0,0,1]
	v_pk_fma_f32 v[16:17], v[18:19], v[34:35], v[16:17] op_sel_hi:[1,0,1]
	v_pk_add_f32 v[2:3], v[48:49], v[50:51]
	v_mov_b32_e32 v21, v17
	s_waitcnt vmcnt(2) lgkmcnt(2)
	v_pk_mul_f32 v[16:17], v[4:5], v[36:37] op_sel:[1,1] op_sel_hi:[0,1]
	v_pk_fma_f32 v[18:19], v[4:5], v[36:37], v[16:17] neg_lo:[0,0,1] neg_hi:[0,0,1]
	v_pk_fma_f32 v[4:5], v[4:5], v[36:37], v[16:17] op_sel_hi:[1,0,1]
	v_pk_add_f32 v[2:3], v[2:3], v[52:53]
	v_mov_b32_e32 v4, v39
	v_mov_b32_e32 v19, v5
	v_pk_mul_f32 v[4:5], v[6:7], v[4:5] op_sel:[1,0] op_sel_hi:[0,0]
	v_pk_fma_f32 v[16:17], v[6:7], v[38:39], v[4:5] neg_lo:[0,0,1] neg_hi:[0,0,1]
	v_pk_fma_f32 v[4:5], v[6:7], v[38:39], v[4:5] op_sel_hi:[1,0,1]
	v_pk_add_f32 v[2:3], v[2:3], v[22:23]
	v_mov_b32_e32 v17, v5
	s_waitcnt vmcnt(1) lgkmcnt(1)
	v_pk_mul_f32 v[4:5], v[8:9], v[40:41] op_sel:[1,1] op_sel_hi:[0,1]
	v_pk_add_f32 v[2:3], v[2:3], v[20:21]
	v_pk_fma_f32 v[6:7], v[8:9], v[40:41], v[4:5] neg_lo:[0,0,1] neg_hi:[0,0,1]
	v_pk_fma_f32 v[4:5], v[8:9], v[40:41], v[4:5] op_sel_hi:[1,0,1]
	v_pk_add_f32 v[2:3], v[2:3], v[18:19]
	v_mov_b32_e32 v4, v43
	v_pk_add_f32 v[2:3], v[2:3], v[16:17]
	v_mov_b32_e32 v7, v5
	v_pk_mul_f32 v[4:5], v[10:11], v[4:5] op_sel:[1,0] op_sel_hi:[0,0]
	v_pk_add_f32 v[2:3], v[2:3], v[6:7]
	v_pk_fma_f32 v[6:7], v[10:11], v[42:43], v[4:5] neg_lo:[0,0,1] neg_hi:[0,0,1]
	v_pk_fma_f32 v[4:5], v[10:11], v[42:43], v[4:5] op_sel_hi:[1,0,1]
	s_nop 0
	v_mov_b32_e32 v7, v5
	s_waitcnt vmcnt(0) lgkmcnt(0)
	v_pk_mul_f32 v[4:5], v[12:13], v[44:45] op_sel:[1,1] op_sel_hi:[0,1]
	v_pk_add_f32 v[2:3], v[2:3], v[6:7]
	v_pk_fma_f32 v[6:7], v[12:13], v[44:45], v[4:5] neg_lo:[0,0,1] neg_hi:[0,0,1]
	v_pk_fma_f32 v[4:5], v[12:13], v[44:45], v[4:5] op_sel_hi:[1,0,1]
	s_nop 0
	v_mov_b32_e32 v4, v47
	v_mov_b32_e32 v7, v5
	v_pk_mul_f32 v[4:5], v[14:15], v[4:5] op_sel:[1,0] op_sel_hi:[0,0]
	v_pk_add_f32 v[2:3], v[2:3], v[6:7]
	v_pk_fma_f32 v[6:7], v[14:15], v[46:47], v[4:5] neg_lo:[0,0,1] neg_hi:[0,0,1]
	v_pk_fma_f32 v[4:5], v[14:15], v[46:47], v[4:5] op_sel_hi:[1,0,1]
	s_nop 0
	v_mov_b32_e32 v7, v5
	scratch_load_dwordx2 v[4:5], off, off offset:312
	v_pk_add_f32 v[2:3], v[2:3], v[6:7]
	s_waitcnt vmcnt(0)
	v_pk_add_f32 v[2:3], v[4:5], v[2:3] neg_lo:[0,1] neg_hi:[0,1]
	scratch_store_dwordx2 off, v[2:3], off offset:312
	s_and_saveexec_b64 s[0:1], vcc
	s_cbranch_execz .LBB117_261
; %bb.260:
	scratch_load_dwordx2 v[2:3], off, off offset:304
	v_mov_b32_e32 v4, 0
	v_mov_b32_e32 v5, v4
	scratch_store_dwordx2 off, v[4:5], off offset:304
	s_waitcnt vmcnt(1)
	ds_write_b64 v1, v[2:3]
.LBB117_261:
	s_or_b64 exec, exec, s[0:1]
	s_waitcnt lgkmcnt(0)
	; wave barrier
	scratch_load_dwordx4 v[8:11], off, off offset:312
	scratch_load_dwordx4 v[16:19], off, off offset:328
	;; [unrolled: 1-line block ×4, first 2 shown]
	v_mov_b32_e32 v2, 0
	ds_read2_b64 v[4:7], v2 offset0:93 offset1:94
	v_cmp_lt_u32_e32 vcc, 37, v0
	s_waitcnt vmcnt(3) lgkmcnt(0)
	v_mul_f32_e32 v3, v4, v9
	v_fmac_f32_e32 v3, v5, v8
	v_mul_f32_e32 v12, v6, v11
	v_add_f32_e32 v3, 0, v3
	v_fmac_f32_e32 v12, v7, v10
	v_add_f32_e32 v3, v3, v12
	ds_read2_b64 v[12:15], v2 offset0:95 offset1:96
	s_waitcnt vmcnt(2) lgkmcnt(0)
	v_mul_f32_e32 v20, v12, v17
	v_fmac_f32_e32 v20, v13, v16
	v_add_f32_e32 v3, v3, v20
	v_mul_f32_e32 v20, v14, v19
	v_fmac_f32_e32 v20, v15, v18
	v_add_f32_e32 v3, v3, v20
	ds_read2_b64 v[20:23], v2 offset0:97 offset1:98
	s_waitcnt vmcnt(1) lgkmcnt(0)
	v_mul_f32_e32 v28, v20, v25
	v_fmac_f32_e32 v28, v21, v24
	v_add_f32_e32 v49, v3, v28
	ds_read2_b64 v[28:31], v2 offset0:99 offset1:100
	scratch_load_dwordx4 v[36:39], off, off offset:376
	scratch_load_dwordx4 v[40:43], off, off offset:392
	;; [unrolled: 1-line block ×3, first 2 shown]
	scratch_load_dwordx2 v[54:55], off, off offset:424
	v_mul_f32_e32 v3, v5, v9
	v_fma_f32 v3, v4, v8, -v3
	v_mul_f32_e32 v4, v7, v11
	v_add_f32_e32 v3, 0, v3
	v_fma_f32 v4, v6, v10, -v4
	v_add_f32_e32 v3, v3, v4
	v_mul_f32_e32 v4, v13, v17
	v_fma_f32 v4, v12, v16, -v4
	v_add_f32_e32 v3, v3, v4
	v_mul_f32_e32 v4, v15, v19
	;; [unrolled: 3-line block ×3, first 2 shown]
	v_fma_f32 v4, v20, v24, -v4
	v_mul_f32_e32 v51, v22, v27
	v_add_f32_e32 v48, v3, v4
	v_mul_f32_e32 v3, v23, v27
	s_waitcnt vmcnt(4)
	v_mov_b32_e32 v20, v35
	v_fmac_f32_e32 v51, v23, v26
	s_waitcnt lgkmcnt(0)
	v_mul_f32_e32 v53, v28, v33
	v_fma_f32 v50, v22, v26, -v3
	v_mul_f32_e32 v3, v29, v33
	ds_read2_b64 v[4:7], v2 offset0:101 offset1:102
	ds_read2_b64 v[8:11], v2 offset0:103 offset1:104
	;; [unrolled: 1-line block ×3, first 2 shown]
	ds_read_b64 v[16:17], v2 offset:856
	v_pk_mul_f32 v[20:21], v[30:31], v[20:21] op_sel:[1,0] op_sel_hi:[0,0]
	v_fmac_f32_e32 v53, v29, v32
	v_fma_f32 v52, v28, v32, -v3
	v_pk_add_f32 v[18:19], v[48:49], v[50:51]
	v_pk_fma_f32 v[22:23], v[30:31], v[34:35], v[20:21] neg_lo:[0,0,1] neg_hi:[0,0,1]
	v_pk_fma_f32 v[20:21], v[30:31], v[34:35], v[20:21] op_sel_hi:[1,0,1]
	v_pk_add_f32 v[18:19], v[18:19], v[52:53]
	v_mov_b32_e32 v23, v21
	v_pk_add_f32 v[18:19], v[18:19], v[22:23]
	s_waitcnt vmcnt(3) lgkmcnt(3)
	v_pk_mul_f32 v[20:21], v[4:5], v[36:37] op_sel:[1,1] op_sel_hi:[0,1]
	v_pk_fma_f32 v[22:23], v[4:5], v[36:37], v[20:21] neg_lo:[0,0,1] neg_hi:[0,0,1]
	v_pk_fma_f32 v[4:5], v[4:5], v[36:37], v[20:21] op_sel_hi:[1,0,1]
	s_nop 0
	v_mov_b32_e32 v23, v5
	v_pk_add_f32 v[4:5], v[18:19], v[22:23]
	v_mov_b32_e32 v18, v39
	v_pk_mul_f32 v[18:19], v[6:7], v[18:19] op_sel:[1,0] op_sel_hi:[0,0]
	v_pk_fma_f32 v[20:21], v[6:7], v[38:39], v[18:19] neg_lo:[0,0,1] neg_hi:[0,0,1]
	v_pk_fma_f32 v[6:7], v[6:7], v[38:39], v[18:19] op_sel_hi:[1,0,1]
	s_nop 0
	v_mov_b32_e32 v21, v7
	s_waitcnt vmcnt(2) lgkmcnt(2)
	v_pk_mul_f32 v[6:7], v[8:9], v[40:41] op_sel:[1,1] op_sel_hi:[0,1]
	v_pk_fma_f32 v[18:19], v[8:9], v[40:41], v[6:7] neg_lo:[0,0,1] neg_hi:[0,0,1]
	v_pk_fma_f32 v[6:7], v[8:9], v[40:41], v[6:7] op_sel_hi:[1,0,1]
	v_pk_add_f32 v[4:5], v[4:5], v[20:21]
	v_mov_b32_e32 v6, v43
	v_mov_b32_e32 v19, v7
	v_pk_mul_f32 v[6:7], v[10:11], v[6:7] op_sel:[1,0] op_sel_hi:[0,0]
	v_pk_fma_f32 v[8:9], v[10:11], v[42:43], v[6:7] neg_lo:[0,0,1] neg_hi:[0,0,1]
	v_pk_fma_f32 v[6:7], v[10:11], v[42:43], v[6:7] op_sel_hi:[1,0,1]
	v_pk_add_f32 v[4:5], v[4:5], v[18:19]
	v_mov_b32_e32 v9, v7
	s_waitcnt vmcnt(1) lgkmcnt(1)
	v_pk_mul_f32 v[6:7], v[12:13], v[44:45] op_sel:[1,1] op_sel_hi:[0,1]
	v_pk_add_f32 v[4:5], v[4:5], v[8:9]
	v_pk_fma_f32 v[8:9], v[12:13], v[44:45], v[6:7] neg_lo:[0,0,1] neg_hi:[0,0,1]
	v_pk_fma_f32 v[6:7], v[12:13], v[44:45], v[6:7] op_sel_hi:[1,0,1]
	s_nop 0
	v_mov_b32_e32 v6, v47
	v_mov_b32_e32 v9, v7
	v_pk_mul_f32 v[6:7], v[14:15], v[6:7] op_sel:[1,0] op_sel_hi:[0,0]
	v_pk_add_f32 v[4:5], v[4:5], v[8:9]
	v_pk_fma_f32 v[8:9], v[14:15], v[46:47], v[6:7] neg_lo:[0,0,1] neg_hi:[0,0,1]
	v_pk_fma_f32 v[6:7], v[14:15], v[46:47], v[6:7] op_sel_hi:[1,0,1]
	s_nop 0
	v_mov_b32_e32 v9, v7
	s_waitcnt vmcnt(0) lgkmcnt(0)
	v_pk_mul_f32 v[6:7], v[16:17], v[54:55] op_sel:[1,1] op_sel_hi:[0,1]
	v_pk_add_f32 v[4:5], v[4:5], v[8:9]
	v_pk_fma_f32 v[8:9], v[16:17], v[54:55], v[6:7] neg_lo:[0,0,1] neg_hi:[0,0,1]
	v_pk_fma_f32 v[6:7], v[16:17], v[54:55], v[6:7] op_sel_hi:[1,0,1]
	s_nop 0
	v_mov_b32_e32 v9, v7
	scratch_load_dwordx2 v[6:7], off, off offset:304
	v_pk_add_f32 v[4:5], v[4:5], v[8:9]
	s_waitcnt vmcnt(0)
	v_pk_add_f32 v[4:5], v[6:7], v[4:5] neg_lo:[0,1] neg_hi:[0,1]
	scratch_store_dwordx2 off, v[4:5], off offset:304
	s_and_saveexec_b64 s[0:1], vcc
	s_cbranch_execz .LBB117_263
; %bb.262:
	scratch_load_dwordx2 v[4:5], off, off offset:296
	v_mov_b32_e32 v3, v2
	scratch_store_dwordx2 off, v[2:3], off offset:296
	s_waitcnt vmcnt(1)
	ds_write_b64 v1, v[4:5]
.LBB117_263:
	s_or_b64 exec, exec, s[0:1]
	s_waitcnt lgkmcnt(0)
	; wave barrier
	ds_read_b128 v[4:7], v2 offset:736
	ds_read_b128 v[8:11], v2 offset:752
	ds_read_b128 v[12:15], v2 offset:768
	ds_read_b128 v[16:19], v2 offset:784
	scratch_load_dwordx4 v[20:23], off, off offset:304
	v_cmp_lt_u32_e32 vcc, 36, v0
	s_waitcnt vmcnt(0) lgkmcnt(3)
	v_mul_f32_e32 v3, v4, v21
	v_fmac_f32_e32 v3, v5, v20
	v_mul_f32_e32 v24, v6, v23
	v_add_f32_e32 v3, 0, v3
	v_fmac_f32_e32 v24, v7, v22
	v_add_f32_e32 v3, v3, v24
	scratch_load_dwordx4 v[24:27], off, off offset:320
	s_waitcnt vmcnt(0) lgkmcnt(2)
	v_mul_f32_e32 v28, v8, v25
	v_fmac_f32_e32 v28, v9, v24
	v_add_f32_e32 v3, v3, v28
	v_mul_f32_e32 v28, v10, v27
	v_fmac_f32_e32 v28, v11, v26
	v_add_f32_e32 v3, v3, v28
	scratch_load_dwordx4 v[28:31], off, off offset:336
	s_waitcnt vmcnt(0) lgkmcnt(1)
	v_mul_f32_e32 v32, v12, v29
	v_fmac_f32_e32 v32, v13, v28
	v_add_f32_e32 v3, v3, v32
	v_mul_f32_e32 v32, v14, v31
	v_fmac_f32_e32 v32, v15, v30
	v_add_f32_e32 v53, v3, v32
	scratch_load_dwordx4 v[32:35], off, off offset:352
	scratch_load_dwordx4 v[36:39], off, off offset:368
	;; [unrolled: 1-line block ×5, first 2 shown]
	v_mul_f32_e32 v3, v5, v21
	v_fma_f32 v3, v4, v20, -v3
	v_mul_f32_e32 v4, v7, v23
	v_add_f32_e32 v3, 0, v3
	v_fma_f32 v4, v6, v22, -v4
	v_add_f32_e32 v3, v3, v4
	v_mul_f32_e32 v4, v9, v25
	v_fma_f32 v4, v8, v24, -v4
	v_add_f32_e32 v3, v3, v4
	v_mul_f32_e32 v4, v11, v27
	;; [unrolled: 3-line block ×4, first 2 shown]
	v_fma_f32 v4, v14, v30, -v4
	v_add_f32_e32 v52, v3, v4
	s_waitcnt vmcnt(4) lgkmcnt(0)
	v_mul_f32_e32 v3, v17, v33
	v_mul_f32_e32 v55, v16, v33
	;; [unrolled: 1-line block ×3, first 2 shown]
	v_fma_f32 v54, v16, v32, -v3
	v_mul_f32_e32 v3, v19, v35
	v_fmac_f32_e32 v55, v17, v32
	v_fmac_f32_e32 v57, v19, v34
	v_fma_f32 v56, v18, v34, -v3
	ds_read_b128 v[4:7], v2 offset:800
	ds_read_b128 v[8:11], v2 offset:816
	;; [unrolled: 1-line block ×4, first 2 shown]
	v_pk_add_f32 v[2:3], v[52:53], v[54:55]
	s_waitcnt vmcnt(3) lgkmcnt(3)
	v_pk_mul_f32 v[20:21], v[4:5], v[36:37] op_sel:[1,1] op_sel_hi:[0,1]
	v_pk_fma_f32 v[22:23], v[4:5], v[36:37], v[20:21] neg_lo:[0,0,1] neg_hi:[0,0,1]
	v_pk_fma_f32 v[4:5], v[4:5], v[36:37], v[20:21] op_sel_hi:[1,0,1]
	v_pk_add_f32 v[2:3], v[2:3], v[56:57]
	v_mov_b32_e32 v4, v39
	v_mov_b32_e32 v23, v5
	v_pk_mul_f32 v[4:5], v[6:7], v[4:5] op_sel:[1,0] op_sel_hi:[0,0]
	v_pk_fma_f32 v[20:21], v[6:7], v[38:39], v[4:5] neg_lo:[0,0,1] neg_hi:[0,0,1]
	v_pk_fma_f32 v[4:5], v[6:7], v[38:39], v[4:5] op_sel_hi:[1,0,1]
	v_pk_add_f32 v[2:3], v[2:3], v[22:23]
	v_mov_b32_e32 v21, v5
	s_waitcnt vmcnt(2) lgkmcnt(2)
	v_pk_mul_f32 v[4:5], v[8:9], v[40:41] op_sel:[1,1] op_sel_hi:[0,1]
	v_pk_fma_f32 v[6:7], v[8:9], v[40:41], v[4:5] neg_lo:[0,0,1] neg_hi:[0,0,1]
	v_pk_fma_f32 v[4:5], v[8:9], v[40:41], v[4:5] op_sel_hi:[1,0,1]
	v_pk_add_f32 v[2:3], v[2:3], v[20:21]
	v_mov_b32_e32 v4, v43
	v_mov_b32_e32 v7, v5
	v_pk_mul_f32 v[4:5], v[10:11], v[4:5] op_sel:[1,0] op_sel_hi:[0,0]
	v_pk_add_f32 v[2:3], v[2:3], v[6:7]
	v_pk_fma_f32 v[6:7], v[10:11], v[42:43], v[4:5] neg_lo:[0,0,1] neg_hi:[0,0,1]
	v_pk_fma_f32 v[4:5], v[10:11], v[42:43], v[4:5] op_sel_hi:[1,0,1]
	s_nop 0
	v_mov_b32_e32 v7, v5
	s_waitcnt vmcnt(1) lgkmcnt(1)
	v_pk_mul_f32 v[4:5], v[12:13], v[44:45] op_sel:[1,1] op_sel_hi:[0,1]
	v_pk_add_f32 v[2:3], v[2:3], v[6:7]
	v_pk_fma_f32 v[6:7], v[12:13], v[44:45], v[4:5] neg_lo:[0,0,1] neg_hi:[0,0,1]
	v_pk_fma_f32 v[4:5], v[12:13], v[44:45], v[4:5] op_sel_hi:[1,0,1]
	s_nop 0
	v_mov_b32_e32 v4, v47
	v_mov_b32_e32 v7, v5
	v_pk_mul_f32 v[4:5], v[14:15], v[4:5] op_sel:[1,0] op_sel_hi:[0,0]
	v_pk_add_f32 v[2:3], v[2:3], v[6:7]
	v_pk_fma_f32 v[6:7], v[14:15], v[46:47], v[4:5] neg_lo:[0,0,1] neg_hi:[0,0,1]
	v_pk_fma_f32 v[4:5], v[14:15], v[46:47], v[4:5] op_sel_hi:[1,0,1]
	s_nop 0
	v_mov_b32_e32 v7, v5
	s_waitcnt vmcnt(0) lgkmcnt(0)
	v_pk_mul_f32 v[4:5], v[16:17], v[48:49] op_sel:[1,1] op_sel_hi:[0,1]
	v_pk_add_f32 v[2:3], v[2:3], v[6:7]
	v_pk_fma_f32 v[6:7], v[16:17], v[48:49], v[4:5] neg_lo:[0,0,1] neg_hi:[0,0,1]
	v_pk_fma_f32 v[4:5], v[16:17], v[48:49], v[4:5] op_sel_hi:[1,0,1]
	s_nop 0
	v_mov_b32_e32 v4, v51
	v_mov_b32_e32 v7, v5
	v_pk_mul_f32 v[4:5], v[18:19], v[4:5] op_sel:[1,0] op_sel_hi:[0,0]
	v_pk_add_f32 v[2:3], v[2:3], v[6:7]
	v_pk_fma_f32 v[6:7], v[18:19], v[50:51], v[4:5] neg_lo:[0,0,1] neg_hi:[0,0,1]
	v_pk_fma_f32 v[4:5], v[18:19], v[50:51], v[4:5] op_sel_hi:[1,0,1]
	s_nop 0
	v_mov_b32_e32 v7, v5
	scratch_load_dwordx2 v[4:5], off, off offset:296
	v_pk_add_f32 v[2:3], v[2:3], v[6:7]
	s_waitcnt vmcnt(0)
	v_pk_add_f32 v[2:3], v[4:5], v[2:3] neg_lo:[0,1] neg_hi:[0,1]
	scratch_store_dwordx2 off, v[2:3], off offset:296
	s_and_saveexec_b64 s[0:1], vcc
	s_cbranch_execz .LBB117_265
; %bb.264:
	scratch_load_dwordx2 v[2:3], off, off offset:288
	v_mov_b32_e32 v4, 0
	v_mov_b32_e32 v5, v4
	scratch_store_dwordx2 off, v[4:5], off offset:288
	s_waitcnt vmcnt(1)
	ds_write_b64 v1, v[2:3]
.LBB117_265:
	s_or_b64 exec, exec, s[0:1]
	s_waitcnt lgkmcnt(0)
	; wave barrier
	scratch_load_dwordx4 v[4:7], off, off offset:296
	scratch_load_dwordx4 v[8:11], off, off offset:312
	;; [unrolled: 1-line block ×8, first 2 shown]
	scratch_load_dwordx2 v[68:69], off, off offset:424
	scratch_load_dwordx2 v[70:71], off, off offset:288
	v_mov_b32_e32 v2, 0
	ds_read2_b64 v[36:39], v2 offset0:91 offset1:92
	ds_read2_b64 v[40:43], v2 offset0:93 offset1:94
	;; [unrolled: 1-line block ×8, first 2 shown]
	ds_read_b64 v[72:73], v2 offset:856
	v_cmp_lt_u32_e32 vcc, 35, v0
	s_waitcnt vmcnt(9) lgkmcnt(8)
	v_mul_f32_e32 v79, v38, v7
	v_mul_f32_e32 v3, v36, v5
	s_waitcnt vmcnt(8) lgkmcnt(7)
	v_mul_f32_e32 v83, v40, v9
	s_waitcnt vmcnt(7) lgkmcnt(6)
	v_mul_f32_e32 v87, v44, v13
	v_mul_f32_e32 v5, v37, v5
	;; [unrolled: 1-line block ×5, first 2 shown]
	s_waitcnt vmcnt(5)
	v_mov_b32_e32 v78, v23
	s_waitcnt vmcnt(3) lgkmcnt(2)
	v_pk_mul_f32 v[84:85], v[60:61], v[28:29] op_sel:[1,1] op_sel_hi:[0,1]
	v_fmac_f32_e32 v79, v39, v6
	v_mul_f32_e32 v86, v42, v11
	v_mul_f32_e32 v89, v48, v17
	v_mul_f32_e32 v11, v43, v11
	v_mul_f32_e32 v17, v49, v17
	v_fmac_f32_e32 v3, v37, v4
	v_fmac_f32_e32 v87, v45, v12
	v_fma_f32 v36, v36, v4, -v5
	v_fma_f32 v37, v38, v6, -v7
	;; [unrolled: 1-line block ×4, first 2 shown]
	v_pk_mul_f32 v[4:5], v[54:55], v[78:79] op_sel:[1,0] op_sel_hi:[0,0]
	v_pk_fma_f32 v[12:13], v[60:61], v[28:29], v[84:85] neg_lo:[0,0,1] neg_hi:[0,0,1]
	v_fmac_f32_e32 v89, v49, v16
	v_fma_f32 v39, v42, v10, -v11
	v_fma_f32 v42, v48, v16, -v17
	v_add_f32_e32 v3, 0, v3
	v_add_f32_e32 v13, 0, v36
	v_pk_fma_f32 v[16:17], v[54:55], v[22:23], v[4:5] neg_lo:[0,0,1] neg_hi:[0,0,1]
	v_pk_fma_f32 v[4:5], v[54:55], v[22:23], v[4:5] op_sel_hi:[1,0,1]
	v_fmac_f32_e32 v83, v41, v8
	v_add_f32_e32 v3, v3, v79
	v_add_f32_e32 v4, v13, v37
	v_fmac_f32_e32 v86, v43, v10
	v_add_f32_e32 v3, v3, v83
	v_add_f32_e32 v4, v4, v38
	v_mul_f32_e32 v88, v46, v15
	v_mul_f32_e32 v15, v47, v15
	v_add_f32_e32 v3, v3, v86
	v_add_f32_e32 v4, v4, v39
	v_fmac_f32_e32 v88, v47, v14
	v_fma_f32 v41, v46, v14, -v15
	v_add_f32_e32 v3, v3, v87
	v_add_f32_e32 v4, v4, v40
	v_mul_f32_e32 v75, v50, v19
	v_mul_f32_e32 v19, v51, v19
	v_add_f32_e32 v3, v3, v88
	v_add_f32_e32 v4, v4, v41
	v_mul_f32_e32 v77, v52, v21
	v_mul_f32_e32 v21, v53, v21
	v_fmac_f32_e32 v75, v51, v18
	v_fma_f32 v74, v50, v18, -v19
	v_mov_b32_e32 v17, v5
	v_add_f32_e32 v5, v3, v89
	v_add_f32_e32 v4, v4, v42
	v_pk_mul_f32 v[80:81], v[56:57], v[24:25] op_sel:[1,1] op_sel_hi:[0,1]
	v_fmac_f32_e32 v77, v53, v20
	v_fma_f32 v76, v52, v20, -v21
	v_pk_add_f32 v[4:5], v[4:5], v[74:75]
	v_mov_b32_e32 v82, v27
	v_pk_fma_f32 v[6:7], v[56:57], v[24:25], v[80:81] neg_lo:[0,0,1] neg_hi:[0,0,1]
	v_pk_fma_f32 v[8:9], v[56:57], v[24:25], v[80:81] op_sel_hi:[1,0,1]
	v_pk_add_f32 v[4:5], v[4:5], v[76:77]
	v_pk_mul_f32 v[10:11], v[58:59], v[82:83] op_sel:[1,0] op_sel_hi:[0,0]
	v_mov_b32_e32 v7, v9
	v_pk_add_f32 v[4:5], v[4:5], v[16:17]
	v_pk_fma_f32 v[8:9], v[58:59], v[26:27], v[10:11] neg_lo:[0,0,1] neg_hi:[0,0,1]
	v_pk_fma_f32 v[10:11], v[58:59], v[26:27], v[10:11] op_sel_hi:[1,0,1]
	v_pk_add_f32 v[4:5], v[4:5], v[6:7]
	v_mov_b32_e32 v6, v31
	v_pk_fma_f32 v[14:15], v[60:61], v[28:29], v[84:85] op_sel_hi:[1,0,1]
	v_mov_b32_e32 v9, v11
	v_pk_mul_f32 v[6:7], v[62:63], v[6:7] op_sel:[1,0] op_sel_hi:[0,0]
	v_pk_add_f32 v[4:5], v[4:5], v[8:9]
	v_mov_b32_e32 v13, v15
	v_pk_fma_f32 v[8:9], v[62:63], v[30:31], v[6:7] neg_lo:[0,0,1] neg_hi:[0,0,1]
	v_pk_fma_f32 v[6:7], v[62:63], v[30:31], v[6:7] op_sel_hi:[1,0,1]
	v_pk_add_f32 v[4:5], v[4:5], v[12:13]
	v_mov_b32_e32 v9, v7
	s_waitcnt vmcnt(2) lgkmcnt(1)
	v_pk_mul_f32 v[6:7], v[64:65], v[32:33] op_sel:[1,1] op_sel_hi:[0,1]
	v_pk_add_f32 v[4:5], v[4:5], v[8:9]
	v_pk_fma_f32 v[8:9], v[64:65], v[32:33], v[6:7] neg_lo:[0,0,1] neg_hi:[0,0,1]
	v_pk_fma_f32 v[6:7], v[64:65], v[32:33], v[6:7] op_sel_hi:[1,0,1]
	s_nop 0
	v_mov_b32_e32 v6, v35
	v_mov_b32_e32 v9, v7
	v_pk_mul_f32 v[6:7], v[66:67], v[6:7] op_sel:[1,0] op_sel_hi:[0,0]
	v_pk_add_f32 v[4:5], v[4:5], v[8:9]
	v_pk_fma_f32 v[8:9], v[66:67], v[34:35], v[6:7] neg_lo:[0,0,1] neg_hi:[0,0,1]
	v_pk_fma_f32 v[6:7], v[66:67], v[34:35], v[6:7] op_sel_hi:[1,0,1]
	s_nop 0
	v_mov_b32_e32 v9, v7
	s_waitcnt vmcnt(1) lgkmcnt(0)
	v_pk_mul_f32 v[6:7], v[72:73], v[68:69] op_sel:[1,1] op_sel_hi:[0,1]
	v_pk_add_f32 v[4:5], v[4:5], v[8:9]
	v_pk_fma_f32 v[8:9], v[72:73], v[68:69], v[6:7] neg_lo:[0,0,1] neg_hi:[0,0,1]
	v_pk_fma_f32 v[6:7], v[72:73], v[68:69], v[6:7] op_sel_hi:[1,0,1]
	s_nop 0
	v_mov_b32_e32 v9, v7
	v_pk_add_f32 v[4:5], v[4:5], v[8:9]
	s_waitcnt vmcnt(0)
	v_pk_add_f32 v[4:5], v[70:71], v[4:5] neg_lo:[0,1] neg_hi:[0,1]
	scratch_store_dwordx2 off, v[4:5], off offset:288
	s_and_saveexec_b64 s[0:1], vcc
	s_cbranch_execz .LBB117_267
; %bb.266:
	scratch_load_dwordx2 v[4:5], off, off offset:280
	v_mov_b32_e32 v3, v2
	scratch_store_dwordx2 off, v[2:3], off offset:280
	s_waitcnt vmcnt(1)
	ds_write_b64 v1, v[4:5]
.LBB117_267:
	s_or_b64 exec, exec, s[0:1]
	s_waitcnt lgkmcnt(0)
	; wave barrier
	scratch_load_dwordx4 v[4:7], off, off offset:288
	scratch_load_dwordx4 v[8:11], off, off offset:304
	;; [unrolled: 1-line block ×7, first 2 shown]
	ds_read_b128 v[32:35], v2 offset:720
	ds_read_b128 v[36:39], v2 offset:736
	;; [unrolled: 1-line block ×4, first 2 shown]
	scratch_load_dwordx4 v[48:51], off, off offset:400
	scratch_load_dwordx4 v[52:55], off, off offset:416
	ds_read_b128 v[56:59], v2 offset:784
	ds_read_b128 v[60:63], v2 offset:800
	ds_read_b128 v[64:67], v2 offset:816
	ds_read_b128 v[68:71], v2 offset:832
	ds_read_b128 v[72:75], v2 offset:848
	scratch_load_dwordx2 v[2:3], off, off offset:280
	v_cmp_lt_u32_e32 vcc, 34, v0
	s_waitcnt vmcnt(9) lgkmcnt(8)
	v_mul_f32_e32 v83, v32, v5
	v_mul_f32_e32 v86, v34, v7
	s_waitcnt vmcnt(8) lgkmcnt(7)
	v_mul_f32_e32 v87, v36, v9
	s_waitcnt vmcnt(7) lgkmcnt(6)
	v_mul_f32_e32 v89, v40, v13
	v_mul_f32_e32 v5, v33, v5
	;; [unrolled: 1-line block ×5, first 2 shown]
	s_waitcnt vmcnt(4) lgkmcnt(3)
	v_pk_mul_f32 v[80:81], v[60:61], v[24:25] op_sel:[1,1] op_sel_hi:[0,1]
	v_mov_b32_e32 v82, v27
	s_waitcnt vmcnt(3) lgkmcnt(2)
	v_pk_mul_f32 v[84:85], v[64:65], v[28:29] op_sel:[1,1] op_sel_hi:[0,1]
	v_fmac_f32_e32 v83, v33, v4
	v_mul_f32_e32 v90, v42, v15
	v_mul_f32_e32 v91, v44, v17
	;; [unrolled: 1-line block ×4, first 2 shown]
	v_fmac_f32_e32 v86, v35, v6
	v_fmac_f32_e32 v87, v37, v8
	;; [unrolled: 1-line block ×3, first 2 shown]
	v_fma_f32 v32, v32, v4, -v5
	v_fma_f32 v33, v34, v6, -v7
	;; [unrolled: 1-line block ×4, first 2 shown]
	v_pk_fma_f32 v[4:5], v[60:61], v[24:25], v[80:81] neg_lo:[0,0,1] neg_hi:[0,0,1]
	v_pk_fma_f32 v[6:7], v[60:61], v[24:25], v[80:81] op_sel_hi:[1,0,1]
	v_pk_mul_f32 v[8:9], v[62:63], v[82:83] op_sel:[1,0] op_sel_hi:[0,0]
	v_pk_fma_f32 v[12:13], v[64:65], v[28:29], v[84:85] op_sel_hi:[1,0,1]
	v_fmac_f32_e32 v90, v43, v14
	v_fma_f32 v14, v42, v14, -v15
	v_fma_f32 v15, v44, v16, -v17
	v_add_f32_e32 v12, 0, v83
	v_add_f32_e32 v17, 0, v32
	v_mov_b32_e32 v5, v7
	v_pk_fma_f32 v[6:7], v[62:63], v[26:27], v[8:9] neg_lo:[0,0,1] neg_hi:[0,0,1]
	v_pk_fma_f32 v[8:9], v[62:63], v[26:27], v[8:9] op_sel_hi:[1,0,1]
	v_mul_f32_e32 v88, v38, v11
	v_mul_f32_e32 v11, v39, v11
	v_add_f32_e32 v8, v12, v86
	v_add_f32_e32 v12, v17, v33
	v_fmac_f32_e32 v88, v39, v10
	v_fma_f32 v35, v38, v10, -v11
	v_mov_b32_e32 v7, v9
	v_add_f32_e32 v8, v8, v87
	v_add_f32_e32 v9, v12, v34
	;; [unrolled: 1-line block ×6, first 2 shown]
	v_mul_f32_e32 v92, v46, v19
	v_mul_f32_e32 v19, v47, v19
	v_fmac_f32_e32 v91, v45, v16
	v_add_f32_e32 v8, v8, v90
	v_add_f32_e32 v9, v9, v14
	v_mul_f32_e32 v77, v56, v21
	v_mul_f32_e32 v21, v57, v21
	v_fmac_f32_e32 v92, v47, v18
	v_fma_f32 v16, v46, v18, -v19
	v_add_f32_e32 v8, v8, v91
	v_add_f32_e32 v12, v9, v15
	v_mul_f32_e32 v79, v58, v23
	v_mul_f32_e32 v23, v59, v23
	v_fmac_f32_e32 v77, v57, v20
	v_fma_f32 v76, v56, v20, -v21
	v_add_f32_e32 v9, v8, v92
	v_add_f32_e32 v8, v12, v16
	v_fmac_f32_e32 v79, v59, v22
	v_fma_f32 v78, v58, v22, -v23
	v_pk_add_f32 v[8:9], v[8:9], v[76:77]
	v_pk_fma_f32 v[10:11], v[64:65], v[28:29], v[84:85] neg_lo:[0,0,1] neg_hi:[0,0,1]
	v_pk_add_f32 v[8:9], v[8:9], v[78:79]
	v_mov_b32_e32 v11, v13
	v_pk_add_f32 v[4:5], v[8:9], v[4:5]
	s_nop 0
	v_pk_add_f32 v[4:5], v[4:5], v[6:7]
	v_mov_b32_e32 v6, v31
	v_pk_mul_f32 v[6:7], v[66:67], v[6:7] op_sel:[1,0] op_sel_hi:[0,0]
	v_pk_fma_f32 v[8:9], v[66:67], v[30:31], v[6:7] neg_lo:[0,0,1] neg_hi:[0,0,1]
	v_pk_fma_f32 v[6:7], v[66:67], v[30:31], v[6:7] op_sel_hi:[1,0,1]
	v_pk_add_f32 v[4:5], v[4:5], v[10:11]
	v_mov_b32_e32 v9, v7
	s_waitcnt vmcnt(2) lgkmcnt(1)
	v_pk_mul_f32 v[6:7], v[68:69], v[48:49] op_sel:[1,1] op_sel_hi:[0,1]
	v_pk_add_f32 v[4:5], v[4:5], v[8:9]
	v_pk_fma_f32 v[8:9], v[68:69], v[48:49], v[6:7] neg_lo:[0,0,1] neg_hi:[0,0,1]
	v_pk_fma_f32 v[6:7], v[68:69], v[48:49], v[6:7] op_sel_hi:[1,0,1]
	s_nop 0
	v_mov_b32_e32 v6, v51
	v_mov_b32_e32 v9, v7
	v_pk_mul_f32 v[6:7], v[70:71], v[6:7] op_sel:[1,0] op_sel_hi:[0,0]
	v_pk_add_f32 v[4:5], v[4:5], v[8:9]
	v_pk_fma_f32 v[8:9], v[70:71], v[50:51], v[6:7] neg_lo:[0,0,1] neg_hi:[0,0,1]
	v_pk_fma_f32 v[6:7], v[70:71], v[50:51], v[6:7] op_sel_hi:[1,0,1]
	s_nop 0
	v_mov_b32_e32 v9, v7
	s_waitcnt vmcnt(1) lgkmcnt(0)
	v_pk_mul_f32 v[6:7], v[72:73], v[52:53] op_sel:[1,1] op_sel_hi:[0,1]
	v_pk_add_f32 v[4:5], v[4:5], v[8:9]
	v_pk_fma_f32 v[8:9], v[72:73], v[52:53], v[6:7] neg_lo:[0,0,1] neg_hi:[0,0,1]
	v_pk_fma_f32 v[6:7], v[72:73], v[52:53], v[6:7] op_sel_hi:[1,0,1]
	s_nop 0
	v_mov_b32_e32 v6, v55
	v_mov_b32_e32 v9, v7
	v_pk_mul_f32 v[6:7], v[74:75], v[6:7] op_sel:[1,0] op_sel_hi:[0,0]
	v_pk_add_f32 v[4:5], v[4:5], v[8:9]
	v_pk_fma_f32 v[8:9], v[74:75], v[54:55], v[6:7] neg_lo:[0,0,1] neg_hi:[0,0,1]
	v_pk_fma_f32 v[6:7], v[74:75], v[54:55], v[6:7] op_sel_hi:[1,0,1]
	s_nop 0
	v_mov_b32_e32 v9, v7
	v_pk_add_f32 v[4:5], v[4:5], v[8:9]
	s_waitcnt vmcnt(0)
	v_pk_add_f32 v[2:3], v[2:3], v[4:5] neg_lo:[0,1] neg_hi:[0,1]
	scratch_store_dwordx2 off, v[2:3], off offset:280
	s_and_saveexec_b64 s[0:1], vcc
	s_cbranch_execz .LBB117_269
; %bb.268:
	scratch_load_dwordx2 v[2:3], off, off offset:272
	v_mov_b32_e32 v4, 0
	v_mov_b32_e32 v5, v4
	scratch_store_dwordx2 off, v[4:5], off offset:272
	s_waitcnt vmcnt(1)
	ds_write_b64 v1, v[2:3]
.LBB117_269:
	s_or_b64 exec, exec, s[0:1]
	s_waitcnt lgkmcnt(0)
	; wave barrier
	scratch_load_dwordx4 v[4:7], off, off offset:280
	scratch_load_dwordx4 v[8:11], off, off offset:296
	;; [unrolled: 1-line block ×9, first 2 shown]
	scratch_load_dwordx2 v[76:77], off, off offset:424
	scratch_load_dwordx2 v[78:79], off, off offset:272
	v_mov_b32_e32 v2, 0
	ds_read2_b64 v[40:43], v2 offset0:89 offset1:90
	ds_read2_b64 v[44:47], v2 offset0:91 offset1:92
	ds_read2_b64 v[48:51], v2 offset0:93 offset1:94
	ds_read2_b64 v[52:55], v2 offset0:95 offset1:96
	ds_read2_b64 v[56:59], v2 offset0:97 offset1:98
	ds_read2_b64 v[60:63], v2 offset0:99 offset1:100
	ds_read2_b64 v[64:67], v2 offset0:101 offset1:102
	ds_read2_b64 v[68:71], v2 offset0:103 offset1:104
	ds_read2_b64 v[72:75], v2 offset0:105 offset1:106
	ds_read_b64 v[80:81], v2 offset:856
	v_cmp_lt_u32_e32 vcc, 33, v0
	s_waitcnt vmcnt(10) lgkmcnt(9)
	v_mul_f32_e32 v87, v42, v7
	v_mul_f32_e32 v3, v40, v5
	;; [unrolled: 1-line block ×3, first 2 shown]
	v_fmac_f32_e32 v87, v43, v6
	s_waitcnt vmcnt(9) lgkmcnt(8)
	v_mul_f32_e32 v88, v44, v9
	s_waitcnt vmcnt(5)
	v_mov_b32_e32 v86, v27
	v_mul_f32_e32 v89, v46, v11
	s_waitcnt lgkmcnt(7)
	v_mul_f32_e32 v91, v50, v15
	v_mul_f32_e32 v7, v43, v7
	;; [unrolled: 1-line block ×5, first 2 shown]
	v_fmac_f32_e32 v3, v41, v4
	v_fma_f32 v40, v40, v4, -v5
	s_waitcnt lgkmcnt(4)
	v_pk_mul_f32 v[4:5], v[62:63], v[86:87] op_sel:[1,0] op_sel_hi:[0,0]
	v_fmac_f32_e32 v88, v45, v8
	v_fma_f32 v41, v42, v6, -v7
	v_fma_f32 v8, v44, v8, -v9
	;; [unrolled: 1-line block ×4, first 2 shown]
	v_add_f32_e32 v3, 0, v3
	v_add_f32_e32 v15, 0, v40
	v_pk_fma_f32 v[6:7], v[62:63], v[26:27], v[4:5] neg_lo:[0,0,1] neg_hi:[0,0,1]
	v_pk_fma_f32 v[4:5], v[62:63], v[26:27], v[4:5] op_sel_hi:[1,0,1]
	v_add_f32_e32 v3, v3, v87
	v_add_f32_e32 v4, v15, v41
	v_mul_f32_e32 v90, v48, v13
	v_mul_f32_e32 v13, v49, v13
	v_fmac_f32_e32 v89, v47, v10
	v_add_f32_e32 v3, v3, v88
	v_add_f32_e32 v4, v4, v8
	v_fmac_f32_e32 v90, v49, v12
	v_fma_f32 v10, v48, v12, -v13
	v_add_f32_e32 v3, v3, v89
	v_add_f32_e32 v4, v4, v9
	v_mul_f32_e32 v92, v52, v17
	v_mul_f32_e32 v17, v53, v17
	v_fmac_f32_e32 v91, v51, v14
	v_add_f32_e32 v3, v3, v90
	v_add_f32_e32 v4, v4, v10
	v_mul_f32_e32 v93, v54, v19
	v_mul_f32_e32 v19, v55, v19
	v_fmac_f32_e32 v92, v53, v16
	v_fma_f32 v12, v52, v16, -v17
	v_add_f32_e32 v3, v3, v91
	v_add_f32_e32 v4, v4, v11
	v_mul_f32_e32 v94, v56, v21
	v_mul_f32_e32 v21, v57, v21
	v_fmac_f32_e32 v93, v55, v18
	v_fma_f32 v13, v54, v18, -v19
	v_add_f32_e32 v3, v3, v92
	v_add_f32_e32 v4, v4, v12
	v_mul_f32_e32 v83, v58, v23
	v_mul_f32_e32 v23, v59, v23
	v_fmac_f32_e32 v94, v57, v20
	v_fma_f32 v14, v56, v20, -v21
	v_add_f32_e32 v3, v3, v93
	v_add_f32_e32 v4, v4, v13
	v_mul_f32_e32 v85, v60, v25
	v_mul_f32_e32 v25, v61, v25
	v_fmac_f32_e32 v83, v59, v22
	v_fma_f32 v82, v58, v22, -v23
	v_mov_b32_e32 v7, v5
	v_add_f32_e32 v5, v3, v94
	v_add_f32_e32 v4, v4, v14
	v_fmac_f32_e32 v85, v61, v24
	v_fma_f32 v84, v60, v24, -v25
	v_pk_add_f32 v[4:5], v[4:5], v[82:83]
	s_nop 0
	v_pk_add_f32 v[4:5], v[4:5], v[84:85]
	s_nop 0
	v_pk_add_f32 v[4:5], v[4:5], v[6:7]
	s_waitcnt vmcnt(4) lgkmcnt(3)
	v_pk_mul_f32 v[6:7], v[64:65], v[28:29] op_sel:[1,1] op_sel_hi:[0,1]
	v_pk_fma_f32 v[8:9], v[64:65], v[28:29], v[6:7] neg_lo:[0,0,1] neg_hi:[0,0,1]
	v_pk_fma_f32 v[6:7], v[64:65], v[28:29], v[6:7] op_sel_hi:[1,0,1]
	s_nop 0
	v_mov_b32_e32 v6, v31
	v_mov_b32_e32 v9, v7
	v_pk_mul_f32 v[6:7], v[66:67], v[6:7] op_sel:[1,0] op_sel_hi:[0,0]
	v_pk_add_f32 v[4:5], v[4:5], v[8:9]
	v_pk_fma_f32 v[8:9], v[66:67], v[30:31], v[6:7] neg_lo:[0,0,1] neg_hi:[0,0,1]
	v_pk_fma_f32 v[6:7], v[66:67], v[30:31], v[6:7] op_sel_hi:[1,0,1]
	s_nop 0
	v_mov_b32_e32 v9, v7
	s_waitcnt vmcnt(3) lgkmcnt(2)
	v_pk_mul_f32 v[6:7], v[68:69], v[32:33] op_sel:[1,1] op_sel_hi:[0,1]
	v_pk_add_f32 v[4:5], v[4:5], v[8:9]
	v_pk_fma_f32 v[8:9], v[68:69], v[32:33], v[6:7] neg_lo:[0,0,1] neg_hi:[0,0,1]
	v_pk_fma_f32 v[6:7], v[68:69], v[32:33], v[6:7] op_sel_hi:[1,0,1]
	s_nop 0
	v_mov_b32_e32 v6, v35
	v_mov_b32_e32 v9, v7
	v_pk_mul_f32 v[6:7], v[70:71], v[6:7] op_sel:[1,0] op_sel_hi:[0,0]
	v_pk_add_f32 v[4:5], v[4:5], v[8:9]
	v_pk_fma_f32 v[8:9], v[70:71], v[34:35], v[6:7] neg_lo:[0,0,1] neg_hi:[0,0,1]
	v_pk_fma_f32 v[6:7], v[70:71], v[34:35], v[6:7] op_sel_hi:[1,0,1]
	s_nop 0
	v_mov_b32_e32 v9, v7
	s_waitcnt vmcnt(2) lgkmcnt(1)
	v_pk_mul_f32 v[6:7], v[72:73], v[36:37] op_sel:[1,1] op_sel_hi:[0,1]
	v_pk_add_f32 v[4:5], v[4:5], v[8:9]
	;; [unrolled: 14-line block ×3, first 2 shown]
	v_pk_fma_f32 v[8:9], v[80:81], v[76:77], v[6:7] neg_lo:[0,0,1] neg_hi:[0,0,1]
	v_pk_fma_f32 v[6:7], v[80:81], v[76:77], v[6:7] op_sel_hi:[1,0,1]
	s_nop 0
	v_mov_b32_e32 v9, v7
	v_pk_add_f32 v[4:5], v[4:5], v[8:9]
	s_waitcnt vmcnt(0)
	v_pk_add_f32 v[4:5], v[78:79], v[4:5] neg_lo:[0,1] neg_hi:[0,1]
	scratch_store_dwordx2 off, v[4:5], off offset:272
	s_and_saveexec_b64 s[0:1], vcc
	s_cbranch_execz .LBB117_271
; %bb.270:
	scratch_load_dwordx2 v[4:5], off, off offset:264
	v_mov_b32_e32 v3, v2
	scratch_store_dwordx2 off, v[2:3], off offset:264
	s_waitcnt vmcnt(1)
	ds_write_b64 v1, v[4:5]
.LBB117_271:
	s_or_b64 exec, exec, s[0:1]
	s_waitcnt lgkmcnt(0)
	; wave barrier
	scratch_load_dwordx4 v[4:7], off, off offset:272
	scratch_load_dwordx4 v[8:11], off, off offset:288
	;; [unrolled: 1-line block ×7, first 2 shown]
	ds_read_b128 v[32:35], v2 offset:704
	ds_read_b128 v[36:39], v2 offset:720
	;; [unrolled: 1-line block ×6, first 2 shown]
	scratch_load_dwordx4 v[56:59], off, off offset:384
	scratch_load_dwordx4 v[60:63], off, off offset:400
	;; [unrolled: 1-line block ×3, first 2 shown]
	ds_read_b128 v[68:71], v2 offset:800
	ds_read_b128 v[72:75], v2 offset:816
	;; [unrolled: 1-line block ×4, first 2 shown]
	scratch_load_dwordx2 v[2:3], off, off offset:264
	v_cmp_lt_u32_e32 vcc, 32, v0
	s_waitcnt vmcnt(10) lgkmcnt(9)
	v_mul_f32_e32 v90, v32, v5
	v_mul_f32_e32 v5, v33, v5
	;; [unrolled: 1-line block ×3, first 2 shown]
	s_waitcnt vmcnt(9) lgkmcnt(8)
	v_mul_f32_e32 v92, v36, v9
	s_waitcnt vmcnt(8) lgkmcnt(7)
	v_mul_f32_e32 v95, v42, v15
	v_mul_f32_e32 v7, v35, v7
	;; [unrolled: 1-line block ×4, first 2 shown]
	v_fmac_f32_e32 v90, v33, v4
	v_fma_f32 v4, v32, v4, -v5
	v_fmac_f32_e32 v91, v35, v6
	v_fmac_f32_e32 v95, v43, v14
	v_fma_f32 v5, v34, v6, -v7
	v_fma_f32 v6, v36, v8, -v9
	;; [unrolled: 1-line block ×3, first 2 shown]
	v_add_f32_e32 v14, 0, v90
	v_add_f32_e32 v4, 0, v4
	v_mul_f32_e32 v93, v38, v11
	v_mul_f32_e32 v11, v39, v11
	v_fmac_f32_e32 v92, v37, v8
	v_add_f32_e32 v14, v14, v91
	v_add_f32_e32 v4, v4, v5
	v_mul_f32_e32 v94, v40, v13
	v_mul_f32_e32 v13, v41, v13
	v_fmac_f32_e32 v93, v39, v10
	v_fma_f32 v7, v38, v10, -v11
	v_add_f32_e32 v5, v14, v92
	v_add_f32_e32 v4, v4, v6
	v_fmac_f32_e32 v94, v41, v12
	v_fma_f32 v8, v40, v12, -v13
	v_add_f32_e32 v5, v5, v93
	v_add_f32_e32 v4, v4, v7
	s_waitcnt vmcnt(7) lgkmcnt(6)
	v_mul_f32_e32 v96, v44, v17
	v_mul_f32_e32 v17, v45, v17
	v_add_f32_e32 v5, v5, v94
	v_add_f32_e32 v4, v4, v8
	v_mul_f32_e32 v97, v46, v19
	v_mul_f32_e32 v19, v47, v19
	v_fmac_f32_e32 v96, v45, v16
	v_fma_f32 v10, v44, v16, -v17
	v_add_f32_e32 v5, v5, v95
	v_add_f32_e32 v4, v4, v9
	s_waitcnt vmcnt(6) lgkmcnt(5)
	v_mul_f32_e32 v98, v48, v21
	v_mul_f32_e32 v21, v49, v21
	v_fmac_f32_e32 v97, v47, v18
	v_fma_f32 v11, v46, v18, -v19
	v_add_f32_e32 v5, v5, v96
	v_add_f32_e32 v4, v4, v10
	v_mul_f32_e32 v99, v50, v23
	v_mul_f32_e32 v23, v51, v23
	v_fmac_f32_e32 v98, v49, v20
	v_fma_f32 v12, v48, v20, -v21
	v_add_f32_e32 v5, v5, v97
	v_add_f32_e32 v4, v4, v11
	s_waitcnt vmcnt(5) lgkmcnt(4)
	v_mul_f32_e32 v85, v52, v25
	v_mul_f32_e32 v25, v53, v25
	v_fmac_f32_e32 v99, v51, v22
	v_fma_f32 v13, v50, v22, -v23
	v_add_f32_e32 v5, v5, v98
	v_add_f32_e32 v4, v4, v12
	v_mul_f32_e32 v87, v54, v27
	v_mul_f32_e32 v27, v55, v27
	s_waitcnt vmcnt(4) lgkmcnt(3)
	v_pk_mul_f32 v[88:89], v[68:69], v[28:29] op_sel:[1,1] op_sel_hi:[0,1]
	v_fmac_f32_e32 v85, v53, v24
	v_fma_f32 v84, v52, v24, -v25
	v_add_f32_e32 v5, v5, v99
	v_add_f32_e32 v4, v4, v13
	v_fmac_f32_e32 v87, v55, v26
	v_fma_f32 v86, v54, v26, -v27
	v_pk_add_f32 v[4:5], v[4:5], v[84:85]
	v_pk_fma_f32 v[6:7], v[68:69], v[28:29], v[88:89] neg_lo:[0,0,1] neg_hi:[0,0,1]
	v_pk_fma_f32 v[8:9], v[68:69], v[28:29], v[88:89] op_sel_hi:[1,0,1]
	v_pk_add_f32 v[4:5], v[4:5], v[86:87]
	v_mov_b32_e32 v7, v9
	v_pk_add_f32 v[4:5], v[4:5], v[6:7]
	v_mov_b32_e32 v6, v31
	v_pk_mul_f32 v[6:7], v[70:71], v[6:7] op_sel:[1,0] op_sel_hi:[0,0]
	v_pk_fma_f32 v[8:9], v[70:71], v[30:31], v[6:7] neg_lo:[0,0,1] neg_hi:[0,0,1]
	v_pk_fma_f32 v[6:7], v[70:71], v[30:31], v[6:7] op_sel_hi:[1,0,1]
	s_nop 0
	v_mov_b32_e32 v9, v7
	s_waitcnt vmcnt(3) lgkmcnt(2)
	v_pk_mul_f32 v[6:7], v[72:73], v[56:57] op_sel:[1,1] op_sel_hi:[0,1]
	v_pk_add_f32 v[4:5], v[4:5], v[8:9]
	v_pk_fma_f32 v[8:9], v[72:73], v[56:57], v[6:7] neg_lo:[0,0,1] neg_hi:[0,0,1]
	v_pk_fma_f32 v[6:7], v[72:73], v[56:57], v[6:7] op_sel_hi:[1,0,1]
	s_nop 0
	v_mov_b32_e32 v6, v59
	v_mov_b32_e32 v9, v7
	v_pk_mul_f32 v[6:7], v[74:75], v[6:7] op_sel:[1,0] op_sel_hi:[0,0]
	v_pk_add_f32 v[4:5], v[4:5], v[8:9]
	v_pk_fma_f32 v[8:9], v[74:75], v[58:59], v[6:7] neg_lo:[0,0,1] neg_hi:[0,0,1]
	v_pk_fma_f32 v[6:7], v[74:75], v[58:59], v[6:7] op_sel_hi:[1,0,1]
	s_nop 0
	v_mov_b32_e32 v9, v7
	s_waitcnt vmcnt(2) lgkmcnt(1)
	v_pk_mul_f32 v[6:7], v[76:77], v[60:61] op_sel:[1,1] op_sel_hi:[0,1]
	v_pk_add_f32 v[4:5], v[4:5], v[8:9]
	v_pk_fma_f32 v[8:9], v[76:77], v[60:61], v[6:7] neg_lo:[0,0,1] neg_hi:[0,0,1]
	v_pk_fma_f32 v[6:7], v[76:77], v[60:61], v[6:7] op_sel_hi:[1,0,1]
	s_nop 0
	v_mov_b32_e32 v6, v63
	v_mov_b32_e32 v9, v7
	v_pk_mul_f32 v[6:7], v[78:79], v[6:7] op_sel:[1,0] op_sel_hi:[0,0]
	v_pk_add_f32 v[4:5], v[4:5], v[8:9]
	;; [unrolled: 14-line block ×3, first 2 shown]
	v_pk_fma_f32 v[8:9], v[82:83], v[66:67], v[6:7] neg_lo:[0,0,1] neg_hi:[0,0,1]
	v_pk_fma_f32 v[6:7], v[82:83], v[66:67], v[6:7] op_sel_hi:[1,0,1]
	s_nop 0
	v_mov_b32_e32 v9, v7
	v_pk_add_f32 v[4:5], v[4:5], v[8:9]
	s_waitcnt vmcnt(0)
	v_pk_add_f32 v[2:3], v[2:3], v[4:5] neg_lo:[0,1] neg_hi:[0,1]
	scratch_store_dwordx2 off, v[2:3], off offset:264
	s_and_saveexec_b64 s[0:1], vcc
	s_cbranch_execz .LBB117_273
; %bb.272:
	scratch_load_dwordx2 v[2:3], off, off offset:256
	v_mov_b32_e32 v4, 0
	v_mov_b32_e32 v5, v4
	scratch_store_dwordx2 off, v[4:5], off offset:256
	s_waitcnt vmcnt(1)
	ds_write_b64 v1, v[2:3]
.LBB117_273:
	s_or_b64 exec, exec, s[0:1]
	s_waitcnt lgkmcnt(0)
	; wave barrier
	scratch_load_dwordx4 v[2:5], off, off offset:264
	scratch_load_dwordx4 v[8:11], off, off offset:280
	scratch_load_dwordx4 v[12:15], off, off offset:296
	scratch_load_dwordx4 v[16:19], off, off offset:312
	scratch_load_dwordx4 v[20:23], off, off offset:328
	scratch_load_dwordx4 v[24:27], off, off offset:344
	scratch_load_dwordx4 v[28:31], off, off offset:360
	scratch_load_dwordx4 v[32:35], off, off offset:376
	scratch_load_dwordx4 v[36:39], off, off offset:392
	scratch_load_dwordx4 v[40:43], off, off offset:408
	scratch_load_dwordx2 v[76:77], off, off offset:424
	scratch_load_dwordx2 v[78:79], off, off offset:256
	v_mov_b32_e32 v6, 0
	ds_read2_b64 v[44:47], v6 offset0:87 offset1:88
	ds_read2_b64 v[48:51], v6 offset0:89 offset1:90
	;; [unrolled: 1-line block ×8, first 2 shown]
	v_cmp_lt_u32_e32 vcc, 31, v0
	s_waitcnt vmcnt(11) lgkmcnt(7)
	v_mul_f32_e32 v7, v44, v3
	v_mul_f32_e32 v3, v45, v3
	;; [unrolled: 1-line block ×4, first 2 shown]
	v_fmac_f32_e32 v7, v45, v2
	v_fma_f32 v2, v44, v2, -v3
	s_waitcnt vmcnt(10) lgkmcnt(6)
	v_mul_f32_e32 v82, v48, v9
	v_mul_f32_e32 v9, v49, v9
	v_fma_f32 v3, v46, v4, -v5
	v_add_f32_e32 v2, 0, v2
	v_mul_f32_e32 v84, v50, v11
	v_mul_f32_e32 v11, v51, v11
	v_fmac_f32_e32 v80, v47, v4
	v_fma_f32 v4, v48, v8, -v9
	v_add_f32_e32 v7, 0, v7
	v_add_f32_e32 v2, v2, v3
	s_waitcnt vmcnt(9) lgkmcnt(5)
	v_mul_f32_e32 v85, v52, v13
	v_mul_f32_e32 v13, v53, v13
	v_fmac_f32_e32 v82, v49, v8
	v_fma_f32 v5, v50, v10, -v11
	v_add_f32_e32 v7, v7, v80
	v_add_f32_e32 v2, v2, v4
	v_mul_f32_e32 v86, v54, v15
	v_mul_f32_e32 v15, v55, v15
	v_fmac_f32_e32 v84, v51, v10
	v_fma_f32 v8, v52, v12, -v13
	v_add_f32_e32 v3, v7, v82
	v_add_f32_e32 v2, v2, v5
	s_waitcnt vmcnt(8) lgkmcnt(4)
	v_mul_f32_e32 v87, v56, v17
	v_mul_f32_e32 v17, v57, v17
	v_fmac_f32_e32 v85, v53, v12
	v_fma_f32 v9, v54, v14, -v15
	v_add_f32_e32 v3, v3, v84
	;; [unrolled: 13-line block ×4, first 2 shown]
	v_add_f32_e32 v2, v2, v12
	v_fmac_f32_e32 v90, v63, v22
	v_fma_f32 v14, v64, v24, -v25
	v_add_f32_e32 v3, v3, v89
	v_add_f32_e32 v2, v2, v13
	v_mul_f32_e32 v81, v66, v27
	v_fmac_f32_e32 v91, v65, v24
	v_add_f32_e32 v3, v3, v90
	v_add_f32_e32 v12, v2, v14
	v_mul_f32_e32 v2, v67, v27
	s_waitcnt vmcnt(5)
	v_mov_b32_e32 v16, v31
	s_waitcnt lgkmcnt(1)
	v_mul_f32_e32 v83, v68, v29
	v_fmac_f32_e32 v81, v67, v26
	v_add_f32_e32 v13, v3, v91
	v_fma_f32 v80, v66, v26, -v2
	v_mul_f32_e32 v2, v69, v29
	v_pk_mul_f32 v[16:17], v[70:71], v[16:17] op_sel:[1,0] op_sel_hi:[0,0]
	v_fmac_f32_e32 v83, v69, v28
	v_fma_f32 v82, v68, v28, -v2
	v_pk_add_f32 v[12:13], v[12:13], v[80:81]
	v_pk_fma_f32 v[18:19], v[70:71], v[30:31], v[16:17] neg_lo:[0,0,1] neg_hi:[0,0,1]
	v_pk_fma_f32 v[16:17], v[70:71], v[30:31], v[16:17] op_sel_hi:[1,0,1]
	v_pk_add_f32 v[12:13], v[12:13], v[82:83]
	v_mov_b32_e32 v19, v17
	s_waitcnt vmcnt(4) lgkmcnt(0)
	v_pk_mul_f32 v[16:17], v[72:73], v[32:33] op_sel:[1,1] op_sel_hi:[0,1]
	v_pk_add_f32 v[12:13], v[12:13], v[18:19]
	v_pk_fma_f32 v[18:19], v[72:73], v[32:33], v[16:17] neg_lo:[0,0,1] neg_hi:[0,0,1]
	v_pk_fma_f32 v[16:17], v[72:73], v[32:33], v[16:17] op_sel_hi:[1,0,1]
	ds_read2_b64 v[2:5], v6 offset0:103 offset1:104
	ds_read2_b64 v[8:11], v6 offset0:105 offset1:106
	ds_read_b64 v[14:15], v6 offset:856
	v_mov_b32_e32 v16, v35
	v_mov_b32_e32 v19, v17
	v_pk_mul_f32 v[16:17], v[74:75], v[16:17] op_sel:[1,0] op_sel_hi:[0,0]
	v_pk_add_f32 v[12:13], v[12:13], v[18:19]
	v_pk_fma_f32 v[18:19], v[74:75], v[34:35], v[16:17] neg_lo:[0,0,1] neg_hi:[0,0,1]
	v_pk_fma_f32 v[16:17], v[74:75], v[34:35], v[16:17] op_sel_hi:[1,0,1]
	s_nop 0
	v_mov_b32_e32 v19, v17
	s_waitcnt vmcnt(3) lgkmcnt(2)
	v_pk_mul_f32 v[16:17], v[2:3], v[36:37] op_sel:[1,1] op_sel_hi:[0,1]
	v_pk_add_f32 v[12:13], v[12:13], v[18:19]
	v_pk_fma_f32 v[18:19], v[2:3], v[36:37], v[16:17] neg_lo:[0,0,1] neg_hi:[0,0,1]
	v_pk_fma_f32 v[2:3], v[2:3], v[36:37], v[16:17] op_sel_hi:[1,0,1]
	s_nop 0
	v_mov_b32_e32 v19, v3
	v_pk_add_f32 v[2:3], v[12:13], v[18:19]
	v_mov_b32_e32 v12, v39
	v_pk_mul_f32 v[12:13], v[4:5], v[12:13] op_sel:[1,0] op_sel_hi:[0,0]
	v_pk_fma_f32 v[16:17], v[4:5], v[38:39], v[12:13] neg_lo:[0,0,1] neg_hi:[0,0,1]
	v_pk_fma_f32 v[4:5], v[4:5], v[38:39], v[12:13] op_sel_hi:[1,0,1]
	s_nop 0
	v_mov_b32_e32 v17, v5
	s_waitcnt vmcnt(2) lgkmcnt(1)
	v_pk_mul_f32 v[4:5], v[8:9], v[40:41] op_sel:[1,1] op_sel_hi:[0,1]
	v_pk_fma_f32 v[12:13], v[8:9], v[40:41], v[4:5] neg_lo:[0,0,1] neg_hi:[0,0,1]
	v_pk_fma_f32 v[4:5], v[8:9], v[40:41], v[4:5] op_sel_hi:[1,0,1]
	v_pk_add_f32 v[2:3], v[2:3], v[16:17]
	v_mov_b32_e32 v4, v43
	v_mov_b32_e32 v13, v5
	v_pk_mul_f32 v[4:5], v[10:11], v[4:5] op_sel:[1,0] op_sel_hi:[0,0]
	v_pk_fma_f32 v[8:9], v[10:11], v[42:43], v[4:5] neg_lo:[0,0,1] neg_hi:[0,0,1]
	v_pk_fma_f32 v[4:5], v[10:11], v[42:43], v[4:5] op_sel_hi:[1,0,1]
	v_pk_add_f32 v[2:3], v[2:3], v[12:13]
	v_mov_b32_e32 v9, v5
	s_waitcnt vmcnt(1) lgkmcnt(0)
	v_pk_mul_f32 v[4:5], v[14:15], v[76:77] op_sel:[1,1] op_sel_hi:[0,1]
	v_pk_add_f32 v[2:3], v[2:3], v[8:9]
	v_pk_fma_f32 v[8:9], v[14:15], v[76:77], v[4:5] neg_lo:[0,0,1] neg_hi:[0,0,1]
	v_pk_fma_f32 v[4:5], v[14:15], v[76:77], v[4:5] op_sel_hi:[1,0,1]
	s_nop 0
	v_mov_b32_e32 v9, v5
	v_pk_add_f32 v[2:3], v[2:3], v[8:9]
	s_waitcnt vmcnt(0)
	v_pk_add_f32 v[2:3], v[78:79], v[2:3] neg_lo:[0,1] neg_hi:[0,1]
	scratch_store_dwordx2 off, v[2:3], off offset:256
	s_and_saveexec_b64 s[0:1], vcc
	s_cbranch_execz .LBB117_275
; %bb.274:
	scratch_load_dwordx2 v[2:3], off, off offset:248
	v_mov_b32_e32 v7, v6
	scratch_store_dwordx2 off, v[6:7], off offset:248
	s_waitcnt vmcnt(1)
	ds_write_b64 v1, v[2:3]
.LBB117_275:
	s_or_b64 exec, exec, s[0:1]
	s_waitcnt lgkmcnt(0)
	; wave barrier
	scratch_load_dwordx4 v[8:11], off, off offset:256
	scratch_load_dwordx4 v[12:15], off, off offset:272
	;; [unrolled: 1-line block ×7, first 2 shown]
	ds_read_b128 v[36:39], v6 offset:688
	ds_read_b128 v[40:43], v6 offset:704
	;; [unrolled: 1-line block ×6, first 2 shown]
	scratch_load_dwordx4 v[60:63], off, off offset:368
	scratch_load_dwordx4 v[64:67], off, off offset:384
	;; [unrolled: 1-line block ×4, first 2 shown]
	ds_read_b128 v[72:75], v6 offset:784
	ds_read_b128 v[76:79], v6 offset:800
	scratch_load_dwordx2 v[80:81], off, off offset:248
	v_cmp_lt_u32_e32 vcc, 30, v0
	s_waitcnt vmcnt(11) lgkmcnt(7)
	v_mul_f32_e32 v7, v36, v9
	v_mul_f32_e32 v82, v38, v11
	;; [unrolled: 1-line block ×3, first 2 shown]
	v_fmac_f32_e32 v7, v37, v8
	s_waitcnt vmcnt(10) lgkmcnt(6)
	v_mul_f32_e32 v84, v40, v13
	v_mul_f32_e32 v11, v39, v11
	v_fmac_f32_e32 v82, v39, v10
	v_fma_f32 v8, v36, v8, -v9
	v_add_f32_e32 v7, 0, v7
	v_mul_f32_e32 v86, v42, v15
	v_mul_f32_e32 v13, v41, v13
	v_fmac_f32_e32 v84, v41, v12
	v_fma_f32 v9, v38, v10, -v11
	v_add_f32_e32 v8, 0, v8
	v_add_f32_e32 v7, v7, v82
	s_waitcnt vmcnt(9) lgkmcnt(5)
	v_mul_f32_e32 v87, v44, v17
	v_mul_f32_e32 v15, v43, v15
	v_fmac_f32_e32 v86, v43, v14
	v_fma_f32 v10, v40, v12, -v13
	v_add_f32_e32 v8, v8, v9
	v_add_f32_e32 v7, v7, v84
	v_mul_f32_e32 v88, v46, v19
	v_mul_f32_e32 v17, v45, v17
	v_fmac_f32_e32 v87, v45, v16
	v_fma_f32 v11, v42, v14, -v15
	v_add_f32_e32 v8, v8, v10
	v_add_f32_e32 v7, v7, v86
	s_waitcnt vmcnt(8) lgkmcnt(4)
	v_mul_f32_e32 v89, v48, v21
	v_mul_f32_e32 v19, v47, v19
	v_fmac_f32_e32 v88, v47, v18
	v_fma_f32 v12, v44, v16, -v17
	v_add_f32_e32 v8, v8, v11
	;; [unrolled: 13-line block ×4, first 2 shown]
	v_add_f32_e32 v7, v7, v91
	v_mul_f32_e32 v94, v58, v31
	v_mul_f32_e32 v29, v57, v29
	v_fmac_f32_e32 v93, v57, v28
	v_fma_f32 v17, v54, v26, -v27
	v_add_f32_e32 v8, v8, v16
	v_add_f32_e32 v7, v7, v92
	v_fmac_f32_e32 v94, v59, v30
	v_fma_f32 v18, v56, v28, -v29
	v_add_f32_e32 v8, v8, v17
	v_add_f32_e32 v7, v7, v93
	;; [unrolled: 1-line block ×4, first 2 shown]
	v_mul_f32_e32 v8, v59, v31
	v_fma_f32 v8, v58, v30, -v8
	s_waitcnt vmcnt(5) lgkmcnt(1)
	v_mul_f32_e32 v83, v72, v33
	v_add_f32_e32 v20, v7, v8
	v_mul_f32_e32 v7, v73, v33
	v_fmac_f32_e32 v83, v73, v32
	v_fma_f32 v82, v72, v32, -v7
	v_mul_f32_e32 v7, v75, v35
	v_fma_f32 v84, v74, v34, -v7
	ds_read_b128 v[8:11], v6 offset:816
	ds_read_b128 v[12:15], v6 offset:832
	;; [unrolled: 1-line block ×3, first 2 shown]
	v_pk_add_f32 v[6:7], v[20:21], v[82:83]
	s_waitcnt vmcnt(4) lgkmcnt(3)
	v_pk_mul_f32 v[20:21], v[76:77], v[60:61] op_sel:[1,1] op_sel_hi:[0,1]
	v_mul_f32_e32 v85, v74, v35
	v_pk_fma_f32 v[22:23], v[76:77], v[60:61], v[20:21] neg_lo:[0,0,1] neg_hi:[0,0,1]
	v_pk_fma_f32 v[20:21], v[76:77], v[60:61], v[20:21] op_sel_hi:[1,0,1]
	v_fmac_f32_e32 v85, v75, v34
	v_mov_b32_e32 v20, v63
	v_pk_add_f32 v[6:7], v[6:7], v[84:85]
	v_mov_b32_e32 v23, v21
	v_pk_mul_f32 v[20:21], v[78:79], v[20:21] op_sel:[1,0] op_sel_hi:[0,0]
	v_pk_add_f32 v[6:7], v[6:7], v[22:23]
	v_pk_fma_f32 v[22:23], v[78:79], v[62:63], v[20:21] neg_lo:[0,0,1] neg_hi:[0,0,1]
	v_pk_fma_f32 v[20:21], v[78:79], v[62:63], v[20:21] op_sel_hi:[1,0,1]
	s_nop 0
	v_mov_b32_e32 v23, v21
	s_waitcnt vmcnt(3) lgkmcnt(2)
	v_pk_mul_f32 v[20:21], v[8:9], v[64:65] op_sel:[1,1] op_sel_hi:[0,1]
	v_pk_add_f32 v[6:7], v[6:7], v[22:23]
	v_pk_fma_f32 v[22:23], v[8:9], v[64:65], v[20:21] neg_lo:[0,0,1] neg_hi:[0,0,1]
	v_pk_fma_f32 v[8:9], v[8:9], v[64:65], v[20:21] op_sel_hi:[1,0,1]
	s_nop 0
	v_mov_b32_e32 v8, v67
	v_mov_b32_e32 v23, v9
	v_pk_mul_f32 v[8:9], v[10:11], v[8:9] op_sel:[1,0] op_sel_hi:[0,0]
	v_pk_fma_f32 v[20:21], v[10:11], v[66:67], v[8:9] neg_lo:[0,0,1] neg_hi:[0,0,1]
	v_pk_fma_f32 v[8:9], v[10:11], v[66:67], v[8:9] op_sel_hi:[1,0,1]
	v_pk_add_f32 v[6:7], v[6:7], v[22:23]
	v_mov_b32_e32 v21, v9
	s_waitcnt vmcnt(2) lgkmcnt(1)
	v_pk_mul_f32 v[8:9], v[12:13], v[68:69] op_sel:[1,1] op_sel_hi:[0,1]
	v_pk_fma_f32 v[10:11], v[12:13], v[68:69], v[8:9] neg_lo:[0,0,1] neg_hi:[0,0,1]
	v_pk_fma_f32 v[8:9], v[12:13], v[68:69], v[8:9] op_sel_hi:[1,0,1]
	v_pk_add_f32 v[6:7], v[6:7], v[20:21]
	v_mov_b32_e32 v8, v71
	v_mov_b32_e32 v11, v9
	v_pk_mul_f32 v[8:9], v[14:15], v[8:9] op_sel:[1,0] op_sel_hi:[0,0]
	v_pk_add_f32 v[6:7], v[6:7], v[10:11]
	v_pk_fma_f32 v[10:11], v[14:15], v[70:71], v[8:9] neg_lo:[0,0,1] neg_hi:[0,0,1]
	v_pk_fma_f32 v[8:9], v[14:15], v[70:71], v[8:9] op_sel_hi:[1,0,1]
	s_nop 0
	v_mov_b32_e32 v11, v9
	s_waitcnt vmcnt(1) lgkmcnt(0)
	v_pk_mul_f32 v[8:9], v[16:17], v[2:3] op_sel:[1,1] op_sel_hi:[0,1]
	v_pk_add_f32 v[6:7], v[6:7], v[10:11]
	v_pk_fma_f32 v[10:11], v[16:17], v[2:3], v[8:9] neg_lo:[0,0,1] neg_hi:[0,0,1]
	v_pk_fma_f32 v[2:3], v[16:17], v[2:3], v[8:9] op_sel_hi:[1,0,1]
	s_nop 0
	v_mov_b32_e32 v11, v3
	v_pk_add_f32 v[2:3], v[6:7], v[10:11]
	v_mov_b32_e32 v6, v5
	v_pk_mul_f32 v[6:7], v[18:19], v[6:7] op_sel:[1,0] op_sel_hi:[0,0]
	v_pk_fma_f32 v[8:9], v[18:19], v[4:5], v[6:7] neg_lo:[0,0,1] neg_hi:[0,0,1]
	v_pk_fma_f32 v[4:5], v[18:19], v[4:5], v[6:7] op_sel_hi:[1,0,1]
	s_nop 0
	v_mov_b32_e32 v9, v5
	v_pk_add_f32 v[2:3], v[2:3], v[8:9]
	s_waitcnt vmcnt(0)
	v_pk_add_f32 v[2:3], v[80:81], v[2:3] neg_lo:[0,1] neg_hi:[0,1]
	scratch_store_dwordx2 off, v[2:3], off offset:248
	s_and_saveexec_b64 s[0:1], vcc
	s_cbranch_execz .LBB117_277
; %bb.276:
	scratch_load_dwordx2 v[2:3], off, off offset:240
	v_mov_b32_e32 v4, 0
	v_mov_b32_e32 v5, v4
	scratch_store_dwordx2 off, v[4:5], off offset:240
	s_waitcnt vmcnt(1)
	ds_write_b64 v1, v[2:3]
.LBB117_277:
	s_or_b64 exec, exec, s[0:1]
	s_waitcnt lgkmcnt(0)
	; wave barrier
	scratch_load_dwordx4 v[2:5], off, off offset:248
	scratch_load_dwordx4 v[14:17], off, off offset:264
	scratch_load_dwordx4 v[24:27], off, off offset:280
	scratch_load_dwordx4 v[28:31], off, off offset:296
	scratch_load_dwordx4 v[18:21], off, off offset:312
	scratch_load_dwordx4 v[32:35], off, off offset:328
	scratch_load_dwordx4 v[40:43], off, off offset:344
	scratch_load_dwordx4 v[44:47], off, off offset:360
	scratch_load_dwordx4 v[48:51], off, off offset:376
	scratch_load_dwordx4 v[10:13], off, off offset:392
	scratch_load_dwordx4 v[6:9], off, off offset:408
	scratch_load_dwordx2 v[22:23], off, off offset:424
	scratch_load_dwordx2 v[36:37], off, off offset:240
	v_mov_b32_e32 v38, 0
	ds_read2_b64 v[52:55], v38 offset0:85 offset1:86
	ds_read2_b64 v[56:59], v38 offset0:87 offset1:88
	ds_read2_b64 v[60:63], v38 offset0:89 offset1:90
	ds_read2_b64 v[64:67], v38 offset0:91 offset1:92
	ds_read2_b64 v[68:71], v38 offset0:93 offset1:94
	ds_read2_b64 v[72:75], v38 offset0:95 offset1:96
	ds_read2_b64 v[76:79], v38 offset0:97 offset1:98
	ds_read2_b64 v[80:83], v38 offset0:99 offset1:100
	v_cmp_lt_u32_e32 vcc, 29, v0
	s_waitcnt vmcnt(12) lgkmcnt(7)
	v_mul_f32_e32 v39, v52, v3
	v_mul_f32_e32 v84, v54, v5
	;; [unrolled: 1-line block ×3, first 2 shown]
	v_fmac_f32_e32 v39, v53, v2
	s_waitcnt vmcnt(8) lgkmcnt(3)
	v_mul_f32_e32 v93, v68, v19
	v_mul_f32_e32 v19, v69, v19
	;; [unrolled: 1-line block ×4, first 2 shown]
	v_fmac_f32_e32 v84, v55, v4
	v_fmac_f32_e32 v93, v69, v18
	v_fma_f32 v2, v52, v2, -v3
	v_fma_f32 v18, v68, v18, -v19
	v_add_f32_e32 v19, 0, v39
	v_mul_f32_e32 v88, v58, v17
	v_fmac_f32_e32 v86, v57, v14
	v_fma_f32 v3, v54, v4, -v5
	v_add_f32_e32 v2, 0, v2
	v_add_f32_e32 v19, v19, v84
	v_mul_f32_e32 v89, v60, v25
	v_fmac_f32_e32 v88, v59, v16
	v_add_f32_e32 v2, v2, v3
	v_add_f32_e32 v3, v19, v86
	v_mul_f32_e32 v90, v62, v27
	v_fmac_f32_e32 v89, v61, v24
	v_add_f32_e32 v3, v3, v88
	v_mul_f32_e32 v91, v64, v29
	v_mul_f32_e32 v15, v57, v15
	v_fmac_f32_e32 v90, v63, v26
	v_add_f32_e32 v3, v3, v89
	v_mul_f32_e32 v92, v66, v31
	v_mul_f32_e32 v17, v59, v17
	v_fmac_f32_e32 v91, v65, v28
	v_fma_f32 v4, v56, v14, -v15
	v_add_f32_e32 v3, v3, v90
	v_mul_f32_e32 v25, v61, v25
	v_fmac_f32_e32 v92, v67, v30
	v_fma_f32 v5, v58, v16, -v17
	v_add_f32_e32 v2, v2, v4
	v_add_f32_e32 v3, v3, v91
	v_mul_f32_e32 v94, v70, v21
	v_mul_f32_e32 v27, v63, v27
	v_fma_f32 v14, v60, v24, -v25
	v_add_f32_e32 v2, v2, v5
	v_add_f32_e32 v3, v3, v92
	s_waitcnt vmcnt(7) lgkmcnt(2)
	v_mul_f32_e32 v95, v72, v33
	v_mul_f32_e32 v29, v65, v29
	v_fmac_f32_e32 v94, v71, v20
	v_fma_f32 v15, v62, v26, -v27
	v_add_f32_e32 v2, v2, v14
	v_add_f32_e32 v3, v3, v93
	v_mul_f32_e32 v96, v74, v35
	v_mul_f32_e32 v31, v67, v31
	v_fmac_f32_e32 v95, v73, v32
	v_fma_f32 v16, v64, v28, -v29
	v_add_f32_e32 v2, v2, v15
	v_add_f32_e32 v3, v3, v94
	s_waitcnt vmcnt(6) lgkmcnt(1)
	v_mul_f32_e32 v97, v76, v41
	v_fmac_f32_e32 v96, v75, v34
	v_fma_f32 v17, v66, v30, -v31
	v_add_f32_e32 v2, v2, v16
	v_add_f32_e32 v3, v3, v95
	v_mul_f32_e32 v21, v71, v21
	v_fmac_f32_e32 v97, v77, v40
	v_add_f32_e32 v2, v2, v17
	v_add_f32_e32 v3, v3, v96
	;; [unrolled: 1-line block ×4, first 2 shown]
	v_fma_f32 v3, v70, v20, -v21
	v_add_f32_e32 v2, v2, v3
	v_mul_f32_e32 v3, v73, v33
	v_fma_f32 v3, v72, v32, -v3
	v_add_f32_e32 v2, v2, v3
	v_mul_f32_e32 v3, v75, v35
	;; [unrolled: 3-line block ×4, first 2 shown]
	v_mul_f32_e32 v85, v78, v43
	v_fma_f32 v84, v78, v42, -v2
	s_waitcnt vmcnt(5) lgkmcnt(0)
	v_mul_f32_e32 v2, v81, v45
	v_mov_b32_e32 v28, v47
	v_mul_f32_e32 v87, v80, v45
	v_fmac_f32_e32 v85, v79, v42
	v_fma_f32 v86, v80, v44, -v2
	ds_read2_b64 v[2:5], v38 offset0:101 offset1:102
	ds_read2_b64 v[14:17], v38 offset0:103 offset1:104
	;; [unrolled: 1-line block ×3, first 2 shown]
	ds_read_b64 v[26:27], v38 offset:856
	v_pk_mul_f32 v[28:29], v[82:83], v[28:29] op_sel:[1,0] op_sel_hi:[0,0]
	v_fmac_f32_e32 v87, v81, v44
	v_pk_add_f32 v[24:25], v[24:25], v[84:85]
	v_pk_fma_f32 v[30:31], v[82:83], v[46:47], v[28:29] neg_lo:[0,0,1] neg_hi:[0,0,1]
	v_pk_fma_f32 v[28:29], v[82:83], v[46:47], v[28:29] op_sel_hi:[1,0,1]
	v_pk_add_f32 v[24:25], v[24:25], v[86:87]
	v_mov_b32_e32 v31, v29
	s_waitcnt vmcnt(4) lgkmcnt(3)
	v_pk_mul_f32 v[28:29], v[2:3], v[48:49] op_sel:[1,1] op_sel_hi:[0,1]
	v_pk_add_f32 v[24:25], v[24:25], v[30:31]
	v_pk_fma_f32 v[30:31], v[2:3], v[48:49], v[28:29] neg_lo:[0,0,1] neg_hi:[0,0,1]
	v_pk_fma_f32 v[2:3], v[2:3], v[48:49], v[28:29] op_sel_hi:[1,0,1]
	s_nop 0
	v_mov_b32_e32 v31, v3
	v_pk_add_f32 v[2:3], v[24:25], v[30:31]
	v_mov_b32_e32 v24, v51
	v_pk_mul_f32 v[24:25], v[4:5], v[24:25] op_sel:[1,0] op_sel_hi:[0,0]
	v_pk_fma_f32 v[28:29], v[4:5], v[50:51], v[24:25] neg_lo:[0,0,1] neg_hi:[0,0,1]
	v_pk_fma_f32 v[4:5], v[4:5], v[50:51], v[24:25] op_sel_hi:[1,0,1]
	s_nop 0
	v_mov_b32_e32 v29, v5
	s_waitcnt vmcnt(3) lgkmcnt(2)
	v_pk_mul_f32 v[4:5], v[14:15], v[10:11] op_sel:[1,1] op_sel_hi:[0,1]
	v_pk_fma_f32 v[24:25], v[14:15], v[10:11], v[4:5] neg_lo:[0,0,1] neg_hi:[0,0,1]
	v_pk_fma_f32 v[4:5], v[14:15], v[10:11], v[4:5] op_sel_hi:[1,0,1]
	v_pk_add_f32 v[2:3], v[2:3], v[28:29]
	v_mov_b32_e32 v4, v13
	v_mov_b32_e32 v25, v5
	v_pk_mul_f32 v[4:5], v[16:17], v[4:5] op_sel:[1,0] op_sel_hi:[0,0]
	v_pk_fma_f32 v[10:11], v[16:17], v[12:13], v[4:5] neg_lo:[0,0,1] neg_hi:[0,0,1]
	v_pk_fma_f32 v[4:5], v[16:17], v[12:13], v[4:5] op_sel_hi:[1,0,1]
	v_pk_add_f32 v[2:3], v[2:3], v[24:25]
	v_mov_b32_e32 v11, v5
	s_waitcnt vmcnt(2) lgkmcnt(1)
	v_pk_mul_f32 v[4:5], v[18:19], v[6:7] op_sel:[1,1] op_sel_hi:[0,1]
	v_pk_add_f32 v[2:3], v[2:3], v[10:11]
	v_pk_fma_f32 v[10:11], v[18:19], v[6:7], v[4:5] neg_lo:[0,0,1] neg_hi:[0,0,1]
	v_pk_fma_f32 v[4:5], v[18:19], v[6:7], v[4:5] op_sel_hi:[1,0,1]
	s_nop 0
	v_mov_b32_e32 v4, v9
	v_mov_b32_e32 v11, v5
	v_pk_mul_f32 v[4:5], v[20:21], v[4:5] op_sel:[1,0] op_sel_hi:[0,0]
	v_pk_fma_f32 v[6:7], v[20:21], v[8:9], v[4:5] neg_lo:[0,0,1] neg_hi:[0,0,1]
	v_pk_fma_f32 v[4:5], v[20:21], v[8:9], v[4:5] op_sel_hi:[1,0,1]
	v_pk_add_f32 v[2:3], v[2:3], v[10:11]
	v_mov_b32_e32 v7, v5
	s_waitcnt vmcnt(1) lgkmcnt(0)
	v_pk_mul_f32 v[4:5], v[26:27], v[22:23] op_sel:[1,1] op_sel_hi:[0,1]
	v_pk_add_f32 v[2:3], v[2:3], v[6:7]
	v_pk_fma_f32 v[6:7], v[26:27], v[22:23], v[4:5] neg_lo:[0,0,1] neg_hi:[0,0,1]
	v_pk_fma_f32 v[4:5], v[26:27], v[22:23], v[4:5] op_sel_hi:[1,0,1]
	s_nop 0
	v_mov_b32_e32 v7, v5
	v_pk_add_f32 v[2:3], v[2:3], v[6:7]
	s_waitcnt vmcnt(0)
	v_pk_add_f32 v[2:3], v[36:37], v[2:3] neg_lo:[0,1] neg_hi:[0,1]
	scratch_store_dwordx2 off, v[2:3], off offset:240
	s_and_saveexec_b64 s[0:1], vcc
	s_cbranch_execz .LBB117_279
; %bb.278:
	scratch_load_dwordx2 v[2:3], off, off offset:232
	v_mov_b32_e32 v39, v38
	scratch_store_dwordx2 off, v[38:39], off offset:232
	s_waitcnt vmcnt(1)
	ds_write_b64 v1, v[2:3]
.LBB117_279:
	s_or_b64 exec, exec, s[0:1]
	s_waitcnt lgkmcnt(0)
	; wave barrier
	scratch_load_dwordx4 v[6:9], off, off offset:240
	scratch_load_dwordx4 v[18:21], off, off offset:256
	;; [unrolled: 1-line block ×8, first 2 shown]
	ds_read_b128 v[48:51], v38 offset:672
	ds_read_b128 v[52:55], v38 offset:688
	;; [unrolled: 1-line block ×8, first 2 shown]
	scratch_load_dwordx4 v[80:83], off, off offset:368
	scratch_load_dwordx4 v[26:29], off, off offset:384
	;; [unrolled: 1-line block ×4, first 2 shown]
	scratch_load_dwordx2 v[84:85], off, off offset:232
	v_cmp_lt_u32_e32 vcc, 28, v0
	s_waitcnt vmcnt(12) lgkmcnt(7)
	v_mul_f32_e32 v39, v48, v7
	v_mul_f32_e32 v86, v50, v9
	;; [unrolled: 1-line block ×3, first 2 shown]
	v_fmac_f32_e32 v39, v49, v6
	s_waitcnt vmcnt(8) lgkmcnt(3)
	v_mul_f32_e32 v95, v64, v15
	v_mul_f32_e32 v15, v65, v15
	;; [unrolled: 1-line block ×4, first 2 shown]
	v_fmac_f32_e32 v86, v51, v8
	v_fmac_f32_e32 v95, v65, v14
	v_fma_f32 v6, v48, v6, -v7
	v_fma_f32 v14, v64, v14, -v15
	v_add_f32_e32 v15, 0, v39
	v_mul_f32_e32 v90, v54, v21
	v_fmac_f32_e32 v88, v53, v18
	v_fma_f32 v7, v50, v8, -v9
	v_add_f32_e32 v6, 0, v6
	v_add_f32_e32 v15, v15, v86
	v_mul_f32_e32 v91, v56, v35
	v_fmac_f32_e32 v90, v55, v20
	v_add_f32_e32 v6, v6, v7
	v_add_f32_e32 v7, v15, v88
	v_mul_f32_e32 v92, v58, v37
	v_fmac_f32_e32 v91, v57, v34
	v_add_f32_e32 v7, v7, v90
	v_mul_f32_e32 v93, v60, v41
	v_fmac_f32_e32 v92, v59, v36
	v_add_f32_e32 v7, v7, v91
	v_mul_f32_e32 v94, v62, v43
	v_fmac_f32_e32 v93, v61, v40
	v_add_f32_e32 v7, v7, v92
	v_mul_f32_e32 v19, v53, v19
	v_fmac_f32_e32 v94, v63, v42
	v_add_f32_e32 v7, v7, v93
	v_mul_f32_e32 v96, v66, v17
	v_mul_f32_e32 v21, v55, v21
	v_fma_f32 v8, v52, v18, -v19
	v_add_f32_e32 v7, v7, v94
	s_waitcnt vmcnt(7) lgkmcnt(2)
	v_mul_f32_e32 v97, v68, v23
	v_mul_f32_e32 v35, v57, v35
	v_fmac_f32_e32 v96, v67, v16
	v_fma_f32 v9, v54, v20, -v21
	v_add_f32_e32 v6, v6, v8
	v_add_f32_e32 v7, v7, v95
	v_mul_f32_e32 v98, v70, v25
	v_mul_f32_e32 v37, v59, v37
	v_fmac_f32_e32 v97, v69, v22
	v_fma_f32 v18, v56, v34, -v35
	v_add_f32_e32 v6, v6, v9
	v_add_f32_e32 v7, v7, v96
	s_waitcnt vmcnt(6) lgkmcnt(1)
	v_mul_f32_e32 v99, v72, v31
	v_mul_f32_e32 v41, v61, v41
	v_fmac_f32_e32 v98, v71, v24
	v_fma_f32 v19, v58, v36, -v37
	v_add_f32_e32 v6, v6, v18
	v_add_f32_e32 v7, v7, v97
	v_mul_f32_e32 v100, v74, v33
	v_mul_f32_e32 v43, v63, v43
	v_fmac_f32_e32 v99, v73, v30
	v_fma_f32 v20, v60, v40, -v41
	v_add_f32_e32 v6, v6, v19
	v_add_f32_e32 v7, v7, v98
	v_fmac_f32_e32 v100, v75, v32
	v_fma_f32 v21, v62, v42, -v43
	v_add_f32_e32 v6, v6, v20
	v_add_f32_e32 v7, v7, v99
	;; [unrolled: 1-line block ×4, first 2 shown]
	v_mul_f32_e32 v7, v67, v17
	v_add_f32_e32 v6, v6, v14
	v_fma_f32 v7, v66, v16, -v7
	v_add_f32_e32 v6, v6, v7
	v_mul_f32_e32 v7, v69, v23
	v_fma_f32 v7, v68, v22, -v7
	v_add_f32_e32 v6, v6, v7
	v_mul_f32_e32 v7, v71, v25
	;; [unrolled: 3-line block ×4, first 2 shown]
	v_fma_f32 v7, v74, v32, -v7
	v_add_f32_e32 v34, v6, v7
	s_waitcnt vmcnt(5) lgkmcnt(0)
	v_mul_f32_e32 v6, v77, v45
	v_fma_f32 v86, v76, v44, -v6
	v_mul_f32_e32 v6, v79, v47
	v_fma_f32 v88, v78, v46, -v6
	ds_read_b128 v[6:9], v38 offset:800
	ds_read_b128 v[14:17], v38 offset:816
	;; [unrolled: 1-line block ×4, first 2 shown]
	v_mul_f32_e32 v87, v76, v45
	v_mul_f32_e32 v89, v78, v47
	v_fmac_f32_e32 v87, v77, v44
	s_waitcnt vmcnt(4) lgkmcnt(3)
	v_pk_mul_f32 v[32:33], v[6:7], v[80:81] op_sel:[1,1] op_sel_hi:[0,1]
	v_fmac_f32_e32 v89, v79, v46
	v_pk_add_f32 v[30:31], v[34:35], v[86:87]
	v_pk_fma_f32 v[34:35], v[6:7], v[80:81], v[32:33] neg_lo:[0,0,1] neg_hi:[0,0,1]
	v_pk_fma_f32 v[6:7], v[6:7], v[80:81], v[32:33] op_sel_hi:[1,0,1]
	v_pk_add_f32 v[30:31], v[30:31], v[88:89]
	v_mov_b32_e32 v35, v7
	v_pk_add_f32 v[6:7], v[30:31], v[34:35]
	v_mov_b32_e32 v30, v83
	v_pk_mul_f32 v[30:31], v[8:9], v[30:31] op_sel:[1,0] op_sel_hi:[0,0]
	v_pk_fma_f32 v[32:33], v[8:9], v[82:83], v[30:31] neg_lo:[0,0,1] neg_hi:[0,0,1]
	v_pk_fma_f32 v[8:9], v[8:9], v[82:83], v[30:31] op_sel_hi:[1,0,1]
	s_nop 0
	v_mov_b32_e32 v33, v9
	s_waitcnt vmcnt(3) lgkmcnt(2)
	v_pk_mul_f32 v[8:9], v[14:15], v[26:27] op_sel:[1,1] op_sel_hi:[0,1]
	v_pk_fma_f32 v[30:31], v[14:15], v[26:27], v[8:9] neg_lo:[0,0,1] neg_hi:[0,0,1]
	v_pk_fma_f32 v[8:9], v[14:15], v[26:27], v[8:9] op_sel_hi:[1,0,1]
	v_pk_add_f32 v[6:7], v[6:7], v[32:33]
	v_mov_b32_e32 v8, v29
	v_mov_b32_e32 v31, v9
	v_pk_mul_f32 v[8:9], v[16:17], v[8:9] op_sel:[1,0] op_sel_hi:[0,0]
	v_pk_fma_f32 v[14:15], v[16:17], v[28:29], v[8:9] neg_lo:[0,0,1] neg_hi:[0,0,1]
	v_pk_fma_f32 v[8:9], v[16:17], v[28:29], v[8:9] op_sel_hi:[1,0,1]
	v_pk_add_f32 v[6:7], v[6:7], v[30:31]
	v_mov_b32_e32 v15, v9
	s_waitcnt vmcnt(2) lgkmcnt(1)
	v_pk_mul_f32 v[8:9], v[18:19], v[10:11] op_sel:[1,1] op_sel_hi:[0,1]
	v_pk_add_f32 v[6:7], v[6:7], v[14:15]
	v_pk_fma_f32 v[14:15], v[18:19], v[10:11], v[8:9] neg_lo:[0,0,1] neg_hi:[0,0,1]
	v_pk_fma_f32 v[8:9], v[18:19], v[10:11], v[8:9] op_sel_hi:[1,0,1]
	s_nop 0
	v_mov_b32_e32 v8, v13
	v_mov_b32_e32 v15, v9
	v_pk_mul_f32 v[8:9], v[20:21], v[8:9] op_sel:[1,0] op_sel_hi:[0,0]
	v_pk_fma_f32 v[10:11], v[20:21], v[12:13], v[8:9] neg_lo:[0,0,1] neg_hi:[0,0,1]
	v_pk_fma_f32 v[8:9], v[20:21], v[12:13], v[8:9] op_sel_hi:[1,0,1]
	v_pk_add_f32 v[6:7], v[6:7], v[14:15]
	v_mov_b32_e32 v11, v9
	s_waitcnt vmcnt(1) lgkmcnt(0)
	v_pk_mul_f32 v[8:9], v[22:23], v[2:3] op_sel:[1,1] op_sel_hi:[0,1]
	v_pk_add_f32 v[6:7], v[6:7], v[10:11]
	v_pk_fma_f32 v[10:11], v[22:23], v[2:3], v[8:9] neg_lo:[0,0,1] neg_hi:[0,0,1]
	v_pk_fma_f32 v[2:3], v[22:23], v[2:3], v[8:9] op_sel_hi:[1,0,1]
	s_nop 0
	v_mov_b32_e32 v11, v3
	v_pk_add_f32 v[2:3], v[6:7], v[10:11]
	v_mov_b32_e32 v6, v5
	v_pk_mul_f32 v[6:7], v[24:25], v[6:7] op_sel:[1,0] op_sel_hi:[0,0]
	v_pk_fma_f32 v[8:9], v[24:25], v[4:5], v[6:7] neg_lo:[0,0,1] neg_hi:[0,0,1]
	v_pk_fma_f32 v[4:5], v[24:25], v[4:5], v[6:7] op_sel_hi:[1,0,1]
	s_nop 0
	v_mov_b32_e32 v9, v5
	v_pk_add_f32 v[2:3], v[2:3], v[8:9]
	s_waitcnt vmcnt(0)
	v_pk_add_f32 v[2:3], v[84:85], v[2:3] neg_lo:[0,1] neg_hi:[0,1]
	scratch_store_dwordx2 off, v[2:3], off offset:232
	s_and_saveexec_b64 s[0:1], vcc
	s_cbranch_execz .LBB117_281
; %bb.280:
	scratch_load_dwordx2 v[2:3], off, off offset:224
	v_mov_b32_e32 v4, 0
	v_mov_b32_e32 v5, v4
	scratch_store_dwordx2 off, v[4:5], off offset:224
	s_waitcnt vmcnt(1)
	ds_write_b64 v1, v[2:3]
.LBB117_281:
	s_or_b64 exec, exec, s[0:1]
	s_waitcnt lgkmcnt(0)
	; wave barrier
	scratch_load_dwordx4 v[2:5], off, off offset:232
	scratch_load_dwordx4 v[22:25], off, off offset:248
	;; [unrolled: 1-line block ×12, first 2 shown]
	scratch_load_dwordx2 v[50:51], off, off offset:424
	scratch_load_dwordx2 v[56:57], off, off offset:224
	v_mov_b32_e32 v58, 0
	ds_read2_b64 v[52:55], v58 offset0:83 offset1:84
	ds_read2_b64 v[60:63], v58 offset0:85 offset1:86
	;; [unrolled: 1-line block ×10, first 2 shown]
	v_cmp_lt_u32_e32 vcc, 27, v0
	s_waitcnt vmcnt(13) lgkmcnt(9)
	v_mul_f32_e32 v59, v52, v3
	v_mul_f32_e32 v96, v54, v5
	;; [unrolled: 1-line block ×3, first 2 shown]
	s_waitcnt vmcnt(10) lgkmcnt(6)
	v_mul_f32_e32 v103, v68, v11
	v_mul_f32_e32 v11, v69, v11
	v_fmac_f32_e32 v59, v53, v2
	v_mul_f32_e32 v98, v60, v23
	v_mul_f32_e32 v5, v55, v5
	v_fmac_f32_e32 v96, v55, v4
	v_fmac_f32_e32 v103, v69, v10
	v_fma_f32 v2, v52, v2, -v3
	v_fma_f32 v10, v68, v10, -v11
	v_add_f32_e32 v11, 0, v59
	v_mul_f32_e32 v100, v62, v25
	v_fmac_f32_e32 v98, v61, v22
	v_fma_f32 v3, v54, v4, -v5
	v_add_f32_e32 v2, 0, v2
	v_add_f32_e32 v11, v11, v96
	v_mul_f32_e32 v101, v64, v39
	v_fmac_f32_e32 v100, v63, v24
	v_add_f32_e32 v2, v2, v3
	v_add_f32_e32 v3, v11, v98
	v_mul_f32_e32 v102, v66, v41
	v_fmac_f32_e32 v101, v65, v38
	v_add_f32_e32 v3, v3, v100
	v_fmac_f32_e32 v102, v67, v40
	v_add_f32_e32 v3, v3, v101
	v_mul_f32_e32 v104, v70, v13
	v_add_f32_e32 v3, v3, v102
	s_waitcnt vmcnt(9) lgkmcnt(5)
	v_mul_f32_e32 v105, v72, v15
	v_fmac_f32_e32 v104, v71, v12
	v_add_f32_e32 v3, v3, v103
	v_mul_f32_e32 v106, v74, v17
	v_fmac_f32_e32 v105, v73, v14
	v_add_f32_e32 v3, v3, v104
	s_waitcnt vmcnt(8) lgkmcnt(4)
	v_mul_f32_e32 v107, v76, v27
	v_fmac_f32_e32 v106, v75, v16
	v_add_f32_e32 v3, v3, v105
	v_mul_f32_e32 v108, v78, v29
	v_mul_f32_e32 v23, v61, v23
	v_fmac_f32_e32 v107, v77, v26
	v_add_f32_e32 v3, v3, v106
	s_waitcnt vmcnt(7) lgkmcnt(3)
	v_mul_f32_e32 v109, v80, v31
	v_mul_f32_e32 v25, v63, v25
	v_fmac_f32_e32 v108, v79, v28
	v_fma_f32 v4, v60, v22, -v23
	v_add_f32_e32 v3, v3, v107
	v_mul_f32_e32 v110, v82, v33
	v_mul_f32_e32 v39, v65, v39
	v_fmac_f32_e32 v109, v81, v30
	v_fma_f32 v5, v62, v24, -v25
	v_add_f32_e32 v2, v2, v4
	v_add_f32_e32 v3, v3, v108
	s_waitcnt vmcnt(6) lgkmcnt(2)
	v_mul_f32_e32 v111, v84, v43
	v_mul_f32_e32 v41, v67, v41
	v_fmac_f32_e32 v110, v83, v32
	v_fma_f32 v22, v64, v38, -v39
	v_add_f32_e32 v2, v2, v5
	v_add_f32_e32 v3, v3, v109
	v_fmac_f32_e32 v111, v85, v42
	v_fma_f32 v23, v66, v40, -v41
	v_add_f32_e32 v2, v2, v22
	v_add_f32_e32 v3, v3, v110
	;; [unrolled: 1-line block ×4, first 2 shown]
	v_mul_f32_e32 v3, v71, v13
	v_add_f32_e32 v2, v2, v10
	v_fma_f32 v3, v70, v12, -v3
	v_add_f32_e32 v2, v2, v3
	v_mul_f32_e32 v3, v73, v15
	v_fma_f32 v3, v72, v14, -v3
	v_add_f32_e32 v2, v2, v3
	v_mul_f32_e32 v3, v75, v17
	;; [unrolled: 3-line block ×7, first 2 shown]
	v_fma_f32 v3, v84, v42, -v3
	v_mul_f32_e32 v97, v86, v45
	v_add_f32_e32 v22, v2, v3
	v_mul_f32_e32 v2, v87, v45
	v_fmac_f32_e32 v97, v87, v44
	v_fma_f32 v96, v86, v44, -v2
	v_pk_add_f32 v[16:17], v[22:23], v[96:97]
	s_waitcnt vmcnt(5)
	v_mov_b32_e32 v22, v49
	s_waitcnt lgkmcnt(1)
	v_mul_f32_e32 v99, v88, v47
	v_mul_f32_e32 v2, v89, v47
	v_pk_mul_f32 v[22:23], v[90:91], v[22:23] op_sel:[1,0] op_sel_hi:[0,0]
	v_fmac_f32_e32 v99, v89, v46
	v_fma_f32 v98, v88, v46, -v2
	v_pk_fma_f32 v[24:25], v[90:91], v[48:49], v[22:23] neg_lo:[0,0,1] neg_hi:[0,0,1]
	v_pk_fma_f32 v[22:23], v[90:91], v[48:49], v[22:23] op_sel_hi:[1,0,1]
	v_pk_add_f32 v[16:17], v[16:17], v[98:99]
	v_mov_b32_e32 v25, v23
	s_waitcnt vmcnt(4) lgkmcnt(0)
	v_pk_mul_f32 v[22:23], v[92:93], v[34:35] op_sel:[1,1] op_sel_hi:[0,1]
	v_pk_add_f32 v[16:17], v[16:17], v[24:25]
	v_pk_fma_f32 v[24:25], v[92:93], v[34:35], v[22:23] neg_lo:[0,0,1] neg_hi:[0,0,1]
	v_pk_fma_f32 v[22:23], v[92:93], v[34:35], v[22:23] op_sel_hi:[1,0,1]
	ds_read2_b64 v[2:5], v58 offset0:103 offset1:104
	ds_read2_b64 v[10:13], v58 offset0:105 offset1:106
	ds_read_b64 v[14:15], v58 offset:856
	v_mov_b32_e32 v22, v37
	v_mov_b32_e32 v25, v23
	v_pk_mul_f32 v[22:23], v[94:95], v[22:23] op_sel:[1,0] op_sel_hi:[0,0]
	v_pk_add_f32 v[16:17], v[16:17], v[24:25]
	v_pk_fma_f32 v[24:25], v[94:95], v[36:37], v[22:23] neg_lo:[0,0,1] neg_hi:[0,0,1]
	v_pk_fma_f32 v[22:23], v[94:95], v[36:37], v[22:23] op_sel_hi:[1,0,1]
	s_nop 0
	v_mov_b32_e32 v25, v23
	s_waitcnt vmcnt(3) lgkmcnt(2)
	v_pk_mul_f32 v[22:23], v[2:3], v[18:19] op_sel:[1,1] op_sel_hi:[0,1]
	v_pk_add_f32 v[16:17], v[16:17], v[24:25]
	v_pk_fma_f32 v[24:25], v[2:3], v[18:19], v[22:23] neg_lo:[0,0,1] neg_hi:[0,0,1]
	v_pk_fma_f32 v[2:3], v[2:3], v[18:19], v[22:23] op_sel_hi:[1,0,1]
	s_nop 0
	v_mov_b32_e32 v25, v3
	v_pk_add_f32 v[2:3], v[16:17], v[24:25]
	v_mov_b32_e32 v16, v21
	v_pk_mul_f32 v[16:17], v[4:5], v[16:17] op_sel:[1,0] op_sel_hi:[0,0]
	v_pk_fma_f32 v[18:19], v[4:5], v[20:21], v[16:17] neg_lo:[0,0,1] neg_hi:[0,0,1]
	v_pk_fma_f32 v[4:5], v[4:5], v[20:21], v[16:17] op_sel_hi:[1,0,1]
	s_nop 0
	v_mov_b32_e32 v19, v5
	s_waitcnt vmcnt(2) lgkmcnt(1)
	v_pk_mul_f32 v[4:5], v[10:11], v[6:7] op_sel:[1,1] op_sel_hi:[0,1]
	v_pk_fma_f32 v[16:17], v[10:11], v[6:7], v[4:5] neg_lo:[0,0,1] neg_hi:[0,0,1]
	v_pk_fma_f32 v[4:5], v[10:11], v[6:7], v[4:5] op_sel_hi:[1,0,1]
	v_pk_add_f32 v[2:3], v[2:3], v[18:19]
	v_mov_b32_e32 v4, v9
	v_mov_b32_e32 v17, v5
	v_pk_mul_f32 v[4:5], v[12:13], v[4:5] op_sel:[1,0] op_sel_hi:[0,0]
	v_pk_fma_f32 v[6:7], v[12:13], v[8:9], v[4:5] neg_lo:[0,0,1] neg_hi:[0,0,1]
	v_pk_fma_f32 v[4:5], v[12:13], v[8:9], v[4:5] op_sel_hi:[1,0,1]
	v_pk_add_f32 v[2:3], v[2:3], v[16:17]
	v_mov_b32_e32 v7, v5
	s_waitcnt vmcnt(1) lgkmcnt(0)
	v_pk_mul_f32 v[4:5], v[14:15], v[50:51] op_sel:[1,1] op_sel_hi:[0,1]
	v_pk_add_f32 v[2:3], v[2:3], v[6:7]
	v_pk_fma_f32 v[6:7], v[14:15], v[50:51], v[4:5] neg_lo:[0,0,1] neg_hi:[0,0,1]
	v_pk_fma_f32 v[4:5], v[14:15], v[50:51], v[4:5] op_sel_hi:[1,0,1]
	s_nop 0
	v_mov_b32_e32 v7, v5
	v_pk_add_f32 v[2:3], v[2:3], v[6:7]
	s_waitcnt vmcnt(0)
	v_pk_add_f32 v[2:3], v[56:57], v[2:3] neg_lo:[0,1] neg_hi:[0,1]
	scratch_store_dwordx2 off, v[2:3], off offset:224
	s_and_saveexec_b64 s[0:1], vcc
	s_cbranch_execz .LBB117_283
; %bb.282:
	scratch_load_dwordx2 v[2:3], off, off offset:216
	v_mov_b32_e32 v59, v58
	scratch_store_dwordx2 off, v[58:59], off offset:216
	s_waitcnt vmcnt(1)
	ds_write_b64 v1, v[2:3]
.LBB117_283:
	s_or_b64 exec, exec, s[0:1]
	s_waitcnt lgkmcnt(0)
	; wave barrier
	scratch_load_dwordx4 v[10:13], off, off offset:224
	scratch_load_dwordx4 v[26:29], off, off offset:240
	scratch_load_dwordx4 v[42:45], off, off offset:256
	scratch_load_dwordx4 v[2:5], off, off offset:272
	scratch_load_dwordx4 v[14:17], off, off offset:288
	scratch_load_dwordx4 v[18:21], off, off offset:304
	scratch_load_dwordx4 v[30:33], off, off offset:320
	scratch_load_dwordx4 v[38:41], off, off offset:336
	scratch_load_dwordx4 v[46:49], off, off offset:352
	ds_read_b128 v[60:63], v58 offset:656
	ds_read_b128 v[64:67], v58 offset:672
	;; [unrolled: 1-line block ×8, first 2 shown]
	scratch_load_dwordx4 v[50:53], off, off offset:368
	scratch_load_dwordx4 v[34:37], off, off offset:384
	;; [unrolled: 1-line block ×4, first 2 shown]
	ds_read_b128 v[88:91], v58 offset:784
	ds_read_b128 v[92:95], v58 offset:800
	scratch_load_dwordx2 v[96:97], off, off offset:216
	v_cmp_lt_u32_e32 vcc, 26, v0
	s_waitcnt vmcnt(13) lgkmcnt(9)
	v_mul_f32_e32 v59, v60, v11
	v_mul_f32_e32 v98, v62, v13
	v_fmac_f32_e32 v59, v61, v10
	s_waitcnt vmcnt(10) lgkmcnt(6)
	v_mul_f32_e32 v105, v72, v3
	v_mul_f32_e32 v3, v73, v3
	;; [unrolled: 1-line block ×3, first 2 shown]
	v_fmac_f32_e32 v98, v63, v12
	v_fmac_f32_e32 v105, v73, v2
	v_fma_f32 v2, v72, v2, -v3
	v_add_f32_e32 v3, 0, v59
	v_mul_f32_e32 v102, v66, v29
	v_fmac_f32_e32 v100, v65, v26
	v_add_f32_e32 v3, v3, v98
	v_mul_f32_e32 v103, v68, v43
	v_fmac_f32_e32 v102, v67, v28
	;; [unrolled: 3-line block ×3, first 2 shown]
	v_add_f32_e32 v3, v3, v102
	v_fmac_f32_e32 v104, v71, v44
	v_add_f32_e32 v3, v3, v103
	v_mul_f32_e32 v106, v74, v5
	v_add_f32_e32 v3, v3, v104
	s_waitcnt vmcnt(9) lgkmcnt(5)
	v_mul_f32_e32 v107, v76, v15
	v_fmac_f32_e32 v106, v75, v4
	v_add_f32_e32 v3, v3, v105
	v_mul_f32_e32 v108, v78, v17
	v_fmac_f32_e32 v107, v77, v14
	v_add_f32_e32 v3, v3, v106
	s_waitcnt vmcnt(8) lgkmcnt(4)
	v_mul_f32_e32 v109, v80, v19
	v_mul_f32_e32 v11, v61, v11
	v_fmac_f32_e32 v108, v79, v16
	v_add_f32_e32 v3, v3, v107
	v_mul_f32_e32 v110, v82, v21
	v_mul_f32_e32 v13, v63, v13
	v_fmac_f32_e32 v109, v81, v18
	v_fma_f32 v10, v60, v10, -v11
	v_add_f32_e32 v3, v3, v108
	s_waitcnt vmcnt(7) lgkmcnt(3)
	v_mul_f32_e32 v111, v84, v31
	v_mul_f32_e32 v27, v65, v27
	v_fmac_f32_e32 v110, v83, v20
	v_fma_f32 v11, v62, v12, -v13
	v_add_f32_e32 v10, 0, v10
	v_add_f32_e32 v3, v3, v109
	v_mul_f32_e32 v112, v86, v33
	v_mul_f32_e32 v29, v67, v29
	v_fmac_f32_e32 v111, v85, v30
	v_fma_f32 v12, v64, v26, -v27
	v_add_f32_e32 v10, v10, v11
	v_add_f32_e32 v3, v3, v110
	s_waitcnt vmcnt(6) lgkmcnt(2)
	v_mul_f32_e32 v113, v54, v39
	v_mul_f32_e32 v43, v69, v43
	v_fmac_f32_e32 v112, v87, v32
	v_fma_f32 v13, v66, v28, -v29
	v_add_f32_e32 v10, v10, v12
	v_add_f32_e32 v3, v3, v111
	v_mul_f32_e32 v114, v56, v41
	v_mul_f32_e32 v45, v71, v45
	v_fmac_f32_e32 v113, v55, v38
	v_fma_f32 v26, v68, v42, -v43
	v_add_f32_e32 v10, v10, v13
	v_add_f32_e32 v3, v3, v112
	v_fmac_f32_e32 v114, v57, v40
	v_fma_f32 v27, v70, v44, -v45
	v_add_f32_e32 v10, v10, v26
	v_add_f32_e32 v3, v3, v113
	;; [unrolled: 1-line block ×4, first 2 shown]
	v_mul_f32_e32 v3, v75, v5
	v_add_f32_e32 v2, v10, v2
	v_fma_f32 v3, v74, v4, -v3
	v_add_f32_e32 v2, v2, v3
	v_mul_f32_e32 v3, v77, v15
	v_fma_f32 v3, v76, v14, -v3
	v_add_f32_e32 v2, v2, v3
	v_mul_f32_e32 v3, v79, v17
	;; [unrolled: 3-line block ×8, first 2 shown]
	v_fma_f32 v3, v56, v40, -v3
	s_waitcnt vmcnt(5) lgkmcnt(1)
	v_mul_f32_e32 v99, v88, v47
	v_add_f32_e32 v26, v2, v3
	v_mul_f32_e32 v2, v89, v47
	v_fmac_f32_e32 v99, v89, v46
	v_fma_f32 v98, v88, v46, -v2
	s_waitcnt vmcnt(4) lgkmcnt(0)
	v_pk_mul_f32 v[20:21], v[92:93], v[50:51] op_sel:[1,1] op_sel_hi:[0,1]
	v_mul_f32_e32 v101, v90, v49
	v_mul_f32_e32 v2, v91, v49
	v_pk_add_f32 v[18:19], v[26:27], v[98:99]
	v_pk_fma_f32 v[26:27], v[92:93], v[50:51], v[20:21] neg_lo:[0,0,1] neg_hi:[0,0,1]
	v_pk_fma_f32 v[20:21], v[92:93], v[50:51], v[20:21] op_sel_hi:[1,0,1]
	v_fmac_f32_e32 v101, v91, v48
	v_fma_f32 v100, v90, v48, -v2
	ds_read_b128 v[2:5], v58 offset:816
	ds_read_b128 v[10:13], v58 offset:832
	;; [unrolled: 1-line block ×3, first 2 shown]
	v_mov_b32_e32 v20, v53
	v_pk_add_f32 v[18:19], v[18:19], v[100:101]
	v_mov_b32_e32 v27, v21
	v_pk_mul_f32 v[20:21], v[94:95], v[20:21] op_sel:[1,0] op_sel_hi:[0,0]
	v_pk_add_f32 v[18:19], v[18:19], v[26:27]
	v_pk_fma_f32 v[26:27], v[94:95], v[52:53], v[20:21] neg_lo:[0,0,1] neg_hi:[0,0,1]
	v_pk_fma_f32 v[20:21], v[94:95], v[52:53], v[20:21] op_sel_hi:[1,0,1]
	s_nop 0
	v_mov_b32_e32 v27, v21
	s_waitcnt vmcnt(3) lgkmcnt(2)
	v_pk_mul_f32 v[20:21], v[2:3], v[34:35] op_sel:[1,1] op_sel_hi:[0,1]
	v_pk_add_f32 v[18:19], v[18:19], v[26:27]
	v_pk_fma_f32 v[26:27], v[2:3], v[34:35], v[20:21] neg_lo:[0,0,1] neg_hi:[0,0,1]
	v_pk_fma_f32 v[2:3], v[2:3], v[34:35], v[20:21] op_sel_hi:[1,0,1]
	s_nop 0
	v_mov_b32_e32 v27, v3
	v_pk_add_f32 v[2:3], v[18:19], v[26:27]
	v_mov_b32_e32 v18, v37
	v_pk_mul_f32 v[18:19], v[4:5], v[18:19] op_sel:[1,0] op_sel_hi:[0,0]
	v_pk_fma_f32 v[20:21], v[4:5], v[36:37], v[18:19] neg_lo:[0,0,1] neg_hi:[0,0,1]
	v_pk_fma_f32 v[4:5], v[4:5], v[36:37], v[18:19] op_sel_hi:[1,0,1]
	s_nop 0
	v_mov_b32_e32 v21, v5
	s_waitcnt vmcnt(2) lgkmcnt(1)
	v_pk_mul_f32 v[4:5], v[10:11], v[22:23] op_sel:[1,1] op_sel_hi:[0,1]
	v_pk_fma_f32 v[18:19], v[10:11], v[22:23], v[4:5] neg_lo:[0,0,1] neg_hi:[0,0,1]
	v_pk_fma_f32 v[4:5], v[10:11], v[22:23], v[4:5] op_sel_hi:[1,0,1]
	v_pk_add_f32 v[2:3], v[2:3], v[20:21]
	v_mov_b32_e32 v4, v25
	v_mov_b32_e32 v19, v5
	v_pk_mul_f32 v[4:5], v[12:13], v[4:5] op_sel:[1,0] op_sel_hi:[0,0]
	v_pk_fma_f32 v[10:11], v[12:13], v[24:25], v[4:5] neg_lo:[0,0,1] neg_hi:[0,0,1]
	v_pk_fma_f32 v[4:5], v[12:13], v[24:25], v[4:5] op_sel_hi:[1,0,1]
	v_pk_add_f32 v[2:3], v[2:3], v[18:19]
	v_mov_b32_e32 v11, v5
	s_waitcnt vmcnt(1) lgkmcnt(0)
	v_pk_mul_f32 v[4:5], v[14:15], v[6:7] op_sel:[1,1] op_sel_hi:[0,1]
	v_pk_add_f32 v[2:3], v[2:3], v[10:11]
	v_pk_fma_f32 v[10:11], v[14:15], v[6:7], v[4:5] neg_lo:[0,0,1] neg_hi:[0,0,1]
	v_pk_fma_f32 v[4:5], v[14:15], v[6:7], v[4:5] op_sel_hi:[1,0,1]
	s_nop 0
	v_mov_b32_e32 v4, v9
	v_mov_b32_e32 v11, v5
	v_pk_mul_f32 v[4:5], v[16:17], v[4:5] op_sel:[1,0] op_sel_hi:[0,0]
	v_pk_fma_f32 v[6:7], v[16:17], v[8:9], v[4:5] neg_lo:[0,0,1] neg_hi:[0,0,1]
	v_pk_fma_f32 v[4:5], v[16:17], v[8:9], v[4:5] op_sel_hi:[1,0,1]
	v_pk_add_f32 v[2:3], v[2:3], v[10:11]
	v_mov_b32_e32 v7, v5
	v_pk_add_f32 v[2:3], v[2:3], v[6:7]
	s_waitcnt vmcnt(0)
	v_pk_add_f32 v[2:3], v[96:97], v[2:3] neg_lo:[0,1] neg_hi:[0,1]
	scratch_store_dwordx2 off, v[2:3], off offset:216
	s_and_saveexec_b64 s[0:1], vcc
	s_cbranch_execz .LBB117_285
; %bb.284:
	scratch_load_dwordx2 v[2:3], off, off offset:208
	v_mov_b32_e32 v4, 0
	v_mov_b32_e32 v5, v4
	scratch_store_dwordx2 off, v[4:5], off offset:208
	s_waitcnt vmcnt(1)
	ds_write_b64 v1, v[2:3]
.LBB117_285:
	s_or_b64 exec, exec, s[0:1]
	s_waitcnt lgkmcnt(0)
	; wave barrier
	scratch_load_dwordx4 v[10:13], off, off offset:216
	scratch_load_dwordx4 v[30:33], off, off offset:232
	scratch_load_dwordx4 v[2:5], off, off offset:248
	scratch_load_dwordx4 v[6:9], off, off offset:264
	scratch_load_dwordx4 v[18:21], off, off offset:280
	scratch_load_dwordx4 v[22:25], off, off offset:296
	scratch_load_dwordx4 v[34:37], off, off offset:312
	scratch_load_dwordx4 v[38:41], off, off offset:328
	scratch_load_dwordx4 v[50:53], off, off offset:344
	scratch_load_dwordx4 v[46:49], off, off offset:360
	scratch_load_dwordx4 v[42:45], off, off offset:376
	scratch_load_dwordx4 v[26:29], off, off offset:392
	scratch_load_dwordx4 v[14:17], off, off offset:408
	scratch_load_dwordx2 v[54:55], off, off offset:424
	scratch_load_dwordx2 v[80:81], off, off offset:208
	v_mov_b32_e32 v82, 0
	ds_read2_b64 v[56:59], v82 offset0:81 offset1:82
	ds_read2_b64 v[60:63], v82 offset0:83 offset1:84
	;; [unrolled: 1-line block ×10, first 2 shown]
	v_cmp_lt_u32_e32 vcc, 25, v0
	s_waitcnt vmcnt(14) lgkmcnt(9)
	v_mul_f32_e32 v83, v56, v11
	v_mul_f32_e32 v100, v58, v13
	s_waitcnt vmcnt(12) lgkmcnt(7)
	v_mul_f32_e32 v105, v64, v3
	v_mul_f32_e32 v3, v65, v3
	v_fmac_f32_e32 v83, v57, v10
	v_mul_f32_e32 v102, v60, v31
	v_fmac_f32_e32 v100, v59, v12
	v_fmac_f32_e32 v105, v65, v2
	v_fma_f32 v2, v64, v2, -v3
	v_add_f32_e32 v3, 0, v83
	v_mul_f32_e32 v104, v62, v33
	v_fmac_f32_e32 v102, v61, v30
	v_add_f32_e32 v3, v3, v100
	v_fmac_f32_e32 v104, v63, v32
	v_add_f32_e32 v3, v3, v102
	v_mul_f32_e32 v106, v66, v5
	v_add_f32_e32 v3, v3, v104
	s_waitcnt vmcnt(11) lgkmcnt(6)
	v_mul_f32_e32 v107, v68, v7
	v_fmac_f32_e32 v106, v67, v4
	v_add_f32_e32 v3, v3, v105
	v_mul_f32_e32 v108, v70, v9
	v_fmac_f32_e32 v107, v69, v6
	v_add_f32_e32 v3, v3, v106
	s_waitcnt vmcnt(10) lgkmcnt(5)
	v_mul_f32_e32 v109, v72, v19
	v_fmac_f32_e32 v108, v71, v8
	v_add_f32_e32 v3, v3, v107
	v_mul_f32_e32 v110, v74, v21
	v_fmac_f32_e32 v109, v73, v18
	;; [unrolled: 7-line block ×3, first 2 shown]
	v_add_f32_e32 v3, v3, v110
	s_waitcnt vmcnt(8) lgkmcnt(3)
	v_mul_f32_e32 v113, v84, v35
	v_mul_f32_e32 v11, v57, v11
	v_fmac_f32_e32 v112, v79, v24
	v_add_f32_e32 v3, v3, v111
	v_mul_f32_e32 v114, v86, v37
	v_mul_f32_e32 v13, v59, v13
	v_fmac_f32_e32 v113, v85, v34
	v_fma_f32 v10, v56, v10, -v11
	v_add_f32_e32 v3, v3, v112
	s_waitcnt vmcnt(7) lgkmcnt(2)
	v_mul_f32_e32 v115, v88, v39
	v_mul_f32_e32 v31, v61, v31
	v_fmac_f32_e32 v114, v87, v36
	v_fma_f32 v11, v58, v12, -v13
	v_add_f32_e32 v10, 0, v10
	v_add_f32_e32 v3, v3, v113
	v_mul_f32_e32 v116, v90, v41
	v_mul_f32_e32 v33, v63, v33
	v_fmac_f32_e32 v115, v89, v38
	v_fma_f32 v12, v60, v30, -v31
	v_add_f32_e32 v10, v10, v11
	v_add_f32_e32 v3, v3, v114
	s_waitcnt vmcnt(6) lgkmcnt(1)
	v_mul_f32_e32 v117, v92, v51
	v_fmac_f32_e32 v116, v91, v40
	v_fma_f32 v13, v62, v32, -v33
	v_add_f32_e32 v10, v10, v12
	v_add_f32_e32 v3, v3, v115
	v_mul_f32_e32 v5, v67, v5
	v_fmac_f32_e32 v117, v93, v50
	v_add_f32_e32 v10, v10, v13
	v_add_f32_e32 v3, v3, v116
	;; [unrolled: 1-line block ×4, first 2 shown]
	v_fma_f32 v3, v66, v4, -v5
	v_add_f32_e32 v2, v2, v3
	v_mul_f32_e32 v3, v69, v7
	v_fma_f32 v3, v68, v6, -v3
	v_add_f32_e32 v2, v2, v3
	v_mul_f32_e32 v3, v71, v9
	;; [unrolled: 3-line block ×12, first 2 shown]
	v_mul_f32_e32 v101, v94, v53
	v_fma_f32 v100, v94, v52, -v2
	s_waitcnt vmcnt(5) lgkmcnt(0)
	v_mul_f32_e32 v2, v97, v47
	v_mov_b32_e32 v22, v49
	v_mul_f32_e32 v103, v96, v47
	v_fmac_f32_e32 v101, v95, v52
	v_fma_f32 v102, v96, v46, -v2
	ds_read2_b64 v[2:5], v82 offset0:101 offset1:102
	ds_read2_b64 v[6:9], v82 offset0:103 offset1:104
	;; [unrolled: 1-line block ×3, first 2 shown]
	ds_read_b64 v[18:19], v82 offset:856
	v_pk_mul_f32 v[22:23], v[98:99], v[22:23] op_sel:[1,0] op_sel_hi:[0,0]
	v_fmac_f32_e32 v103, v97, v46
	v_pk_add_f32 v[20:21], v[30:31], v[100:101]
	v_pk_fma_f32 v[24:25], v[98:99], v[48:49], v[22:23] neg_lo:[0,0,1] neg_hi:[0,0,1]
	v_pk_fma_f32 v[22:23], v[98:99], v[48:49], v[22:23] op_sel_hi:[1,0,1]
	v_pk_add_f32 v[20:21], v[20:21], v[102:103]
	v_mov_b32_e32 v25, v23
	s_waitcnt vmcnt(4) lgkmcnt(3)
	v_pk_mul_f32 v[22:23], v[2:3], v[42:43] op_sel:[1,1] op_sel_hi:[0,1]
	v_pk_add_f32 v[20:21], v[20:21], v[24:25]
	v_pk_fma_f32 v[24:25], v[2:3], v[42:43], v[22:23] neg_lo:[0,0,1] neg_hi:[0,0,1]
	v_pk_fma_f32 v[2:3], v[2:3], v[42:43], v[22:23] op_sel_hi:[1,0,1]
	s_nop 0
	v_mov_b32_e32 v25, v3
	v_pk_add_f32 v[2:3], v[20:21], v[24:25]
	v_mov_b32_e32 v20, v45
	v_pk_mul_f32 v[20:21], v[4:5], v[20:21] op_sel:[1,0] op_sel_hi:[0,0]
	v_pk_fma_f32 v[22:23], v[4:5], v[44:45], v[20:21] neg_lo:[0,0,1] neg_hi:[0,0,1]
	v_pk_fma_f32 v[4:5], v[4:5], v[44:45], v[20:21] op_sel_hi:[1,0,1]
	s_nop 0
	v_mov_b32_e32 v23, v5
	s_waitcnt vmcnt(3) lgkmcnt(2)
	v_pk_mul_f32 v[4:5], v[6:7], v[26:27] op_sel:[1,1] op_sel_hi:[0,1]
	v_pk_fma_f32 v[20:21], v[6:7], v[26:27], v[4:5] neg_lo:[0,0,1] neg_hi:[0,0,1]
	v_pk_fma_f32 v[4:5], v[6:7], v[26:27], v[4:5] op_sel_hi:[1,0,1]
	v_pk_add_f32 v[2:3], v[2:3], v[22:23]
	v_mov_b32_e32 v4, v29
	v_mov_b32_e32 v21, v5
	v_pk_mul_f32 v[4:5], v[8:9], v[4:5] op_sel:[1,0] op_sel_hi:[0,0]
	v_pk_fma_f32 v[6:7], v[8:9], v[28:29], v[4:5] neg_lo:[0,0,1] neg_hi:[0,0,1]
	v_pk_fma_f32 v[4:5], v[8:9], v[28:29], v[4:5] op_sel_hi:[1,0,1]
	v_pk_add_f32 v[2:3], v[2:3], v[20:21]
	v_mov_b32_e32 v7, v5
	s_waitcnt vmcnt(2) lgkmcnt(1)
	v_pk_mul_f32 v[4:5], v[10:11], v[14:15] op_sel:[1,1] op_sel_hi:[0,1]
	v_pk_add_f32 v[2:3], v[2:3], v[6:7]
	v_pk_fma_f32 v[6:7], v[10:11], v[14:15], v[4:5] neg_lo:[0,0,1] neg_hi:[0,0,1]
	v_pk_fma_f32 v[4:5], v[10:11], v[14:15], v[4:5] op_sel_hi:[1,0,1]
	s_nop 0
	v_mov_b32_e32 v4, v17
	v_mov_b32_e32 v7, v5
	v_pk_mul_f32 v[4:5], v[12:13], v[4:5] op_sel:[1,0] op_sel_hi:[0,0]
	v_pk_add_f32 v[2:3], v[2:3], v[6:7]
	v_pk_fma_f32 v[6:7], v[12:13], v[16:17], v[4:5] neg_lo:[0,0,1] neg_hi:[0,0,1]
	v_pk_fma_f32 v[4:5], v[12:13], v[16:17], v[4:5] op_sel_hi:[1,0,1]
	s_nop 0
	v_mov_b32_e32 v7, v5
	s_waitcnt vmcnt(1) lgkmcnt(0)
	v_pk_mul_f32 v[4:5], v[18:19], v[54:55] op_sel:[1,1] op_sel_hi:[0,1]
	v_pk_add_f32 v[2:3], v[2:3], v[6:7]
	v_pk_fma_f32 v[6:7], v[18:19], v[54:55], v[4:5] neg_lo:[0,0,1] neg_hi:[0,0,1]
	v_pk_fma_f32 v[4:5], v[18:19], v[54:55], v[4:5] op_sel_hi:[1,0,1]
	s_nop 0
	v_mov_b32_e32 v7, v5
	v_pk_add_f32 v[2:3], v[2:3], v[6:7]
	s_waitcnt vmcnt(0)
	v_pk_add_f32 v[2:3], v[80:81], v[2:3] neg_lo:[0,1] neg_hi:[0,1]
	scratch_store_dwordx2 off, v[2:3], off offset:208
	s_and_saveexec_b64 s[0:1], vcc
	s_cbranch_execz .LBB117_287
; %bb.286:
	scratch_load_dwordx2 v[2:3], off, off offset:200
	v_mov_b32_e32 v83, v82
	scratch_store_dwordx2 off, v[82:83], off offset:200
	s_waitcnt vmcnt(1)
	ds_write_b64 v1, v[2:3]
.LBB117_287:
	s_or_b64 exec, exec, s[0:1]
	s_waitcnt lgkmcnt(0)
	; wave barrier
	scratch_load_dwordx4 v[18:21], off, off offset:208
	scratch_load_dwordx4 v[34:37], off, off offset:224
	;; [unrolled: 1-line block ×10, first 2 shown]
	ds_read_b128 v[84:87], v82 offset:640
	ds_read_b128 v[88:91], v82 offset:656
	;; [unrolled: 1-line block ×10, first 2 shown]
	scratch_load_dwordx4 v[54:57], off, off offset:368
	scratch_load_dwordx4 v[46:49], off, off offset:384
	;; [unrolled: 1-line block ×4, first 2 shown]
	scratch_load_dwordx2 v[100:101], off, off offset:200
	v_cmp_lt_u32_e32 vcc, 24, v0
	s_waitcnt vmcnt(14) lgkmcnt(9)
	v_mul_f32_e32 v83, v84, v19
	v_mul_f32_e32 v102, v86, v21
	s_waitcnt vmcnt(12) lgkmcnt(7)
	v_mul_f32_e32 v107, v92, v3
	v_mul_f32_e32 v3, v93, v3
	v_fmac_f32_e32 v83, v85, v18
	v_mul_f32_e32 v104, v88, v35
	v_fmac_f32_e32 v102, v87, v20
	v_fmac_f32_e32 v107, v93, v2
	v_fma_f32 v2, v92, v2, -v3
	v_add_f32_e32 v3, 0, v83
	v_mul_f32_e32 v106, v90, v37
	v_fmac_f32_e32 v104, v89, v34
	v_add_f32_e32 v3, v3, v102
	v_fmac_f32_e32 v106, v91, v36
	v_add_f32_e32 v3, v3, v104
	v_mul_f32_e32 v108, v94, v5
	v_add_f32_e32 v3, v3, v106
	s_waitcnt vmcnt(11) lgkmcnt(6)
	v_mul_f32_e32 v109, v96, v7
	v_fmac_f32_e32 v108, v95, v4
	v_add_f32_e32 v3, v3, v107
	v_mul_f32_e32 v110, v98, v9
	v_fmac_f32_e32 v109, v97, v6
	v_add_f32_e32 v3, v3, v108
	s_waitcnt vmcnt(10) lgkmcnt(5)
	v_mul_f32_e32 v111, v78, v11
	v_fmac_f32_e32 v110, v99, v8
	v_add_f32_e32 v3, v3, v109
	v_mul_f32_e32 v112, v80, v13
	v_fmac_f32_e32 v111, v79, v10
	;; [unrolled: 7-line block ×4, first 2 shown]
	v_add_f32_e32 v3, v3, v114
	s_waitcnt vmcnt(7) lgkmcnt(2)
	v_mul_f32_e32 v117, v66, v39
	v_mul_f32_e32 v19, v85, v19
	v_fmac_f32_e32 v116, v73, v28
	v_add_f32_e32 v3, v3, v115
	v_mul_f32_e32 v118, v68, v41
	v_mul_f32_e32 v21, v87, v21
	v_fmac_f32_e32 v117, v67, v38
	v_fma_f32 v18, v84, v18, -v19
	v_add_f32_e32 v3, v3, v116
	s_waitcnt vmcnt(6) lgkmcnt(1)
	v_mul_f32_e32 v119, v62, v43
	v_mul_f32_e32 v35, v89, v35
	v_fmac_f32_e32 v118, v69, v40
	v_fma_f32 v19, v86, v20, -v21
	v_add_f32_e32 v18, 0, v18
	v_add_f32_e32 v3, v3, v117
	v_mul_f32_e32 v120, v64, v45
	v_mul_f32_e32 v37, v91, v37
	v_fmac_f32_e32 v119, v63, v42
	v_fma_f32 v20, v88, v34, -v35
	v_add_f32_e32 v18, v18, v19
	v_add_f32_e32 v3, v3, v118
	v_fmac_f32_e32 v120, v65, v44
	v_fma_f32 v21, v90, v36, -v37
	v_add_f32_e32 v18, v18, v20
	v_add_f32_e32 v3, v3, v119
	;; [unrolled: 1-line block ×4, first 2 shown]
	v_mul_f32_e32 v3, v95, v5
	v_add_f32_e32 v2, v18, v2
	v_fma_f32 v3, v94, v4, -v3
	v_add_f32_e32 v2, v2, v3
	v_mul_f32_e32 v3, v97, v7
	v_fma_f32 v3, v96, v6, -v3
	v_add_f32_e32 v2, v2, v3
	v_mul_f32_e32 v3, v99, v9
	;; [unrolled: 3-line block ×12, first 2 shown]
	v_fma_f32 v3, v64, v44, -v3
	v_add_f32_e32 v34, v2, v3
	s_waitcnt vmcnt(5) lgkmcnt(0)
	v_mul_f32_e32 v2, v59, v51
	v_fma_f32 v102, v58, v50, -v2
	v_mul_f32_e32 v2, v61, v53
	v_fma_f32 v104, v60, v52, -v2
	ds_read_b128 v[2:5], v82 offset:800
	ds_read_b128 v[6:9], v82 offset:816
	;; [unrolled: 1-line block ×4, first 2 shown]
	v_mul_f32_e32 v103, v58, v51
	v_mul_f32_e32 v105, v60, v53
	v_fmac_f32_e32 v103, v59, v50
	s_waitcnt vmcnt(4) lgkmcnt(3)
	v_pk_mul_f32 v[24:25], v[2:3], v[54:55] op_sel:[1,1] op_sel_hi:[0,1]
	v_fmac_f32_e32 v105, v61, v52
	v_pk_add_f32 v[22:23], v[34:35], v[102:103]
	v_pk_fma_f32 v[26:27], v[2:3], v[54:55], v[24:25] neg_lo:[0,0,1] neg_hi:[0,0,1]
	v_pk_fma_f32 v[2:3], v[2:3], v[54:55], v[24:25] op_sel_hi:[1,0,1]
	v_pk_add_f32 v[22:23], v[22:23], v[104:105]
	v_mov_b32_e32 v27, v3
	v_pk_add_f32 v[2:3], v[22:23], v[26:27]
	v_mov_b32_e32 v22, v57
	v_pk_mul_f32 v[22:23], v[4:5], v[22:23] op_sel:[1,0] op_sel_hi:[0,0]
	v_pk_fma_f32 v[24:25], v[4:5], v[56:57], v[22:23] neg_lo:[0,0,1] neg_hi:[0,0,1]
	v_pk_fma_f32 v[4:5], v[4:5], v[56:57], v[22:23] op_sel_hi:[1,0,1]
	s_nop 0
	v_mov_b32_e32 v25, v5
	s_waitcnt vmcnt(3) lgkmcnt(2)
	v_pk_mul_f32 v[4:5], v[6:7], v[46:47] op_sel:[1,1] op_sel_hi:[0,1]
	v_pk_fma_f32 v[22:23], v[6:7], v[46:47], v[4:5] neg_lo:[0,0,1] neg_hi:[0,0,1]
	v_pk_fma_f32 v[4:5], v[6:7], v[46:47], v[4:5] op_sel_hi:[1,0,1]
	v_pk_add_f32 v[2:3], v[2:3], v[24:25]
	v_mov_b32_e32 v4, v49
	v_mov_b32_e32 v23, v5
	v_pk_mul_f32 v[4:5], v[8:9], v[4:5] op_sel:[1,0] op_sel_hi:[0,0]
	v_pk_fma_f32 v[6:7], v[8:9], v[48:49], v[4:5] neg_lo:[0,0,1] neg_hi:[0,0,1]
	v_pk_fma_f32 v[4:5], v[8:9], v[48:49], v[4:5] op_sel_hi:[1,0,1]
	v_pk_add_f32 v[2:3], v[2:3], v[22:23]
	v_mov_b32_e32 v7, v5
	s_waitcnt vmcnt(2) lgkmcnt(1)
	v_pk_mul_f32 v[4:5], v[10:11], v[30:31] op_sel:[1,1] op_sel_hi:[0,1]
	v_pk_add_f32 v[2:3], v[2:3], v[6:7]
	v_pk_fma_f32 v[6:7], v[10:11], v[30:31], v[4:5] neg_lo:[0,0,1] neg_hi:[0,0,1]
	v_pk_fma_f32 v[4:5], v[10:11], v[30:31], v[4:5] op_sel_hi:[1,0,1]
	s_nop 0
	v_mov_b32_e32 v4, v33
	v_mov_b32_e32 v7, v5
	v_pk_mul_f32 v[4:5], v[12:13], v[4:5] op_sel:[1,0] op_sel_hi:[0,0]
	v_pk_add_f32 v[2:3], v[2:3], v[6:7]
	v_pk_fma_f32 v[6:7], v[12:13], v[32:33], v[4:5] neg_lo:[0,0,1] neg_hi:[0,0,1]
	v_pk_fma_f32 v[4:5], v[12:13], v[32:33], v[4:5] op_sel_hi:[1,0,1]
	s_nop 0
	v_mov_b32_e32 v7, v5
	s_waitcnt vmcnt(1) lgkmcnt(0)
	v_pk_mul_f32 v[4:5], v[18:19], v[14:15] op_sel:[1,1] op_sel_hi:[0,1]
	v_pk_add_f32 v[2:3], v[2:3], v[6:7]
	v_pk_fma_f32 v[6:7], v[18:19], v[14:15], v[4:5] neg_lo:[0,0,1] neg_hi:[0,0,1]
	v_pk_fma_f32 v[4:5], v[18:19], v[14:15], v[4:5] op_sel_hi:[1,0,1]
	s_nop 0
	v_mov_b32_e32 v4, v17
	v_mov_b32_e32 v7, v5
	v_pk_mul_f32 v[4:5], v[20:21], v[4:5] op_sel:[1,0] op_sel_hi:[0,0]
	v_pk_add_f32 v[2:3], v[2:3], v[6:7]
	v_pk_fma_f32 v[6:7], v[20:21], v[16:17], v[4:5] neg_lo:[0,0,1] neg_hi:[0,0,1]
	v_pk_fma_f32 v[4:5], v[20:21], v[16:17], v[4:5] op_sel_hi:[1,0,1]
	s_nop 0
	v_mov_b32_e32 v7, v5
	v_pk_add_f32 v[2:3], v[2:3], v[6:7]
	s_waitcnt vmcnt(0)
	v_pk_add_f32 v[2:3], v[100:101], v[2:3] neg_lo:[0,1] neg_hi:[0,1]
	scratch_store_dwordx2 off, v[2:3], off offset:200
	s_and_saveexec_b64 s[0:1], vcc
	s_cbranch_execz .LBB117_289
; %bb.288:
	scratch_load_dwordx2 v[2:3], off, off offset:192
	v_mov_b32_e32 v4, 0
	v_mov_b32_e32 v5, v4
	scratch_store_dwordx2 off, v[4:5], off offset:192
	s_waitcnt vmcnt(1)
	ds_write_b64 v1, v[2:3]
.LBB117_289:
	s_or_b64 exec, exec, s[0:1]
	s_waitcnt lgkmcnt(0)
	; wave barrier
	scratch_load_dwordx4 v[18:21], off, off offset:200
	scratch_load_dwordx4 v[2:5], off, off offset:216
	;; [unrolled: 1-line block ×14, first 2 shown]
	scratch_load_dwordx2 v[58:59], off, off offset:424
	scratch_load_dwordx2 v[100:101], off, off offset:192
	v_mov_b32_e32 v102, 0
	ds_read2_b64 v[60:63], v102 offset0:79 offset1:80
	ds_read2_b64 v[64:67], v102 offset0:81 offset1:82
	;; [unrolled: 1-line block ×12, first 2 shown]
	v_cmp_lt_u32_e32 vcc, 23, v0
	s_waitcnt vmcnt(15) lgkmcnt(11)
	v_mul_f32_e32 v103, v60, v19
	v_mul_f32_e32 v112, v62, v21
	s_waitcnt vmcnt(14) lgkmcnt(10)
	v_mul_f32_e32 v114, v64, v3
	v_mul_f32_e32 v3, v65, v3
	v_fmac_f32_e32 v103, v61, v18
	v_fmac_f32_e32 v112, v63, v20
	;; [unrolled: 1-line block ×3, first 2 shown]
	v_fma_f32 v2, v64, v2, -v3
	v_add_f32_e32 v3, 0, v103
	v_mul_f32_e32 v116, v66, v5
	v_add_f32_e32 v3, v3, v112
	s_waitcnt vmcnt(13) lgkmcnt(9)
	v_mul_f32_e32 v117, v68, v7
	v_fmac_f32_e32 v116, v67, v4
	v_add_f32_e32 v3, v3, v114
	v_mul_f32_e32 v118, v70, v9
	v_fmac_f32_e32 v117, v69, v6
	v_add_f32_e32 v3, v3, v116
	s_waitcnt vmcnt(12) lgkmcnt(8)
	v_mul_f32_e32 v119, v72, v11
	v_fmac_f32_e32 v118, v71, v8
	v_add_f32_e32 v3, v3, v117
	v_mul_f32_e32 v120, v74, v13
	v_fmac_f32_e32 v119, v73, v10
	;; [unrolled: 7-line block ×6, first 2 shown]
	v_add_f32_e32 v3, v3, v126
	s_waitcnt vmcnt(7) lgkmcnt(3)
	v_mul_f32_e32 v129, v92, v43
	v_fmac_f32_e32 v128, v91, v40
	v_add_f32_e32 v3, v3, v127
	v_mul_f32_e32 v130, v94, v45
	v_mul_f32_e32 v19, v61, v19
	v_fmac_f32_e32 v129, v93, v42
	v_add_f32_e32 v3, v3, v128
	s_waitcnt vmcnt(6) lgkmcnt(2)
	v_mul_f32_e32 v131, v96, v51
	v_mul_f32_e32 v21, v63, v21
	v_fmac_f32_e32 v130, v95, v44
	v_fma_f32 v18, v60, v18, -v19
	v_add_f32_e32 v3, v3, v129
	v_fmac_f32_e32 v131, v97, v50
	v_fma_f32 v19, v62, v20, -v21
	v_add_f32_e32 v18, 0, v18
	v_add_f32_e32 v3, v3, v130
	;; [unrolled: 1-line block ×4, first 2 shown]
	v_mul_f32_e32 v3, v67, v5
	v_add_f32_e32 v2, v18, v2
	v_fma_f32 v3, v66, v4, -v3
	v_add_f32_e32 v2, v2, v3
	v_mul_f32_e32 v3, v69, v7
	v_fma_f32 v3, v68, v6, -v3
	v_add_f32_e32 v2, v2, v3
	v_mul_f32_e32 v3, v71, v9
	;; [unrolled: 3-line block ×15, first 2 shown]
	v_fma_f32 v3, v96, v50, -v3
	v_mul_f32_e32 v113, v98, v53
	v_add_f32_e32 v18, v2, v3
	v_mul_f32_e32 v2, v99, v53
	s_waitcnt vmcnt(5)
	v_mov_b32_e32 v14, v57
	s_waitcnt lgkmcnt(1)
	v_mul_f32_e32 v115, v104, v55
	v_fmac_f32_e32 v113, v99, v52
	v_fma_f32 v112, v98, v52, -v2
	v_mul_f32_e32 v2, v105, v55
	v_pk_mul_f32 v[14:15], v[106:107], v[14:15] op_sel:[1,0] op_sel_hi:[0,0]
	v_fmac_f32_e32 v115, v105, v54
	v_fma_f32 v114, v104, v54, -v2
	v_pk_add_f32 v[12:13], v[18:19], v[112:113]
	v_pk_fma_f32 v[16:17], v[106:107], v[56:57], v[14:15] neg_lo:[0,0,1] neg_hi:[0,0,1]
	v_pk_fma_f32 v[14:15], v[106:107], v[56:57], v[14:15] op_sel_hi:[1,0,1]
	v_pk_add_f32 v[12:13], v[12:13], v[114:115]
	v_mov_b32_e32 v17, v15
	s_waitcnt vmcnt(4) lgkmcnt(0)
	v_pk_mul_f32 v[14:15], v[108:109], v[46:47] op_sel:[1,1] op_sel_hi:[0,1]
	v_pk_add_f32 v[12:13], v[12:13], v[16:17]
	v_pk_fma_f32 v[16:17], v[108:109], v[46:47], v[14:15] neg_lo:[0,0,1] neg_hi:[0,0,1]
	v_pk_fma_f32 v[14:15], v[108:109], v[46:47], v[14:15] op_sel_hi:[1,0,1]
	ds_read2_b64 v[2:5], v102 offset0:103 offset1:104
	ds_read2_b64 v[6:9], v102 offset0:105 offset1:106
	ds_read_b64 v[10:11], v102 offset:856
	v_mov_b32_e32 v14, v49
	v_mov_b32_e32 v17, v15
	v_pk_mul_f32 v[14:15], v[110:111], v[14:15] op_sel:[1,0] op_sel_hi:[0,0]
	v_pk_add_f32 v[12:13], v[12:13], v[16:17]
	v_pk_fma_f32 v[16:17], v[110:111], v[48:49], v[14:15] neg_lo:[0,0,1] neg_hi:[0,0,1]
	v_pk_fma_f32 v[14:15], v[110:111], v[48:49], v[14:15] op_sel_hi:[1,0,1]
	s_nop 0
	v_mov_b32_e32 v17, v15
	s_waitcnt vmcnt(3) lgkmcnt(2)
	v_pk_mul_f32 v[14:15], v[2:3], v[34:35] op_sel:[1,1] op_sel_hi:[0,1]
	v_pk_add_f32 v[12:13], v[12:13], v[16:17]
	v_pk_fma_f32 v[16:17], v[2:3], v[34:35], v[14:15] neg_lo:[0,0,1] neg_hi:[0,0,1]
	v_pk_fma_f32 v[2:3], v[2:3], v[34:35], v[14:15] op_sel_hi:[1,0,1]
	s_nop 0
	v_mov_b32_e32 v17, v3
	v_pk_add_f32 v[2:3], v[12:13], v[16:17]
	v_mov_b32_e32 v12, v37
	v_pk_mul_f32 v[12:13], v[4:5], v[12:13] op_sel:[1,0] op_sel_hi:[0,0]
	v_pk_fma_f32 v[14:15], v[4:5], v[36:37], v[12:13] neg_lo:[0,0,1] neg_hi:[0,0,1]
	v_pk_fma_f32 v[4:5], v[4:5], v[36:37], v[12:13] op_sel_hi:[1,0,1]
	s_nop 0
	v_mov_b32_e32 v15, v5
	s_waitcnt vmcnt(2) lgkmcnt(1)
	v_pk_mul_f32 v[4:5], v[6:7], v[22:23] op_sel:[1,1] op_sel_hi:[0,1]
	v_pk_fma_f32 v[12:13], v[6:7], v[22:23], v[4:5] neg_lo:[0,0,1] neg_hi:[0,0,1]
	v_pk_fma_f32 v[4:5], v[6:7], v[22:23], v[4:5] op_sel_hi:[1,0,1]
	v_pk_add_f32 v[2:3], v[2:3], v[14:15]
	v_mov_b32_e32 v4, v25
	v_mov_b32_e32 v13, v5
	v_pk_mul_f32 v[4:5], v[8:9], v[4:5] op_sel:[1,0] op_sel_hi:[0,0]
	v_pk_fma_f32 v[6:7], v[8:9], v[24:25], v[4:5] neg_lo:[0,0,1] neg_hi:[0,0,1]
	v_pk_fma_f32 v[4:5], v[8:9], v[24:25], v[4:5] op_sel_hi:[1,0,1]
	v_pk_add_f32 v[2:3], v[2:3], v[12:13]
	v_mov_b32_e32 v7, v5
	s_waitcnt vmcnt(1) lgkmcnt(0)
	v_pk_mul_f32 v[4:5], v[10:11], v[58:59] op_sel:[1,1] op_sel_hi:[0,1]
	v_pk_add_f32 v[2:3], v[2:3], v[6:7]
	v_pk_fma_f32 v[6:7], v[10:11], v[58:59], v[4:5] neg_lo:[0,0,1] neg_hi:[0,0,1]
	v_pk_fma_f32 v[4:5], v[10:11], v[58:59], v[4:5] op_sel_hi:[1,0,1]
	s_nop 0
	v_mov_b32_e32 v7, v5
	v_pk_add_f32 v[2:3], v[2:3], v[6:7]
	s_waitcnt vmcnt(0)
	v_pk_add_f32 v[2:3], v[100:101], v[2:3] neg_lo:[0,1] neg_hi:[0,1]
	scratch_store_dwordx2 off, v[2:3], off offset:192
	s_and_saveexec_b64 s[0:1], vcc
	s_cbranch_execz .LBB117_291
; %bb.290:
	scratch_load_dwordx2 v[2:3], off, off offset:184
	v_mov_b32_e32 v103, v102
	scratch_store_dwordx2 off, v[102:103], off offset:184
	s_waitcnt vmcnt(1)
	ds_write_b64 v1, v[2:3]
.LBB117_291:
	s_or_b64 exec, exec, s[0:1]
	s_waitcnt lgkmcnt(0)
	; wave barrier
	scratch_load_dwordx4 v[22:25], off, off offset:192
	scratch_load_dwordx4 v[2:5], off, off offset:208
	;; [unrolled: 1-line block ×11, first 2 shown]
	ds_read_b128 v[104:107], v102 offset:624
	ds_read_b128 v[98:101], v102 offset:640
	ds_read_b128 v[94:97], v102 offset:656
	ds_read_b128 v[90:93], v102 offset:672
	ds_read_b128 v[86:89], v102 offset:688
	ds_read_b128 v[82:85], v102 offset:704
	ds_read_b128 v[74:77], v102 offset:720
	ds_read_b128 v[70:73], v102 offset:736
	ds_read_b128 v[66:69], v102 offset:752
	ds_read_b128 v[62:65], v102 offset:768
	scratch_load_dwordx4 v[58:61], off, off offset:368
	scratch_load_dwordx4 v[50:53], off, off offset:384
	;; [unrolled: 1-line block ×4, first 2 shown]
	ds_read_b128 v[78:81], v102 offset:784
	ds_read_b128 v[108:111], v102 offset:800
	scratch_load_dwordx2 v[112:113], off, off offset:184
	v_cmp_lt_u32_e32 vcc, 22, v0
	s_waitcnt vmcnt(15) lgkmcnt(11)
	v_mul_f32_e32 v103, v104, v23
	v_mul_f32_e32 v114, v106, v25
	s_waitcnt vmcnt(14) lgkmcnt(10)
	v_mul_f32_e32 v116, v98, v3
	v_mul_f32_e32 v3, v99, v3
	v_fmac_f32_e32 v103, v105, v22
	v_fmac_f32_e32 v114, v107, v24
	;; [unrolled: 1-line block ×3, first 2 shown]
	v_fma_f32 v2, v98, v2, -v3
	v_add_f32_e32 v3, 0, v103
	v_mul_f32_e32 v118, v100, v5
	v_add_f32_e32 v3, v3, v114
	s_waitcnt vmcnt(13) lgkmcnt(9)
	v_mul_f32_e32 v119, v94, v7
	v_fmac_f32_e32 v118, v101, v4
	v_add_f32_e32 v3, v3, v116
	v_mul_f32_e32 v120, v96, v9
	v_fmac_f32_e32 v119, v95, v6
	v_add_f32_e32 v3, v3, v118
	s_waitcnt vmcnt(12) lgkmcnt(8)
	v_mul_f32_e32 v121, v90, v11
	v_fmac_f32_e32 v120, v97, v8
	v_add_f32_e32 v3, v3, v119
	v_mul_f32_e32 v122, v92, v13
	v_fmac_f32_e32 v121, v91, v10
	;; [unrolled: 7-line block ×7, first 2 shown]
	v_add_f32_e32 v3, v3, v130
	s_waitcnt vmcnt(6) lgkmcnt(2)
	v_mul_f32_e32 v133, v62, v47
	v_mul_f32_e32 v23, v105, v23
	v_fmac_f32_e32 v132, v69, v44
	v_add_f32_e32 v3, v3, v131
	v_mul_f32_e32 v134, v64, v49
	v_mul_f32_e32 v25, v107, v25
	v_fmac_f32_e32 v133, v63, v46
	v_fma_f32 v22, v104, v22, -v23
	v_add_f32_e32 v3, v3, v132
	v_fmac_f32_e32 v134, v65, v48
	v_fma_f32 v23, v106, v24, -v25
	v_add_f32_e32 v22, 0, v22
	v_add_f32_e32 v3, v3, v133
	;; [unrolled: 1-line block ×4, first 2 shown]
	v_mul_f32_e32 v3, v101, v5
	v_add_f32_e32 v2, v22, v2
	v_fma_f32 v3, v100, v4, -v3
	v_add_f32_e32 v2, v2, v3
	v_mul_f32_e32 v3, v95, v7
	v_fma_f32 v3, v94, v6, -v3
	v_add_f32_e32 v2, v2, v3
	v_mul_f32_e32 v3, v97, v9
	;; [unrolled: 3-line block ×16, first 2 shown]
	v_fma_f32 v3, v64, v48, -v3
	s_waitcnt vmcnt(5) lgkmcnt(1)
	v_mul_f32_e32 v115, v78, v55
	v_add_f32_e32 v22, v2, v3
	v_mul_f32_e32 v2, v79, v55
	s_waitcnt vmcnt(4) lgkmcnt(0)
	v_pk_mul_f32 v[16:17], v[108:109], v[58:59] op_sel:[1,1] op_sel_hi:[0,1]
	v_mul_f32_e32 v117, v80, v57
	v_fmac_f32_e32 v115, v79, v54
	v_fma_f32 v114, v78, v54, -v2
	v_mul_f32_e32 v2, v81, v57
	v_pk_fma_f32 v[18:19], v[108:109], v[58:59], v[16:17] neg_lo:[0,0,1] neg_hi:[0,0,1]
	v_pk_fma_f32 v[16:17], v[108:109], v[58:59], v[16:17] op_sel_hi:[1,0,1]
	v_fmac_f32_e32 v117, v81, v56
	v_fma_f32 v116, v80, v56, -v2
	ds_read_b128 v[2:5], v102 offset:816
	ds_read_b128 v[6:9], v102 offset:832
	;; [unrolled: 1-line block ×3, first 2 shown]
	v_pk_add_f32 v[14:15], v[22:23], v[114:115]
	v_mov_b32_e32 v16, v61
	v_pk_add_f32 v[14:15], v[14:15], v[116:117]
	v_mov_b32_e32 v19, v17
	v_pk_mul_f32 v[16:17], v[110:111], v[16:17] op_sel:[1,0] op_sel_hi:[0,0]
	v_pk_add_f32 v[14:15], v[14:15], v[18:19]
	v_pk_fma_f32 v[18:19], v[110:111], v[60:61], v[16:17] neg_lo:[0,0,1] neg_hi:[0,0,1]
	v_pk_fma_f32 v[16:17], v[110:111], v[60:61], v[16:17] op_sel_hi:[1,0,1]
	s_nop 0
	v_mov_b32_e32 v19, v17
	s_waitcnt vmcnt(3) lgkmcnt(2)
	v_pk_mul_f32 v[16:17], v[2:3], v[50:51] op_sel:[1,1] op_sel_hi:[0,1]
	v_pk_add_f32 v[14:15], v[14:15], v[18:19]
	v_pk_fma_f32 v[18:19], v[2:3], v[50:51], v[16:17] neg_lo:[0,0,1] neg_hi:[0,0,1]
	v_pk_fma_f32 v[2:3], v[2:3], v[50:51], v[16:17] op_sel_hi:[1,0,1]
	s_nop 0
	v_mov_b32_e32 v19, v3
	v_pk_add_f32 v[2:3], v[14:15], v[18:19]
	v_mov_b32_e32 v14, v53
	v_pk_mul_f32 v[14:15], v[4:5], v[14:15] op_sel:[1,0] op_sel_hi:[0,0]
	v_pk_fma_f32 v[16:17], v[4:5], v[52:53], v[14:15] neg_lo:[0,0,1] neg_hi:[0,0,1]
	v_pk_fma_f32 v[4:5], v[4:5], v[52:53], v[14:15] op_sel_hi:[1,0,1]
	s_nop 0
	v_mov_b32_e32 v17, v5
	s_waitcnt vmcnt(2) lgkmcnt(1)
	v_pk_mul_f32 v[4:5], v[6:7], v[38:39] op_sel:[1,1] op_sel_hi:[0,1]
	v_pk_fma_f32 v[14:15], v[6:7], v[38:39], v[4:5] neg_lo:[0,0,1] neg_hi:[0,0,1]
	v_pk_fma_f32 v[4:5], v[6:7], v[38:39], v[4:5] op_sel_hi:[1,0,1]
	v_pk_add_f32 v[2:3], v[2:3], v[16:17]
	v_mov_b32_e32 v4, v41
	v_mov_b32_e32 v15, v5
	v_pk_mul_f32 v[4:5], v[8:9], v[4:5] op_sel:[1,0] op_sel_hi:[0,0]
	v_pk_fma_f32 v[6:7], v[8:9], v[40:41], v[4:5] neg_lo:[0,0,1] neg_hi:[0,0,1]
	v_pk_fma_f32 v[4:5], v[8:9], v[40:41], v[4:5] op_sel_hi:[1,0,1]
	v_pk_add_f32 v[2:3], v[2:3], v[14:15]
	v_mov_b32_e32 v7, v5
	s_waitcnt vmcnt(1) lgkmcnt(0)
	v_pk_mul_f32 v[4:5], v[10:11], v[26:27] op_sel:[1,1] op_sel_hi:[0,1]
	v_pk_add_f32 v[2:3], v[2:3], v[6:7]
	v_pk_fma_f32 v[6:7], v[10:11], v[26:27], v[4:5] neg_lo:[0,0,1] neg_hi:[0,0,1]
	v_pk_fma_f32 v[4:5], v[10:11], v[26:27], v[4:5] op_sel_hi:[1,0,1]
	s_nop 0
	v_mov_b32_e32 v4, v29
	v_mov_b32_e32 v7, v5
	v_pk_mul_f32 v[4:5], v[12:13], v[4:5] op_sel:[1,0] op_sel_hi:[0,0]
	v_pk_add_f32 v[2:3], v[2:3], v[6:7]
	v_pk_fma_f32 v[6:7], v[12:13], v[28:29], v[4:5] neg_lo:[0,0,1] neg_hi:[0,0,1]
	v_pk_fma_f32 v[4:5], v[12:13], v[28:29], v[4:5] op_sel_hi:[1,0,1]
	s_nop 0
	v_mov_b32_e32 v7, v5
	v_pk_add_f32 v[2:3], v[2:3], v[6:7]
	s_waitcnt vmcnt(0)
	v_pk_add_f32 v[2:3], v[112:113], v[2:3] neg_lo:[0,1] neg_hi:[0,1]
	scratch_store_dwordx2 off, v[2:3], off offset:184
	s_and_saveexec_b64 s[0:1], vcc
	s_cbranch_execz .LBB117_293
; %bb.292:
	scratch_load_dwordx2 v[2:3], off, off offset:176
	v_mov_b32_e32 v4, 0
	v_mov_b32_e32 v5, v4
	scratch_store_dwordx2 off, v[4:5], off offset:176
	s_waitcnt vmcnt(1)
	ds_write_b64 v1, v[2:3]
.LBB117_293:
	s_or_b64 exec, exec, s[0:1]
	s_waitcnt lgkmcnt(0)
	; wave barrier
	scratch_load_dwordx4 v[2:5], off, off offset:184
	scratch_load_dwordx4 v[6:9], off, off offset:200
	;; [unrolled: 1-line block ×15, first 2 shown]
	scratch_load_dwordx2 v[62:63], off, off offset:424
	scratch_load_dwordx2 v[112:113], off, off offset:176
	v_mov_b32_e32 v114, 0
	ds_read2_b64 v[64:67], v114 offset0:77 offset1:78
	ds_read2_b64 v[68:71], v114 offset0:79 offset1:80
	ds_read2_b64 v[72:75], v114 offset0:81 offset1:82
	ds_read2_b64 v[76:79], v114 offset0:83 offset1:84
	ds_read2_b64 v[80:83], v114 offset0:85 offset1:86
	ds_read2_b64 v[84:87], v114 offset0:87 offset1:88
	ds_read2_b64 v[88:91], v114 offset0:89 offset1:90
	ds_read2_b64 v[92:95], v114 offset0:91 offset1:92
	ds_read2_b64 v[96:99], v114 offset0:93 offset1:94
	ds_read2_b64 v[100:103], v114 offset0:95 offset1:96
	ds_read2_b64 v[104:107], v114 offset0:97 offset1:98
	ds_read2_b64 v[108:111], v114 offset0:99 offset1:100
	v_cmp_lt_u32_e32 vcc, 21, v0
	s_waitcnt vmcnt(16) lgkmcnt(11)
	v_mul_f32_e32 v115, v64, v3
	v_mul_f32_e32 v116, v66, v5
	;; [unrolled: 1-line block ×3, first 2 shown]
	v_fmac_f32_e32 v115, v65, v2
	s_waitcnt vmcnt(15) lgkmcnt(10)
	v_mul_f32_e32 v118, v68, v7
	v_fmac_f32_e32 v116, v67, v4
	v_fma_f32 v2, v64, v2, -v3
	v_add_f32_e32 v3, 0, v115
	v_mul_f32_e32 v120, v70, v9
	v_fmac_f32_e32 v118, v69, v6
	v_add_f32_e32 v3, v3, v116
	s_waitcnt vmcnt(14) lgkmcnt(9)
	v_mul_f32_e32 v121, v72, v11
	v_fmac_f32_e32 v120, v71, v8
	v_add_f32_e32 v3, v3, v118
	v_mul_f32_e32 v122, v74, v13
	v_fmac_f32_e32 v121, v73, v10
	v_add_f32_e32 v3, v3, v120
	s_waitcnt vmcnt(13) lgkmcnt(8)
	v_mul_f32_e32 v123, v76, v15
	v_fmac_f32_e32 v122, v75, v12
	;; [unrolled: 7-line block ×9, first 2 shown]
	v_add_f32_e32 v3, v3, v135
	v_mul_f32_e32 v5, v67, v5
	v_fmac_f32_e32 v137, v105, v58
	v_add_f32_e32 v3, v3, v136
	v_add_f32_e32 v2, 0, v2
	;; [unrolled: 1-line block ×3, first 2 shown]
	v_fma_f32 v3, v66, v4, -v5
	v_add_f32_e32 v2, v2, v3
	v_mul_f32_e32 v3, v69, v7
	v_fma_f32 v3, v68, v6, -v3
	v_add_f32_e32 v2, v2, v3
	v_mul_f32_e32 v3, v71, v9
	;; [unrolled: 3-line block ×20, first 2 shown]
	v_mul_f32_e32 v117, v106, v61
	v_fma_f32 v116, v106, v60, -v2
	s_waitcnt vmcnt(5) lgkmcnt(0)
	v_mul_f32_e32 v2, v109, v55
	v_mov_b32_e32 v18, v57
	v_mul_f32_e32 v119, v108, v55
	v_fmac_f32_e32 v117, v107, v60
	v_fma_f32 v118, v108, v54, -v2
	ds_read2_b64 v[2:5], v114 offset0:101 offset1:102
	ds_read2_b64 v[6:9], v114 offset0:103 offset1:104
	;; [unrolled: 1-line block ×3, first 2 shown]
	ds_read_b64 v[14:15], v114 offset:856
	v_pk_mul_f32 v[18:19], v[110:111], v[18:19] op_sel:[1,0] op_sel_hi:[0,0]
	v_fmac_f32_e32 v119, v109, v54
	v_pk_add_f32 v[16:17], v[64:65], v[116:117]
	v_pk_fma_f32 v[20:21], v[110:111], v[56:57], v[18:19] neg_lo:[0,0,1] neg_hi:[0,0,1]
	v_pk_fma_f32 v[18:19], v[110:111], v[56:57], v[18:19] op_sel_hi:[1,0,1]
	v_pk_add_f32 v[16:17], v[16:17], v[118:119]
	v_mov_b32_e32 v21, v19
	s_waitcnt vmcnt(4) lgkmcnt(3)
	v_pk_mul_f32 v[18:19], v[2:3], v[50:51] op_sel:[1,1] op_sel_hi:[0,1]
	v_pk_add_f32 v[16:17], v[16:17], v[20:21]
	v_pk_fma_f32 v[20:21], v[2:3], v[50:51], v[18:19] neg_lo:[0,0,1] neg_hi:[0,0,1]
	v_pk_fma_f32 v[2:3], v[2:3], v[50:51], v[18:19] op_sel_hi:[1,0,1]
	s_nop 0
	v_mov_b32_e32 v21, v3
	v_pk_add_f32 v[2:3], v[16:17], v[20:21]
	v_mov_b32_e32 v16, v53
	v_pk_mul_f32 v[16:17], v[4:5], v[16:17] op_sel:[1,0] op_sel_hi:[0,0]
	v_pk_fma_f32 v[18:19], v[4:5], v[52:53], v[16:17] neg_lo:[0,0,1] neg_hi:[0,0,1]
	v_pk_fma_f32 v[4:5], v[4:5], v[52:53], v[16:17] op_sel_hi:[1,0,1]
	s_nop 0
	v_mov_b32_e32 v19, v5
	s_waitcnt vmcnt(3) lgkmcnt(2)
	v_pk_mul_f32 v[4:5], v[6:7], v[38:39] op_sel:[1,1] op_sel_hi:[0,1]
	v_pk_fma_f32 v[16:17], v[6:7], v[38:39], v[4:5] neg_lo:[0,0,1] neg_hi:[0,0,1]
	v_pk_fma_f32 v[4:5], v[6:7], v[38:39], v[4:5] op_sel_hi:[1,0,1]
	v_pk_add_f32 v[2:3], v[2:3], v[18:19]
	v_mov_b32_e32 v4, v41
	v_mov_b32_e32 v17, v5
	v_pk_mul_f32 v[4:5], v[8:9], v[4:5] op_sel:[1,0] op_sel_hi:[0,0]
	v_pk_fma_f32 v[6:7], v[8:9], v[40:41], v[4:5] neg_lo:[0,0,1] neg_hi:[0,0,1]
	v_pk_fma_f32 v[4:5], v[8:9], v[40:41], v[4:5] op_sel_hi:[1,0,1]
	v_pk_add_f32 v[2:3], v[2:3], v[16:17]
	v_mov_b32_e32 v7, v5
	s_waitcnt vmcnt(2) lgkmcnt(1)
	v_pk_mul_f32 v[4:5], v[10:11], v[26:27] op_sel:[1,1] op_sel_hi:[0,1]
	v_pk_add_f32 v[2:3], v[2:3], v[6:7]
	v_pk_fma_f32 v[6:7], v[10:11], v[26:27], v[4:5] neg_lo:[0,0,1] neg_hi:[0,0,1]
	v_pk_fma_f32 v[4:5], v[10:11], v[26:27], v[4:5] op_sel_hi:[1,0,1]
	s_nop 0
	v_mov_b32_e32 v4, v29
	v_mov_b32_e32 v7, v5
	v_pk_mul_f32 v[4:5], v[12:13], v[4:5] op_sel:[1,0] op_sel_hi:[0,0]
	v_pk_add_f32 v[2:3], v[2:3], v[6:7]
	v_pk_fma_f32 v[6:7], v[12:13], v[28:29], v[4:5] neg_lo:[0,0,1] neg_hi:[0,0,1]
	v_pk_fma_f32 v[4:5], v[12:13], v[28:29], v[4:5] op_sel_hi:[1,0,1]
	s_nop 0
	v_mov_b32_e32 v7, v5
	s_waitcnt vmcnt(1) lgkmcnt(0)
	v_pk_mul_f32 v[4:5], v[14:15], v[62:63] op_sel:[1,1] op_sel_hi:[0,1]
	v_pk_add_f32 v[2:3], v[2:3], v[6:7]
	v_pk_fma_f32 v[6:7], v[14:15], v[62:63], v[4:5] neg_lo:[0,0,1] neg_hi:[0,0,1]
	v_pk_fma_f32 v[4:5], v[14:15], v[62:63], v[4:5] op_sel_hi:[1,0,1]
	s_nop 0
	v_mov_b32_e32 v7, v5
	v_pk_add_f32 v[2:3], v[2:3], v[6:7]
	s_waitcnt vmcnt(0)
	v_pk_add_f32 v[2:3], v[112:113], v[2:3] neg_lo:[0,1] neg_hi:[0,1]
	scratch_store_dwordx2 off, v[2:3], off offset:176
	s_and_saveexec_b64 s[0:1], vcc
	s_cbranch_execz .LBB117_295
; %bb.294:
	scratch_load_dwordx2 v[2:3], off, off offset:168
	v_mov_b32_e32 v115, v114
	scratch_store_dwordx2 off, v[114:115], off offset:168
	s_waitcnt vmcnt(1)
	ds_write_b64 v1, v[2:3]
.LBB117_295:
	s_or_b64 exec, exec, s[0:1]
	s_waitcnt lgkmcnt(0)
	; wave barrier
	scratch_load_dwordx4 v[2:5], off, off offset:176
	scratch_load_dwordx4 v[6:9], off, off offset:192
	;; [unrolled: 1-line block ×12, first 2 shown]
	ds_read_b128 v[110:113], v114 offset:608
	ds_read_b128 v[106:109], v114 offset:624
	;; [unrolled: 1-line block ×12, first 2 shown]
	scratch_load_dwordx4 v[62:65], off, off offset:368
	scratch_load_dwordx4 v[54:57], off, off offset:384
	scratch_load_dwordx4 v[42:45], off, off offset:400
	scratch_load_dwordx4 v[34:37], off, off offset:416
	scratch_load_dwordx2 v[116:117], off, off offset:168
	v_cmp_lt_u32_e32 vcc, 20, v0
	s_waitcnt vmcnt(16) lgkmcnt(11)
	v_mul_f32_e32 v115, v110, v3
	v_mul_f32_e32 v118, v112, v5
	;; [unrolled: 1-line block ×3, first 2 shown]
	v_fmac_f32_e32 v115, v111, v2
	s_waitcnt vmcnt(15) lgkmcnt(10)
	v_mul_f32_e32 v120, v106, v7
	v_fmac_f32_e32 v118, v113, v4
	v_fma_f32 v2, v110, v2, -v3
	v_add_f32_e32 v3, 0, v115
	v_mul_f32_e32 v122, v108, v9
	v_fmac_f32_e32 v120, v107, v6
	v_add_f32_e32 v3, v3, v118
	s_waitcnt vmcnt(14) lgkmcnt(9)
	v_mul_f32_e32 v123, v102, v11
	v_fmac_f32_e32 v122, v109, v8
	v_add_f32_e32 v3, v3, v120
	v_mul_f32_e32 v124, v104, v13
	v_fmac_f32_e32 v123, v103, v10
	v_add_f32_e32 v3, v3, v122
	s_waitcnt vmcnt(13) lgkmcnt(8)
	v_mul_f32_e32 v125, v98, v15
	v_fmac_f32_e32 v124, v105, v12
	;; [unrolled: 7-line block ×9, first 2 shown]
	v_add_f32_e32 v3, v3, v137
	v_mul_f32_e32 v140, v72, v53
	v_fmac_f32_e32 v139, v71, v50
	v_add_f32_e32 v3, v3, v138
	v_fmac_f32_e32 v140, v73, v52
	v_add_f32_e32 v3, v3, v139
	v_add_f32_e32 v111, v3, v140
	v_mul_f32_e32 v3, v113, v5
	v_add_f32_e32 v2, 0, v2
	v_fma_f32 v3, v112, v4, -v3
	v_add_f32_e32 v2, v2, v3
	v_mul_f32_e32 v3, v107, v7
	v_fma_f32 v3, v106, v6, -v3
	v_add_f32_e32 v2, v2, v3
	v_mul_f32_e32 v3, v109, v9
	;; [unrolled: 3-line block ×20, first 2 shown]
	v_fma_f32 v3, v72, v52, -v3
	v_add_f32_e32 v110, v2, v3
	s_waitcnt vmcnt(5) lgkmcnt(0)
	v_mul_f32_e32 v2, v67, v59
	v_fma_f32 v118, v66, v58, -v2
	v_mul_f32_e32 v2, v69, v61
	v_fma_f32 v120, v68, v60, -v2
	ds_read_b128 v[2:5], v114 offset:800
	ds_read_b128 v[6:9], v114 offset:816
	;; [unrolled: 1-line block ×4, first 2 shown]
	v_mul_f32_e32 v119, v66, v59
	v_mul_f32_e32 v121, v68, v61
	v_fmac_f32_e32 v119, v67, v58
	s_waitcnt vmcnt(4) lgkmcnt(3)
	v_pk_mul_f32 v[20:21], v[2:3], v[62:63] op_sel:[1,1] op_sel_hi:[0,1]
	v_fmac_f32_e32 v121, v69, v60
	v_pk_add_f32 v[18:19], v[110:111], v[118:119]
	v_pk_fma_f32 v[22:23], v[2:3], v[62:63], v[20:21] neg_lo:[0,0,1] neg_hi:[0,0,1]
	v_pk_fma_f32 v[2:3], v[2:3], v[62:63], v[20:21] op_sel_hi:[1,0,1]
	v_pk_add_f32 v[18:19], v[18:19], v[120:121]
	v_mov_b32_e32 v23, v3
	v_pk_add_f32 v[2:3], v[18:19], v[22:23]
	v_mov_b32_e32 v18, v65
	v_pk_mul_f32 v[18:19], v[4:5], v[18:19] op_sel:[1,0] op_sel_hi:[0,0]
	v_pk_fma_f32 v[20:21], v[4:5], v[64:65], v[18:19] neg_lo:[0,0,1] neg_hi:[0,0,1]
	v_pk_fma_f32 v[4:5], v[4:5], v[64:65], v[18:19] op_sel_hi:[1,0,1]
	s_nop 0
	v_mov_b32_e32 v21, v5
	s_waitcnt vmcnt(3) lgkmcnt(2)
	v_pk_mul_f32 v[4:5], v[6:7], v[54:55] op_sel:[1,1] op_sel_hi:[0,1]
	v_pk_fma_f32 v[18:19], v[6:7], v[54:55], v[4:5] neg_lo:[0,0,1] neg_hi:[0,0,1]
	v_pk_fma_f32 v[4:5], v[6:7], v[54:55], v[4:5] op_sel_hi:[1,0,1]
	v_pk_add_f32 v[2:3], v[2:3], v[20:21]
	v_mov_b32_e32 v4, v57
	v_mov_b32_e32 v19, v5
	v_pk_mul_f32 v[4:5], v[8:9], v[4:5] op_sel:[1,0] op_sel_hi:[0,0]
	v_pk_fma_f32 v[6:7], v[8:9], v[56:57], v[4:5] neg_lo:[0,0,1] neg_hi:[0,0,1]
	v_pk_fma_f32 v[4:5], v[8:9], v[56:57], v[4:5] op_sel_hi:[1,0,1]
	v_pk_add_f32 v[2:3], v[2:3], v[18:19]
	v_mov_b32_e32 v7, v5
	s_waitcnt vmcnt(2) lgkmcnt(1)
	v_pk_mul_f32 v[4:5], v[10:11], v[42:43] op_sel:[1,1] op_sel_hi:[0,1]
	v_pk_add_f32 v[2:3], v[2:3], v[6:7]
	v_pk_fma_f32 v[6:7], v[10:11], v[42:43], v[4:5] neg_lo:[0,0,1] neg_hi:[0,0,1]
	v_pk_fma_f32 v[4:5], v[10:11], v[42:43], v[4:5] op_sel_hi:[1,0,1]
	s_nop 0
	v_mov_b32_e32 v4, v45
	v_mov_b32_e32 v7, v5
	v_pk_mul_f32 v[4:5], v[12:13], v[4:5] op_sel:[1,0] op_sel_hi:[0,0]
	v_pk_add_f32 v[2:3], v[2:3], v[6:7]
	v_pk_fma_f32 v[6:7], v[12:13], v[44:45], v[4:5] neg_lo:[0,0,1] neg_hi:[0,0,1]
	v_pk_fma_f32 v[4:5], v[12:13], v[44:45], v[4:5] op_sel_hi:[1,0,1]
	s_nop 0
	v_mov_b32_e32 v7, v5
	s_waitcnt vmcnt(1) lgkmcnt(0)
	v_pk_mul_f32 v[4:5], v[14:15], v[34:35] op_sel:[1,1] op_sel_hi:[0,1]
	v_pk_add_f32 v[2:3], v[2:3], v[6:7]
	v_pk_fma_f32 v[6:7], v[14:15], v[34:35], v[4:5] neg_lo:[0,0,1] neg_hi:[0,0,1]
	v_pk_fma_f32 v[4:5], v[14:15], v[34:35], v[4:5] op_sel_hi:[1,0,1]
	s_nop 0
	v_mov_b32_e32 v4, v37
	v_mov_b32_e32 v7, v5
	v_pk_mul_f32 v[4:5], v[16:17], v[4:5] op_sel:[1,0] op_sel_hi:[0,0]
	v_pk_add_f32 v[2:3], v[2:3], v[6:7]
	v_pk_fma_f32 v[6:7], v[16:17], v[36:37], v[4:5] neg_lo:[0,0,1] neg_hi:[0,0,1]
	v_pk_fma_f32 v[4:5], v[16:17], v[36:37], v[4:5] op_sel_hi:[1,0,1]
	s_nop 0
	v_mov_b32_e32 v7, v5
	v_pk_add_f32 v[2:3], v[2:3], v[6:7]
	s_waitcnt vmcnt(0)
	v_pk_add_f32 v[2:3], v[116:117], v[2:3] neg_lo:[0,1] neg_hi:[0,1]
	scratch_store_dwordx2 off, v[2:3], off offset:168
	s_and_saveexec_b64 s[0:1], vcc
	s_cbranch_execz .LBB117_297
; %bb.296:
	scratch_load_dwordx2 v[2:3], off, off offset:160
	v_mov_b32_e32 v4, 0
	v_mov_b32_e32 v5, v4
	scratch_store_dwordx2 off, v[4:5], off offset:160
	s_waitcnt vmcnt(1)
	ds_write_b64 v1, v[2:3]
.LBB117_297:
	s_or_b64 exec, exec, s[0:1]
	s_waitcnt lgkmcnt(0)
	; wave barrier
	scratch_load_dwordx4 v[2:5], off, off offset:168
	scratch_load_dwordx4 v[6:9], off, off offset:184
	;; [unrolled: 1-line block ×13, first 2 shown]
	v_mov_b32_e32 v106, 0
	scratch_load_dwordx2 v[124:125], off, off offset:160
	ds_read2_b64 v[54:57], v106 offset0:75 offset1:76
	ds_read2_b64 v[58:61], v106 offset0:77 offset1:78
	;; [unrolled: 1-line block ×14, first 2 shown]
	v_cmp_lt_u32_e32 vcc, 19, v0
	s_waitcnt vmcnt(13) lgkmcnt(13)
	v_mul_f32_e32 v107, v54, v3
	v_mul_f32_e32 v112, v56, v5
	v_fmac_f32_e32 v107, v55, v2
	s_waitcnt vmcnt(12) lgkmcnt(12)
	v_mul_f32_e32 v113, v58, v7
	v_fmac_f32_e32 v112, v57, v4
	v_add_f32_e32 v107, 0, v107
	v_mul_f32_e32 v114, v60, v9
	v_fmac_f32_e32 v113, v59, v6
	v_add_f32_e32 v107, v107, v112
	s_waitcnt vmcnt(11) lgkmcnt(11)
	v_mul_f32_e32 v115, v62, v11
	v_fmac_f32_e32 v114, v61, v8
	v_add_f32_e32 v107, v107, v113
	v_mul_f32_e32 v116, v64, v13
	v_fmac_f32_e32 v115, v63, v10
	v_add_f32_e32 v107, v107, v114
	;; [unrolled: 7-line block ×8, first 2 shown]
	s_waitcnt vmcnt(4) lgkmcnt(4)
	v_mul_f32_e32 v133, v90, v39
	v_fmac_f32_e32 v132, v89, v36
	v_add_f32_e32 v107, v107, v131
	v_fmac_f32_e32 v133, v91, v38
	v_add_f32_e32 v107, v107, v132
	v_add_f32_e32 v107, v107, v133
	scratch_load_dwordx4 v[112:115], off, off offset:376
	scratch_load_dwordx4 v[116:119], off, off offset:392
	;; [unrolled: 1-line block ×3, first 2 shown]
	scratch_load_dwordx2 v[132:133], off, off offset:424
	v_mul_f32_e32 v3, v55, v3
	v_fma_f32 v2, v54, v2, -v3
	v_mul_f32_e32 v3, v57, v5
	v_add_f32_e32 v2, 0, v2
	v_fma_f32 v3, v56, v4, -v3
	v_add_f32_e32 v2, v2, v3
	v_mul_f32_e32 v3, v59, v7
	v_fma_f32 v3, v58, v6, -v3
	v_add_f32_e32 v2, v2, v3
	v_mul_f32_e32 v3, v61, v9
	v_fma_f32 v3, v60, v8, -v3
	v_add_f32_e32 v2, v2, v3
	v_mul_f32_e32 v3, v63, v11
	v_fma_f32 v3, v62, v10, -v3
	v_add_f32_e32 v2, v2, v3
	v_mul_f32_e32 v3, v65, v13
	v_fma_f32 v3, v64, v12, -v3
	v_add_f32_e32 v2, v2, v3
	v_mul_f32_e32 v3, v67, v15
	v_fma_f32 v3, v66, v14, -v3
	v_add_f32_e32 v2, v2, v3
	v_mul_f32_e32 v3, v69, v17
	v_fma_f32 v3, v68, v16, -v3
	v_add_f32_e32 v2, v2, v3
	v_mul_f32_e32 v3, v71, v19
	v_fma_f32 v3, v70, v18, -v3
	v_add_f32_e32 v2, v2, v3
	v_mul_f32_e32 v3, v73, v21
	v_fma_f32 v3, v72, v20, -v3
	v_add_f32_e32 v2, v2, v3
	v_mul_f32_e32 v3, v75, v23
	v_fma_f32 v3, v74, v22, -v3
	v_add_f32_e32 v2, v2, v3
	v_mul_f32_e32 v3, v77, v25
	v_fma_f32 v3, v76, v24, -v3
	v_add_f32_e32 v2, v2, v3
	v_mul_f32_e32 v3, v79, v27
	v_fma_f32 v3, v78, v26, -v3
	v_add_f32_e32 v2, v2, v3
	v_mul_f32_e32 v3, v81, v29
	v_fma_f32 v3, v80, v28, -v3
	v_add_f32_e32 v2, v2, v3
	v_mul_f32_e32 v3, v83, v31
	v_fma_f32 v3, v82, v30, -v3
	v_add_f32_e32 v2, v2, v3
	v_mul_f32_e32 v3, v85, v33
	v_fma_f32 v3, v84, v32, -v3
	v_add_f32_e32 v2, v2, v3
	v_mul_f32_e32 v3, v87, v35
	v_fma_f32 v3, v86, v34, -v3
	v_add_f32_e32 v2, v2, v3
	v_mul_f32_e32 v3, v89, v37
	v_fma_f32 v3, v88, v36, -v3
	v_add_f32_e32 v2, v2, v3
	v_mul_f32_e32 v3, v91, v39
	v_fma_f32 v3, v90, v38, -v3
	v_add_f32_e32 v2, v2, v3
	v_mul_f32_e32 v3, v93, v41
	v_fma_f32 v3, v92, v40, -v3
	v_add_f32_e32 v2, v2, v3
	s_waitcnt vmcnt(7) lgkmcnt(3)
	v_mul_f32_e32 v3, v95, v43
	v_fma_f32 v3, v94, v42, -v3
	v_mul_f32_e32 v134, v92, v41
	v_add_f32_e32 v2, v2, v3
	v_mul_f32_e32 v3, v97, v45
	v_mul_f32_e32 v135, v94, v43
	v_fmac_f32_e32 v134, v93, v40
	v_fma_f32 v3, v96, v44, -v3
	v_mul_f32_e32 v136, v96, v45
	v_fmac_f32_e32 v135, v95, v42
	v_add_f32_e32 v107, v107, v134
	v_add_f32_e32 v2, v2, v3
	s_waitcnt vmcnt(6) lgkmcnt(2)
	v_mul_f32_e32 v3, v99, v47
	v_mul_f32_e32 v137, v98, v47
	v_fmac_f32_e32 v136, v97, v44
	v_add_f32_e32 v107, v107, v135
	v_fma_f32 v3, v98, v46, -v3
	v_mul_f32_e32 v127, v100, v49
	v_fmac_f32_e32 v137, v99, v46
	v_add_f32_e32 v107, v107, v136
	v_add_f32_e32 v130, v2, v3
	v_mul_f32_e32 v2, v101, v49
	s_waitcnt vmcnt(5)
	v_mov_b32_e32 v14, v53
	s_waitcnt lgkmcnt(1)
	v_mul_f32_e32 v129, v102, v51
	v_fmac_f32_e32 v127, v101, v48
	v_add_f32_e32 v131, v107, v137
	v_fma_f32 v126, v100, v48, -v2
	v_mul_f32_e32 v2, v103, v51
	v_pk_mul_f32 v[14:15], v[104:105], v[14:15] op_sel:[1,0] op_sel_hi:[0,0]
	v_fmac_f32_e32 v129, v103, v50
	v_fma_f32 v128, v102, v50, -v2
	v_pk_add_f32 v[12:13], v[130:131], v[126:127]
	v_pk_fma_f32 v[16:17], v[104:105], v[52:53], v[14:15] neg_lo:[0,0,1] neg_hi:[0,0,1]
	v_pk_fma_f32 v[14:15], v[104:105], v[52:53], v[14:15] op_sel_hi:[1,0,1]
	v_pk_add_f32 v[12:13], v[12:13], v[128:129]
	v_mov_b32_e32 v17, v15
	s_waitcnt vmcnt(3) lgkmcnt(0)
	v_pk_mul_f32 v[14:15], v[108:109], v[112:113] op_sel:[1,1] op_sel_hi:[0,1]
	v_pk_add_f32 v[12:13], v[12:13], v[16:17]
	v_pk_fma_f32 v[16:17], v[108:109], v[112:113], v[14:15] neg_lo:[0,0,1] neg_hi:[0,0,1]
	v_pk_fma_f32 v[14:15], v[108:109], v[112:113], v[14:15] op_sel_hi:[1,0,1]
	ds_read2_b64 v[2:5], v106 offset0:103 offset1:104
	ds_read2_b64 v[6:9], v106 offset0:105 offset1:106
	ds_read_b64 v[10:11], v106 offset:856
	v_mov_b32_e32 v14, v115
	v_mov_b32_e32 v17, v15
	v_pk_mul_f32 v[14:15], v[110:111], v[14:15] op_sel:[1,0] op_sel_hi:[0,0]
	v_pk_add_f32 v[12:13], v[12:13], v[16:17]
	v_pk_fma_f32 v[16:17], v[110:111], v[114:115], v[14:15] neg_lo:[0,0,1] neg_hi:[0,0,1]
	v_pk_fma_f32 v[14:15], v[110:111], v[114:115], v[14:15] op_sel_hi:[1,0,1]
	s_nop 0
	v_mov_b32_e32 v17, v15
	s_waitcnt vmcnt(2) lgkmcnt(2)
	v_pk_mul_f32 v[14:15], v[2:3], v[116:117] op_sel:[1,1] op_sel_hi:[0,1]
	v_pk_add_f32 v[12:13], v[12:13], v[16:17]
	v_pk_fma_f32 v[16:17], v[2:3], v[116:117], v[14:15] neg_lo:[0,0,1] neg_hi:[0,0,1]
	v_pk_fma_f32 v[2:3], v[2:3], v[116:117], v[14:15] op_sel_hi:[1,0,1]
	s_nop 0
	v_mov_b32_e32 v17, v3
	v_pk_add_f32 v[2:3], v[12:13], v[16:17]
	v_mov_b32_e32 v12, v119
	v_pk_mul_f32 v[12:13], v[4:5], v[12:13] op_sel:[1,0] op_sel_hi:[0,0]
	v_pk_fma_f32 v[14:15], v[4:5], v[118:119], v[12:13] neg_lo:[0,0,1] neg_hi:[0,0,1]
	v_pk_fma_f32 v[4:5], v[4:5], v[118:119], v[12:13] op_sel_hi:[1,0,1]
	s_nop 0
	v_mov_b32_e32 v15, v5
	s_waitcnt vmcnt(1) lgkmcnt(1)
	v_pk_mul_f32 v[4:5], v[6:7], v[120:121] op_sel:[1,1] op_sel_hi:[0,1]
	v_pk_fma_f32 v[12:13], v[6:7], v[120:121], v[4:5] neg_lo:[0,0,1] neg_hi:[0,0,1]
	v_pk_fma_f32 v[4:5], v[6:7], v[120:121], v[4:5] op_sel_hi:[1,0,1]
	v_pk_add_f32 v[2:3], v[2:3], v[14:15]
	v_mov_b32_e32 v4, v123
	v_mov_b32_e32 v13, v5
	v_pk_mul_f32 v[4:5], v[8:9], v[4:5] op_sel:[1,0] op_sel_hi:[0,0]
	v_pk_fma_f32 v[6:7], v[8:9], v[122:123], v[4:5] neg_lo:[0,0,1] neg_hi:[0,0,1]
	v_pk_fma_f32 v[4:5], v[8:9], v[122:123], v[4:5] op_sel_hi:[1,0,1]
	v_pk_add_f32 v[2:3], v[2:3], v[12:13]
	v_mov_b32_e32 v7, v5
	s_waitcnt vmcnt(0) lgkmcnt(0)
	v_pk_mul_f32 v[4:5], v[10:11], v[132:133] op_sel:[1,1] op_sel_hi:[0,1]
	v_pk_add_f32 v[2:3], v[2:3], v[6:7]
	v_pk_fma_f32 v[6:7], v[10:11], v[132:133], v[4:5] neg_lo:[0,0,1] neg_hi:[0,0,1]
	v_pk_fma_f32 v[4:5], v[10:11], v[132:133], v[4:5] op_sel_hi:[1,0,1]
	s_nop 0
	v_mov_b32_e32 v7, v5
	v_pk_add_f32 v[2:3], v[2:3], v[6:7]
	s_nop 0
	v_pk_add_f32 v[2:3], v[124:125], v[2:3] neg_lo:[0,1] neg_hi:[0,1]
	scratch_store_dwordx2 off, v[2:3], off offset:160
	s_and_saveexec_b64 s[0:1], vcc
	s_cbranch_execz .LBB117_299
; %bb.298:
	scratch_load_dwordx2 v[2:3], off, off offset:152
	v_mov_b32_e32 v107, v106
	scratch_store_dwordx2 off, v[106:107], off offset:152
	s_waitcnt vmcnt(1)
	ds_write_b64 v1, v[2:3]
.LBB117_299:
	s_or_b64 exec, exec, s[0:1]
	s_waitcnt lgkmcnt(0)
	; wave barrier
	scratch_load_dwordx4 v[2:5], off, off offset:160
	scratch_load_dwordx4 v[6:9], off, off offset:176
	;; [unrolled: 1-line block ×13, first 2 shown]
	ds_read_b128 v[102:105], v106 offset:592
	ds_read_b128 v[98:101], v106 offset:608
	;; [unrolled: 1-line block ×14, first 2 shown]
	scratch_load_dwordx2 v[128:129], off, off offset:152
	v_cmp_lt_u32_e32 vcc, 18, v0
	s_waitcnt vmcnt(13) lgkmcnt(13)
	v_mul_f32_e32 v107, v102, v3
	v_mul_f32_e32 v112, v104, v5
	v_fmac_f32_e32 v107, v103, v2
	s_waitcnt vmcnt(12) lgkmcnt(12)
	v_mul_f32_e32 v113, v98, v7
	v_fmac_f32_e32 v112, v105, v4
	v_add_f32_e32 v107, 0, v107
	v_mul_f32_e32 v114, v100, v9
	v_fmac_f32_e32 v113, v99, v6
	v_add_f32_e32 v107, v107, v112
	s_waitcnt vmcnt(11) lgkmcnt(11)
	v_mul_f32_e32 v115, v94, v11
	v_fmac_f32_e32 v114, v101, v8
	v_add_f32_e32 v107, v107, v113
	v_mul_f32_e32 v116, v96, v13
	v_fmac_f32_e32 v115, v95, v10
	v_add_f32_e32 v107, v107, v114
	;; [unrolled: 7-line block ×7, first 2 shown]
	s_waitcnt vmcnt(5) lgkmcnt(5)
	v_mul_f32_e32 v127, v70, v35
	v_fmac_f32_e32 v126, v77, v32
	v_add_f32_e32 v107, v107, v125
	v_fmac_f32_e32 v127, v71, v34
	v_add_f32_e32 v107, v107, v126
	v_add_f32_e32 v107, v107, v127
	scratch_load_dwordx4 v[112:115], off, off offset:368
	scratch_load_dwordx4 v[116:119], off, off offset:384
	;; [unrolled: 1-line block ×4, first 2 shown]
	v_mul_f32_e32 v3, v103, v3
	v_fma_f32 v2, v102, v2, -v3
	v_mul_f32_e32 v3, v105, v5
	v_add_f32_e32 v2, 0, v2
	v_fma_f32 v3, v104, v4, -v3
	v_add_f32_e32 v2, v2, v3
	v_mul_f32_e32 v3, v99, v7
	v_fma_f32 v3, v98, v6, -v3
	v_add_f32_e32 v2, v2, v3
	v_mul_f32_e32 v3, v101, v9
	;; [unrolled: 3-line block ×16, first 2 shown]
	v_fma_f32 v3, v72, v36, -v3
	v_add_f32_e32 v2, v2, v3
	s_waitcnt vmcnt(8) lgkmcnt(4)
	v_mul_f32_e32 v3, v67, v39
	v_fma_f32 v3, v66, v38, -v3
	v_add_f32_e32 v2, v2, v3
	v_mul_f32_e32 v3, v69, v41
	v_fma_f32 v3, v68, v40, -v3
	v_add_f32_e32 v2, v2, v3
	s_waitcnt vmcnt(7) lgkmcnt(3)
	v_mul_f32_e32 v3, v63, v43
	v_mul_f32_e32 v130, v72, v37
	v_fma_f32 v3, v62, v42, -v3
	v_mul_f32_e32 v132, v66, v39
	v_fmac_f32_e32 v130, v73, v36
	v_add_f32_e32 v2, v2, v3
	v_mul_f32_e32 v3, v65, v45
	v_mul_f32_e32 v134, v68, v41
	v_fmac_f32_e32 v132, v67, v38
	v_add_f32_e32 v107, v107, v130
	v_fma_f32 v3, v64, v44, -v3
	v_mul_f32_e32 v135, v62, v43
	v_fmac_f32_e32 v134, v69, v40
	v_add_f32_e32 v107, v107, v132
	v_add_f32_e32 v2, v2, v3
	s_waitcnt vmcnt(6) lgkmcnt(2)
	v_mul_f32_e32 v3, v59, v47
	v_mul_f32_e32 v136, v64, v45
	v_fmac_f32_e32 v135, v63, v42
	v_add_f32_e32 v107, v107, v134
	v_fma_f32 v3, v58, v46, -v3
	v_mul_f32_e32 v137, v58, v47
	v_fmac_f32_e32 v136, v65, v44
	v_add_f32_e32 v107, v107, v135
	v_add_f32_e32 v2, v2, v3
	v_mul_f32_e32 v3, v61, v49
	v_mul_f32_e32 v138, v60, v49
	v_fmac_f32_e32 v137, v59, v46
	v_add_f32_e32 v107, v107, v136
	v_fma_f32 v3, v60, v48, -v3
	s_waitcnt vmcnt(5) lgkmcnt(1)
	v_mul_f32_e32 v131, v54, v51
	v_fmac_f32_e32 v138, v61, v48
	v_add_f32_e32 v107, v107, v137
	v_add_f32_e32 v134, v2, v3
	v_mul_f32_e32 v2, v55, v51
	s_waitcnt vmcnt(3) lgkmcnt(0)
	v_pk_mul_f32 v[16:17], v[108:109], v[112:113] op_sel:[1,1] op_sel_hi:[0,1]
	v_mul_f32_e32 v133, v56, v53
	v_fmac_f32_e32 v131, v55, v50
	v_add_f32_e32 v135, v107, v138
	v_fma_f32 v130, v54, v50, -v2
	v_mul_f32_e32 v2, v57, v53
	v_pk_fma_f32 v[18:19], v[108:109], v[112:113], v[16:17] neg_lo:[0,0,1] neg_hi:[0,0,1]
	v_pk_fma_f32 v[16:17], v[108:109], v[112:113], v[16:17] op_sel_hi:[1,0,1]
	v_fmac_f32_e32 v133, v57, v52
	v_fma_f32 v132, v56, v52, -v2
	ds_read_b128 v[2:5], v106 offset:816
	ds_read_b128 v[6:9], v106 offset:832
	;; [unrolled: 1-line block ×3, first 2 shown]
	v_pk_add_f32 v[14:15], v[134:135], v[130:131]
	v_mov_b32_e32 v16, v115
	v_pk_add_f32 v[14:15], v[14:15], v[132:133]
	v_mov_b32_e32 v19, v17
	v_pk_mul_f32 v[16:17], v[110:111], v[16:17] op_sel:[1,0] op_sel_hi:[0,0]
	v_pk_add_f32 v[14:15], v[14:15], v[18:19]
	v_pk_fma_f32 v[18:19], v[110:111], v[114:115], v[16:17] neg_lo:[0,0,1] neg_hi:[0,0,1]
	v_pk_fma_f32 v[16:17], v[110:111], v[114:115], v[16:17] op_sel_hi:[1,0,1]
	s_nop 0
	v_mov_b32_e32 v19, v17
	s_waitcnt vmcnt(2) lgkmcnt(2)
	v_pk_mul_f32 v[16:17], v[2:3], v[116:117] op_sel:[1,1] op_sel_hi:[0,1]
	v_pk_add_f32 v[14:15], v[14:15], v[18:19]
	v_pk_fma_f32 v[18:19], v[2:3], v[116:117], v[16:17] neg_lo:[0,0,1] neg_hi:[0,0,1]
	v_pk_fma_f32 v[2:3], v[2:3], v[116:117], v[16:17] op_sel_hi:[1,0,1]
	s_nop 0
	v_mov_b32_e32 v19, v3
	v_pk_add_f32 v[2:3], v[14:15], v[18:19]
	v_mov_b32_e32 v14, v119
	v_pk_mul_f32 v[14:15], v[4:5], v[14:15] op_sel:[1,0] op_sel_hi:[0,0]
	v_pk_fma_f32 v[16:17], v[4:5], v[118:119], v[14:15] neg_lo:[0,0,1] neg_hi:[0,0,1]
	v_pk_fma_f32 v[4:5], v[4:5], v[118:119], v[14:15] op_sel_hi:[1,0,1]
	s_nop 0
	v_mov_b32_e32 v17, v5
	s_waitcnt vmcnt(1) lgkmcnt(1)
	v_pk_mul_f32 v[4:5], v[6:7], v[120:121] op_sel:[1,1] op_sel_hi:[0,1]
	v_pk_fma_f32 v[14:15], v[6:7], v[120:121], v[4:5] neg_lo:[0,0,1] neg_hi:[0,0,1]
	v_pk_fma_f32 v[4:5], v[6:7], v[120:121], v[4:5] op_sel_hi:[1,0,1]
	v_pk_add_f32 v[2:3], v[2:3], v[16:17]
	v_mov_b32_e32 v4, v123
	v_mov_b32_e32 v15, v5
	v_pk_mul_f32 v[4:5], v[8:9], v[4:5] op_sel:[1,0] op_sel_hi:[0,0]
	v_pk_fma_f32 v[6:7], v[8:9], v[122:123], v[4:5] neg_lo:[0,0,1] neg_hi:[0,0,1]
	v_pk_fma_f32 v[4:5], v[8:9], v[122:123], v[4:5] op_sel_hi:[1,0,1]
	v_pk_add_f32 v[2:3], v[2:3], v[14:15]
	v_mov_b32_e32 v7, v5
	s_waitcnt vmcnt(0) lgkmcnt(0)
	v_pk_mul_f32 v[4:5], v[10:11], v[124:125] op_sel:[1,1] op_sel_hi:[0,1]
	v_pk_add_f32 v[2:3], v[2:3], v[6:7]
	v_pk_fma_f32 v[6:7], v[10:11], v[124:125], v[4:5] neg_lo:[0,0,1] neg_hi:[0,0,1]
	v_pk_fma_f32 v[4:5], v[10:11], v[124:125], v[4:5] op_sel_hi:[1,0,1]
	s_nop 0
	v_mov_b32_e32 v4, v127
	v_mov_b32_e32 v7, v5
	v_pk_mul_f32 v[4:5], v[12:13], v[4:5] op_sel:[1,0] op_sel_hi:[0,0]
	v_pk_add_f32 v[2:3], v[2:3], v[6:7]
	v_pk_fma_f32 v[6:7], v[12:13], v[126:127], v[4:5] neg_lo:[0,0,1] neg_hi:[0,0,1]
	v_pk_fma_f32 v[4:5], v[12:13], v[126:127], v[4:5] op_sel_hi:[1,0,1]
	s_nop 0
	v_mov_b32_e32 v7, v5
	v_pk_add_f32 v[2:3], v[2:3], v[6:7]
	s_nop 0
	v_pk_add_f32 v[2:3], v[128:129], v[2:3] neg_lo:[0,1] neg_hi:[0,1]
	scratch_store_dwordx2 off, v[2:3], off offset:152
	s_and_saveexec_b64 s[0:1], vcc
	s_cbranch_execz .LBB117_301
; %bb.300:
	scratch_load_dwordx2 v[2:3], off, off offset:144
	v_mov_b32_e32 v4, 0
	v_mov_b32_e32 v5, v4
	scratch_store_dwordx2 off, v[4:5], off offset:144
	s_waitcnt vmcnt(1)
	ds_write_b64 v1, v[2:3]
.LBB117_301:
	s_or_b64 exec, exec, s[0:1]
	s_waitcnt lgkmcnt(0)
	; wave barrier
	scratch_load_dwordx4 v[2:5], off, off offset:152
	scratch_load_dwordx4 v[6:9], off, off offset:168
	;; [unrolled: 1-line block ×13, first 2 shown]
	v_mov_b32_e32 v114, 0
	scratch_load_dwordx4 v[54:57], off, off offset:360
	scratch_load_dwordx2 v[128:129], off, off offset:144
	ds_read2_b64 v[58:61], v114 offset0:73 offset1:74
	ds_read2_b64 v[62:65], v114 offset0:75 offset1:76
	;; [unrolled: 1-line block ×14, first 2 shown]
	v_cmp_lt_u32_e32 vcc, 17, v0
	s_waitcnt vmcnt(14) lgkmcnt(13)
	v_mul_f32_e32 v115, v58, v3
	v_mul_f32_e32 v116, v60, v5
	v_fmac_f32_e32 v115, v59, v2
	s_waitcnt vmcnt(13) lgkmcnt(12)
	v_mul_f32_e32 v117, v62, v7
	v_fmac_f32_e32 v116, v61, v4
	v_add_f32_e32 v115, 0, v115
	v_mul_f32_e32 v118, v64, v9
	v_fmac_f32_e32 v117, v63, v6
	v_add_f32_e32 v115, v115, v116
	s_waitcnt vmcnt(12) lgkmcnt(11)
	v_mul_f32_e32 v119, v66, v11
	v_fmac_f32_e32 v118, v65, v8
	v_add_f32_e32 v115, v115, v117
	v_mul_f32_e32 v120, v68, v13
	v_fmac_f32_e32 v119, v67, v10
	v_add_f32_e32 v115, v115, v118
	;; [unrolled: 7-line block ×6, first 2 shown]
	s_waitcnt vmcnt(7) lgkmcnt(6)
	v_mul_f32_e32 v131, v86, v31
	v_fmac_f32_e32 v130, v85, v28
	v_add_f32_e32 v115, v115, v127
	scratch_load_dwordx4 v[116:119], off, off offset:376
	v_mul_f32_e32 v132, v88, v33
	v_fmac_f32_e32 v131, v87, v30
	v_add_f32_e32 v115, v115, v130
	s_waitcnt vmcnt(7) lgkmcnt(5)
	v_mul_f32_e32 v133, v90, v35
	v_fmac_f32_e32 v132, v89, v32
	v_add_f32_e32 v115, v115, v131
	v_mul_f32_e32 v134, v92, v37
	v_fmac_f32_e32 v133, v91, v34
	v_add_f32_e32 v115, v115, v132
	s_waitcnt vmcnt(6) lgkmcnt(4)
	v_mul_f32_e32 v135, v94, v39
	v_fmac_f32_e32 v134, v93, v36
	v_add_f32_e32 v115, v115, v133
	;; [unrolled: 7-line block ×3, first 2 shown]
	v_fmac_f32_e32 v137, v99, v42
	v_add_f32_e32 v115, v115, v136
	v_add_f32_e32 v115, v115, v137
	scratch_load_dwordx4 v[120:123], off, off offset:392
	scratch_load_dwordx4 v[124:127], off, off offset:408
	scratch_load_dwordx2 v[136:137], off, off offset:424
	v_mul_f32_e32 v3, v59, v3
	v_fma_f32 v2, v58, v2, -v3
	v_mul_f32_e32 v3, v61, v5
	v_add_f32_e32 v2, 0, v2
	v_fma_f32 v3, v60, v4, -v3
	v_add_f32_e32 v2, v2, v3
	v_mul_f32_e32 v3, v63, v7
	v_fma_f32 v3, v62, v6, -v3
	v_add_f32_e32 v2, v2, v3
	v_mul_f32_e32 v3, v65, v9
	;; [unrolled: 3-line block ×20, first 2 shown]
	v_fma_f32 v3, v100, v44, -v3
	v_add_f32_e32 v2, v2, v3
	s_waitcnt vmcnt(7) lgkmcnt(2)
	v_mul_f32_e32 v3, v103, v47
	v_fma_f32 v3, v102, v46, -v3
	v_add_f32_e32 v2, v2, v3
	v_mul_f32_e32 v3, v105, v49
	v_mul_f32_e32 v138, v100, v45
	v_fma_f32 v3, v104, v48, -v3
	v_mul_f32_e32 v139, v102, v47
	v_fmac_f32_e32 v138, v101, v44
	v_add_f32_e32 v2, v2, v3
	s_waitcnt vmcnt(6) lgkmcnt(1)
	v_mul_f32_e32 v3, v107, v51
	v_mul_f32_e32 v140, v104, v49
	v_fmac_f32_e32 v139, v103, v46
	v_add_f32_e32 v115, v115, v138
	v_fma_f32 v3, v106, v50, -v3
	v_mul_f32_e32 v141, v106, v51
	v_fmac_f32_e32 v140, v105, v48
	v_add_f32_e32 v115, v115, v139
	v_add_f32_e32 v130, v2, v3
	v_mul_f32_e32 v2, v109, v53
	v_fmac_f32_e32 v141, v107, v50
	v_add_f32_e32 v115, v115, v140
	v_mul_f32_e32 v133, v108, v53
	v_fma_f32 v132, v108, v52, -v2
	s_waitcnt vmcnt(5) lgkmcnt(0)
	v_mul_f32_e32 v2, v111, v55
	v_mov_b32_e32 v18, v57
	v_add_f32_e32 v131, v115, v141
	v_fmac_f32_e32 v133, v109, v52
	v_mul_f32_e32 v135, v110, v55
	v_fma_f32 v134, v110, v54, -v2
	ds_read2_b64 v[2:5], v114 offset0:101 offset1:102
	ds_read2_b64 v[6:9], v114 offset0:103 offset1:104
	;; [unrolled: 1-line block ×3, first 2 shown]
	ds_read_b64 v[14:15], v114 offset:856
	v_pk_mul_f32 v[18:19], v[112:113], v[18:19] op_sel:[1,0] op_sel_hi:[0,0]
	v_fmac_f32_e32 v135, v111, v54
	v_pk_add_f32 v[16:17], v[130:131], v[132:133]
	v_pk_fma_f32 v[20:21], v[112:113], v[56:57], v[18:19] neg_lo:[0,0,1] neg_hi:[0,0,1]
	v_pk_fma_f32 v[18:19], v[112:113], v[56:57], v[18:19] op_sel_hi:[1,0,1]
	v_pk_add_f32 v[16:17], v[16:17], v[134:135]
	v_mov_b32_e32 v21, v19
	s_waitcnt vmcnt(3) lgkmcnt(3)
	v_pk_mul_f32 v[18:19], v[2:3], v[116:117] op_sel:[1,1] op_sel_hi:[0,1]
	v_pk_add_f32 v[16:17], v[16:17], v[20:21]
	v_pk_fma_f32 v[20:21], v[2:3], v[116:117], v[18:19] neg_lo:[0,0,1] neg_hi:[0,0,1]
	v_pk_fma_f32 v[2:3], v[2:3], v[116:117], v[18:19] op_sel_hi:[1,0,1]
	s_nop 0
	v_mov_b32_e32 v21, v3
	v_pk_add_f32 v[2:3], v[16:17], v[20:21]
	v_mov_b32_e32 v16, v119
	v_pk_mul_f32 v[16:17], v[4:5], v[16:17] op_sel:[1,0] op_sel_hi:[0,0]
	v_pk_fma_f32 v[18:19], v[4:5], v[118:119], v[16:17] neg_lo:[0,0,1] neg_hi:[0,0,1]
	v_pk_fma_f32 v[4:5], v[4:5], v[118:119], v[16:17] op_sel_hi:[1,0,1]
	s_nop 0
	v_mov_b32_e32 v19, v5
	s_waitcnt vmcnt(2) lgkmcnt(2)
	v_pk_mul_f32 v[4:5], v[6:7], v[120:121] op_sel:[1,1] op_sel_hi:[0,1]
	v_pk_fma_f32 v[16:17], v[6:7], v[120:121], v[4:5] neg_lo:[0,0,1] neg_hi:[0,0,1]
	v_pk_fma_f32 v[4:5], v[6:7], v[120:121], v[4:5] op_sel_hi:[1,0,1]
	v_pk_add_f32 v[2:3], v[2:3], v[18:19]
	v_mov_b32_e32 v4, v123
	v_mov_b32_e32 v17, v5
	v_pk_mul_f32 v[4:5], v[8:9], v[4:5] op_sel:[1,0] op_sel_hi:[0,0]
	v_pk_fma_f32 v[6:7], v[8:9], v[122:123], v[4:5] neg_lo:[0,0,1] neg_hi:[0,0,1]
	v_pk_fma_f32 v[4:5], v[8:9], v[122:123], v[4:5] op_sel_hi:[1,0,1]
	v_pk_add_f32 v[2:3], v[2:3], v[16:17]
	v_mov_b32_e32 v7, v5
	s_waitcnt vmcnt(1) lgkmcnt(1)
	v_pk_mul_f32 v[4:5], v[10:11], v[124:125] op_sel:[1,1] op_sel_hi:[0,1]
	v_pk_add_f32 v[2:3], v[2:3], v[6:7]
	v_pk_fma_f32 v[6:7], v[10:11], v[124:125], v[4:5] neg_lo:[0,0,1] neg_hi:[0,0,1]
	v_pk_fma_f32 v[4:5], v[10:11], v[124:125], v[4:5] op_sel_hi:[1,0,1]
	s_nop 0
	v_mov_b32_e32 v4, v127
	v_mov_b32_e32 v7, v5
	v_pk_mul_f32 v[4:5], v[12:13], v[4:5] op_sel:[1,0] op_sel_hi:[0,0]
	v_pk_add_f32 v[2:3], v[2:3], v[6:7]
	v_pk_fma_f32 v[6:7], v[12:13], v[126:127], v[4:5] neg_lo:[0,0,1] neg_hi:[0,0,1]
	v_pk_fma_f32 v[4:5], v[12:13], v[126:127], v[4:5] op_sel_hi:[1,0,1]
	s_nop 0
	v_mov_b32_e32 v7, v5
	s_waitcnt vmcnt(0) lgkmcnt(0)
	v_pk_mul_f32 v[4:5], v[14:15], v[136:137] op_sel:[1,1] op_sel_hi:[0,1]
	v_pk_add_f32 v[2:3], v[2:3], v[6:7]
	v_pk_fma_f32 v[6:7], v[14:15], v[136:137], v[4:5] neg_lo:[0,0,1] neg_hi:[0,0,1]
	v_pk_fma_f32 v[4:5], v[14:15], v[136:137], v[4:5] op_sel_hi:[1,0,1]
	s_nop 0
	v_mov_b32_e32 v7, v5
	v_pk_add_f32 v[2:3], v[2:3], v[6:7]
	s_nop 0
	v_pk_add_f32 v[2:3], v[128:129], v[2:3] neg_lo:[0,1] neg_hi:[0,1]
	scratch_store_dwordx2 off, v[2:3], off offset:144
	s_and_saveexec_b64 s[0:1], vcc
	s_cbranch_execz .LBB117_303
; %bb.302:
	scratch_load_dwordx2 v[2:3], off, off offset:136
	v_mov_b32_e32 v115, v114
	scratch_store_dwordx2 off, v[114:115], off offset:136
	s_waitcnt vmcnt(1)
	ds_write_b64 v1, v[2:3]
.LBB117_303:
	s_or_b64 exec, exec, s[0:1]
	s_waitcnt lgkmcnt(0)
	; wave barrier
	scratch_load_dwordx4 v[2:5], off, off offset:144
	scratch_load_dwordx4 v[6:9], off, off offset:160
	;; [unrolled: 1-line block ×13, first 2 shown]
	ds_read_b128 v[110:113], v114 offset:576
	ds_read_b128 v[106:109], v114 offset:592
	ds_read_b128 v[102:105], v114 offset:608
	ds_read_b128 v[98:101], v114 offset:624
	ds_read_b128 v[94:97], v114 offset:640
	ds_read_b128 v[90:93], v114 offset:656
	ds_read_b128 v[86:89], v114 offset:672
	ds_read_b128 v[82:85], v114 offset:688
	ds_read_b128 v[78:81], v114 offset:704
	ds_read_b128 v[74:77], v114 offset:720
	ds_read_b128 v[70:73], v114 offset:736
	ds_read_b128 v[62:65], v114 offset:752
	ds_read_b128 v[54:57], v114 offset:768
	ds_read_b128 v[58:61], v114 offset:784
	scratch_load_dwordx4 v[66:69], off, off offset:352
	scratch_load_dwordx2 v[132:133], off, off offset:136
	v_cmp_lt_u32_e32 vcc, 16, v0
	s_waitcnt vmcnt(14) lgkmcnt(13)
	v_mul_f32_e32 v115, v110, v3
	v_mul_f32_e32 v116, v112, v5
	v_fmac_f32_e32 v115, v111, v2
	s_waitcnt vmcnt(13) lgkmcnt(12)
	v_mul_f32_e32 v117, v106, v7
	v_fmac_f32_e32 v116, v113, v4
	v_add_f32_e32 v115, 0, v115
	v_mul_f32_e32 v118, v108, v9
	v_fmac_f32_e32 v117, v107, v6
	v_add_f32_e32 v115, v115, v116
	s_waitcnt vmcnt(12) lgkmcnt(11)
	v_mul_f32_e32 v119, v102, v11
	v_fmac_f32_e32 v118, v109, v8
	v_add_f32_e32 v115, v115, v117
	v_mul_f32_e32 v120, v104, v13
	v_fmac_f32_e32 v119, v103, v10
	v_add_f32_e32 v115, v115, v118
	s_waitcnt vmcnt(11) lgkmcnt(10)
	v_mul_f32_e32 v121, v98, v15
	v_fmac_f32_e32 v120, v105, v12
	v_add_f32_e32 v115, v115, v119
	v_mul_f32_e32 v122, v100, v17
	v_fmac_f32_e32 v121, v99, v14
	v_add_f32_e32 v115, v115, v120
	s_waitcnt vmcnt(10) lgkmcnt(9)
	v_mul_f32_e32 v123, v94, v19
	v_fmac_f32_e32 v122, v101, v16
	v_add_f32_e32 v115, v115, v121
	v_mul_f32_e32 v124, v96, v21
	v_fmac_f32_e32 v123, v95, v18
	v_add_f32_e32 v115, v115, v122
	s_waitcnt vmcnt(9) lgkmcnt(8)
	v_mul_f32_e32 v125, v90, v23
	v_fmac_f32_e32 v124, v97, v20
	v_add_f32_e32 v115, v115, v123
	scratch_load_dwordx4 v[116:119], off, off offset:368
	v_mul_f32_e32 v126, v92, v25
	v_fmac_f32_e32 v125, v91, v22
	v_add_f32_e32 v115, v115, v124
	s_waitcnt vmcnt(9) lgkmcnt(7)
	v_mul_f32_e32 v127, v86, v27
	v_fmac_f32_e32 v126, v93, v24
	v_add_f32_e32 v115, v115, v125
	v_mul_f32_e32 v128, v88, v29
	v_fmac_f32_e32 v127, v87, v26
	v_add_f32_e32 v115, v115, v126
	s_waitcnt vmcnt(8) lgkmcnt(6)
	v_mul_f32_e32 v129, v82, v31
	v_fmac_f32_e32 v128, v89, v28
	v_add_f32_e32 v115, v115, v127
	;; [unrolled: 7-line block ×3, first 2 shown]
	v_fmac_f32_e32 v131, v79, v34
	v_add_f32_e32 v115, v115, v130
	v_add_f32_e32 v115, v115, v131
	scratch_load_dwordx4 v[120:123], off, off offset:384
	scratch_load_dwordx4 v[124:127], off, off offset:400
	;; [unrolled: 1-line block ×3, first 2 shown]
	v_mul_f32_e32 v3, v111, v3
	v_fma_f32 v2, v110, v2, -v3
	v_mul_f32_e32 v3, v113, v5
	v_add_f32_e32 v2, 0, v2
	v_fma_f32 v3, v112, v4, -v3
	v_add_f32_e32 v2, v2, v3
	v_mul_f32_e32 v3, v107, v7
	v_fma_f32 v3, v106, v6, -v3
	v_add_f32_e32 v2, v2, v3
	v_mul_f32_e32 v3, v109, v9
	;; [unrolled: 3-line block ×16, first 2 shown]
	v_fma_f32 v3, v80, v36, -v3
	v_add_f32_e32 v2, v2, v3
	s_waitcnt vmcnt(9) lgkmcnt(4)
	v_mul_f32_e32 v3, v75, v39
	v_fma_f32 v3, v74, v38, -v3
	v_add_f32_e32 v2, v2, v3
	v_mul_f32_e32 v3, v77, v41
	v_fma_f32 v3, v76, v40, -v3
	v_add_f32_e32 v2, v2, v3
	s_waitcnt vmcnt(8) lgkmcnt(3)
	v_mul_f32_e32 v3, v71, v43
	v_fma_f32 v3, v70, v42, -v3
	v_add_f32_e32 v2, v2, v3
	v_mul_f32_e32 v3, v73, v45
	v_fma_f32 v3, v72, v44, -v3
	v_add_f32_e32 v2, v2, v3
	s_waitcnt vmcnt(7) lgkmcnt(2)
	v_mul_f32_e32 v3, v63, v47
	v_fma_f32 v3, v62, v46, -v3
	v_mul_f32_e32 v134, v80, v37
	v_add_f32_e32 v2, v2, v3
	v_mul_f32_e32 v3, v65, v49
	v_mul_f32_e32 v135, v74, v39
	v_fmac_f32_e32 v134, v81, v36
	v_fma_f32 v3, v64, v48, -v3
	v_mul_f32_e32 v136, v76, v41
	v_fmac_f32_e32 v135, v75, v38
	v_add_f32_e32 v115, v115, v134
	v_add_f32_e32 v2, v2, v3
	s_waitcnt vmcnt(6) lgkmcnt(1)
	v_mul_f32_e32 v3, v55, v51
	v_mul_f32_e32 v137, v70, v43
	v_fmac_f32_e32 v136, v77, v40
	v_add_f32_e32 v115, v115, v135
	v_fma_f32 v3, v54, v50, -v3
	v_mul_f32_e32 v138, v72, v45
	v_fmac_f32_e32 v137, v71, v42
	v_add_f32_e32 v115, v115, v136
	v_add_f32_e32 v2, v2, v3
	v_mul_f32_e32 v3, v57, v53
	v_mul_f32_e32 v139, v62, v47
	v_fmac_f32_e32 v138, v73, v44
	v_add_f32_e32 v115, v115, v137
	v_fma_f32 v3, v56, v52, -v3
	v_mul_f32_e32 v140, v64, v49
	v_fmac_f32_e32 v139, v63, v46
	v_add_f32_e32 v115, v115, v138
	v_add_f32_e32 v134, v2, v3
	s_waitcnt vmcnt(5) lgkmcnt(0)
	v_mul_f32_e32 v2, v59, v67
	v_mul_f32_e32 v141, v54, v51
	v_fmac_f32_e32 v140, v65, v48
	v_add_f32_e32 v115, v115, v139
	v_fma_f32 v136, v58, v66, -v2
	v_mul_f32_e32 v2, v61, v69
	v_mul_f32_e32 v142, v56, v53
	v_fmac_f32_e32 v141, v55, v50
	v_add_f32_e32 v115, v115, v140
	v_fma_f32 v138, v60, v68, -v2
	ds_read_b128 v[2:5], v114 offset:800
	ds_read_b128 v[6:9], v114 offset:816
	;; [unrolled: 1-line block ×4, first 2 shown]
	v_add_f32_e32 v115, v115, v141
	v_fmac_f32_e32 v142, v57, v52
	v_mul_f32_e32 v137, v58, v67
	v_add_f32_e32 v135, v115, v142
	v_fmac_f32_e32 v137, v59, v66
	v_mul_f32_e32 v139, v60, v69
	s_waitcnt vmcnt(3) lgkmcnt(3)
	v_pk_mul_f32 v[20:21], v[2:3], v[116:117] op_sel:[1,1] op_sel_hi:[0,1]
	v_fmac_f32_e32 v139, v61, v68
	v_pk_add_f32 v[18:19], v[134:135], v[136:137]
	v_pk_fma_f32 v[22:23], v[2:3], v[116:117], v[20:21] neg_lo:[0,0,1] neg_hi:[0,0,1]
	v_pk_fma_f32 v[2:3], v[2:3], v[116:117], v[20:21] op_sel_hi:[1,0,1]
	v_pk_add_f32 v[18:19], v[18:19], v[138:139]
	v_mov_b32_e32 v23, v3
	v_pk_add_f32 v[2:3], v[18:19], v[22:23]
	v_mov_b32_e32 v18, v119
	v_pk_mul_f32 v[18:19], v[4:5], v[18:19] op_sel:[1,0] op_sel_hi:[0,0]
	v_pk_fma_f32 v[20:21], v[4:5], v[118:119], v[18:19] neg_lo:[0,0,1] neg_hi:[0,0,1]
	v_pk_fma_f32 v[4:5], v[4:5], v[118:119], v[18:19] op_sel_hi:[1,0,1]
	s_nop 0
	v_mov_b32_e32 v21, v5
	s_waitcnt vmcnt(2) lgkmcnt(2)
	v_pk_mul_f32 v[4:5], v[6:7], v[120:121] op_sel:[1,1] op_sel_hi:[0,1]
	v_pk_fma_f32 v[18:19], v[6:7], v[120:121], v[4:5] neg_lo:[0,0,1] neg_hi:[0,0,1]
	v_pk_fma_f32 v[4:5], v[6:7], v[120:121], v[4:5] op_sel_hi:[1,0,1]
	v_pk_add_f32 v[2:3], v[2:3], v[20:21]
	v_mov_b32_e32 v4, v123
	v_mov_b32_e32 v19, v5
	v_pk_mul_f32 v[4:5], v[8:9], v[4:5] op_sel:[1,0] op_sel_hi:[0,0]
	v_pk_fma_f32 v[6:7], v[8:9], v[122:123], v[4:5] neg_lo:[0,0,1] neg_hi:[0,0,1]
	v_pk_fma_f32 v[4:5], v[8:9], v[122:123], v[4:5] op_sel_hi:[1,0,1]
	v_pk_add_f32 v[2:3], v[2:3], v[18:19]
	v_mov_b32_e32 v7, v5
	s_waitcnt vmcnt(1) lgkmcnt(1)
	v_pk_mul_f32 v[4:5], v[10:11], v[124:125] op_sel:[1,1] op_sel_hi:[0,1]
	v_pk_add_f32 v[2:3], v[2:3], v[6:7]
	v_pk_fma_f32 v[6:7], v[10:11], v[124:125], v[4:5] neg_lo:[0,0,1] neg_hi:[0,0,1]
	v_pk_fma_f32 v[4:5], v[10:11], v[124:125], v[4:5] op_sel_hi:[1,0,1]
	s_nop 0
	v_mov_b32_e32 v4, v127
	v_mov_b32_e32 v7, v5
	v_pk_mul_f32 v[4:5], v[12:13], v[4:5] op_sel:[1,0] op_sel_hi:[0,0]
	v_pk_add_f32 v[2:3], v[2:3], v[6:7]
	v_pk_fma_f32 v[6:7], v[12:13], v[126:127], v[4:5] neg_lo:[0,0,1] neg_hi:[0,0,1]
	v_pk_fma_f32 v[4:5], v[12:13], v[126:127], v[4:5] op_sel_hi:[1,0,1]
	s_nop 0
	v_mov_b32_e32 v7, v5
	s_waitcnt vmcnt(0) lgkmcnt(0)
	v_pk_mul_f32 v[4:5], v[14:15], v[128:129] op_sel:[1,1] op_sel_hi:[0,1]
	v_pk_add_f32 v[2:3], v[2:3], v[6:7]
	v_pk_fma_f32 v[6:7], v[14:15], v[128:129], v[4:5] neg_lo:[0,0,1] neg_hi:[0,0,1]
	v_pk_fma_f32 v[4:5], v[14:15], v[128:129], v[4:5] op_sel_hi:[1,0,1]
	s_nop 0
	v_mov_b32_e32 v4, v131
	v_mov_b32_e32 v7, v5
	v_pk_mul_f32 v[4:5], v[16:17], v[4:5] op_sel:[1,0] op_sel_hi:[0,0]
	v_pk_add_f32 v[2:3], v[2:3], v[6:7]
	v_pk_fma_f32 v[6:7], v[16:17], v[130:131], v[4:5] neg_lo:[0,0,1] neg_hi:[0,0,1]
	v_pk_fma_f32 v[4:5], v[16:17], v[130:131], v[4:5] op_sel_hi:[1,0,1]
	s_nop 0
	v_mov_b32_e32 v7, v5
	v_pk_add_f32 v[2:3], v[2:3], v[6:7]
	s_nop 0
	v_pk_add_f32 v[2:3], v[132:133], v[2:3] neg_lo:[0,1] neg_hi:[0,1]
	scratch_store_dwordx2 off, v[2:3], off offset:136
	s_and_saveexec_b64 s[0:1], vcc
	s_cbranch_execz .LBB117_305
; %bb.304:
	scratch_load_dwordx2 v[2:3], off, off offset:128
	v_mov_b32_e32 v4, 0
	v_mov_b32_e32 v5, v4
	scratch_store_dwordx2 off, v[4:5], off offset:128
	s_waitcnt vmcnt(1)
	ds_write_b64 v1, v[2:3]
.LBB117_305:
	s_or_b64 exec, exec, s[0:1]
	s_waitcnt lgkmcnt(0)
	; wave barrier
	scratch_load_dwordx4 v[2:5], off, off offset:136
	scratch_load_dwordx4 v[6:9], off, off offset:152
	;; [unrolled: 1-line block ×15, first 2 shown]
	scratch_load_dwordx2 v[140:141], off, off offset:128
	v_mov_b32_e32 v98, 0
	ds_read2_b64 v[62:65], v98 offset0:71 offset1:72
	ds_read2_b64 v[66:69], v98 offset0:73 offset1:74
	;; [unrolled: 1-line block ×14, first 2 shown]
	v_cmp_lt_u32_e32 vcc, 15, v0
	s_waitcnt vmcnt(15) lgkmcnt(13)
	v_mul_f32_e32 v99, v62, v3
	v_mul_f32_e32 v120, v64, v5
	v_fmac_f32_e32 v99, v63, v2
	s_waitcnt vmcnt(14) lgkmcnt(12)
	v_mul_f32_e32 v121, v66, v7
	v_fmac_f32_e32 v120, v65, v4
	v_add_f32_e32 v99, 0, v99
	v_mul_f32_e32 v122, v68, v9
	v_fmac_f32_e32 v121, v67, v6
	v_add_f32_e32 v99, v99, v120
	s_waitcnt vmcnt(13) lgkmcnt(11)
	v_mul_f32_e32 v123, v70, v11
	v_fmac_f32_e32 v122, v69, v8
	v_add_f32_e32 v99, v99, v121
	v_mul_f32_e32 v124, v72, v13
	v_fmac_f32_e32 v123, v71, v10
	v_add_f32_e32 v99, v99, v122
	;; [unrolled: 7-line block ×11, first 2 shown]
	s_waitcnt vmcnt(3) lgkmcnt(1)
	v_mul_f32_e32 v145, v112, v51
	v_fmac_f32_e32 v144, v111, v48
	v_add_f32_e32 v99, v99, v143
	v_add_f32_e32 v99, v99, v144
	v_fmac_f32_e32 v145, v113, v50
	v_mul_f32_e32 v120, v114, v53
	v_add_f32_e32 v99, v99, v145
	v_fmac_f32_e32 v120, v115, v52
	s_waitcnt vmcnt(2) lgkmcnt(0)
	v_mul_f32_e32 v124, v116, v55
	v_add_f32_e32 v99, v99, v120
	v_fmac_f32_e32 v124, v117, v54
	ds_read2_b64 v[120:123], v98 offset0:99 offset1:100
	v_add_f32_e32 v143, v99, v124
	ds_read2_b64 v[124:127], v98 offset0:101 offset1:102
	scratch_load_dwordx4 v[128:131], off, off offset:376
	scratch_load_dwordx4 v[132:135], off, off offset:392
	;; [unrolled: 1-line block ×3, first 2 shown]
	scratch_load_dwordx2 v[150:151], off, off offset:424
	v_mul_f32_e32 v3, v63, v3
	v_fma_f32 v2, v62, v2, -v3
	v_mul_f32_e32 v3, v65, v5
	v_add_f32_e32 v2, 0, v2
	v_fma_f32 v3, v64, v4, -v3
	v_add_f32_e32 v2, v2, v3
	v_mul_f32_e32 v3, v67, v7
	v_fma_f32 v3, v66, v6, -v3
	v_add_f32_e32 v2, v2, v3
	v_mul_f32_e32 v3, v69, v9
	;; [unrolled: 3-line block ×25, first 2 shown]
	v_fma_f32 v3, v116, v54, -v3
	v_mul_f32_e32 v145, v118, v57
	v_add_f32_e32 v142, v2, v3
	v_mul_f32_e32 v2, v119, v57
	s_waitcnt vmcnt(5)
	v_mov_b32_e32 v14, v61
	v_fmac_f32_e32 v145, v119, v56
	s_waitcnt lgkmcnt(1)
	v_mul_f32_e32 v147, v120, v59
	v_fma_f32 v144, v118, v56, -v2
	v_mul_f32_e32 v2, v121, v59
	v_pk_mul_f32 v[14:15], v[122:123], v[14:15] op_sel:[1,0] op_sel_hi:[0,0]
	v_fmac_f32_e32 v147, v121, v58
	v_fma_f32 v146, v120, v58, -v2
	v_pk_add_f32 v[12:13], v[142:143], v[144:145]
	v_pk_fma_f32 v[16:17], v[122:123], v[60:61], v[14:15] neg_lo:[0,0,1] neg_hi:[0,0,1]
	v_pk_fma_f32 v[14:15], v[122:123], v[60:61], v[14:15] op_sel_hi:[1,0,1]
	v_pk_add_f32 v[12:13], v[12:13], v[146:147]
	v_mov_b32_e32 v17, v15
	s_waitcnt vmcnt(3) lgkmcnt(0)
	v_pk_mul_f32 v[14:15], v[124:125], v[128:129] op_sel:[1,1] op_sel_hi:[0,1]
	v_pk_add_f32 v[12:13], v[12:13], v[16:17]
	v_pk_fma_f32 v[16:17], v[124:125], v[128:129], v[14:15] neg_lo:[0,0,1] neg_hi:[0,0,1]
	v_pk_fma_f32 v[14:15], v[124:125], v[128:129], v[14:15] op_sel_hi:[1,0,1]
	ds_read2_b64 v[2:5], v98 offset0:103 offset1:104
	ds_read2_b64 v[6:9], v98 offset0:105 offset1:106
	ds_read_b64 v[10:11], v98 offset:856
	v_mov_b32_e32 v14, v131
	v_mov_b32_e32 v17, v15
	v_pk_mul_f32 v[14:15], v[126:127], v[14:15] op_sel:[1,0] op_sel_hi:[0,0]
	v_pk_add_f32 v[12:13], v[12:13], v[16:17]
	v_pk_fma_f32 v[16:17], v[126:127], v[130:131], v[14:15] neg_lo:[0,0,1] neg_hi:[0,0,1]
	v_pk_fma_f32 v[14:15], v[126:127], v[130:131], v[14:15] op_sel_hi:[1,0,1]
	s_nop 0
	v_mov_b32_e32 v17, v15
	s_waitcnt vmcnt(2) lgkmcnt(2)
	v_pk_mul_f32 v[14:15], v[2:3], v[132:133] op_sel:[1,1] op_sel_hi:[0,1]
	v_pk_add_f32 v[12:13], v[12:13], v[16:17]
	v_pk_fma_f32 v[16:17], v[2:3], v[132:133], v[14:15] neg_lo:[0,0,1] neg_hi:[0,0,1]
	v_pk_fma_f32 v[2:3], v[2:3], v[132:133], v[14:15] op_sel_hi:[1,0,1]
	s_nop 0
	v_mov_b32_e32 v17, v3
	v_pk_add_f32 v[2:3], v[12:13], v[16:17]
	v_mov_b32_e32 v12, v135
	v_pk_mul_f32 v[12:13], v[4:5], v[12:13] op_sel:[1,0] op_sel_hi:[0,0]
	v_pk_fma_f32 v[14:15], v[4:5], v[134:135], v[12:13] neg_lo:[0,0,1] neg_hi:[0,0,1]
	v_pk_fma_f32 v[4:5], v[4:5], v[134:135], v[12:13] op_sel_hi:[1,0,1]
	s_nop 0
	v_mov_b32_e32 v15, v5
	s_waitcnt vmcnt(1) lgkmcnt(1)
	v_pk_mul_f32 v[4:5], v[6:7], v[136:137] op_sel:[1,1] op_sel_hi:[0,1]
	v_pk_fma_f32 v[12:13], v[6:7], v[136:137], v[4:5] neg_lo:[0,0,1] neg_hi:[0,0,1]
	v_pk_fma_f32 v[4:5], v[6:7], v[136:137], v[4:5] op_sel_hi:[1,0,1]
	v_pk_add_f32 v[2:3], v[2:3], v[14:15]
	v_mov_b32_e32 v4, v139
	v_mov_b32_e32 v13, v5
	v_pk_mul_f32 v[4:5], v[8:9], v[4:5] op_sel:[1,0] op_sel_hi:[0,0]
	v_pk_fma_f32 v[6:7], v[8:9], v[138:139], v[4:5] neg_lo:[0,0,1] neg_hi:[0,0,1]
	v_pk_fma_f32 v[4:5], v[8:9], v[138:139], v[4:5] op_sel_hi:[1,0,1]
	v_pk_add_f32 v[2:3], v[2:3], v[12:13]
	v_mov_b32_e32 v7, v5
	s_waitcnt vmcnt(0) lgkmcnt(0)
	v_pk_mul_f32 v[4:5], v[10:11], v[150:151] op_sel:[1,1] op_sel_hi:[0,1]
	v_pk_add_f32 v[2:3], v[2:3], v[6:7]
	v_pk_fma_f32 v[6:7], v[10:11], v[150:151], v[4:5] neg_lo:[0,0,1] neg_hi:[0,0,1]
	v_pk_fma_f32 v[4:5], v[10:11], v[150:151], v[4:5] op_sel_hi:[1,0,1]
	s_nop 0
	v_mov_b32_e32 v7, v5
	v_pk_add_f32 v[2:3], v[2:3], v[6:7]
	s_nop 0
	v_pk_add_f32 v[2:3], v[140:141], v[2:3] neg_lo:[0,1] neg_hi:[0,1]
	scratch_store_dwordx2 off, v[2:3], off offset:128
	s_and_saveexec_b64 s[0:1], vcc
	s_cbranch_execz .LBB117_307
; %bb.306:
	scratch_load_dwordx2 v[2:3], off, off offset:120
	v_mov_b32_e32 v99, v98
	scratch_store_dwordx2 off, v[98:99], off offset:120
	s_waitcnt vmcnt(1)
	ds_write_b64 v1, v[2:3]
.LBB117_307:
	s_or_b64 exec, exec, s[0:1]
	s_waitcnt lgkmcnt(0)
	; wave barrier
	scratch_load_dwordx4 v[58:61], off, off offset:128
	scratch_load_dwordx4 v[62:65], off, off offset:144
	;; [unrolled: 1-line block ×13, first 2 shown]
	ds_read_b128 v[106:109], v98 offset:560
	ds_read_b128 v[110:113], v98 offset:576
	;; [unrolled: 1-line block ×14, first 2 shown]
	scratch_load_dwordx4 v[46:49], off, off offset:336
	scratch_load_dwordx4 v[50:53], off, off offset:352
	v_cmp_lt_u32_e32 vcc, 14, v0
	s_waitcnt vmcnt(14) lgkmcnt(13)
	v_mul_f32_e32 v2, v106, v59
	v_mul_f32_e32 v3, v108, v61
	v_fmac_f32_e32 v2, v107, v58
	s_waitcnt vmcnt(13) lgkmcnt(12)
	v_mul_f32_e32 v4, v110, v63
	v_fmac_f32_e32 v3, v109, v60
	v_add_f32_e32 v2, 0, v2
	v_mul_f32_e32 v5, v112, v65
	v_fmac_f32_e32 v4, v111, v62
	v_add_f32_e32 v2, v2, v3
	s_waitcnt vmcnt(12) lgkmcnt(11)
	v_mul_f32_e32 v6, v114, v67
	v_fmac_f32_e32 v5, v113, v64
	v_add_f32_e32 v2, v2, v4
	v_mul_f32_e32 v7, v116, v69
	v_fmac_f32_e32 v6, v115, v66
	v_add_f32_e32 v2, v2, v5
	;; [unrolled: 7-line block ×6, first 2 shown]
	v_mul_f32_e32 v59, v107, v59
	s_waitcnt vmcnt(7) lgkmcnt(6)
	v_mul_f32_e32 v16, v134, v87
	v_fmac_f32_e32 v15, v133, v84
	v_add_f32_e32 v2, v2, v14
	v_fma_f32 v58, v106, v58, -v59
	v_mul_f32_e32 v59, v109, v61
	v_mul_f32_e32 v17, v136, v89
	v_fmac_f32_e32 v16, v135, v86
	v_add_f32_e32 v2, v2, v15
	v_add_f32_e32 v58, 0, v58
	v_fma_f32 v59, v108, v60, -v59
	s_waitcnt vmcnt(6) lgkmcnt(5)
	v_mul_f32_e32 v54, v138, v91
	v_fmac_f32_e32 v17, v137, v88
	v_add_f32_e32 v2, v2, v16
	v_add_f32_e32 v58, v58, v59
	v_mul_f32_e32 v59, v111, v63
	v_mul_f32_e32 v55, v140, v93
	v_fmac_f32_e32 v54, v139, v90
	v_add_f32_e32 v2, v2, v17
	v_fma_f32 v59, v110, v62, -v59
	s_waitcnt vmcnt(5) lgkmcnt(4)
	v_mul_f32_e32 v56, v142, v95
	v_fmac_f32_e32 v55, v141, v92
	v_add_f32_e32 v2, v2, v54
	v_add_f32_e32 v58, v58, v59
	v_mul_f32_e32 v59, v113, v65
	v_mul_f32_e32 v57, v144, v97
	v_fmac_f32_e32 v56, v143, v94
	;; [unrolled: 10-line block ×5, first 2 shown]
	v_add_f32_e32 v2, v2, v102
	v_fma_f32 v59, v118, v70, -v59
	v_add_f32_e32 v2, v2, v103
	v_fmac_f32_e32 v104, v33, v28
	s_waitcnt vmcnt(1) lgkmcnt(0)
	v_mul_f32_e32 v3, v42, v47
	v_add_f32_e32 v58, v58, v59
	v_mul_f32_e32 v59, v121, v73
	v_add_f32_e32 v2, v2, v104
	v_fmac_f32_e32 v3, v43, v46
	v_fma_f32 v59, v120, v72, -v59
	v_add_f32_e32 v2, v2, v3
	v_mul_f32_e32 v3, v44, v49
	v_add_f32_e32 v58, v58, v59
	v_mul_f32_e32 v59, v123, v75
	v_fmac_f32_e32 v3, v45, v48
	v_fma_f32 v59, v122, v74, -v59
	ds_read_b128 v[54:57], v98 offset:784
	v_add_f32_e32 v101, v2, v3
	scratch_load_dwordx4 v[14:17], off, off offset:368
	scratch_load_dwordx4 v[10:13], off, off offset:384
	;; [unrolled: 1-line block ×4, first 2 shown]
	v_add_f32_e32 v58, v58, v59
	v_mul_f32_e32 v59, v125, v77
	v_fma_f32 v59, v124, v76, -v59
	v_add_f32_e32 v58, v58, v59
	v_mul_f32_e32 v59, v127, v79
	v_fma_f32 v59, v126, v78, -v59
	;; [unrolled: 3-line block ×11, first 2 shown]
	scratch_load_dwordx2 v[58:59], off, off offset:120
	v_mul_f32_e32 v19, v39, v19
	v_add_f32_e32 v60, v60, v61
	v_fma_f32 v18, v38, v18, -v19
	v_mul_f32_e32 v19, v41, v21
	v_add_f32_e32 v18, v60, v18
	v_fma_f32 v19, v40, v20, -v19
	v_add_f32_e32 v18, v18, v19
	v_mul_f32_e32 v19, v35, v23
	v_fma_f32 v19, v34, v22, -v19
	v_add_f32_e32 v18, v18, v19
	v_mul_f32_e32 v19, v37, v25
	;; [unrolled: 3-line block ×6, first 2 shown]
	v_fma_f32 v19, v44, v48, -v19
	v_add_f32_e32 v100, v18, v19
	s_waitcnt vmcnt(5) lgkmcnt(0)
	v_mul_f32_e32 v18, v55, v51
	v_fma_f32 v102, v54, v50, -v18
	v_mul_f32_e32 v18, v57, v53
	v_fma_f32 v104, v56, v52, -v18
	ds_read_b128 v[18:21], v98 offset:800
	ds_read_b128 v[22:25], v98 offset:816
	ds_read_b128 v[26:29], v98 offset:832
	ds_read_b128 v[30:33], v98 offset:848
	v_mul_f32_e32 v103, v54, v51
	v_fmac_f32_e32 v103, v55, v50
	v_mul_f32_e32 v105, v56, v53
	v_fmac_f32_e32 v105, v57, v52
	v_pk_add_f32 v[34:35], v[100:101], v[102:103]
	s_waitcnt vmcnt(4) lgkmcnt(3)
	v_pk_mul_f32 v[36:37], v[18:19], v[14:15] op_sel:[1,1] op_sel_hi:[0,1]
	v_pk_fma_f32 v[38:39], v[18:19], v[14:15], v[36:37] neg_lo:[0,0,1] neg_hi:[0,0,1]
	v_pk_fma_f32 v[14:15], v[18:19], v[14:15], v[36:37] op_sel_hi:[1,0,1]
	v_mov_b32_e32 v18, v17
	v_pk_add_f32 v[34:35], v[34:35], v[104:105]
	v_mov_b32_e32 v39, v15
	v_pk_mul_f32 v[18:19], v[20:21], v[18:19] op_sel:[1,0] op_sel_hi:[0,0]
	v_pk_add_f32 v[14:15], v[34:35], v[38:39]
	v_pk_fma_f32 v[34:35], v[20:21], v[16:17], v[18:19] neg_lo:[0,0,1] neg_hi:[0,0,1]
	v_pk_fma_f32 v[16:17], v[20:21], v[16:17], v[18:19] op_sel_hi:[1,0,1]
	s_nop 0
	v_mov_b32_e32 v35, v17
	s_waitcnt vmcnt(3) lgkmcnt(2)
	v_pk_mul_f32 v[16:17], v[22:23], v[10:11] op_sel:[1,1] op_sel_hi:[0,1]
	v_pk_fma_f32 v[18:19], v[22:23], v[10:11], v[16:17] neg_lo:[0,0,1] neg_hi:[0,0,1]
	v_pk_fma_f32 v[10:11], v[22:23], v[10:11], v[16:17] op_sel_hi:[1,0,1]
	v_pk_add_f32 v[14:15], v[14:15], v[34:35]
	v_mov_b32_e32 v19, v11
	v_pk_add_f32 v[10:11], v[14:15], v[18:19]
	v_mov_b32_e32 v14, v13
	v_pk_mul_f32 v[14:15], v[24:25], v[14:15] op_sel:[1,0] op_sel_hi:[0,0]
	v_pk_fma_f32 v[16:17], v[24:25], v[12:13], v[14:15] neg_lo:[0,0,1] neg_hi:[0,0,1]
	v_pk_fma_f32 v[12:13], v[24:25], v[12:13], v[14:15] op_sel_hi:[1,0,1]
	s_nop 0
	v_mov_b32_e32 v17, v13
	s_waitcnt vmcnt(2) lgkmcnt(1)
	v_pk_mul_f32 v[12:13], v[26:27], v[6:7] op_sel:[1,1] op_sel_hi:[0,1]
	v_pk_fma_f32 v[14:15], v[26:27], v[6:7], v[12:13] neg_lo:[0,0,1] neg_hi:[0,0,1]
	v_pk_fma_f32 v[6:7], v[26:27], v[6:7], v[12:13] op_sel_hi:[1,0,1]
	v_pk_add_f32 v[10:11], v[10:11], v[16:17]
	v_mov_b32_e32 v15, v7
	v_pk_add_f32 v[6:7], v[10:11], v[14:15]
	v_mov_b32_e32 v10, v9
	v_pk_mul_f32 v[10:11], v[28:29], v[10:11] op_sel:[1,0] op_sel_hi:[0,0]
	;; [unrolled: 13-line block ×3, first 2 shown]
	v_pk_fma_f32 v[8:9], v[32:33], v[4:5], v[6:7] neg_lo:[0,0,1] neg_hi:[0,0,1]
	v_pk_fma_f32 v[4:5], v[32:33], v[4:5], v[6:7] op_sel_hi:[1,0,1]
	s_nop 0
	v_mov_b32_e32 v9, v5
	v_pk_add_f32 v[2:3], v[2:3], v[8:9]
	s_waitcnt vmcnt(0)
	v_pk_add_f32 v[2:3], v[58:59], v[2:3] neg_lo:[0,1] neg_hi:[0,1]
	scratch_store_dwordx2 off, v[2:3], off offset:120
	s_and_saveexec_b64 s[0:1], vcc
	s_cbranch_execz .LBB117_309
; %bb.308:
	scratch_load_dwordx2 v[2:3], off, off offset:112
	v_mov_b32_e32 v4, 0
	v_mov_b32_e32 v5, v4
	scratch_store_dwordx2 off, v[4:5], off offset:112
	s_waitcnt vmcnt(1)
	ds_write_b64 v1, v[2:3]
.LBB117_309:
	s_or_b64 exec, exec, s[0:1]
	s_waitcnt lgkmcnt(0)
	; wave barrier
	scratch_load_dwordx4 v[6:9], off, off offset:120
	scratch_load_dwordx4 v[14:17], off, off offset:136
	;; [unrolled: 1-line block ×10, first 2 shown]
	v_mov_b32_e32 v94, 0
	ds_read2_b64 v[2:5], v94 offset0:69 offset1:70
	scratch_load_dwordx4 v[86:89], off, off offset:280
	scratch_load_dwordx4 v[96:99], off, off offset:296
	;; [unrolled: 1-line block ×6, first 2 shown]
	v_cmp_lt_u32_e32 vcc, 13, v0
	s_waitcnt vmcnt(15) lgkmcnt(0)
	v_mul_f32_e32 v10, v2, v7
	v_fmac_f32_e32 v10, v3, v6
	v_mul_f32_e32 v11, v4, v9
	v_add_f32_e32 v10, 0, v10
	v_fmac_f32_e32 v11, v5, v8
	v_add_f32_e32 v18, v10, v11
	ds_read2_b64 v[10:13], v94 offset0:71 offset1:72
	v_mul_f32_e32 v3, v3, v7
	v_fma_f32 v2, v2, v6, -v3
	v_mul_f32_e32 v3, v5, v9
	v_add_f32_e32 v2, 0, v2
	s_waitcnt vmcnt(14) lgkmcnt(0)
	v_mul_f32_e32 v19, v10, v15
	v_fmac_f32_e32 v19, v11, v14
	v_add_f32_e32 v18, v18, v19
	v_mul_f32_e32 v19, v12, v17
	v_fmac_f32_e32 v19, v13, v16
	v_add_f32_e32 v26, v18, v19
	ds_read2_b64 v[18:21], v94 offset0:73 offset1:74
	v_fma_f32 v3, v4, v8, -v3
	v_add_f32_e32 v2, v2, v3
	v_mul_f32_e32 v3, v11, v15
	v_fma_f32 v3, v10, v14, -v3
	s_waitcnt vmcnt(13) lgkmcnt(0)
	v_mul_f32_e32 v27, v18, v23
	v_fmac_f32_e32 v27, v19, v22
	v_add_f32_e32 v26, v26, v27
	v_mul_f32_e32 v27, v20, v25
	v_fmac_f32_e32 v27, v21, v24
	v_add_f32_e32 v34, v26, v27
	ds_read2_b64 v[26:29], v94 offset0:75 offset1:76
	v_add_f32_e32 v2, v2, v3
	v_mul_f32_e32 v3, v13, v17
	v_fma_f32 v3, v12, v16, -v3
	v_add_f32_e32 v2, v2, v3
	s_waitcnt vmcnt(12) lgkmcnt(0)
	v_mul_f32_e32 v35, v26, v31
	v_fmac_f32_e32 v35, v27, v30
	v_add_f32_e32 v34, v34, v35
	v_mul_f32_e32 v35, v28, v33
	v_fmac_f32_e32 v35, v29, v32
	v_add_f32_e32 v42, v34, v35
	ds_read2_b64 v[34:37], v94 offset0:77 offset1:78
	v_mul_f32_e32 v3, v19, v23
	v_fma_f32 v3, v18, v22, -v3
	v_add_f32_e32 v2, v2, v3
	v_mul_f32_e32 v3, v21, v25
	s_waitcnt vmcnt(11) lgkmcnt(0)
	v_mul_f32_e32 v43, v34, v39
	v_fmac_f32_e32 v43, v35, v38
	v_add_f32_e32 v42, v42, v43
	v_mul_f32_e32 v43, v36, v41
	v_fmac_f32_e32 v43, v37, v40
	v_add_f32_e32 v50, v42, v43
	ds_read2_b64 v[42:45], v94 offset0:79 offset1:80
	v_fma_f32 v3, v20, v24, -v3
	v_add_f32_e32 v2, v2, v3
	v_mul_f32_e32 v3, v27, v31
	v_fma_f32 v3, v26, v30, -v3
	s_waitcnt vmcnt(10) lgkmcnt(0)
	v_mul_f32_e32 v51, v42, v47
	v_fmac_f32_e32 v51, v43, v46
	v_add_f32_e32 v50, v50, v51
	v_mul_f32_e32 v51, v44, v49
	v_fmac_f32_e32 v51, v45, v48
	v_add_f32_e32 v58, v50, v51
	ds_read2_b64 v[50:53], v94 offset0:81 offset1:82
	v_add_f32_e32 v2, v2, v3
	v_mul_f32_e32 v3, v29, v33
	v_fma_f32 v3, v28, v32, -v3
	v_add_f32_e32 v2, v2, v3
	s_waitcnt vmcnt(9) lgkmcnt(0)
	v_mul_f32_e32 v59, v50, v55
	v_fmac_f32_e32 v59, v51, v54
	v_add_f32_e32 v58, v58, v59
	v_mul_f32_e32 v59, v52, v57
	v_fmac_f32_e32 v59, v53, v56
	v_add_f32_e32 v66, v58, v59
	ds_read2_b64 v[58:61], v94 offset0:83 offset1:84
	v_mul_f32_e32 v3, v35, v39
	v_fma_f32 v3, v34, v38, -v3
	v_add_f32_e32 v2, v2, v3
	v_mul_f32_e32 v3, v37, v41
	;; [unrolled: 36-line block ×4, first 2 shown]
	s_waitcnt vmcnt(2) lgkmcnt(0)
	v_mul_f32_e32 v116, v108, v113
	v_fmac_f32_e32 v116, v109, v112
	v_add_f32_e32 v95, v95, v116
	v_mul_f32_e32 v116, v110, v115
	v_fmac_f32_e32 v116, v111, v114
	v_add_f32_e32 v95, v95, v116
	ds_read2_b64 v[116:119], v94 offset0:97 offset1:98
	v_fma_f32 v3, v68, v72, -v3
	v_add_f32_e32 v2, v2, v3
	v_mul_f32_e32 v3, v75, v79
	v_fma_f32 v3, v74, v78, -v3
	s_waitcnt vmcnt(1) lgkmcnt(0)
	v_mul_f32_e32 v124, v116, v121
	v_fmac_f32_e32 v124, v117, v120
	v_add_f32_e32 v145, v95, v124
	ds_read2_b64 v[124:127], v94 offset0:99 offset1:100
	scratch_load_dwordx4 v[132:135], off, off offset:376
	scratch_load_dwordx4 v[136:139], off, off offset:392
	;; [unrolled: 1-line block ×3, first 2 shown]
	scratch_load_dwordx2 v[152:153], off, off offset:424
	v_add_f32_e32 v2, v2, v3
	v_mul_f32_e32 v3, v77, v81
	v_fma_f32 v3, v76, v80, -v3
	v_add_f32_e32 v2, v2, v3
	v_mul_f32_e32 v3, v83, v87
	v_fma_f32 v3, v82, v86, -v3
	;; [unrolled: 3-line block ×10, first 2 shown]
	v_add_f32_e32 v144, v2, v3
	v_mul_f32_e32 v2, v119, v123
	v_mul_f32_e32 v147, v118, v123
	v_fma_f32 v146, v118, v122, -v2
	s_waitcnt vmcnt(4) lgkmcnt(0)
	v_mul_f32_e32 v2, v125, v129
	v_mov_b32_e32 v18, v131
	v_fmac_f32_e32 v147, v119, v122
	v_mul_f32_e32 v151, v124, v129
	v_fma_f32 v150, v124, v128, -v2
	ds_read2_b64 v[2:5], v94 offset0:101 offset1:102
	ds_read2_b64 v[6:9], v94 offset0:103 offset1:104
	;; [unrolled: 1-line block ×3, first 2 shown]
	ds_read_b64 v[14:15], v94 offset:856
	v_pk_mul_f32 v[18:19], v[126:127], v[18:19] op_sel:[1,0] op_sel_hi:[0,0]
	v_fmac_f32_e32 v151, v125, v128
	v_pk_add_f32 v[16:17], v[144:145], v[146:147]
	v_pk_fma_f32 v[20:21], v[126:127], v[130:131], v[18:19] neg_lo:[0,0,1] neg_hi:[0,0,1]
	v_pk_fma_f32 v[18:19], v[126:127], v[130:131], v[18:19] op_sel_hi:[1,0,1]
	v_pk_add_f32 v[16:17], v[16:17], v[150:151]
	v_mov_b32_e32 v21, v19
	v_pk_add_f32 v[16:17], v[16:17], v[20:21]
	s_waitcnt vmcnt(3) lgkmcnt(3)
	v_pk_mul_f32 v[18:19], v[2:3], v[132:133] op_sel:[1,1] op_sel_hi:[0,1]
	v_pk_fma_f32 v[20:21], v[2:3], v[132:133], v[18:19] neg_lo:[0,0,1] neg_hi:[0,0,1]
	v_pk_fma_f32 v[2:3], v[2:3], v[132:133], v[18:19] op_sel_hi:[1,0,1]
	s_nop 0
	v_mov_b32_e32 v21, v3
	v_pk_add_f32 v[2:3], v[16:17], v[20:21]
	v_mov_b32_e32 v16, v135
	v_pk_mul_f32 v[16:17], v[4:5], v[16:17] op_sel:[1,0] op_sel_hi:[0,0]
	v_pk_fma_f32 v[18:19], v[4:5], v[134:135], v[16:17] neg_lo:[0,0,1] neg_hi:[0,0,1]
	v_pk_fma_f32 v[4:5], v[4:5], v[134:135], v[16:17] op_sel_hi:[1,0,1]
	s_nop 0
	v_mov_b32_e32 v19, v5
	s_waitcnt vmcnt(2) lgkmcnt(2)
	v_pk_mul_f32 v[4:5], v[6:7], v[136:137] op_sel:[1,1] op_sel_hi:[0,1]
	v_pk_fma_f32 v[16:17], v[6:7], v[136:137], v[4:5] neg_lo:[0,0,1] neg_hi:[0,0,1]
	v_pk_fma_f32 v[4:5], v[6:7], v[136:137], v[4:5] op_sel_hi:[1,0,1]
	v_pk_add_f32 v[2:3], v[2:3], v[18:19]
	v_mov_b32_e32 v4, v139
	v_mov_b32_e32 v17, v5
	v_pk_mul_f32 v[4:5], v[8:9], v[4:5] op_sel:[1,0] op_sel_hi:[0,0]
	v_pk_fma_f32 v[6:7], v[8:9], v[138:139], v[4:5] neg_lo:[0,0,1] neg_hi:[0,0,1]
	v_pk_fma_f32 v[4:5], v[8:9], v[138:139], v[4:5] op_sel_hi:[1,0,1]
	v_pk_add_f32 v[2:3], v[2:3], v[16:17]
	v_mov_b32_e32 v7, v5
	s_waitcnt vmcnt(1) lgkmcnt(1)
	v_pk_mul_f32 v[4:5], v[10:11], v[140:141] op_sel:[1,1] op_sel_hi:[0,1]
	v_pk_add_f32 v[2:3], v[2:3], v[6:7]
	v_pk_fma_f32 v[6:7], v[10:11], v[140:141], v[4:5] neg_lo:[0,0,1] neg_hi:[0,0,1]
	v_pk_fma_f32 v[4:5], v[10:11], v[140:141], v[4:5] op_sel_hi:[1,0,1]
	s_nop 0
	v_mov_b32_e32 v4, v143
	v_mov_b32_e32 v7, v5
	v_pk_mul_f32 v[4:5], v[12:13], v[4:5] op_sel:[1,0] op_sel_hi:[0,0]
	v_pk_add_f32 v[2:3], v[2:3], v[6:7]
	v_pk_fma_f32 v[6:7], v[12:13], v[142:143], v[4:5] neg_lo:[0,0,1] neg_hi:[0,0,1]
	v_pk_fma_f32 v[4:5], v[12:13], v[142:143], v[4:5] op_sel_hi:[1,0,1]
	s_nop 0
	v_mov_b32_e32 v7, v5
	s_waitcnt vmcnt(0) lgkmcnt(0)
	v_pk_mul_f32 v[4:5], v[14:15], v[152:153] op_sel:[1,1] op_sel_hi:[0,1]
	v_pk_add_f32 v[2:3], v[2:3], v[6:7]
	v_pk_fma_f32 v[6:7], v[14:15], v[152:153], v[4:5] neg_lo:[0,0,1] neg_hi:[0,0,1]
	v_pk_fma_f32 v[4:5], v[14:15], v[152:153], v[4:5] op_sel_hi:[1,0,1]
	s_nop 0
	v_mov_b32_e32 v7, v5
	scratch_load_dwordx2 v[4:5], off, off offset:112
	v_pk_add_f32 v[2:3], v[2:3], v[6:7]
	s_waitcnt vmcnt(0)
	v_pk_add_f32 v[2:3], v[4:5], v[2:3] neg_lo:[0,1] neg_hi:[0,1]
	scratch_store_dwordx2 off, v[2:3], off offset:112
	s_and_saveexec_b64 s[0:1], vcc
	s_cbranch_execz .LBB117_311
; %bb.310:
	scratch_load_dwordx2 v[2:3], off, off offset:104
	v_mov_b32_e32 v95, v94
	scratch_store_dwordx2 off, v[94:95], off offset:104
	s_waitcnt vmcnt(1)
	ds_write_b64 v1, v[2:3]
.LBB117_311:
	s_or_b64 exec, exec, s[0:1]
	s_waitcnt lgkmcnt(0)
	; wave barrier
	ds_read_b128 v[14:17], v94 offset:544
	ds_read_b128 v[10:13], v94 offset:560
	;; [unrolled: 1-line block ×4, first 2 shown]
	scratch_load_dwordx4 v[18:21], off, off offset:112
	scratch_load_dwordx4 v[38:41], off, off offset:176
	;; [unrolled: 1-line block ×10, first 2 shown]
	v_cmp_lt_u32_e32 vcc, 12, v0
	scratch_load_dwordx4 v[46:49], off, off offset:192
	scratch_load_dwordx4 v[54:57], off, off offset:208
	;; [unrolled: 1-line block ×3, first 2 shown]
	s_waitcnt vmcnt(12) lgkmcnt(3)
	v_mul_f32_e32 v22, v14, v19
	v_fmac_f32_e32 v22, v15, v18
	v_mul_f32_e32 v23, v16, v21
	v_add_f32_e32 v22, 0, v22
	v_fmac_f32_e32 v23, v17, v20
	v_add_f32_e32 v26, v22, v23
	scratch_load_dwordx4 v[22:25], off, off offset:128
	v_mul_f32_e32 v15, v15, v19
	v_fma_f32 v14, v14, v18, -v15
	v_mul_f32_e32 v15, v17, v21
	v_add_f32_e32 v14, 0, v14
	v_fma_f32 v15, v16, v20, -v15
	v_add_f32_e32 v14, v14, v15
	s_waitcnt vmcnt(0) lgkmcnt(2)
	v_mul_f32_e32 v27, v10, v23
	v_fmac_f32_e32 v27, v11, v22
	v_add_f32_e32 v26, v26, v27
	v_mul_f32_e32 v27, v12, v25
	v_fmac_f32_e32 v27, v13, v24
	v_add_f32_e32 v30, v26, v27
	scratch_load_dwordx4 v[26:29], off, off offset:144
	v_mul_f32_e32 v11, v11, v23
	v_fma_f32 v10, v10, v22, -v11
	v_mul_f32_e32 v11, v13, v25
	v_add_f32_e32 v10, v14, v10
	v_fma_f32 v11, v12, v24, -v11
	v_add_f32_e32 v10, v10, v11
	s_waitcnt vmcnt(0) lgkmcnt(1)
	v_mul_f32_e32 v31, v6, v27
	v_fmac_f32_e32 v31, v7, v26
	v_add_f32_e32 v30, v30, v31
	v_mul_f32_e32 v31, v8, v29
	v_fmac_f32_e32 v31, v9, v28
	v_add_f32_e32 v34, v30, v31
	scratch_load_dwordx4 v[30:33], off, off offset:160
	v_mul_f32_e32 v7, v7, v27
	v_fma_f32 v6, v6, v26, -v7
	v_mul_f32_e32 v7, v9, v29
	v_add_f32_e32 v6, v10, v6
	v_fma_f32 v7, v8, v28, -v7
	v_add_f32_e32 v6, v6, v7
	s_waitcnt vmcnt(0) lgkmcnt(0)
	v_mul_f32_e32 v35, v2, v31
	v_fmac_f32_e32 v35, v3, v30
	v_add_f32_e32 v34, v34, v35
	v_mul_f32_e32 v35, v4, v33
	v_fmac_f32_e32 v35, v5, v32
	v_add_f32_e32 v42, v34, v35
	ds_read_b128 v[34:37], v94 offset:608
	v_mul_f32_e32 v3, v3, v31
	v_fma_f32 v2, v2, v30, -v3
	v_mul_f32_e32 v3, v5, v33
	v_add_f32_e32 v2, v6, v2
	s_waitcnt lgkmcnt(0)
	v_mul_f32_e32 v43, v34, v39
	v_fmac_f32_e32 v43, v35, v38
	v_add_f32_e32 v42, v42, v43
	v_mul_f32_e32 v43, v36, v41
	v_fmac_f32_e32 v43, v37, v40
	v_add_f32_e32 v50, v42, v43
	ds_read_b128 v[42:45], v94 offset:624
	v_fma_f32 v3, v4, v32, -v3
	v_add_f32_e32 v2, v2, v3
	v_mul_f32_e32 v3, v35, v39
	v_fma_f32 v3, v34, v38, -v3
	s_waitcnt lgkmcnt(0)
	v_mul_f32_e32 v51, v42, v47
	v_fmac_f32_e32 v51, v43, v46
	v_add_f32_e32 v50, v50, v51
	v_mul_f32_e32 v51, v44, v49
	v_fmac_f32_e32 v51, v45, v48
	v_add_f32_e32 v58, v50, v51
	ds_read_b128 v[50:53], v94 offset:640
	v_add_f32_e32 v2, v2, v3
	v_mul_f32_e32 v3, v37, v41
	v_fma_f32 v3, v36, v40, -v3
	v_add_f32_e32 v2, v2, v3
	s_waitcnt lgkmcnt(0)
	v_mul_f32_e32 v59, v50, v55
	v_fmac_f32_e32 v59, v51, v54
	v_add_f32_e32 v58, v58, v59
	v_mul_f32_e32 v59, v52, v57
	v_fmac_f32_e32 v59, v53, v56
	v_add_f32_e32 v66, v58, v59
	ds_read_b128 v[58:61], v94 offset:656
	v_mul_f32_e32 v3, v43, v47
	v_fma_f32 v3, v42, v46, -v3
	v_add_f32_e32 v2, v2, v3
	v_mul_f32_e32 v3, v45, v49
	s_waitcnt lgkmcnt(0)
	v_mul_f32_e32 v67, v58, v63
	v_fmac_f32_e32 v67, v59, v62
	v_add_f32_e32 v66, v66, v67
	v_mul_f32_e32 v67, v60, v65
	v_fmac_f32_e32 v67, v61, v64
	v_add_f32_e32 v74, v66, v67
	ds_read_b128 v[66:69], v94 offset:672
	v_fma_f32 v3, v44, v48, -v3
	v_add_f32_e32 v2, v2, v3
	v_mul_f32_e32 v3, v51, v55
	v_fma_f32 v3, v50, v54, -v3
	s_waitcnt lgkmcnt(0)
	v_mul_f32_e32 v75, v66, v71
	v_fmac_f32_e32 v75, v67, v70
	v_add_f32_e32 v74, v74, v75
	v_mul_f32_e32 v75, v68, v73
	v_fmac_f32_e32 v75, v69, v72
	v_add_f32_e32 v82, v74, v75
	ds_read_b128 v[74:77], v94 offset:688
	v_add_f32_e32 v2, v2, v3
	v_mul_f32_e32 v3, v53, v57
	v_fma_f32 v3, v52, v56, -v3
	v_add_f32_e32 v2, v2, v3
	s_waitcnt lgkmcnt(0)
	v_mul_f32_e32 v83, v74, v79
	v_fmac_f32_e32 v83, v75, v78
	v_add_f32_e32 v82, v82, v83
	v_mul_f32_e32 v83, v76, v81
	v_fmac_f32_e32 v83, v77, v80
	v_add_f32_e32 v90, v82, v83
	ds_read_b128 v[82:85], v94 offset:704
	v_mul_f32_e32 v3, v59, v63
	v_fma_f32 v3, v58, v62, -v3
	v_add_f32_e32 v2, v2, v3
	v_mul_f32_e32 v3, v61, v65
	;; [unrolled: 36-line block ×3, first 2 shown]
	s_waitcnt lgkmcnt(0)
	v_mul_f32_e32 v116, v108, v113
	v_fmac_f32_e32 v116, v109, v112
	v_add_f32_e32 v95, v95, v116
	v_mul_f32_e32 v116, v110, v115
	v_fmac_f32_e32 v116, v111, v114
	v_add_f32_e32 v95, v95, v116
	ds_read_b128 v[116:119], v94 offset:768
	v_fma_f32 v3, v76, v80, -v3
	v_add_f32_e32 v2, v2, v3
	v_mul_f32_e32 v3, v83, v87
	v_fma_f32 v3, v82, v86, -v3
	s_waitcnt lgkmcnt(0)
	v_mul_f32_e32 v124, v116, v121
	v_fmac_f32_e32 v124, v117, v120
	v_add_f32_e32 v95, v95, v124
	v_mul_f32_e32 v124, v118, v123
	v_fmac_f32_e32 v124, v119, v122
	v_add_f32_e32 v151, v95, v124
	ds_read_b128 v[124:127], v94 offset:784
	scratch_load_dwordx4 v[132:135], off, off offset:368
	scratch_load_dwordx4 v[136:139], off, off offset:384
	;; [unrolled: 1-line block ×4, first 2 shown]
	v_add_f32_e32 v2, v2, v3
	v_mul_f32_e32 v3, v85, v89
	v_fma_f32 v3, v84, v88, -v3
	v_add_f32_e32 v2, v2, v3
	v_mul_f32_e32 v3, v91, v97
	v_fma_f32 v3, v90, v96, -v3
	;; [unrolled: 3-line block ×9, first 2 shown]
	v_add_f32_e32 v150, v2, v3
	s_waitcnt lgkmcnt(0)
	v_mul_f32_e32 v2, v125, v129
	v_fma_f32 v152, v124, v128, -v2
	v_mul_f32_e32 v2, v127, v131
	v_fma_f32 v154, v126, v130, -v2
	ds_read_b128 v[2:5], v94 offset:800
	ds_read_b128 v[6:9], v94 offset:816
	ds_read_b128 v[10:13], v94 offset:832
	ds_read_b128 v[14:17], v94 offset:848
	v_mul_f32_e32 v153, v124, v129
	v_fmac_f32_e32 v153, v125, v128
	v_mul_f32_e32 v155, v126, v131
	v_fmac_f32_e32 v155, v127, v130
	v_pk_add_f32 v[18:19], v[150:151], v[152:153]
	s_waitcnt vmcnt(3) lgkmcnt(3)
	v_pk_mul_f32 v[20:21], v[2:3], v[132:133] op_sel:[1,1] op_sel_hi:[0,1]
	v_pk_fma_f32 v[22:23], v[2:3], v[132:133], v[20:21] neg_lo:[0,0,1] neg_hi:[0,0,1]
	v_pk_fma_f32 v[2:3], v[2:3], v[132:133], v[20:21] op_sel_hi:[1,0,1]
	v_pk_add_f32 v[18:19], v[18:19], v[154:155]
	v_mov_b32_e32 v23, v3
	v_pk_add_f32 v[2:3], v[18:19], v[22:23]
	v_mov_b32_e32 v18, v135
	v_pk_mul_f32 v[18:19], v[4:5], v[18:19] op_sel:[1,0] op_sel_hi:[0,0]
	v_pk_fma_f32 v[20:21], v[4:5], v[134:135], v[18:19] neg_lo:[0,0,1] neg_hi:[0,0,1]
	v_pk_fma_f32 v[4:5], v[4:5], v[134:135], v[18:19] op_sel_hi:[1,0,1]
	s_nop 0
	v_mov_b32_e32 v21, v5
	s_waitcnt vmcnt(2) lgkmcnt(2)
	v_pk_mul_f32 v[4:5], v[6:7], v[136:137] op_sel:[1,1] op_sel_hi:[0,1]
	v_pk_fma_f32 v[18:19], v[6:7], v[136:137], v[4:5] neg_lo:[0,0,1] neg_hi:[0,0,1]
	v_pk_fma_f32 v[4:5], v[6:7], v[136:137], v[4:5] op_sel_hi:[1,0,1]
	v_pk_add_f32 v[2:3], v[2:3], v[20:21]
	v_mov_b32_e32 v4, v139
	v_mov_b32_e32 v19, v5
	v_pk_mul_f32 v[4:5], v[8:9], v[4:5] op_sel:[1,0] op_sel_hi:[0,0]
	v_pk_fma_f32 v[6:7], v[8:9], v[138:139], v[4:5] neg_lo:[0,0,1] neg_hi:[0,0,1]
	v_pk_fma_f32 v[4:5], v[8:9], v[138:139], v[4:5] op_sel_hi:[1,0,1]
	v_pk_add_f32 v[2:3], v[2:3], v[18:19]
	v_mov_b32_e32 v7, v5
	s_waitcnt vmcnt(1) lgkmcnt(1)
	v_pk_mul_f32 v[4:5], v[10:11], v[140:141] op_sel:[1,1] op_sel_hi:[0,1]
	v_pk_add_f32 v[2:3], v[2:3], v[6:7]
	v_pk_fma_f32 v[6:7], v[10:11], v[140:141], v[4:5] neg_lo:[0,0,1] neg_hi:[0,0,1]
	v_pk_fma_f32 v[4:5], v[10:11], v[140:141], v[4:5] op_sel_hi:[1,0,1]
	s_nop 0
	v_mov_b32_e32 v4, v143
	v_mov_b32_e32 v7, v5
	v_pk_mul_f32 v[4:5], v[12:13], v[4:5] op_sel:[1,0] op_sel_hi:[0,0]
	v_pk_add_f32 v[2:3], v[2:3], v[6:7]
	v_pk_fma_f32 v[6:7], v[12:13], v[142:143], v[4:5] neg_lo:[0,0,1] neg_hi:[0,0,1]
	v_pk_fma_f32 v[4:5], v[12:13], v[142:143], v[4:5] op_sel_hi:[1,0,1]
	s_nop 0
	v_mov_b32_e32 v7, v5
	s_waitcnt vmcnt(0) lgkmcnt(0)
	v_pk_mul_f32 v[4:5], v[14:15], v[144:145] op_sel:[1,1] op_sel_hi:[0,1]
	v_pk_add_f32 v[2:3], v[2:3], v[6:7]
	v_pk_fma_f32 v[6:7], v[14:15], v[144:145], v[4:5] neg_lo:[0,0,1] neg_hi:[0,0,1]
	v_pk_fma_f32 v[4:5], v[14:15], v[144:145], v[4:5] op_sel_hi:[1,0,1]
	s_nop 0
	v_mov_b32_e32 v4, v147
	v_mov_b32_e32 v7, v5
	v_pk_mul_f32 v[4:5], v[16:17], v[4:5] op_sel:[1,0] op_sel_hi:[0,0]
	v_pk_add_f32 v[2:3], v[2:3], v[6:7]
	v_pk_fma_f32 v[6:7], v[16:17], v[146:147], v[4:5] neg_lo:[0,0,1] neg_hi:[0,0,1]
	v_pk_fma_f32 v[4:5], v[16:17], v[146:147], v[4:5] op_sel_hi:[1,0,1]
	s_nop 0
	v_mov_b32_e32 v7, v5
	scratch_load_dwordx2 v[4:5], off, off offset:104
	v_pk_add_f32 v[2:3], v[2:3], v[6:7]
	s_waitcnt vmcnt(0)
	v_pk_add_f32 v[2:3], v[4:5], v[2:3] neg_lo:[0,1] neg_hi:[0,1]
	scratch_store_dwordx2 off, v[2:3], off offset:104
	s_and_saveexec_b64 s[0:1], vcc
	s_cbranch_execz .LBB117_313
; %bb.312:
	scratch_load_dwordx2 v[2:3], off, off offset:96
	v_mov_b32_e32 v4, 0
	v_mov_b32_e32 v5, v4
	scratch_store_dwordx2 off, v[4:5], off offset:96
	s_waitcnt vmcnt(1)
	ds_write_b64 v1, v[2:3]
.LBB117_313:
	s_or_b64 exec, exec, s[0:1]
	s_waitcnt lgkmcnt(0)
	; wave barrier
	scratch_load_dwordx4 v[6:9], off, off offset:104
	scratch_load_dwordx4 v[14:17], off, off offset:120
	;; [unrolled: 1-line block ×10, first 2 shown]
	v_mov_b32_e32 v102, 0
	ds_read2_b64 v[2:5], v102 offset0:67 offset1:68
	scratch_load_dwordx4 v[86:89], off, off offset:264
	scratch_load_dwordx4 v[94:97], off, off offset:280
	;; [unrolled: 1-line block ×7, first 2 shown]
	v_cmp_lt_u32_e32 vcc, 11, v0
	s_waitcnt vmcnt(16) lgkmcnt(0)
	v_mul_f32_e32 v10, v2, v7
	v_fmac_f32_e32 v10, v3, v6
	v_mul_f32_e32 v11, v4, v9
	v_add_f32_e32 v10, 0, v10
	v_fmac_f32_e32 v11, v5, v8
	v_add_f32_e32 v18, v10, v11
	ds_read2_b64 v[10:13], v102 offset0:69 offset1:70
	v_mul_f32_e32 v3, v3, v7
	v_fma_f32 v2, v2, v6, -v3
	v_mul_f32_e32 v3, v5, v9
	v_add_f32_e32 v2, 0, v2
	s_waitcnt vmcnt(15) lgkmcnt(0)
	v_mul_f32_e32 v19, v10, v15
	v_fmac_f32_e32 v19, v11, v14
	v_add_f32_e32 v18, v18, v19
	v_mul_f32_e32 v19, v12, v17
	v_fmac_f32_e32 v19, v13, v16
	v_add_f32_e32 v26, v18, v19
	ds_read2_b64 v[18:21], v102 offset0:71 offset1:72
	v_fma_f32 v3, v4, v8, -v3
	v_add_f32_e32 v2, v2, v3
	v_mul_f32_e32 v3, v11, v15
	v_fma_f32 v3, v10, v14, -v3
	s_waitcnt vmcnt(14) lgkmcnt(0)
	v_mul_f32_e32 v27, v18, v23
	v_fmac_f32_e32 v27, v19, v22
	v_add_f32_e32 v26, v26, v27
	v_mul_f32_e32 v27, v20, v25
	v_fmac_f32_e32 v27, v21, v24
	v_add_f32_e32 v34, v26, v27
	ds_read2_b64 v[26:29], v102 offset0:73 offset1:74
	v_add_f32_e32 v2, v2, v3
	v_mul_f32_e32 v3, v13, v17
	v_fma_f32 v3, v12, v16, -v3
	v_add_f32_e32 v2, v2, v3
	s_waitcnt vmcnt(13) lgkmcnt(0)
	v_mul_f32_e32 v35, v26, v31
	v_fmac_f32_e32 v35, v27, v30
	v_add_f32_e32 v34, v34, v35
	v_mul_f32_e32 v35, v28, v33
	v_fmac_f32_e32 v35, v29, v32
	v_add_f32_e32 v42, v34, v35
	ds_read2_b64 v[34:37], v102 offset0:75 offset1:76
	v_mul_f32_e32 v3, v19, v23
	v_fma_f32 v3, v18, v22, -v3
	v_add_f32_e32 v2, v2, v3
	v_mul_f32_e32 v3, v21, v25
	s_waitcnt vmcnt(12) lgkmcnt(0)
	v_mul_f32_e32 v43, v34, v39
	v_fmac_f32_e32 v43, v35, v38
	v_add_f32_e32 v42, v42, v43
	v_mul_f32_e32 v43, v36, v41
	v_fmac_f32_e32 v43, v37, v40
	v_add_f32_e32 v50, v42, v43
	ds_read2_b64 v[42:45], v102 offset0:77 offset1:78
	v_fma_f32 v3, v20, v24, -v3
	v_add_f32_e32 v2, v2, v3
	v_mul_f32_e32 v3, v27, v31
	v_fma_f32 v3, v26, v30, -v3
	s_waitcnt vmcnt(11) lgkmcnt(0)
	v_mul_f32_e32 v51, v42, v47
	v_fmac_f32_e32 v51, v43, v46
	v_add_f32_e32 v50, v50, v51
	v_mul_f32_e32 v51, v44, v49
	v_fmac_f32_e32 v51, v45, v48
	v_add_f32_e32 v58, v50, v51
	ds_read2_b64 v[50:53], v102 offset0:79 offset1:80
	v_add_f32_e32 v2, v2, v3
	v_mul_f32_e32 v3, v29, v33
	v_fma_f32 v3, v28, v32, -v3
	v_add_f32_e32 v2, v2, v3
	s_waitcnt vmcnt(10) lgkmcnt(0)
	v_mul_f32_e32 v59, v50, v55
	v_fmac_f32_e32 v59, v51, v54
	v_add_f32_e32 v58, v58, v59
	v_mul_f32_e32 v59, v52, v57
	v_fmac_f32_e32 v59, v53, v56
	v_add_f32_e32 v66, v58, v59
	ds_read2_b64 v[58:61], v102 offset0:81 offset1:82
	v_mul_f32_e32 v3, v35, v39
	v_fma_f32 v3, v34, v38, -v3
	v_add_f32_e32 v2, v2, v3
	v_mul_f32_e32 v3, v37, v41
	;; [unrolled: 36-line block ×4, first 2 shown]
	s_waitcnt vmcnt(3) lgkmcnt(0)
	v_mul_f32_e32 v116, v108, v113
	v_fmac_f32_e32 v116, v109, v112
	v_add_f32_e32 v103, v103, v116
	v_mul_f32_e32 v116, v110, v115
	v_fmac_f32_e32 v116, v111, v114
	v_add_f32_e32 v103, v103, v116
	ds_read2_b64 v[116:119], v102 offset0:95 offset1:96
	v_fma_f32 v3, v68, v72, -v3
	v_add_f32_e32 v2, v2, v3
	v_mul_f32_e32 v3, v75, v79
	v_fma_f32 v3, v74, v78, -v3
	s_waitcnt vmcnt(2) lgkmcnt(0)
	v_mul_f32_e32 v124, v116, v121
	v_fmac_f32_e32 v124, v117, v120
	v_add_f32_e32 v103, v103, v124
	v_mul_f32_e32 v124, v118, v123
	v_fmac_f32_e32 v124, v119, v122
	v_add_f32_e32 v103, v103, v124
	ds_read2_b64 v[124:127], v102 offset0:97 offset1:98
	v_add_f32_e32 v2, v2, v3
	v_mul_f32_e32 v3, v77, v81
	v_fma_f32 v3, v76, v80, -v3
	v_add_f32_e32 v2, v2, v3
	s_waitcnt vmcnt(1) lgkmcnt(0)
	v_mul_f32_e32 v132, v124, v129
	v_fmac_f32_e32 v132, v125, v128
	v_add_f32_e32 v155, v103, v132
	ds_read2_b64 v[132:135], v102 offset0:99 offset1:100
	scratch_load_dwordx4 v[140:143], off, off offset:376
	scratch_load_dwordx4 v[144:147], off, off offset:392
	;; [unrolled: 1-line block ×3, first 2 shown]
	scratch_load_dwordx2 v[160:161], off, off offset:424
	v_mul_f32_e32 v3, v83, v87
	v_fma_f32 v3, v82, v86, -v3
	v_add_f32_e32 v2, v2, v3
	v_mul_f32_e32 v3, v85, v89
	v_fma_f32 v3, v84, v88, -v3
	v_add_f32_e32 v2, v2, v3
	;; [unrolled: 3-line block ×11, first 2 shown]
	v_mul_f32_e32 v2, v127, v131
	v_mul_f32_e32 v157, v126, v131
	v_fma_f32 v156, v126, v130, -v2
	s_waitcnt vmcnt(4) lgkmcnt(0)
	v_mul_f32_e32 v2, v133, v137
	v_mov_b32_e32 v18, v139
	v_fmac_f32_e32 v157, v127, v130
	v_mul_f32_e32 v159, v132, v137
	v_fma_f32 v158, v132, v136, -v2
	ds_read2_b64 v[2:5], v102 offset0:101 offset1:102
	ds_read2_b64 v[6:9], v102 offset0:103 offset1:104
	ds_read2_b64 v[10:13], v102 offset0:105 offset1:106
	ds_read_b64 v[14:15], v102 offset:856
	v_pk_mul_f32 v[18:19], v[134:135], v[18:19] op_sel:[1,0] op_sel_hi:[0,0]
	v_fmac_f32_e32 v159, v133, v136
	v_pk_add_f32 v[16:17], v[154:155], v[156:157]
	v_pk_fma_f32 v[20:21], v[134:135], v[138:139], v[18:19] neg_lo:[0,0,1] neg_hi:[0,0,1]
	v_pk_fma_f32 v[18:19], v[134:135], v[138:139], v[18:19] op_sel_hi:[1,0,1]
	v_pk_add_f32 v[16:17], v[16:17], v[158:159]
	v_mov_b32_e32 v21, v19
	v_pk_add_f32 v[16:17], v[16:17], v[20:21]
	s_waitcnt vmcnt(3) lgkmcnt(3)
	v_pk_mul_f32 v[18:19], v[2:3], v[140:141] op_sel:[1,1] op_sel_hi:[0,1]
	v_pk_fma_f32 v[20:21], v[2:3], v[140:141], v[18:19] neg_lo:[0,0,1] neg_hi:[0,0,1]
	v_pk_fma_f32 v[2:3], v[2:3], v[140:141], v[18:19] op_sel_hi:[1,0,1]
	s_nop 0
	v_mov_b32_e32 v21, v3
	v_pk_add_f32 v[2:3], v[16:17], v[20:21]
	v_mov_b32_e32 v16, v143
	v_pk_mul_f32 v[16:17], v[4:5], v[16:17] op_sel:[1,0] op_sel_hi:[0,0]
	v_pk_fma_f32 v[18:19], v[4:5], v[142:143], v[16:17] neg_lo:[0,0,1] neg_hi:[0,0,1]
	v_pk_fma_f32 v[4:5], v[4:5], v[142:143], v[16:17] op_sel_hi:[1,0,1]
	s_nop 0
	v_mov_b32_e32 v19, v5
	s_waitcnt vmcnt(2) lgkmcnt(2)
	v_pk_mul_f32 v[4:5], v[6:7], v[144:145] op_sel:[1,1] op_sel_hi:[0,1]
	v_pk_fma_f32 v[16:17], v[6:7], v[144:145], v[4:5] neg_lo:[0,0,1] neg_hi:[0,0,1]
	v_pk_fma_f32 v[4:5], v[6:7], v[144:145], v[4:5] op_sel_hi:[1,0,1]
	v_pk_add_f32 v[2:3], v[2:3], v[18:19]
	v_mov_b32_e32 v4, v147
	v_mov_b32_e32 v17, v5
	v_pk_mul_f32 v[4:5], v[8:9], v[4:5] op_sel:[1,0] op_sel_hi:[0,0]
	v_pk_fma_f32 v[6:7], v[8:9], v[146:147], v[4:5] neg_lo:[0,0,1] neg_hi:[0,0,1]
	v_pk_fma_f32 v[4:5], v[8:9], v[146:147], v[4:5] op_sel_hi:[1,0,1]
	v_pk_add_f32 v[2:3], v[2:3], v[16:17]
	v_mov_b32_e32 v7, v5
	s_waitcnt vmcnt(1) lgkmcnt(1)
	v_pk_mul_f32 v[4:5], v[10:11], v[150:151] op_sel:[1,1] op_sel_hi:[0,1]
	v_pk_add_f32 v[2:3], v[2:3], v[6:7]
	v_pk_fma_f32 v[6:7], v[10:11], v[150:151], v[4:5] neg_lo:[0,0,1] neg_hi:[0,0,1]
	v_pk_fma_f32 v[4:5], v[10:11], v[150:151], v[4:5] op_sel_hi:[1,0,1]
	s_nop 0
	v_mov_b32_e32 v4, v153
	v_mov_b32_e32 v7, v5
	v_pk_mul_f32 v[4:5], v[12:13], v[4:5] op_sel:[1,0] op_sel_hi:[0,0]
	v_pk_add_f32 v[2:3], v[2:3], v[6:7]
	v_pk_fma_f32 v[6:7], v[12:13], v[152:153], v[4:5] neg_lo:[0,0,1] neg_hi:[0,0,1]
	v_pk_fma_f32 v[4:5], v[12:13], v[152:153], v[4:5] op_sel_hi:[1,0,1]
	s_nop 0
	v_mov_b32_e32 v7, v5
	s_waitcnt vmcnt(0) lgkmcnt(0)
	v_pk_mul_f32 v[4:5], v[14:15], v[160:161] op_sel:[1,1] op_sel_hi:[0,1]
	v_pk_add_f32 v[2:3], v[2:3], v[6:7]
	v_pk_fma_f32 v[6:7], v[14:15], v[160:161], v[4:5] neg_lo:[0,0,1] neg_hi:[0,0,1]
	v_pk_fma_f32 v[4:5], v[14:15], v[160:161], v[4:5] op_sel_hi:[1,0,1]
	s_nop 0
	v_mov_b32_e32 v7, v5
	scratch_load_dwordx2 v[4:5], off, off offset:96
	v_pk_add_f32 v[2:3], v[2:3], v[6:7]
	s_waitcnt vmcnt(0)
	v_pk_add_f32 v[2:3], v[4:5], v[2:3] neg_lo:[0,1] neg_hi:[0,1]
	scratch_store_dwordx2 off, v[2:3], off offset:96
	s_and_saveexec_b64 s[0:1], vcc
	s_cbranch_execz .LBB117_315
; %bb.314:
	scratch_load_dwordx2 v[2:3], off, off offset:88
	v_mov_b32_e32 v103, v102
	scratch_store_dwordx2 off, v[102:103], off offset:88
	s_waitcnt vmcnt(1)
	ds_write_b64 v1, v[2:3]
.LBB117_315:
	s_or_b64 exec, exec, s[0:1]
	s_waitcnt lgkmcnt(0)
	; wave barrier
	ds_read_b128 v[14:17], v102 offset:528
	ds_read_b128 v[10:13], v102 offset:544
	;; [unrolled: 1-line block ×4, first 2 shown]
	scratch_load_dwordx4 v[18:21], off, off offset:96
	scratch_load_dwordx4 v[38:41], off, off offset:160
	;; [unrolled: 1-line block ×11, first 2 shown]
	v_cmp_lt_u32_e32 vcc, 10, v0
	scratch_load_dwordx4 v[46:49], off, off offset:176
	scratch_load_dwordx4 v[54:57], off, off offset:192
	;; [unrolled: 1-line block ×3, first 2 shown]
	s_waitcnt vmcnt(13) lgkmcnt(3)
	v_mul_f32_e32 v22, v14, v19
	v_fmac_f32_e32 v22, v15, v18
	v_mul_f32_e32 v23, v16, v21
	v_add_f32_e32 v22, 0, v22
	v_fmac_f32_e32 v23, v17, v20
	v_add_f32_e32 v26, v22, v23
	scratch_load_dwordx4 v[22:25], off, off offset:112
	v_mul_f32_e32 v15, v15, v19
	v_fma_f32 v14, v14, v18, -v15
	v_mul_f32_e32 v15, v17, v21
	v_add_f32_e32 v14, 0, v14
	v_fma_f32 v15, v16, v20, -v15
	v_add_f32_e32 v14, v14, v15
	s_waitcnt vmcnt(0) lgkmcnt(2)
	v_mul_f32_e32 v27, v10, v23
	v_fmac_f32_e32 v27, v11, v22
	v_add_f32_e32 v26, v26, v27
	v_mul_f32_e32 v27, v12, v25
	v_fmac_f32_e32 v27, v13, v24
	v_add_f32_e32 v30, v26, v27
	scratch_load_dwordx4 v[26:29], off, off offset:128
	v_mul_f32_e32 v11, v11, v23
	v_fma_f32 v10, v10, v22, -v11
	v_mul_f32_e32 v11, v13, v25
	v_add_f32_e32 v10, v14, v10
	v_fma_f32 v11, v12, v24, -v11
	v_add_f32_e32 v10, v10, v11
	s_waitcnt vmcnt(0) lgkmcnt(1)
	v_mul_f32_e32 v31, v6, v27
	v_fmac_f32_e32 v31, v7, v26
	v_add_f32_e32 v30, v30, v31
	v_mul_f32_e32 v31, v8, v29
	v_fmac_f32_e32 v31, v9, v28
	v_add_f32_e32 v34, v30, v31
	scratch_load_dwordx4 v[30:33], off, off offset:144
	v_mul_f32_e32 v7, v7, v27
	v_fma_f32 v6, v6, v26, -v7
	v_mul_f32_e32 v7, v9, v29
	v_add_f32_e32 v6, v10, v6
	v_fma_f32 v7, v8, v28, -v7
	v_add_f32_e32 v6, v6, v7
	s_waitcnt vmcnt(0) lgkmcnt(0)
	v_mul_f32_e32 v35, v2, v31
	v_fmac_f32_e32 v35, v3, v30
	v_add_f32_e32 v34, v34, v35
	v_mul_f32_e32 v35, v4, v33
	v_fmac_f32_e32 v35, v5, v32
	v_add_f32_e32 v42, v34, v35
	ds_read_b128 v[34:37], v102 offset:592
	v_mul_f32_e32 v3, v3, v31
	v_fma_f32 v2, v2, v30, -v3
	v_mul_f32_e32 v3, v5, v33
	v_add_f32_e32 v2, v6, v2
	s_waitcnt lgkmcnt(0)
	v_mul_f32_e32 v43, v34, v39
	v_fmac_f32_e32 v43, v35, v38
	v_add_f32_e32 v42, v42, v43
	v_mul_f32_e32 v43, v36, v41
	v_fmac_f32_e32 v43, v37, v40
	v_add_f32_e32 v50, v42, v43
	ds_read_b128 v[42:45], v102 offset:608
	v_fma_f32 v3, v4, v32, -v3
	v_add_f32_e32 v2, v2, v3
	v_mul_f32_e32 v3, v35, v39
	v_fma_f32 v3, v34, v38, -v3
	s_waitcnt lgkmcnt(0)
	v_mul_f32_e32 v51, v42, v47
	v_fmac_f32_e32 v51, v43, v46
	v_add_f32_e32 v50, v50, v51
	v_mul_f32_e32 v51, v44, v49
	v_fmac_f32_e32 v51, v45, v48
	v_add_f32_e32 v58, v50, v51
	ds_read_b128 v[50:53], v102 offset:624
	v_add_f32_e32 v2, v2, v3
	v_mul_f32_e32 v3, v37, v41
	v_fma_f32 v3, v36, v40, -v3
	v_add_f32_e32 v2, v2, v3
	s_waitcnt lgkmcnt(0)
	v_mul_f32_e32 v59, v50, v55
	v_fmac_f32_e32 v59, v51, v54
	v_add_f32_e32 v58, v58, v59
	v_mul_f32_e32 v59, v52, v57
	v_fmac_f32_e32 v59, v53, v56
	v_add_f32_e32 v66, v58, v59
	ds_read_b128 v[58:61], v102 offset:640
	v_mul_f32_e32 v3, v43, v47
	v_fma_f32 v3, v42, v46, -v3
	v_add_f32_e32 v2, v2, v3
	v_mul_f32_e32 v3, v45, v49
	s_waitcnt lgkmcnt(0)
	v_mul_f32_e32 v67, v58, v63
	v_fmac_f32_e32 v67, v59, v62
	v_add_f32_e32 v66, v66, v67
	v_mul_f32_e32 v67, v60, v65
	v_fmac_f32_e32 v67, v61, v64
	v_add_f32_e32 v74, v66, v67
	ds_read_b128 v[66:69], v102 offset:656
	v_fma_f32 v3, v44, v48, -v3
	v_add_f32_e32 v2, v2, v3
	v_mul_f32_e32 v3, v51, v55
	v_fma_f32 v3, v50, v54, -v3
	s_waitcnt lgkmcnt(0)
	v_mul_f32_e32 v75, v66, v71
	v_fmac_f32_e32 v75, v67, v70
	v_add_f32_e32 v74, v74, v75
	v_mul_f32_e32 v75, v68, v73
	v_fmac_f32_e32 v75, v69, v72
	v_add_f32_e32 v82, v74, v75
	ds_read_b128 v[74:77], v102 offset:672
	v_add_f32_e32 v2, v2, v3
	v_mul_f32_e32 v3, v53, v57
	v_fma_f32 v3, v52, v56, -v3
	v_add_f32_e32 v2, v2, v3
	s_waitcnt lgkmcnt(0)
	v_mul_f32_e32 v83, v74, v79
	v_fmac_f32_e32 v83, v75, v78
	v_add_f32_e32 v82, v82, v83
	v_mul_f32_e32 v83, v76, v81
	v_fmac_f32_e32 v83, v77, v80
	v_add_f32_e32 v90, v82, v83
	ds_read_b128 v[82:85], v102 offset:688
	v_mul_f32_e32 v3, v59, v63
	v_fma_f32 v3, v58, v62, -v3
	v_add_f32_e32 v2, v2, v3
	v_mul_f32_e32 v3, v61, v65
	;; [unrolled: 36-line block ×3, first 2 shown]
	s_waitcnt lgkmcnt(0)
	v_mul_f32_e32 v116, v108, v113
	v_fmac_f32_e32 v116, v109, v112
	v_add_f32_e32 v103, v103, v116
	v_mul_f32_e32 v116, v110, v115
	v_fmac_f32_e32 v116, v111, v114
	v_add_f32_e32 v103, v103, v116
	ds_read_b128 v[116:119], v102 offset:752
	v_fma_f32 v3, v76, v80, -v3
	v_add_f32_e32 v2, v2, v3
	v_mul_f32_e32 v3, v83, v87
	v_fma_f32 v3, v82, v86, -v3
	s_waitcnt lgkmcnt(0)
	v_mul_f32_e32 v124, v116, v121
	v_fmac_f32_e32 v124, v117, v120
	v_add_f32_e32 v103, v103, v124
	v_mul_f32_e32 v124, v118, v123
	v_fmac_f32_e32 v124, v119, v122
	v_add_f32_e32 v103, v103, v124
	ds_read_b128 v[124:127], v102 offset:768
	v_add_f32_e32 v2, v2, v3
	v_mul_f32_e32 v3, v85, v89
	v_fma_f32 v3, v84, v88, -v3
	v_add_f32_e32 v2, v2, v3
	s_waitcnt lgkmcnt(0)
	v_mul_f32_e32 v132, v124, v129
	v_fmac_f32_e32 v132, v125, v128
	v_add_f32_e32 v103, v103, v132
	v_mul_f32_e32 v132, v126, v131
	v_fmac_f32_e32 v132, v127, v130
	v_add_f32_e32 v159, v103, v132
	ds_read_b128 v[132:135], v102 offset:784
	scratch_load_dwordx4 v[140:143], off, off offset:368
	scratch_load_dwordx4 v[144:147], off, off offset:384
	;; [unrolled: 1-line block ×4, first 2 shown]
	v_mul_f32_e32 v3, v91, v95
	v_fma_f32 v3, v90, v94, -v3
	v_add_f32_e32 v2, v2, v3
	v_mul_f32_e32 v3, v93, v97
	v_fma_f32 v3, v92, v96, -v3
	v_add_f32_e32 v2, v2, v3
	;; [unrolled: 3-line block ×10, first 2 shown]
	s_waitcnt lgkmcnt(0)
	v_mul_f32_e32 v2, v133, v137
	v_fma_f32 v160, v132, v136, -v2
	v_mul_f32_e32 v2, v135, v139
	v_fma_f32 v162, v134, v138, -v2
	ds_read_b128 v[2:5], v102 offset:800
	ds_read_b128 v[6:9], v102 offset:816
	ds_read_b128 v[10:13], v102 offset:832
	ds_read_b128 v[14:17], v102 offset:848
	v_mul_f32_e32 v161, v132, v137
	v_fmac_f32_e32 v161, v133, v136
	v_mul_f32_e32 v163, v134, v139
	v_fmac_f32_e32 v163, v135, v138
	v_pk_add_f32 v[18:19], v[158:159], v[160:161]
	s_waitcnt vmcnt(3) lgkmcnt(3)
	v_pk_mul_f32 v[20:21], v[2:3], v[140:141] op_sel:[1,1] op_sel_hi:[0,1]
	v_pk_fma_f32 v[22:23], v[2:3], v[140:141], v[20:21] neg_lo:[0,0,1] neg_hi:[0,0,1]
	v_pk_fma_f32 v[2:3], v[2:3], v[140:141], v[20:21] op_sel_hi:[1,0,1]
	v_pk_add_f32 v[18:19], v[18:19], v[162:163]
	v_mov_b32_e32 v23, v3
	v_pk_add_f32 v[2:3], v[18:19], v[22:23]
	v_mov_b32_e32 v18, v143
	v_pk_mul_f32 v[18:19], v[4:5], v[18:19] op_sel:[1,0] op_sel_hi:[0,0]
	v_pk_fma_f32 v[20:21], v[4:5], v[142:143], v[18:19] neg_lo:[0,0,1] neg_hi:[0,0,1]
	v_pk_fma_f32 v[4:5], v[4:5], v[142:143], v[18:19] op_sel_hi:[1,0,1]
	s_nop 0
	v_mov_b32_e32 v21, v5
	s_waitcnt vmcnt(2) lgkmcnt(2)
	v_pk_mul_f32 v[4:5], v[6:7], v[144:145] op_sel:[1,1] op_sel_hi:[0,1]
	v_pk_fma_f32 v[18:19], v[6:7], v[144:145], v[4:5] neg_lo:[0,0,1] neg_hi:[0,0,1]
	v_pk_fma_f32 v[4:5], v[6:7], v[144:145], v[4:5] op_sel_hi:[1,0,1]
	v_pk_add_f32 v[2:3], v[2:3], v[20:21]
	v_mov_b32_e32 v4, v147
	v_mov_b32_e32 v19, v5
	v_pk_mul_f32 v[4:5], v[8:9], v[4:5] op_sel:[1,0] op_sel_hi:[0,0]
	v_pk_fma_f32 v[6:7], v[8:9], v[146:147], v[4:5] neg_lo:[0,0,1] neg_hi:[0,0,1]
	v_pk_fma_f32 v[4:5], v[8:9], v[146:147], v[4:5] op_sel_hi:[1,0,1]
	v_pk_add_f32 v[2:3], v[2:3], v[18:19]
	v_mov_b32_e32 v7, v5
	s_waitcnt vmcnt(1) lgkmcnt(1)
	v_pk_mul_f32 v[4:5], v[10:11], v[150:151] op_sel:[1,1] op_sel_hi:[0,1]
	v_pk_add_f32 v[2:3], v[2:3], v[6:7]
	v_pk_fma_f32 v[6:7], v[10:11], v[150:151], v[4:5] neg_lo:[0,0,1] neg_hi:[0,0,1]
	v_pk_fma_f32 v[4:5], v[10:11], v[150:151], v[4:5] op_sel_hi:[1,0,1]
	s_nop 0
	v_mov_b32_e32 v4, v153
	v_mov_b32_e32 v7, v5
	v_pk_mul_f32 v[4:5], v[12:13], v[4:5] op_sel:[1,0] op_sel_hi:[0,0]
	v_pk_add_f32 v[2:3], v[2:3], v[6:7]
	v_pk_fma_f32 v[6:7], v[12:13], v[152:153], v[4:5] neg_lo:[0,0,1] neg_hi:[0,0,1]
	v_pk_fma_f32 v[4:5], v[12:13], v[152:153], v[4:5] op_sel_hi:[1,0,1]
	s_nop 0
	v_mov_b32_e32 v7, v5
	s_waitcnt vmcnt(0) lgkmcnt(0)
	v_pk_mul_f32 v[4:5], v[14:15], v[154:155] op_sel:[1,1] op_sel_hi:[0,1]
	v_pk_add_f32 v[2:3], v[2:3], v[6:7]
	v_pk_fma_f32 v[6:7], v[14:15], v[154:155], v[4:5] neg_lo:[0,0,1] neg_hi:[0,0,1]
	v_pk_fma_f32 v[4:5], v[14:15], v[154:155], v[4:5] op_sel_hi:[1,0,1]
	s_nop 0
	v_mov_b32_e32 v4, v157
	v_mov_b32_e32 v7, v5
	v_pk_mul_f32 v[4:5], v[16:17], v[4:5] op_sel:[1,0] op_sel_hi:[0,0]
	v_pk_add_f32 v[2:3], v[2:3], v[6:7]
	v_pk_fma_f32 v[6:7], v[16:17], v[156:157], v[4:5] neg_lo:[0,0,1] neg_hi:[0,0,1]
	v_pk_fma_f32 v[4:5], v[16:17], v[156:157], v[4:5] op_sel_hi:[1,0,1]
	s_nop 0
	v_mov_b32_e32 v7, v5
	scratch_load_dwordx2 v[4:5], off, off offset:88
	v_pk_add_f32 v[2:3], v[2:3], v[6:7]
	s_waitcnt vmcnt(0)
	v_pk_add_f32 v[2:3], v[4:5], v[2:3] neg_lo:[0,1] neg_hi:[0,1]
	scratch_store_dwordx2 off, v[2:3], off offset:88
	s_and_saveexec_b64 s[0:1], vcc
	s_cbranch_execz .LBB117_317
; %bb.316:
	scratch_load_dwordx2 v[2:3], off, off offset:80
	v_mov_b32_e32 v4, 0
	v_mov_b32_e32 v5, v4
	scratch_store_dwordx2 off, v[4:5], off offset:80
	s_waitcnt vmcnt(1)
	ds_write_b64 v1, v[2:3]
.LBB117_317:
	s_or_b64 exec, exec, s[0:1]
	s_waitcnt lgkmcnt(0)
	; wave barrier
	scratch_load_dwordx4 v[6:9], off, off offset:88
	scratch_load_dwordx4 v[14:17], off, off offset:104
	;; [unrolled: 1-line block ×10, first 2 shown]
	v_mov_b32_e32 v102, 0
	ds_read2_b64 v[2:5], v102 offset0:65 offset1:66
	scratch_load_dwordx4 v[86:89], off, off offset:248
	scratch_load_dwordx4 v[94:97], off, off offset:264
	scratch_load_dwordx4 v[104:107], off, off offset:280
	scratch_load_dwordx4 v[112:115], off, off offset:296
	scratch_load_dwordx4 v[120:123], off, off offset:312
	scratch_load_dwordx4 v[128:131], off, off offset:328
	scratch_load_dwordx4 v[136:139], off, off offset:344
	scratch_load_dwordx4 v[144:147], off, off offset:360
	v_cmp_lt_u32_e32 vcc, 9, v0
	s_waitcnt vmcnt(17) lgkmcnt(0)
	v_mul_f32_e32 v10, v2, v7
	v_fmac_f32_e32 v10, v3, v6
	v_mul_f32_e32 v11, v4, v9
	v_add_f32_e32 v10, 0, v10
	v_fmac_f32_e32 v11, v5, v8
	v_add_f32_e32 v18, v10, v11
	ds_read2_b64 v[10:13], v102 offset0:67 offset1:68
	v_mul_f32_e32 v3, v3, v7
	v_fma_f32 v2, v2, v6, -v3
	v_mul_f32_e32 v3, v5, v9
	v_add_f32_e32 v2, 0, v2
	s_waitcnt vmcnt(16) lgkmcnt(0)
	v_mul_f32_e32 v19, v10, v15
	v_fmac_f32_e32 v19, v11, v14
	v_add_f32_e32 v18, v18, v19
	v_mul_f32_e32 v19, v12, v17
	v_fmac_f32_e32 v19, v13, v16
	v_add_f32_e32 v26, v18, v19
	ds_read2_b64 v[18:21], v102 offset0:69 offset1:70
	v_fma_f32 v3, v4, v8, -v3
	v_add_f32_e32 v2, v2, v3
	v_mul_f32_e32 v3, v11, v15
	v_fma_f32 v3, v10, v14, -v3
	s_waitcnt vmcnt(15) lgkmcnt(0)
	v_mul_f32_e32 v27, v18, v23
	v_fmac_f32_e32 v27, v19, v22
	v_add_f32_e32 v26, v26, v27
	v_mul_f32_e32 v27, v20, v25
	v_fmac_f32_e32 v27, v21, v24
	v_add_f32_e32 v34, v26, v27
	ds_read2_b64 v[26:29], v102 offset0:71 offset1:72
	v_add_f32_e32 v2, v2, v3
	v_mul_f32_e32 v3, v13, v17
	v_fma_f32 v3, v12, v16, -v3
	v_add_f32_e32 v2, v2, v3
	s_waitcnt vmcnt(14) lgkmcnt(0)
	v_mul_f32_e32 v35, v26, v31
	v_fmac_f32_e32 v35, v27, v30
	v_add_f32_e32 v34, v34, v35
	v_mul_f32_e32 v35, v28, v33
	v_fmac_f32_e32 v35, v29, v32
	v_add_f32_e32 v42, v34, v35
	ds_read2_b64 v[34:37], v102 offset0:73 offset1:74
	v_mul_f32_e32 v3, v19, v23
	v_fma_f32 v3, v18, v22, -v3
	v_add_f32_e32 v2, v2, v3
	v_mul_f32_e32 v3, v21, v25
	s_waitcnt vmcnt(13) lgkmcnt(0)
	v_mul_f32_e32 v43, v34, v39
	v_fmac_f32_e32 v43, v35, v38
	v_add_f32_e32 v42, v42, v43
	v_mul_f32_e32 v43, v36, v41
	v_fmac_f32_e32 v43, v37, v40
	v_add_f32_e32 v50, v42, v43
	ds_read2_b64 v[42:45], v102 offset0:75 offset1:76
	v_fma_f32 v3, v20, v24, -v3
	v_add_f32_e32 v2, v2, v3
	v_mul_f32_e32 v3, v27, v31
	v_fma_f32 v3, v26, v30, -v3
	s_waitcnt vmcnt(12) lgkmcnt(0)
	v_mul_f32_e32 v51, v42, v47
	v_fmac_f32_e32 v51, v43, v46
	v_add_f32_e32 v50, v50, v51
	v_mul_f32_e32 v51, v44, v49
	v_fmac_f32_e32 v51, v45, v48
	v_add_f32_e32 v58, v50, v51
	ds_read2_b64 v[50:53], v102 offset0:77 offset1:78
	v_add_f32_e32 v2, v2, v3
	v_mul_f32_e32 v3, v29, v33
	v_fma_f32 v3, v28, v32, -v3
	v_add_f32_e32 v2, v2, v3
	s_waitcnt vmcnt(11) lgkmcnt(0)
	v_mul_f32_e32 v59, v50, v55
	v_fmac_f32_e32 v59, v51, v54
	v_add_f32_e32 v58, v58, v59
	v_mul_f32_e32 v59, v52, v57
	v_fmac_f32_e32 v59, v53, v56
	v_add_f32_e32 v66, v58, v59
	ds_read2_b64 v[58:61], v102 offset0:79 offset1:80
	v_mul_f32_e32 v3, v35, v39
	v_fma_f32 v3, v34, v38, -v3
	v_add_f32_e32 v2, v2, v3
	v_mul_f32_e32 v3, v37, v41
	;; [unrolled: 36-line block ×5, first 2 shown]
	s_waitcnt vmcnt(1) lgkmcnt(0)
	v_mul_f32_e32 v140, v132, v137
	v_fmac_f32_e32 v140, v133, v136
	v_add_f32_e32 v163, v103, v140
	ds_read2_b64 v[140:143], v102 offset0:99 offset1:100
	scratch_load_dwordx4 v[150:153], off, off offset:376
	scratch_load_dwordx4 v[154:157], off, off offset:392
	;; [unrolled: 1-line block ×3, first 2 shown]
	scratch_load_dwordx2 v[168:169], off, off offset:424
	v_fma_f32 v3, v84, v88, -v3
	v_add_f32_e32 v2, v2, v3
	v_mul_f32_e32 v3, v91, v95
	v_fma_f32 v3, v90, v94, -v3
	v_add_f32_e32 v2, v2, v3
	v_mul_f32_e32 v3, v93, v97
	v_fma_f32 v3, v92, v96, -v3
	v_add_f32_e32 v2, v2, v3
	v_mul_f32_e32 v3, v99, v105
	v_fma_f32 v3, v98, v104, -v3
	v_add_f32_e32 v2, v2, v3
	v_mul_f32_e32 v3, v101, v107
	v_fma_f32 v3, v100, v106, -v3
	v_add_f32_e32 v2, v2, v3
	v_mul_f32_e32 v3, v109, v113
	v_fma_f32 v3, v108, v112, -v3
	v_add_f32_e32 v2, v2, v3
	v_mul_f32_e32 v3, v111, v115
	v_fma_f32 v3, v110, v114, -v3
	v_add_f32_e32 v2, v2, v3
	v_mul_f32_e32 v3, v117, v121
	v_fma_f32 v3, v116, v120, -v3
	v_add_f32_e32 v2, v2, v3
	v_mul_f32_e32 v3, v119, v123
	v_fma_f32 v3, v118, v122, -v3
	v_add_f32_e32 v2, v2, v3
	v_mul_f32_e32 v3, v125, v129
	v_fma_f32 v3, v124, v128, -v3
	v_add_f32_e32 v2, v2, v3
	v_mul_f32_e32 v3, v127, v131
	v_fma_f32 v3, v126, v130, -v3
	v_add_f32_e32 v2, v2, v3
	v_mul_f32_e32 v3, v133, v137
	v_fma_f32 v3, v132, v136, -v3
	v_add_f32_e32 v162, v2, v3
	v_mul_f32_e32 v2, v135, v139
	v_mul_f32_e32 v165, v134, v139
	v_fma_f32 v164, v134, v138, -v2
	s_waitcnt vmcnt(4) lgkmcnt(0)
	v_mul_f32_e32 v2, v141, v145
	v_mov_b32_e32 v18, v147
	v_fmac_f32_e32 v165, v135, v138
	v_mul_f32_e32 v167, v140, v145
	v_fma_f32 v166, v140, v144, -v2
	ds_read2_b64 v[2:5], v102 offset0:101 offset1:102
	ds_read2_b64 v[6:9], v102 offset0:103 offset1:104
	ds_read2_b64 v[10:13], v102 offset0:105 offset1:106
	ds_read_b64 v[14:15], v102 offset:856
	v_pk_mul_f32 v[18:19], v[142:143], v[18:19] op_sel:[1,0] op_sel_hi:[0,0]
	v_fmac_f32_e32 v167, v141, v144
	v_pk_add_f32 v[16:17], v[162:163], v[164:165]
	v_pk_fma_f32 v[20:21], v[142:143], v[146:147], v[18:19] neg_lo:[0,0,1] neg_hi:[0,0,1]
	v_pk_fma_f32 v[18:19], v[142:143], v[146:147], v[18:19] op_sel_hi:[1,0,1]
	v_pk_add_f32 v[16:17], v[16:17], v[166:167]
	v_mov_b32_e32 v21, v19
	v_pk_add_f32 v[16:17], v[16:17], v[20:21]
	s_waitcnt vmcnt(3) lgkmcnt(3)
	v_pk_mul_f32 v[18:19], v[2:3], v[150:151] op_sel:[1,1] op_sel_hi:[0,1]
	v_pk_fma_f32 v[20:21], v[2:3], v[150:151], v[18:19] neg_lo:[0,0,1] neg_hi:[0,0,1]
	v_pk_fma_f32 v[2:3], v[2:3], v[150:151], v[18:19] op_sel_hi:[1,0,1]
	s_nop 0
	v_mov_b32_e32 v21, v3
	v_pk_add_f32 v[2:3], v[16:17], v[20:21]
	v_mov_b32_e32 v16, v153
	v_pk_mul_f32 v[16:17], v[4:5], v[16:17] op_sel:[1,0] op_sel_hi:[0,0]
	v_pk_fma_f32 v[18:19], v[4:5], v[152:153], v[16:17] neg_lo:[0,0,1] neg_hi:[0,0,1]
	v_pk_fma_f32 v[4:5], v[4:5], v[152:153], v[16:17] op_sel_hi:[1,0,1]
	s_nop 0
	v_mov_b32_e32 v19, v5
	s_waitcnt vmcnt(2) lgkmcnt(2)
	v_pk_mul_f32 v[4:5], v[6:7], v[154:155] op_sel:[1,1] op_sel_hi:[0,1]
	v_pk_fma_f32 v[16:17], v[6:7], v[154:155], v[4:5] neg_lo:[0,0,1] neg_hi:[0,0,1]
	v_pk_fma_f32 v[4:5], v[6:7], v[154:155], v[4:5] op_sel_hi:[1,0,1]
	v_pk_add_f32 v[2:3], v[2:3], v[18:19]
	v_mov_b32_e32 v4, v157
	v_mov_b32_e32 v17, v5
	v_pk_mul_f32 v[4:5], v[8:9], v[4:5] op_sel:[1,0] op_sel_hi:[0,0]
	v_pk_fma_f32 v[6:7], v[8:9], v[156:157], v[4:5] neg_lo:[0,0,1] neg_hi:[0,0,1]
	v_pk_fma_f32 v[4:5], v[8:9], v[156:157], v[4:5] op_sel_hi:[1,0,1]
	v_pk_add_f32 v[2:3], v[2:3], v[16:17]
	v_mov_b32_e32 v7, v5
	s_waitcnt vmcnt(1) lgkmcnt(1)
	v_pk_mul_f32 v[4:5], v[10:11], v[158:159] op_sel:[1,1] op_sel_hi:[0,1]
	v_pk_add_f32 v[2:3], v[2:3], v[6:7]
	v_pk_fma_f32 v[6:7], v[10:11], v[158:159], v[4:5] neg_lo:[0,0,1] neg_hi:[0,0,1]
	v_pk_fma_f32 v[4:5], v[10:11], v[158:159], v[4:5] op_sel_hi:[1,0,1]
	s_nop 0
	v_mov_b32_e32 v4, v161
	v_mov_b32_e32 v7, v5
	v_pk_mul_f32 v[4:5], v[12:13], v[4:5] op_sel:[1,0] op_sel_hi:[0,0]
	v_pk_add_f32 v[2:3], v[2:3], v[6:7]
	v_pk_fma_f32 v[6:7], v[12:13], v[160:161], v[4:5] neg_lo:[0,0,1] neg_hi:[0,0,1]
	v_pk_fma_f32 v[4:5], v[12:13], v[160:161], v[4:5] op_sel_hi:[1,0,1]
	s_nop 0
	v_mov_b32_e32 v7, v5
	s_waitcnt vmcnt(0) lgkmcnt(0)
	v_pk_mul_f32 v[4:5], v[14:15], v[168:169] op_sel:[1,1] op_sel_hi:[0,1]
	v_pk_add_f32 v[2:3], v[2:3], v[6:7]
	v_pk_fma_f32 v[6:7], v[14:15], v[168:169], v[4:5] neg_lo:[0,0,1] neg_hi:[0,0,1]
	v_pk_fma_f32 v[4:5], v[14:15], v[168:169], v[4:5] op_sel_hi:[1,0,1]
	s_nop 0
	v_mov_b32_e32 v7, v5
	scratch_load_dwordx2 v[4:5], off, off offset:80
	v_pk_add_f32 v[2:3], v[2:3], v[6:7]
	s_waitcnt vmcnt(0)
	v_pk_add_f32 v[2:3], v[4:5], v[2:3] neg_lo:[0,1] neg_hi:[0,1]
	scratch_store_dwordx2 off, v[2:3], off offset:80
	s_and_saveexec_b64 s[0:1], vcc
	s_cbranch_execz .LBB117_319
; %bb.318:
	scratch_load_dwordx2 v[2:3], off, off offset:72
	v_mov_b32_e32 v103, v102
	scratch_store_dwordx2 off, v[102:103], off offset:72
	s_waitcnt vmcnt(1)
	ds_write_b64 v1, v[2:3]
.LBB117_319:
	s_or_b64 exec, exec, s[0:1]
	s_waitcnt lgkmcnt(0)
	; wave barrier
	ds_read_b128 v[14:17], v102 offset:512
	ds_read_b128 v[10:13], v102 offset:528
	;; [unrolled: 1-line block ×4, first 2 shown]
	scratch_load_dwordx4 v[18:21], off, off offset:80
	scratch_load_dwordx4 v[38:41], off, off offset:144
	scratch_load_dwordx4 v[70:73], off, off offset:208
	scratch_load_dwordx4 v[78:81], off, off offset:224
	scratch_load_dwordx4 v[86:89], off, off offset:240
	scratch_load_dwordx4 v[94:97], off, off offset:256
	scratch_load_dwordx4 v[104:107], off, off offset:272
	scratch_load_dwordx4 v[112:115], off, off offset:288
	scratch_load_dwordx4 v[120:123], off, off offset:304
	scratch_load_dwordx4 v[128:131], off, off offset:320
	scratch_load_dwordx4 v[136:139], off, off offset:336
	scratch_load_dwordx4 v[144:147], off, off offset:352
	v_cmp_lt_u32_e32 vcc, 8, v0
	scratch_load_dwordx4 v[46:49], off, off offset:160
	scratch_load_dwordx4 v[54:57], off, off offset:176
	;; [unrolled: 1-line block ×3, first 2 shown]
	s_waitcnt vmcnt(14) lgkmcnt(3)
	v_mul_f32_e32 v22, v14, v19
	v_fmac_f32_e32 v22, v15, v18
	v_mul_f32_e32 v23, v16, v21
	v_add_f32_e32 v22, 0, v22
	v_fmac_f32_e32 v23, v17, v20
	v_add_f32_e32 v26, v22, v23
	scratch_load_dwordx4 v[22:25], off, off offset:96
	v_mul_f32_e32 v15, v15, v19
	v_fma_f32 v14, v14, v18, -v15
	v_mul_f32_e32 v15, v17, v21
	v_add_f32_e32 v14, 0, v14
	v_fma_f32 v15, v16, v20, -v15
	v_add_f32_e32 v14, v14, v15
	s_waitcnt vmcnt(0) lgkmcnt(2)
	v_mul_f32_e32 v27, v10, v23
	v_fmac_f32_e32 v27, v11, v22
	v_add_f32_e32 v26, v26, v27
	v_mul_f32_e32 v27, v12, v25
	v_fmac_f32_e32 v27, v13, v24
	v_add_f32_e32 v30, v26, v27
	scratch_load_dwordx4 v[26:29], off, off offset:112
	v_mul_f32_e32 v11, v11, v23
	v_fma_f32 v10, v10, v22, -v11
	v_mul_f32_e32 v11, v13, v25
	v_add_f32_e32 v10, v14, v10
	v_fma_f32 v11, v12, v24, -v11
	v_add_f32_e32 v10, v10, v11
	s_waitcnt vmcnt(0) lgkmcnt(1)
	v_mul_f32_e32 v31, v6, v27
	v_fmac_f32_e32 v31, v7, v26
	v_add_f32_e32 v30, v30, v31
	v_mul_f32_e32 v31, v8, v29
	;; [unrolled: 14-line block ×3, first 2 shown]
	v_fmac_f32_e32 v35, v5, v32
	v_add_f32_e32 v42, v34, v35
	ds_read_b128 v[34:37], v102 offset:576
	v_mul_f32_e32 v3, v3, v31
	v_fma_f32 v2, v2, v30, -v3
	v_mul_f32_e32 v3, v5, v33
	v_add_f32_e32 v2, v6, v2
	s_waitcnt lgkmcnt(0)
	v_mul_f32_e32 v43, v34, v39
	v_fmac_f32_e32 v43, v35, v38
	v_add_f32_e32 v42, v42, v43
	v_mul_f32_e32 v43, v36, v41
	v_fmac_f32_e32 v43, v37, v40
	v_add_f32_e32 v50, v42, v43
	ds_read_b128 v[42:45], v102 offset:592
	v_fma_f32 v3, v4, v32, -v3
	v_add_f32_e32 v2, v2, v3
	v_mul_f32_e32 v3, v35, v39
	v_fma_f32 v3, v34, v38, -v3
	s_waitcnt lgkmcnt(0)
	v_mul_f32_e32 v51, v42, v47
	v_fmac_f32_e32 v51, v43, v46
	v_add_f32_e32 v50, v50, v51
	v_mul_f32_e32 v51, v44, v49
	v_fmac_f32_e32 v51, v45, v48
	v_add_f32_e32 v58, v50, v51
	ds_read_b128 v[50:53], v102 offset:608
	v_add_f32_e32 v2, v2, v3
	v_mul_f32_e32 v3, v37, v41
	v_fma_f32 v3, v36, v40, -v3
	v_add_f32_e32 v2, v2, v3
	s_waitcnt lgkmcnt(0)
	v_mul_f32_e32 v59, v50, v55
	v_fmac_f32_e32 v59, v51, v54
	v_add_f32_e32 v58, v58, v59
	v_mul_f32_e32 v59, v52, v57
	v_fmac_f32_e32 v59, v53, v56
	v_add_f32_e32 v66, v58, v59
	ds_read_b128 v[58:61], v102 offset:624
	v_mul_f32_e32 v3, v43, v47
	v_fma_f32 v3, v42, v46, -v3
	v_add_f32_e32 v2, v2, v3
	v_mul_f32_e32 v3, v45, v49
	s_waitcnt lgkmcnt(0)
	v_mul_f32_e32 v67, v58, v63
	v_fmac_f32_e32 v67, v59, v62
	v_add_f32_e32 v66, v66, v67
	v_mul_f32_e32 v67, v60, v65
	v_fmac_f32_e32 v67, v61, v64
	v_add_f32_e32 v74, v66, v67
	ds_read_b128 v[66:69], v102 offset:640
	v_fma_f32 v3, v44, v48, -v3
	v_add_f32_e32 v2, v2, v3
	v_mul_f32_e32 v3, v51, v55
	v_fma_f32 v3, v50, v54, -v3
	s_waitcnt lgkmcnt(0)
	v_mul_f32_e32 v75, v66, v71
	v_fmac_f32_e32 v75, v67, v70
	v_add_f32_e32 v74, v74, v75
	v_mul_f32_e32 v75, v68, v73
	v_fmac_f32_e32 v75, v69, v72
	v_add_f32_e32 v82, v74, v75
	ds_read_b128 v[74:77], v102 offset:656
	v_add_f32_e32 v2, v2, v3
	v_mul_f32_e32 v3, v53, v57
	v_fma_f32 v3, v52, v56, -v3
	v_add_f32_e32 v2, v2, v3
	s_waitcnt lgkmcnt(0)
	v_mul_f32_e32 v83, v74, v79
	v_fmac_f32_e32 v83, v75, v78
	v_add_f32_e32 v82, v82, v83
	v_mul_f32_e32 v83, v76, v81
	v_fmac_f32_e32 v83, v77, v80
	v_add_f32_e32 v90, v82, v83
	ds_read_b128 v[82:85], v102 offset:672
	v_mul_f32_e32 v3, v59, v63
	v_fma_f32 v3, v58, v62, -v3
	v_add_f32_e32 v2, v2, v3
	v_mul_f32_e32 v3, v61, v65
	;; [unrolled: 36-line block ×4, first 2 shown]
	s_waitcnt lgkmcnt(0)
	v_mul_f32_e32 v140, v132, v137
	v_fmac_f32_e32 v140, v133, v136
	v_add_f32_e32 v103, v103, v140
	v_mul_f32_e32 v140, v134, v139
	v_fmac_f32_e32 v140, v135, v138
	v_add_f32_e32 v167, v103, v140
	ds_read_b128 v[140:143], v102 offset:784
	scratch_load_dwordx4 v[150:153], off, off offset:368
	scratch_load_dwordx4 v[154:157], off, off offset:384
	;; [unrolled: 1-line block ×4, first 2 shown]
	v_fma_f32 v3, v92, v96, -v3
	v_add_f32_e32 v2, v2, v3
	v_mul_f32_e32 v3, v99, v105
	v_fma_f32 v3, v98, v104, -v3
	v_add_f32_e32 v2, v2, v3
	v_mul_f32_e32 v3, v101, v107
	;; [unrolled: 3-line block ×10, first 2 shown]
	v_fma_f32 v3, v134, v138, -v3
	v_add_f32_e32 v166, v2, v3
	s_waitcnt lgkmcnt(0)
	v_mul_f32_e32 v2, v141, v145
	v_fma_f32 v168, v140, v144, -v2
	v_mul_f32_e32 v2, v143, v147
	v_fma_f32 v170, v142, v146, -v2
	ds_read_b128 v[2:5], v102 offset:800
	ds_read_b128 v[6:9], v102 offset:816
	;; [unrolled: 1-line block ×4, first 2 shown]
	v_mul_f32_e32 v169, v140, v145
	v_fmac_f32_e32 v169, v141, v144
	v_mul_f32_e32 v171, v142, v147
	v_fmac_f32_e32 v171, v143, v146
	v_pk_add_f32 v[18:19], v[166:167], v[168:169]
	s_waitcnt vmcnt(3) lgkmcnt(3)
	v_pk_mul_f32 v[20:21], v[2:3], v[150:151] op_sel:[1,1] op_sel_hi:[0,1]
	v_pk_fma_f32 v[22:23], v[2:3], v[150:151], v[20:21] neg_lo:[0,0,1] neg_hi:[0,0,1]
	v_pk_fma_f32 v[2:3], v[2:3], v[150:151], v[20:21] op_sel_hi:[1,0,1]
	v_pk_add_f32 v[18:19], v[18:19], v[170:171]
	v_mov_b32_e32 v23, v3
	v_pk_add_f32 v[2:3], v[18:19], v[22:23]
	v_mov_b32_e32 v18, v153
	v_pk_mul_f32 v[18:19], v[4:5], v[18:19] op_sel:[1,0] op_sel_hi:[0,0]
	v_pk_fma_f32 v[20:21], v[4:5], v[152:153], v[18:19] neg_lo:[0,0,1] neg_hi:[0,0,1]
	v_pk_fma_f32 v[4:5], v[4:5], v[152:153], v[18:19] op_sel_hi:[1,0,1]
	s_nop 0
	v_mov_b32_e32 v21, v5
	s_waitcnt vmcnt(2) lgkmcnt(2)
	v_pk_mul_f32 v[4:5], v[6:7], v[154:155] op_sel:[1,1] op_sel_hi:[0,1]
	v_pk_fma_f32 v[18:19], v[6:7], v[154:155], v[4:5] neg_lo:[0,0,1] neg_hi:[0,0,1]
	v_pk_fma_f32 v[4:5], v[6:7], v[154:155], v[4:5] op_sel_hi:[1,0,1]
	v_pk_add_f32 v[2:3], v[2:3], v[20:21]
	v_mov_b32_e32 v4, v157
	v_mov_b32_e32 v19, v5
	v_pk_mul_f32 v[4:5], v[8:9], v[4:5] op_sel:[1,0] op_sel_hi:[0,0]
	v_pk_fma_f32 v[6:7], v[8:9], v[156:157], v[4:5] neg_lo:[0,0,1] neg_hi:[0,0,1]
	v_pk_fma_f32 v[4:5], v[8:9], v[156:157], v[4:5] op_sel_hi:[1,0,1]
	v_pk_add_f32 v[2:3], v[2:3], v[18:19]
	v_mov_b32_e32 v7, v5
	s_waitcnt vmcnt(1) lgkmcnt(1)
	v_pk_mul_f32 v[4:5], v[10:11], v[158:159] op_sel:[1,1] op_sel_hi:[0,1]
	v_pk_add_f32 v[2:3], v[2:3], v[6:7]
	v_pk_fma_f32 v[6:7], v[10:11], v[158:159], v[4:5] neg_lo:[0,0,1] neg_hi:[0,0,1]
	v_pk_fma_f32 v[4:5], v[10:11], v[158:159], v[4:5] op_sel_hi:[1,0,1]
	s_nop 0
	v_mov_b32_e32 v4, v161
	v_mov_b32_e32 v7, v5
	v_pk_mul_f32 v[4:5], v[12:13], v[4:5] op_sel:[1,0] op_sel_hi:[0,0]
	v_pk_add_f32 v[2:3], v[2:3], v[6:7]
	v_pk_fma_f32 v[6:7], v[12:13], v[160:161], v[4:5] neg_lo:[0,0,1] neg_hi:[0,0,1]
	v_pk_fma_f32 v[4:5], v[12:13], v[160:161], v[4:5] op_sel_hi:[1,0,1]
	s_nop 0
	v_mov_b32_e32 v7, v5
	s_waitcnt vmcnt(0) lgkmcnt(0)
	v_pk_mul_f32 v[4:5], v[14:15], v[162:163] op_sel:[1,1] op_sel_hi:[0,1]
	v_pk_add_f32 v[2:3], v[2:3], v[6:7]
	v_pk_fma_f32 v[6:7], v[14:15], v[162:163], v[4:5] neg_lo:[0,0,1] neg_hi:[0,0,1]
	v_pk_fma_f32 v[4:5], v[14:15], v[162:163], v[4:5] op_sel_hi:[1,0,1]
	s_nop 0
	v_mov_b32_e32 v4, v165
	v_mov_b32_e32 v7, v5
	v_pk_mul_f32 v[4:5], v[16:17], v[4:5] op_sel:[1,0] op_sel_hi:[0,0]
	v_pk_add_f32 v[2:3], v[2:3], v[6:7]
	v_pk_fma_f32 v[6:7], v[16:17], v[164:165], v[4:5] neg_lo:[0,0,1] neg_hi:[0,0,1]
	v_pk_fma_f32 v[4:5], v[16:17], v[164:165], v[4:5] op_sel_hi:[1,0,1]
	s_nop 0
	v_mov_b32_e32 v7, v5
	scratch_load_dwordx2 v[4:5], off, off offset:72
	v_pk_add_f32 v[2:3], v[2:3], v[6:7]
	s_waitcnt vmcnt(0)
	v_pk_add_f32 v[2:3], v[4:5], v[2:3] neg_lo:[0,1] neg_hi:[0,1]
	scratch_store_dwordx2 off, v[2:3], off offset:72
	s_and_saveexec_b64 s[0:1], vcc
	s_cbranch_execz .LBB117_321
; %bb.320:
	scratch_load_dwordx2 v[2:3], off, off offset:64
	v_mov_b32_e32 v4, 0
	v_mov_b32_e32 v5, v4
	scratch_store_dwordx2 off, v[4:5], off offset:64
	s_waitcnt vmcnt(1)
	ds_write_b64 v1, v[2:3]
.LBB117_321:
	s_or_b64 exec, exec, s[0:1]
	s_waitcnt lgkmcnt(0)
	; wave barrier
	scratch_load_dwordx4 v[6:9], off, off offset:72
	scratch_load_dwordx4 v[14:17], off, off offset:88
	scratch_load_dwordx4 v[22:25], off, off offset:104
	scratch_load_dwordx4 v[30:33], off, off offset:120
	scratch_load_dwordx4 v[38:41], off, off offset:136
	scratch_load_dwordx4 v[46:49], off, off offset:152
	scratch_load_dwordx4 v[54:57], off, off offset:168
	scratch_load_dwordx4 v[62:65], off, off offset:184
	scratch_load_dwordx4 v[70:73], off, off offset:200
	scratch_load_dwordx4 v[78:81], off, off offset:216
	v_mov_b32_e32 v110, 0
	ds_read2_b64 v[2:5], v110 offset0:63 offset1:64
	scratch_load_dwordx4 v[86:89], off, off offset:232
	scratch_load_dwordx4 v[94:97], off, off offset:248
	;; [unrolled: 1-line block ×9, first 2 shown]
	v_cmp_lt_u32_e32 vcc, 7, v0
	s_waitcnt vmcnt(18) lgkmcnt(0)
	v_mul_f32_e32 v10, v2, v7
	v_fmac_f32_e32 v10, v3, v6
	v_mul_f32_e32 v11, v4, v9
	v_add_f32_e32 v10, 0, v10
	v_fmac_f32_e32 v11, v5, v8
	v_add_f32_e32 v18, v10, v11
	ds_read2_b64 v[10:13], v110 offset0:65 offset1:66
	v_mul_f32_e32 v3, v3, v7
	v_fma_f32 v2, v2, v6, -v3
	v_mul_f32_e32 v3, v5, v9
	v_add_f32_e32 v2, 0, v2
	s_waitcnt vmcnt(17) lgkmcnt(0)
	v_mul_f32_e32 v19, v10, v15
	v_fmac_f32_e32 v19, v11, v14
	v_add_f32_e32 v18, v18, v19
	v_mul_f32_e32 v19, v12, v17
	v_fmac_f32_e32 v19, v13, v16
	v_add_f32_e32 v26, v18, v19
	ds_read2_b64 v[18:21], v110 offset0:67 offset1:68
	v_fma_f32 v3, v4, v8, -v3
	v_add_f32_e32 v2, v2, v3
	v_mul_f32_e32 v3, v11, v15
	v_fma_f32 v3, v10, v14, -v3
	s_waitcnt vmcnt(16) lgkmcnt(0)
	v_mul_f32_e32 v27, v18, v23
	v_fmac_f32_e32 v27, v19, v22
	v_add_f32_e32 v26, v26, v27
	v_mul_f32_e32 v27, v20, v25
	v_fmac_f32_e32 v27, v21, v24
	v_add_f32_e32 v34, v26, v27
	ds_read2_b64 v[26:29], v110 offset0:69 offset1:70
	v_add_f32_e32 v2, v2, v3
	v_mul_f32_e32 v3, v13, v17
	v_fma_f32 v3, v12, v16, -v3
	v_add_f32_e32 v2, v2, v3
	s_waitcnt vmcnt(15) lgkmcnt(0)
	v_mul_f32_e32 v35, v26, v31
	v_fmac_f32_e32 v35, v27, v30
	v_add_f32_e32 v34, v34, v35
	v_mul_f32_e32 v35, v28, v33
	v_fmac_f32_e32 v35, v29, v32
	v_add_f32_e32 v42, v34, v35
	ds_read2_b64 v[34:37], v110 offset0:71 offset1:72
	v_mul_f32_e32 v3, v19, v23
	v_fma_f32 v3, v18, v22, -v3
	v_add_f32_e32 v2, v2, v3
	v_mul_f32_e32 v3, v21, v25
	s_waitcnt vmcnt(14) lgkmcnt(0)
	v_mul_f32_e32 v43, v34, v39
	v_fmac_f32_e32 v43, v35, v38
	v_add_f32_e32 v42, v42, v43
	v_mul_f32_e32 v43, v36, v41
	v_fmac_f32_e32 v43, v37, v40
	v_add_f32_e32 v50, v42, v43
	ds_read2_b64 v[42:45], v110 offset0:73 offset1:74
	v_fma_f32 v3, v20, v24, -v3
	v_add_f32_e32 v2, v2, v3
	v_mul_f32_e32 v3, v27, v31
	v_fma_f32 v3, v26, v30, -v3
	s_waitcnt vmcnt(13) lgkmcnt(0)
	v_mul_f32_e32 v51, v42, v47
	v_fmac_f32_e32 v51, v43, v46
	v_add_f32_e32 v50, v50, v51
	v_mul_f32_e32 v51, v44, v49
	v_fmac_f32_e32 v51, v45, v48
	v_add_f32_e32 v58, v50, v51
	ds_read2_b64 v[50:53], v110 offset0:75 offset1:76
	v_add_f32_e32 v2, v2, v3
	v_mul_f32_e32 v3, v29, v33
	v_fma_f32 v3, v28, v32, -v3
	v_add_f32_e32 v2, v2, v3
	s_waitcnt vmcnt(12) lgkmcnt(0)
	v_mul_f32_e32 v59, v50, v55
	v_fmac_f32_e32 v59, v51, v54
	v_add_f32_e32 v58, v58, v59
	v_mul_f32_e32 v59, v52, v57
	v_fmac_f32_e32 v59, v53, v56
	v_add_f32_e32 v66, v58, v59
	ds_read2_b64 v[58:61], v110 offset0:77 offset1:78
	v_mul_f32_e32 v3, v35, v39
	v_fma_f32 v3, v34, v38, -v3
	v_add_f32_e32 v2, v2, v3
	v_mul_f32_e32 v3, v37, v41
	;; [unrolled: 36-line block ×5, first 2 shown]
	s_waitcnt vmcnt(2) lgkmcnt(0)
	v_mul_f32_e32 v140, v132, v137
	v_fmac_f32_e32 v140, v133, v136
	v_add_f32_e32 v111, v111, v140
	v_mul_f32_e32 v140, v134, v139
	v_fmac_f32_e32 v140, v135, v138
	v_add_f32_e32 v111, v111, v140
	ds_read2_b64 v[140:143], v110 offset0:97 offset1:98
	v_fma_f32 v3, v84, v88, -v3
	v_add_f32_e32 v2, v2, v3
	v_mul_f32_e32 v3, v91, v95
	v_fma_f32 v3, v90, v94, -v3
	s_waitcnt vmcnt(1) lgkmcnt(0)
	v_mul_f32_e32 v150, v140, v145
	v_fmac_f32_e32 v150, v141, v144
	v_add_f32_e32 v171, v111, v150
	ds_read2_b64 v[150:153], v110 offset0:99 offset1:100
	scratch_load_dwordx4 v[158:161], off, off offset:376
	scratch_load_dwordx4 v[162:165], off, off offset:392
	scratch_load_dwordx4 v[166:169], off, off offset:408
	scratch_load_dwordx2 v[176:177], off, off offset:424
	v_add_f32_e32 v2, v2, v3
	v_mul_f32_e32 v3, v93, v97
	v_fma_f32 v3, v92, v96, -v3
	v_add_f32_e32 v2, v2, v3
	v_mul_f32_e32 v3, v99, v103
	v_fma_f32 v3, v98, v102, -v3
	;; [unrolled: 3-line block ×12, first 2 shown]
	v_add_f32_e32 v170, v2, v3
	v_mul_f32_e32 v2, v143, v147
	v_mul_f32_e32 v173, v142, v147
	v_fma_f32 v172, v142, v146, -v2
	s_waitcnt vmcnt(4) lgkmcnt(0)
	v_mul_f32_e32 v2, v151, v155
	v_mov_b32_e32 v18, v157
	v_fmac_f32_e32 v173, v143, v146
	v_mul_f32_e32 v175, v150, v155
	v_fma_f32 v174, v150, v154, -v2
	ds_read2_b64 v[2:5], v110 offset0:101 offset1:102
	ds_read2_b64 v[6:9], v110 offset0:103 offset1:104
	;; [unrolled: 1-line block ×3, first 2 shown]
	ds_read_b64 v[14:15], v110 offset:856
	v_pk_mul_f32 v[18:19], v[152:153], v[18:19] op_sel:[1,0] op_sel_hi:[0,0]
	v_fmac_f32_e32 v175, v151, v154
	v_pk_add_f32 v[16:17], v[170:171], v[172:173]
	v_pk_fma_f32 v[20:21], v[152:153], v[156:157], v[18:19] neg_lo:[0,0,1] neg_hi:[0,0,1]
	v_pk_fma_f32 v[18:19], v[152:153], v[156:157], v[18:19] op_sel_hi:[1,0,1]
	v_pk_add_f32 v[16:17], v[16:17], v[174:175]
	v_mov_b32_e32 v21, v19
	v_pk_add_f32 v[16:17], v[16:17], v[20:21]
	s_waitcnt vmcnt(3) lgkmcnt(3)
	v_pk_mul_f32 v[18:19], v[2:3], v[158:159] op_sel:[1,1] op_sel_hi:[0,1]
	v_pk_fma_f32 v[20:21], v[2:3], v[158:159], v[18:19] neg_lo:[0,0,1] neg_hi:[0,0,1]
	v_pk_fma_f32 v[2:3], v[2:3], v[158:159], v[18:19] op_sel_hi:[1,0,1]
	s_nop 0
	v_mov_b32_e32 v21, v3
	v_pk_add_f32 v[2:3], v[16:17], v[20:21]
	v_mov_b32_e32 v16, v161
	v_pk_mul_f32 v[16:17], v[4:5], v[16:17] op_sel:[1,0] op_sel_hi:[0,0]
	v_pk_fma_f32 v[18:19], v[4:5], v[160:161], v[16:17] neg_lo:[0,0,1] neg_hi:[0,0,1]
	v_pk_fma_f32 v[4:5], v[4:5], v[160:161], v[16:17] op_sel_hi:[1,0,1]
	s_nop 0
	v_mov_b32_e32 v19, v5
	s_waitcnt vmcnt(2) lgkmcnt(2)
	v_pk_mul_f32 v[4:5], v[6:7], v[162:163] op_sel:[1,1] op_sel_hi:[0,1]
	v_pk_fma_f32 v[16:17], v[6:7], v[162:163], v[4:5] neg_lo:[0,0,1] neg_hi:[0,0,1]
	v_pk_fma_f32 v[4:5], v[6:7], v[162:163], v[4:5] op_sel_hi:[1,0,1]
	v_pk_add_f32 v[2:3], v[2:3], v[18:19]
	v_mov_b32_e32 v4, v165
	v_mov_b32_e32 v17, v5
	v_pk_mul_f32 v[4:5], v[8:9], v[4:5] op_sel:[1,0] op_sel_hi:[0,0]
	v_pk_fma_f32 v[6:7], v[8:9], v[164:165], v[4:5] neg_lo:[0,0,1] neg_hi:[0,0,1]
	v_pk_fma_f32 v[4:5], v[8:9], v[164:165], v[4:5] op_sel_hi:[1,0,1]
	v_pk_add_f32 v[2:3], v[2:3], v[16:17]
	v_mov_b32_e32 v7, v5
	s_waitcnt vmcnt(1) lgkmcnt(1)
	v_pk_mul_f32 v[4:5], v[10:11], v[166:167] op_sel:[1,1] op_sel_hi:[0,1]
	v_pk_add_f32 v[2:3], v[2:3], v[6:7]
	v_pk_fma_f32 v[6:7], v[10:11], v[166:167], v[4:5] neg_lo:[0,0,1] neg_hi:[0,0,1]
	v_pk_fma_f32 v[4:5], v[10:11], v[166:167], v[4:5] op_sel_hi:[1,0,1]
	s_nop 0
	v_mov_b32_e32 v4, v169
	v_mov_b32_e32 v7, v5
	v_pk_mul_f32 v[4:5], v[12:13], v[4:5] op_sel:[1,0] op_sel_hi:[0,0]
	v_pk_add_f32 v[2:3], v[2:3], v[6:7]
	v_pk_fma_f32 v[6:7], v[12:13], v[168:169], v[4:5] neg_lo:[0,0,1] neg_hi:[0,0,1]
	v_pk_fma_f32 v[4:5], v[12:13], v[168:169], v[4:5] op_sel_hi:[1,0,1]
	s_nop 0
	v_mov_b32_e32 v7, v5
	s_waitcnt vmcnt(0) lgkmcnt(0)
	v_pk_mul_f32 v[4:5], v[14:15], v[176:177] op_sel:[1,1] op_sel_hi:[0,1]
	v_pk_add_f32 v[2:3], v[2:3], v[6:7]
	v_pk_fma_f32 v[6:7], v[14:15], v[176:177], v[4:5] neg_lo:[0,0,1] neg_hi:[0,0,1]
	v_pk_fma_f32 v[4:5], v[14:15], v[176:177], v[4:5] op_sel_hi:[1,0,1]
	s_nop 0
	v_mov_b32_e32 v7, v5
	scratch_load_dwordx2 v[4:5], off, off offset:64
	v_pk_add_f32 v[2:3], v[2:3], v[6:7]
	s_waitcnt vmcnt(0)
	v_pk_add_f32 v[2:3], v[4:5], v[2:3] neg_lo:[0,1] neg_hi:[0,1]
	scratch_store_dwordx2 off, v[2:3], off offset:64
	s_and_saveexec_b64 s[0:1], vcc
	s_cbranch_execz .LBB117_323
; %bb.322:
	scratch_load_dwordx2 v[2:3], off, off offset:56
	v_mov_b32_e32 v111, v110
	scratch_store_dwordx2 off, v[110:111], off offset:56
	s_waitcnt vmcnt(1)
	ds_write_b64 v1, v[2:3]
.LBB117_323:
	s_or_b64 exec, exec, s[0:1]
	s_waitcnt lgkmcnt(0)
	; wave barrier
	ds_read_b128 v[14:17], v110 offset:496
	ds_read_b128 v[10:13], v110 offset:512
	;; [unrolled: 1-line block ×4, first 2 shown]
	scratch_load_dwordx4 v[18:21], off, off offset:64
	scratch_load_dwordx4 v[38:41], off, off offset:128
	scratch_load_dwordx4 v[70:73], off, off offset:192
	scratch_load_dwordx4 v[78:81], off, off offset:208
	scratch_load_dwordx4 v[86:89], off, off offset:224
	scratch_load_dwordx4 v[94:97], off, off offset:240
	scratch_load_dwordx4 v[102:105], off, off offset:256
	scratch_load_dwordx4 v[112:115], off, off offset:272
	scratch_load_dwordx4 v[120:123], off, off offset:288
	scratch_load_dwordx4 v[128:131], off, off offset:304
	scratch_load_dwordx4 v[136:139], off, off offset:320
	scratch_load_dwordx4 v[144:147], off, off offset:336
	scratch_load_dwordx4 v[154:157], off, off offset:352
	v_cmp_lt_u32_e32 vcc, 6, v0
	scratch_load_dwordx4 v[46:49], off, off offset:144
	scratch_load_dwordx4 v[54:57], off, off offset:160
	;; [unrolled: 1-line block ×3, first 2 shown]
	s_waitcnt vmcnt(15) lgkmcnt(3)
	v_mul_f32_e32 v22, v14, v19
	v_fmac_f32_e32 v22, v15, v18
	v_mul_f32_e32 v23, v16, v21
	v_add_f32_e32 v22, 0, v22
	v_fmac_f32_e32 v23, v17, v20
	v_add_f32_e32 v26, v22, v23
	scratch_load_dwordx4 v[22:25], off, off offset:80
	v_mul_f32_e32 v15, v15, v19
	v_fma_f32 v14, v14, v18, -v15
	v_mul_f32_e32 v15, v17, v21
	v_add_f32_e32 v14, 0, v14
	v_fma_f32 v15, v16, v20, -v15
	v_add_f32_e32 v14, v14, v15
	s_waitcnt vmcnt(0) lgkmcnt(2)
	v_mul_f32_e32 v27, v10, v23
	v_fmac_f32_e32 v27, v11, v22
	v_add_f32_e32 v26, v26, v27
	v_mul_f32_e32 v27, v12, v25
	v_fmac_f32_e32 v27, v13, v24
	v_add_f32_e32 v30, v26, v27
	scratch_load_dwordx4 v[26:29], off, off offset:96
	v_mul_f32_e32 v11, v11, v23
	v_fma_f32 v10, v10, v22, -v11
	v_mul_f32_e32 v11, v13, v25
	v_add_f32_e32 v10, v14, v10
	v_fma_f32 v11, v12, v24, -v11
	v_add_f32_e32 v10, v10, v11
	s_waitcnt vmcnt(0) lgkmcnt(1)
	v_mul_f32_e32 v31, v6, v27
	v_fmac_f32_e32 v31, v7, v26
	v_add_f32_e32 v30, v30, v31
	v_mul_f32_e32 v31, v8, v29
	;; [unrolled: 14-line block ×3, first 2 shown]
	v_fmac_f32_e32 v35, v5, v32
	v_add_f32_e32 v42, v34, v35
	ds_read_b128 v[34:37], v110 offset:560
	v_mul_f32_e32 v3, v3, v31
	v_fma_f32 v2, v2, v30, -v3
	v_mul_f32_e32 v3, v5, v33
	v_add_f32_e32 v2, v6, v2
	s_waitcnt lgkmcnt(0)
	v_mul_f32_e32 v43, v34, v39
	v_fmac_f32_e32 v43, v35, v38
	v_add_f32_e32 v42, v42, v43
	v_mul_f32_e32 v43, v36, v41
	v_fmac_f32_e32 v43, v37, v40
	v_add_f32_e32 v50, v42, v43
	ds_read_b128 v[42:45], v110 offset:576
	v_fma_f32 v3, v4, v32, -v3
	v_add_f32_e32 v2, v2, v3
	v_mul_f32_e32 v3, v35, v39
	v_fma_f32 v3, v34, v38, -v3
	s_waitcnt lgkmcnt(0)
	v_mul_f32_e32 v51, v42, v47
	v_fmac_f32_e32 v51, v43, v46
	v_add_f32_e32 v50, v50, v51
	v_mul_f32_e32 v51, v44, v49
	v_fmac_f32_e32 v51, v45, v48
	v_add_f32_e32 v58, v50, v51
	ds_read_b128 v[50:53], v110 offset:592
	v_add_f32_e32 v2, v2, v3
	v_mul_f32_e32 v3, v37, v41
	v_fma_f32 v3, v36, v40, -v3
	v_add_f32_e32 v2, v2, v3
	s_waitcnt lgkmcnt(0)
	v_mul_f32_e32 v59, v50, v55
	v_fmac_f32_e32 v59, v51, v54
	v_add_f32_e32 v58, v58, v59
	v_mul_f32_e32 v59, v52, v57
	v_fmac_f32_e32 v59, v53, v56
	v_add_f32_e32 v66, v58, v59
	ds_read_b128 v[58:61], v110 offset:608
	v_mul_f32_e32 v3, v43, v47
	v_fma_f32 v3, v42, v46, -v3
	v_add_f32_e32 v2, v2, v3
	v_mul_f32_e32 v3, v45, v49
	s_waitcnt lgkmcnt(0)
	v_mul_f32_e32 v67, v58, v63
	v_fmac_f32_e32 v67, v59, v62
	v_add_f32_e32 v66, v66, v67
	v_mul_f32_e32 v67, v60, v65
	v_fmac_f32_e32 v67, v61, v64
	v_add_f32_e32 v74, v66, v67
	ds_read_b128 v[66:69], v110 offset:624
	v_fma_f32 v3, v44, v48, -v3
	v_add_f32_e32 v2, v2, v3
	v_mul_f32_e32 v3, v51, v55
	v_fma_f32 v3, v50, v54, -v3
	s_waitcnt lgkmcnt(0)
	v_mul_f32_e32 v75, v66, v71
	v_fmac_f32_e32 v75, v67, v70
	v_add_f32_e32 v74, v74, v75
	v_mul_f32_e32 v75, v68, v73
	v_fmac_f32_e32 v75, v69, v72
	v_add_f32_e32 v82, v74, v75
	ds_read_b128 v[74:77], v110 offset:640
	v_add_f32_e32 v2, v2, v3
	v_mul_f32_e32 v3, v53, v57
	v_fma_f32 v3, v52, v56, -v3
	v_add_f32_e32 v2, v2, v3
	s_waitcnt lgkmcnt(0)
	v_mul_f32_e32 v83, v74, v79
	v_fmac_f32_e32 v83, v75, v78
	v_add_f32_e32 v82, v82, v83
	v_mul_f32_e32 v83, v76, v81
	v_fmac_f32_e32 v83, v77, v80
	v_add_f32_e32 v90, v82, v83
	ds_read_b128 v[82:85], v110 offset:656
	v_mul_f32_e32 v3, v59, v63
	v_fma_f32 v3, v58, v62, -v3
	v_add_f32_e32 v2, v2, v3
	v_mul_f32_e32 v3, v61, v65
	;; [unrolled: 36-line block ×4, first 2 shown]
	s_waitcnt lgkmcnt(0)
	v_mul_f32_e32 v140, v132, v137
	v_fmac_f32_e32 v140, v133, v136
	v_add_f32_e32 v111, v111, v140
	v_mul_f32_e32 v140, v134, v139
	v_fmac_f32_e32 v140, v135, v138
	v_add_f32_e32 v111, v111, v140
	ds_read_b128 v[140:143], v110 offset:768
	v_fma_f32 v3, v92, v96, -v3
	v_add_f32_e32 v2, v2, v3
	v_mul_f32_e32 v3, v99, v103
	v_fma_f32 v3, v98, v102, -v3
	s_waitcnt lgkmcnt(0)
	v_mul_f32_e32 v150, v140, v145
	v_fmac_f32_e32 v150, v141, v144
	v_add_f32_e32 v111, v111, v150
	v_mul_f32_e32 v150, v142, v147
	v_fmac_f32_e32 v150, v143, v146
	v_add_f32_e32 v175, v111, v150
	ds_read_b128 v[150:153], v110 offset:784
	scratch_load_dwordx4 v[158:161], off, off offset:368
	scratch_load_dwordx4 v[162:165], off, off offset:384
	;; [unrolled: 1-line block ×4, first 2 shown]
	v_add_f32_e32 v2, v2, v3
	v_mul_f32_e32 v3, v101, v105
	v_fma_f32 v3, v100, v104, -v3
	v_add_f32_e32 v2, v2, v3
	v_mul_f32_e32 v3, v107, v113
	v_fma_f32 v3, v106, v112, -v3
	;; [unrolled: 3-line block ×11, first 2 shown]
	v_add_f32_e32 v174, v2, v3
	s_waitcnt lgkmcnt(0)
	v_mul_f32_e32 v2, v151, v155
	v_fma_f32 v176, v150, v154, -v2
	v_mul_f32_e32 v2, v153, v157
	v_fma_f32 v178, v152, v156, -v2
	ds_read_b128 v[2:5], v110 offset:800
	ds_read_b128 v[6:9], v110 offset:816
	;; [unrolled: 1-line block ×4, first 2 shown]
	v_mul_f32_e32 v177, v150, v155
	v_fmac_f32_e32 v177, v151, v154
	v_mul_f32_e32 v179, v152, v157
	v_fmac_f32_e32 v179, v153, v156
	v_pk_add_f32 v[18:19], v[174:175], v[176:177]
	s_waitcnt vmcnt(3) lgkmcnt(3)
	v_pk_mul_f32 v[20:21], v[2:3], v[158:159] op_sel:[1,1] op_sel_hi:[0,1]
	v_pk_fma_f32 v[22:23], v[2:3], v[158:159], v[20:21] neg_lo:[0,0,1] neg_hi:[0,0,1]
	v_pk_fma_f32 v[2:3], v[2:3], v[158:159], v[20:21] op_sel_hi:[1,0,1]
	v_pk_add_f32 v[18:19], v[18:19], v[178:179]
	v_mov_b32_e32 v23, v3
	v_pk_add_f32 v[2:3], v[18:19], v[22:23]
	v_mov_b32_e32 v18, v161
	v_pk_mul_f32 v[18:19], v[4:5], v[18:19] op_sel:[1,0] op_sel_hi:[0,0]
	v_pk_fma_f32 v[20:21], v[4:5], v[160:161], v[18:19] neg_lo:[0,0,1] neg_hi:[0,0,1]
	v_pk_fma_f32 v[4:5], v[4:5], v[160:161], v[18:19] op_sel_hi:[1,0,1]
	s_nop 0
	v_mov_b32_e32 v21, v5
	s_waitcnt vmcnt(2) lgkmcnt(2)
	v_pk_mul_f32 v[4:5], v[6:7], v[162:163] op_sel:[1,1] op_sel_hi:[0,1]
	v_pk_fma_f32 v[18:19], v[6:7], v[162:163], v[4:5] neg_lo:[0,0,1] neg_hi:[0,0,1]
	v_pk_fma_f32 v[4:5], v[6:7], v[162:163], v[4:5] op_sel_hi:[1,0,1]
	v_pk_add_f32 v[2:3], v[2:3], v[20:21]
	v_mov_b32_e32 v4, v165
	v_mov_b32_e32 v19, v5
	v_pk_mul_f32 v[4:5], v[8:9], v[4:5] op_sel:[1,0] op_sel_hi:[0,0]
	v_pk_fma_f32 v[6:7], v[8:9], v[164:165], v[4:5] neg_lo:[0,0,1] neg_hi:[0,0,1]
	v_pk_fma_f32 v[4:5], v[8:9], v[164:165], v[4:5] op_sel_hi:[1,0,1]
	v_pk_add_f32 v[2:3], v[2:3], v[18:19]
	v_mov_b32_e32 v7, v5
	s_waitcnt vmcnt(1) lgkmcnt(1)
	v_pk_mul_f32 v[4:5], v[10:11], v[166:167] op_sel:[1,1] op_sel_hi:[0,1]
	v_pk_add_f32 v[2:3], v[2:3], v[6:7]
	v_pk_fma_f32 v[6:7], v[10:11], v[166:167], v[4:5] neg_lo:[0,0,1] neg_hi:[0,0,1]
	v_pk_fma_f32 v[4:5], v[10:11], v[166:167], v[4:5] op_sel_hi:[1,0,1]
	s_nop 0
	v_mov_b32_e32 v4, v169
	v_mov_b32_e32 v7, v5
	v_pk_mul_f32 v[4:5], v[12:13], v[4:5] op_sel:[1,0] op_sel_hi:[0,0]
	v_pk_add_f32 v[2:3], v[2:3], v[6:7]
	v_pk_fma_f32 v[6:7], v[12:13], v[168:169], v[4:5] neg_lo:[0,0,1] neg_hi:[0,0,1]
	v_pk_fma_f32 v[4:5], v[12:13], v[168:169], v[4:5] op_sel_hi:[1,0,1]
	s_nop 0
	v_mov_b32_e32 v7, v5
	s_waitcnt vmcnt(0) lgkmcnt(0)
	v_pk_mul_f32 v[4:5], v[14:15], v[170:171] op_sel:[1,1] op_sel_hi:[0,1]
	v_pk_add_f32 v[2:3], v[2:3], v[6:7]
	v_pk_fma_f32 v[6:7], v[14:15], v[170:171], v[4:5] neg_lo:[0,0,1] neg_hi:[0,0,1]
	v_pk_fma_f32 v[4:5], v[14:15], v[170:171], v[4:5] op_sel_hi:[1,0,1]
	s_nop 0
	v_mov_b32_e32 v4, v173
	v_mov_b32_e32 v7, v5
	v_pk_mul_f32 v[4:5], v[16:17], v[4:5] op_sel:[1,0] op_sel_hi:[0,0]
	v_pk_add_f32 v[2:3], v[2:3], v[6:7]
	v_pk_fma_f32 v[6:7], v[16:17], v[172:173], v[4:5] neg_lo:[0,0,1] neg_hi:[0,0,1]
	v_pk_fma_f32 v[4:5], v[16:17], v[172:173], v[4:5] op_sel_hi:[1,0,1]
	s_nop 0
	v_mov_b32_e32 v7, v5
	scratch_load_dwordx2 v[4:5], off, off offset:56
	v_pk_add_f32 v[2:3], v[2:3], v[6:7]
	s_waitcnt vmcnt(0)
	v_pk_add_f32 v[2:3], v[4:5], v[2:3] neg_lo:[0,1] neg_hi:[0,1]
	scratch_store_dwordx2 off, v[2:3], off offset:56
	s_and_saveexec_b64 s[0:1], vcc
	s_cbranch_execz .LBB117_325
; %bb.324:
	scratch_load_dwordx2 v[2:3], off, off offset:48
	v_mov_b32_e32 v4, 0
	v_mov_b32_e32 v5, v4
	scratch_store_dwordx2 off, v[4:5], off offset:48
	s_waitcnt vmcnt(1)
	ds_write_b64 v1, v[2:3]
.LBB117_325:
	s_or_b64 exec, exec, s[0:1]
	s_waitcnt lgkmcnt(0)
	; wave barrier
	scratch_load_dwordx4 v[6:9], off, off offset:56
	scratch_load_dwordx4 v[14:17], off, off offset:72
	;; [unrolled: 1-line block ×10, first 2 shown]
	v_mov_b32_e32 v118, 0
	ds_read2_b64 v[2:5], v118 offset0:61 offset1:62
	scratch_load_dwordx4 v[86:89], off, off offset:216
	scratch_load_dwordx4 v[94:97], off, off offset:232
	;; [unrolled: 1-line block ×10, first 2 shown]
	v_cmp_lt_u32_e32 vcc, 5, v0
	s_waitcnt vmcnt(19) lgkmcnt(0)
	v_mul_f32_e32 v10, v2, v7
	v_fmac_f32_e32 v10, v3, v6
	v_mul_f32_e32 v11, v4, v9
	v_add_f32_e32 v10, 0, v10
	v_fmac_f32_e32 v11, v5, v8
	v_add_f32_e32 v18, v10, v11
	ds_read2_b64 v[10:13], v118 offset0:63 offset1:64
	v_mul_f32_e32 v3, v3, v7
	v_fma_f32 v2, v2, v6, -v3
	v_mul_f32_e32 v3, v5, v9
	v_add_f32_e32 v2, 0, v2
	s_waitcnt vmcnt(18) lgkmcnt(0)
	v_mul_f32_e32 v19, v10, v15
	v_fmac_f32_e32 v19, v11, v14
	v_add_f32_e32 v18, v18, v19
	v_mul_f32_e32 v19, v12, v17
	v_fmac_f32_e32 v19, v13, v16
	v_add_f32_e32 v26, v18, v19
	ds_read2_b64 v[18:21], v118 offset0:65 offset1:66
	v_fma_f32 v3, v4, v8, -v3
	v_add_f32_e32 v2, v2, v3
	v_mul_f32_e32 v3, v11, v15
	v_fma_f32 v3, v10, v14, -v3
	s_waitcnt vmcnt(17) lgkmcnt(0)
	v_mul_f32_e32 v27, v18, v23
	v_fmac_f32_e32 v27, v19, v22
	v_add_f32_e32 v26, v26, v27
	v_mul_f32_e32 v27, v20, v25
	v_fmac_f32_e32 v27, v21, v24
	v_add_f32_e32 v34, v26, v27
	ds_read2_b64 v[26:29], v118 offset0:67 offset1:68
	v_add_f32_e32 v2, v2, v3
	v_mul_f32_e32 v3, v13, v17
	v_fma_f32 v3, v12, v16, -v3
	v_add_f32_e32 v2, v2, v3
	s_waitcnt vmcnt(16) lgkmcnt(0)
	v_mul_f32_e32 v35, v26, v31
	v_fmac_f32_e32 v35, v27, v30
	v_add_f32_e32 v34, v34, v35
	v_mul_f32_e32 v35, v28, v33
	v_fmac_f32_e32 v35, v29, v32
	v_add_f32_e32 v42, v34, v35
	ds_read2_b64 v[34:37], v118 offset0:69 offset1:70
	v_mul_f32_e32 v3, v19, v23
	v_fma_f32 v3, v18, v22, -v3
	v_add_f32_e32 v2, v2, v3
	v_mul_f32_e32 v3, v21, v25
	s_waitcnt vmcnt(15) lgkmcnt(0)
	v_mul_f32_e32 v43, v34, v39
	v_fmac_f32_e32 v43, v35, v38
	v_add_f32_e32 v42, v42, v43
	v_mul_f32_e32 v43, v36, v41
	v_fmac_f32_e32 v43, v37, v40
	v_add_f32_e32 v50, v42, v43
	ds_read2_b64 v[42:45], v118 offset0:71 offset1:72
	v_fma_f32 v3, v20, v24, -v3
	v_add_f32_e32 v2, v2, v3
	v_mul_f32_e32 v3, v27, v31
	v_fma_f32 v3, v26, v30, -v3
	s_waitcnt vmcnt(14) lgkmcnt(0)
	v_mul_f32_e32 v51, v42, v47
	v_fmac_f32_e32 v51, v43, v46
	v_add_f32_e32 v50, v50, v51
	v_mul_f32_e32 v51, v44, v49
	v_fmac_f32_e32 v51, v45, v48
	v_add_f32_e32 v58, v50, v51
	ds_read2_b64 v[50:53], v118 offset0:73 offset1:74
	v_add_f32_e32 v2, v2, v3
	v_mul_f32_e32 v3, v29, v33
	v_fma_f32 v3, v28, v32, -v3
	v_add_f32_e32 v2, v2, v3
	s_waitcnt vmcnt(13) lgkmcnt(0)
	v_mul_f32_e32 v59, v50, v55
	v_fmac_f32_e32 v59, v51, v54
	v_add_f32_e32 v58, v58, v59
	v_mul_f32_e32 v59, v52, v57
	v_fmac_f32_e32 v59, v53, v56
	v_add_f32_e32 v66, v58, v59
	ds_read2_b64 v[58:61], v118 offset0:75 offset1:76
	v_mul_f32_e32 v3, v35, v39
	v_fma_f32 v3, v34, v38, -v3
	v_add_f32_e32 v2, v2, v3
	v_mul_f32_e32 v3, v37, v41
	;; [unrolled: 36-line block ×5, first 2 shown]
	s_waitcnt vmcnt(3) lgkmcnt(0)
	v_mul_f32_e32 v140, v132, v137
	v_fmac_f32_e32 v140, v133, v136
	v_add_f32_e32 v119, v119, v140
	v_mul_f32_e32 v140, v134, v139
	v_fmac_f32_e32 v140, v135, v138
	v_add_f32_e32 v119, v119, v140
	ds_read2_b64 v[140:143], v118 offset0:95 offset1:96
	v_fma_f32 v3, v84, v88, -v3
	v_add_f32_e32 v2, v2, v3
	v_mul_f32_e32 v3, v91, v95
	v_fma_f32 v3, v90, v94, -v3
	s_waitcnt vmcnt(2) lgkmcnt(0)
	v_mul_f32_e32 v150, v140, v145
	v_fmac_f32_e32 v150, v141, v144
	v_add_f32_e32 v119, v119, v150
	v_mul_f32_e32 v150, v142, v147
	v_fmac_f32_e32 v150, v143, v146
	v_add_f32_e32 v119, v119, v150
	ds_read2_b64 v[150:153], v118 offset0:97 offset1:98
	v_add_f32_e32 v2, v2, v3
	v_mul_f32_e32 v3, v93, v97
	v_fma_f32 v3, v92, v96, -v3
	v_add_f32_e32 v2, v2, v3
	s_waitcnt vmcnt(1) lgkmcnt(0)
	v_mul_f32_e32 v158, v150, v155
	v_fmac_f32_e32 v158, v151, v154
	v_add_f32_e32 v179, v119, v158
	ds_read2_b64 v[158:161], v118 offset0:99 offset1:100
	scratch_load_dwordx4 v[166:169], off, off offset:376
	scratch_load_dwordx4 v[170:173], off, off offset:392
	;; [unrolled: 1-line block ×3, first 2 shown]
	scratch_load_dwordx2 v[184:185], off, off offset:424
	v_mul_f32_e32 v3, v99, v103
	v_fma_f32 v3, v98, v102, -v3
	v_add_f32_e32 v2, v2, v3
	v_mul_f32_e32 v3, v101, v105
	v_fma_f32 v3, v100, v104, -v3
	v_add_f32_e32 v2, v2, v3
	;; [unrolled: 3-line block ×13, first 2 shown]
	v_mul_f32_e32 v2, v153, v157
	v_mul_f32_e32 v181, v152, v157
	v_fma_f32 v180, v152, v156, -v2
	s_waitcnt vmcnt(4) lgkmcnt(0)
	v_mul_f32_e32 v2, v159, v163
	v_mov_b32_e32 v18, v165
	v_fmac_f32_e32 v181, v153, v156
	v_mul_f32_e32 v183, v158, v163
	v_fma_f32 v182, v158, v162, -v2
	ds_read2_b64 v[2:5], v118 offset0:101 offset1:102
	ds_read2_b64 v[6:9], v118 offset0:103 offset1:104
	;; [unrolled: 1-line block ×3, first 2 shown]
	ds_read_b64 v[14:15], v118 offset:856
	v_pk_mul_f32 v[18:19], v[160:161], v[18:19] op_sel:[1,0] op_sel_hi:[0,0]
	v_fmac_f32_e32 v183, v159, v162
	v_pk_add_f32 v[16:17], v[178:179], v[180:181]
	v_pk_fma_f32 v[20:21], v[160:161], v[164:165], v[18:19] neg_lo:[0,0,1] neg_hi:[0,0,1]
	v_pk_fma_f32 v[18:19], v[160:161], v[164:165], v[18:19] op_sel_hi:[1,0,1]
	v_pk_add_f32 v[16:17], v[16:17], v[182:183]
	v_mov_b32_e32 v21, v19
	v_pk_add_f32 v[16:17], v[16:17], v[20:21]
	s_waitcnt vmcnt(3) lgkmcnt(3)
	v_pk_mul_f32 v[18:19], v[2:3], v[166:167] op_sel:[1,1] op_sel_hi:[0,1]
	v_pk_fma_f32 v[20:21], v[2:3], v[166:167], v[18:19] neg_lo:[0,0,1] neg_hi:[0,0,1]
	v_pk_fma_f32 v[2:3], v[2:3], v[166:167], v[18:19] op_sel_hi:[1,0,1]
	s_nop 0
	v_mov_b32_e32 v21, v3
	v_pk_add_f32 v[2:3], v[16:17], v[20:21]
	v_mov_b32_e32 v16, v169
	v_pk_mul_f32 v[16:17], v[4:5], v[16:17] op_sel:[1,0] op_sel_hi:[0,0]
	v_pk_fma_f32 v[18:19], v[4:5], v[168:169], v[16:17] neg_lo:[0,0,1] neg_hi:[0,0,1]
	v_pk_fma_f32 v[4:5], v[4:5], v[168:169], v[16:17] op_sel_hi:[1,0,1]
	s_nop 0
	v_mov_b32_e32 v19, v5
	s_waitcnt vmcnt(2) lgkmcnt(2)
	v_pk_mul_f32 v[4:5], v[6:7], v[170:171] op_sel:[1,1] op_sel_hi:[0,1]
	v_pk_fma_f32 v[16:17], v[6:7], v[170:171], v[4:5] neg_lo:[0,0,1] neg_hi:[0,0,1]
	v_pk_fma_f32 v[4:5], v[6:7], v[170:171], v[4:5] op_sel_hi:[1,0,1]
	v_pk_add_f32 v[2:3], v[2:3], v[18:19]
	v_mov_b32_e32 v4, v173
	v_mov_b32_e32 v17, v5
	v_pk_mul_f32 v[4:5], v[8:9], v[4:5] op_sel:[1,0] op_sel_hi:[0,0]
	v_pk_fma_f32 v[6:7], v[8:9], v[172:173], v[4:5] neg_lo:[0,0,1] neg_hi:[0,0,1]
	v_pk_fma_f32 v[4:5], v[8:9], v[172:173], v[4:5] op_sel_hi:[1,0,1]
	v_pk_add_f32 v[2:3], v[2:3], v[16:17]
	v_mov_b32_e32 v7, v5
	s_waitcnt vmcnt(1) lgkmcnt(1)
	v_pk_mul_f32 v[4:5], v[10:11], v[174:175] op_sel:[1,1] op_sel_hi:[0,1]
	v_pk_add_f32 v[2:3], v[2:3], v[6:7]
	v_pk_fma_f32 v[6:7], v[10:11], v[174:175], v[4:5] neg_lo:[0,0,1] neg_hi:[0,0,1]
	v_pk_fma_f32 v[4:5], v[10:11], v[174:175], v[4:5] op_sel_hi:[1,0,1]
	s_nop 0
	v_mov_b32_e32 v4, v177
	v_mov_b32_e32 v7, v5
	v_pk_mul_f32 v[4:5], v[12:13], v[4:5] op_sel:[1,0] op_sel_hi:[0,0]
	v_pk_add_f32 v[2:3], v[2:3], v[6:7]
	v_pk_fma_f32 v[6:7], v[12:13], v[176:177], v[4:5] neg_lo:[0,0,1] neg_hi:[0,0,1]
	v_pk_fma_f32 v[4:5], v[12:13], v[176:177], v[4:5] op_sel_hi:[1,0,1]
	s_nop 0
	v_mov_b32_e32 v7, v5
	s_waitcnt vmcnt(0) lgkmcnt(0)
	v_pk_mul_f32 v[4:5], v[14:15], v[184:185] op_sel:[1,1] op_sel_hi:[0,1]
	v_pk_add_f32 v[2:3], v[2:3], v[6:7]
	v_pk_fma_f32 v[6:7], v[14:15], v[184:185], v[4:5] neg_lo:[0,0,1] neg_hi:[0,0,1]
	v_pk_fma_f32 v[4:5], v[14:15], v[184:185], v[4:5] op_sel_hi:[1,0,1]
	s_nop 0
	v_mov_b32_e32 v7, v5
	scratch_load_dwordx2 v[4:5], off, off offset:48
	v_pk_add_f32 v[2:3], v[2:3], v[6:7]
	s_waitcnt vmcnt(0)
	v_pk_add_f32 v[2:3], v[4:5], v[2:3] neg_lo:[0,1] neg_hi:[0,1]
	scratch_store_dwordx2 off, v[2:3], off offset:48
	s_and_saveexec_b64 s[0:1], vcc
	s_cbranch_execz .LBB117_327
; %bb.326:
	scratch_load_dwordx2 v[2:3], off, off offset:40
	v_mov_b32_e32 v119, v118
	scratch_store_dwordx2 off, v[118:119], off offset:40
	s_waitcnt vmcnt(1)
	ds_write_b64 v1, v[2:3]
.LBB117_327:
	s_or_b64 exec, exec, s[0:1]
	s_waitcnt lgkmcnt(0)
	; wave barrier
	ds_read_b128 v[14:17], v118 offset:480
	ds_read_b128 v[10:13], v118 offset:496
	ds_read_b128 v[6:9], v118 offset:512
	ds_read_b128 v[2:5], v118 offset:528
	scratch_load_dwordx4 v[18:21], off, off offset:48
	scratch_load_dwordx4 v[38:41], off, off offset:112
	;; [unrolled: 1-line block ×14, first 2 shown]
	v_cmp_lt_u32_e32 vcc, 4, v0
	scratch_load_dwordx4 v[46:49], off, off offset:128
	scratch_load_dwordx4 v[54:57], off, off offset:144
	;; [unrolled: 1-line block ×3, first 2 shown]
	s_waitcnt vmcnt(16) lgkmcnt(3)
	v_mul_f32_e32 v22, v14, v19
	v_fmac_f32_e32 v22, v15, v18
	v_mul_f32_e32 v23, v16, v21
	v_add_f32_e32 v22, 0, v22
	v_fmac_f32_e32 v23, v17, v20
	v_add_f32_e32 v26, v22, v23
	scratch_load_dwordx4 v[22:25], off, off offset:64
	v_mul_f32_e32 v15, v15, v19
	v_fma_f32 v14, v14, v18, -v15
	v_mul_f32_e32 v15, v17, v21
	v_add_f32_e32 v14, 0, v14
	v_fma_f32 v15, v16, v20, -v15
	v_add_f32_e32 v14, v14, v15
	s_waitcnt vmcnt(0) lgkmcnt(2)
	v_mul_f32_e32 v27, v10, v23
	v_fmac_f32_e32 v27, v11, v22
	v_add_f32_e32 v26, v26, v27
	v_mul_f32_e32 v27, v12, v25
	v_fmac_f32_e32 v27, v13, v24
	v_add_f32_e32 v30, v26, v27
	scratch_load_dwordx4 v[26:29], off, off offset:80
	v_mul_f32_e32 v11, v11, v23
	v_fma_f32 v10, v10, v22, -v11
	v_mul_f32_e32 v11, v13, v25
	v_add_f32_e32 v10, v14, v10
	v_fma_f32 v11, v12, v24, -v11
	v_add_f32_e32 v10, v10, v11
	s_waitcnt vmcnt(0) lgkmcnt(1)
	v_mul_f32_e32 v31, v6, v27
	v_fmac_f32_e32 v31, v7, v26
	v_add_f32_e32 v30, v30, v31
	v_mul_f32_e32 v31, v8, v29
	;; [unrolled: 14-line block ×3, first 2 shown]
	v_fmac_f32_e32 v35, v5, v32
	v_add_f32_e32 v42, v34, v35
	ds_read_b128 v[34:37], v118 offset:544
	v_mul_f32_e32 v3, v3, v31
	v_fma_f32 v2, v2, v30, -v3
	v_mul_f32_e32 v3, v5, v33
	v_add_f32_e32 v2, v6, v2
	s_waitcnt lgkmcnt(0)
	v_mul_f32_e32 v43, v34, v39
	v_fmac_f32_e32 v43, v35, v38
	v_add_f32_e32 v42, v42, v43
	v_mul_f32_e32 v43, v36, v41
	v_fmac_f32_e32 v43, v37, v40
	v_add_f32_e32 v50, v42, v43
	ds_read_b128 v[42:45], v118 offset:560
	v_fma_f32 v3, v4, v32, -v3
	v_add_f32_e32 v2, v2, v3
	v_mul_f32_e32 v3, v35, v39
	v_fma_f32 v3, v34, v38, -v3
	s_waitcnt lgkmcnt(0)
	v_mul_f32_e32 v51, v42, v47
	v_fmac_f32_e32 v51, v43, v46
	v_add_f32_e32 v50, v50, v51
	v_mul_f32_e32 v51, v44, v49
	v_fmac_f32_e32 v51, v45, v48
	v_add_f32_e32 v58, v50, v51
	ds_read_b128 v[50:53], v118 offset:576
	v_add_f32_e32 v2, v2, v3
	v_mul_f32_e32 v3, v37, v41
	v_fma_f32 v3, v36, v40, -v3
	v_add_f32_e32 v2, v2, v3
	s_waitcnt lgkmcnt(0)
	v_mul_f32_e32 v59, v50, v55
	v_fmac_f32_e32 v59, v51, v54
	v_add_f32_e32 v58, v58, v59
	v_mul_f32_e32 v59, v52, v57
	v_fmac_f32_e32 v59, v53, v56
	v_add_f32_e32 v66, v58, v59
	ds_read_b128 v[58:61], v118 offset:592
	v_mul_f32_e32 v3, v43, v47
	v_fma_f32 v3, v42, v46, -v3
	v_add_f32_e32 v2, v2, v3
	v_mul_f32_e32 v3, v45, v49
	s_waitcnt lgkmcnt(0)
	v_mul_f32_e32 v67, v58, v63
	v_fmac_f32_e32 v67, v59, v62
	v_add_f32_e32 v66, v66, v67
	v_mul_f32_e32 v67, v60, v65
	v_fmac_f32_e32 v67, v61, v64
	v_add_f32_e32 v74, v66, v67
	ds_read_b128 v[66:69], v118 offset:608
	v_fma_f32 v3, v44, v48, -v3
	v_add_f32_e32 v2, v2, v3
	v_mul_f32_e32 v3, v51, v55
	v_fma_f32 v3, v50, v54, -v3
	s_waitcnt lgkmcnt(0)
	v_mul_f32_e32 v75, v66, v71
	v_fmac_f32_e32 v75, v67, v70
	v_add_f32_e32 v74, v74, v75
	v_mul_f32_e32 v75, v68, v73
	v_fmac_f32_e32 v75, v69, v72
	v_add_f32_e32 v82, v74, v75
	ds_read_b128 v[74:77], v118 offset:624
	v_add_f32_e32 v2, v2, v3
	v_mul_f32_e32 v3, v53, v57
	v_fma_f32 v3, v52, v56, -v3
	v_add_f32_e32 v2, v2, v3
	s_waitcnt lgkmcnt(0)
	v_mul_f32_e32 v83, v74, v79
	v_fmac_f32_e32 v83, v75, v78
	v_add_f32_e32 v82, v82, v83
	v_mul_f32_e32 v83, v76, v81
	v_fmac_f32_e32 v83, v77, v80
	v_add_f32_e32 v90, v82, v83
	ds_read_b128 v[82:85], v118 offset:640
	v_mul_f32_e32 v3, v59, v63
	v_fma_f32 v3, v58, v62, -v3
	v_add_f32_e32 v2, v2, v3
	v_mul_f32_e32 v3, v61, v65
	;; [unrolled: 36-line block ×4, first 2 shown]
	s_waitcnt lgkmcnt(0)
	v_mul_f32_e32 v140, v132, v137
	v_fmac_f32_e32 v140, v133, v136
	v_add_f32_e32 v119, v119, v140
	v_mul_f32_e32 v140, v134, v139
	v_fmac_f32_e32 v140, v135, v138
	v_add_f32_e32 v119, v119, v140
	ds_read_b128 v[140:143], v118 offset:752
	v_fma_f32 v3, v92, v96, -v3
	v_add_f32_e32 v2, v2, v3
	v_mul_f32_e32 v3, v99, v103
	v_fma_f32 v3, v98, v102, -v3
	s_waitcnt lgkmcnt(0)
	v_mul_f32_e32 v150, v140, v145
	v_fmac_f32_e32 v150, v141, v144
	v_add_f32_e32 v119, v119, v150
	v_mul_f32_e32 v150, v142, v147
	v_fmac_f32_e32 v150, v143, v146
	v_add_f32_e32 v119, v119, v150
	ds_read_b128 v[150:153], v118 offset:768
	v_add_f32_e32 v2, v2, v3
	v_mul_f32_e32 v3, v101, v105
	v_fma_f32 v3, v100, v104, -v3
	v_add_f32_e32 v2, v2, v3
	s_waitcnt lgkmcnt(0)
	v_mul_f32_e32 v158, v150, v155
	v_fmac_f32_e32 v158, v151, v154
	v_add_f32_e32 v119, v119, v158
	v_mul_f32_e32 v158, v152, v157
	v_fmac_f32_e32 v158, v153, v156
	v_add_f32_e32 v183, v119, v158
	ds_read_b128 v[158:161], v118 offset:784
	scratch_load_dwordx4 v[166:169], off, off offset:368
	scratch_load_dwordx4 v[170:173], off, off offset:384
	scratch_load_dwordx4 v[174:177], off, off offset:400
	scratch_load_dwordx4 v[178:181], off, off offset:416
	v_mul_f32_e32 v3, v107, v111
	v_fma_f32 v3, v106, v110, -v3
	v_add_f32_e32 v2, v2, v3
	v_mul_f32_e32 v3, v109, v113
	v_fma_f32 v3, v108, v112, -v3
	v_add_f32_e32 v2, v2, v3
	;; [unrolled: 3-line block ×12, first 2 shown]
	s_waitcnt lgkmcnt(0)
	v_mul_f32_e32 v2, v159, v163
	v_fma_f32 v184, v158, v162, -v2
	v_mul_f32_e32 v2, v161, v165
	v_fma_f32 v186, v160, v164, -v2
	ds_read_b128 v[2:5], v118 offset:800
	ds_read_b128 v[6:9], v118 offset:816
	;; [unrolled: 1-line block ×4, first 2 shown]
	v_mul_f32_e32 v185, v158, v163
	v_fmac_f32_e32 v185, v159, v162
	v_mul_f32_e32 v187, v160, v165
	v_fmac_f32_e32 v187, v161, v164
	v_pk_add_f32 v[18:19], v[182:183], v[184:185]
	s_waitcnt vmcnt(3) lgkmcnt(3)
	v_pk_mul_f32 v[20:21], v[2:3], v[166:167] op_sel:[1,1] op_sel_hi:[0,1]
	v_pk_fma_f32 v[22:23], v[2:3], v[166:167], v[20:21] neg_lo:[0,0,1] neg_hi:[0,0,1]
	v_pk_fma_f32 v[2:3], v[2:3], v[166:167], v[20:21] op_sel_hi:[1,0,1]
	v_pk_add_f32 v[18:19], v[18:19], v[186:187]
	v_mov_b32_e32 v23, v3
	v_pk_add_f32 v[2:3], v[18:19], v[22:23]
	v_mov_b32_e32 v18, v169
	v_pk_mul_f32 v[18:19], v[4:5], v[18:19] op_sel:[1,0] op_sel_hi:[0,0]
	v_pk_fma_f32 v[20:21], v[4:5], v[168:169], v[18:19] neg_lo:[0,0,1] neg_hi:[0,0,1]
	v_pk_fma_f32 v[4:5], v[4:5], v[168:169], v[18:19] op_sel_hi:[1,0,1]
	s_nop 0
	v_mov_b32_e32 v21, v5
	s_waitcnt vmcnt(2) lgkmcnt(2)
	v_pk_mul_f32 v[4:5], v[6:7], v[170:171] op_sel:[1,1] op_sel_hi:[0,1]
	v_pk_fma_f32 v[18:19], v[6:7], v[170:171], v[4:5] neg_lo:[0,0,1] neg_hi:[0,0,1]
	v_pk_fma_f32 v[4:5], v[6:7], v[170:171], v[4:5] op_sel_hi:[1,0,1]
	v_pk_add_f32 v[2:3], v[2:3], v[20:21]
	v_mov_b32_e32 v4, v173
	v_mov_b32_e32 v19, v5
	v_pk_mul_f32 v[4:5], v[8:9], v[4:5] op_sel:[1,0] op_sel_hi:[0,0]
	v_pk_fma_f32 v[6:7], v[8:9], v[172:173], v[4:5] neg_lo:[0,0,1] neg_hi:[0,0,1]
	v_pk_fma_f32 v[4:5], v[8:9], v[172:173], v[4:5] op_sel_hi:[1,0,1]
	v_pk_add_f32 v[2:3], v[2:3], v[18:19]
	v_mov_b32_e32 v7, v5
	s_waitcnt vmcnt(1) lgkmcnt(1)
	v_pk_mul_f32 v[4:5], v[10:11], v[174:175] op_sel:[1,1] op_sel_hi:[0,1]
	v_pk_add_f32 v[2:3], v[2:3], v[6:7]
	v_pk_fma_f32 v[6:7], v[10:11], v[174:175], v[4:5] neg_lo:[0,0,1] neg_hi:[0,0,1]
	v_pk_fma_f32 v[4:5], v[10:11], v[174:175], v[4:5] op_sel_hi:[1,0,1]
	s_nop 0
	v_mov_b32_e32 v4, v177
	v_mov_b32_e32 v7, v5
	v_pk_mul_f32 v[4:5], v[12:13], v[4:5] op_sel:[1,0] op_sel_hi:[0,0]
	v_pk_add_f32 v[2:3], v[2:3], v[6:7]
	v_pk_fma_f32 v[6:7], v[12:13], v[176:177], v[4:5] neg_lo:[0,0,1] neg_hi:[0,0,1]
	v_pk_fma_f32 v[4:5], v[12:13], v[176:177], v[4:5] op_sel_hi:[1,0,1]
	s_nop 0
	v_mov_b32_e32 v7, v5
	s_waitcnt vmcnt(0) lgkmcnt(0)
	v_pk_mul_f32 v[4:5], v[14:15], v[178:179] op_sel:[1,1] op_sel_hi:[0,1]
	v_pk_add_f32 v[2:3], v[2:3], v[6:7]
	v_pk_fma_f32 v[6:7], v[14:15], v[178:179], v[4:5] neg_lo:[0,0,1] neg_hi:[0,0,1]
	v_pk_fma_f32 v[4:5], v[14:15], v[178:179], v[4:5] op_sel_hi:[1,0,1]
	s_nop 0
	v_mov_b32_e32 v4, v181
	v_mov_b32_e32 v7, v5
	v_pk_mul_f32 v[4:5], v[16:17], v[4:5] op_sel:[1,0] op_sel_hi:[0,0]
	v_pk_add_f32 v[2:3], v[2:3], v[6:7]
	v_pk_fma_f32 v[6:7], v[16:17], v[180:181], v[4:5] neg_lo:[0,0,1] neg_hi:[0,0,1]
	v_pk_fma_f32 v[4:5], v[16:17], v[180:181], v[4:5] op_sel_hi:[1,0,1]
	s_nop 0
	v_mov_b32_e32 v7, v5
	scratch_load_dwordx2 v[4:5], off, off offset:40
	v_pk_add_f32 v[2:3], v[2:3], v[6:7]
	s_waitcnt vmcnt(0)
	v_pk_add_f32 v[2:3], v[4:5], v[2:3] neg_lo:[0,1] neg_hi:[0,1]
	scratch_store_dwordx2 off, v[2:3], off offset:40
	s_and_saveexec_b64 s[0:1], vcc
	s_cbranch_execz .LBB117_329
; %bb.328:
	scratch_load_dwordx2 v[2:3], off, off offset:32
	v_mov_b32_e32 v4, 0
	v_mov_b32_e32 v5, v4
	scratch_store_dwordx2 off, v[4:5], off offset:32
	s_waitcnt vmcnt(1)
	ds_write_b64 v1, v[2:3]
.LBB117_329:
	s_or_b64 exec, exec, s[0:1]
	s_waitcnt lgkmcnt(0)
	; wave barrier
	scratch_load_dwordx4 v[6:9], off, off offset:40
	scratch_load_dwordx4 v[14:17], off, off offset:56
	;; [unrolled: 1-line block ×10, first 2 shown]
	v_mov_b32_e32 v134, 0
	ds_read2_b64 v[2:5], v134 offset0:59 offset1:60
	scratch_load_dwordx4 v[86:89], off, off offset:200
	scratch_load_dwordx4 v[94:97], off, off offset:216
	;; [unrolled: 1-line block ×11, first 2 shown]
	v_cmp_lt_u32_e32 vcc, 3, v0
	s_waitcnt vmcnt(20) lgkmcnt(0)
	v_mul_f32_e32 v10, v2, v7
	v_fmac_f32_e32 v10, v3, v6
	v_mul_f32_e32 v11, v4, v9
	v_add_f32_e32 v10, 0, v10
	v_fmac_f32_e32 v11, v5, v8
	v_add_f32_e32 v18, v10, v11
	ds_read2_b64 v[10:13], v134 offset0:61 offset1:62
	v_mul_f32_e32 v3, v3, v7
	v_fma_f32 v2, v2, v6, -v3
	v_mul_f32_e32 v3, v5, v9
	v_add_f32_e32 v2, 0, v2
	s_waitcnt vmcnt(19) lgkmcnt(0)
	v_mul_f32_e32 v19, v10, v15
	v_fmac_f32_e32 v19, v11, v14
	v_add_f32_e32 v18, v18, v19
	v_mul_f32_e32 v19, v12, v17
	v_fmac_f32_e32 v19, v13, v16
	v_add_f32_e32 v26, v18, v19
	ds_read2_b64 v[18:21], v134 offset0:63 offset1:64
	v_fma_f32 v3, v4, v8, -v3
	v_add_f32_e32 v2, v2, v3
	v_mul_f32_e32 v3, v11, v15
	v_fma_f32 v3, v10, v14, -v3
	s_waitcnt vmcnt(18) lgkmcnt(0)
	v_mul_f32_e32 v27, v18, v23
	v_fmac_f32_e32 v27, v19, v22
	v_add_f32_e32 v26, v26, v27
	v_mul_f32_e32 v27, v20, v25
	v_fmac_f32_e32 v27, v21, v24
	v_add_f32_e32 v34, v26, v27
	ds_read2_b64 v[26:29], v134 offset0:65 offset1:66
	v_add_f32_e32 v2, v2, v3
	v_mul_f32_e32 v3, v13, v17
	v_fma_f32 v3, v12, v16, -v3
	v_add_f32_e32 v2, v2, v3
	s_waitcnt vmcnt(17) lgkmcnt(0)
	v_mul_f32_e32 v35, v26, v31
	v_fmac_f32_e32 v35, v27, v30
	v_add_f32_e32 v34, v34, v35
	v_mul_f32_e32 v35, v28, v33
	v_fmac_f32_e32 v35, v29, v32
	v_add_f32_e32 v42, v34, v35
	ds_read2_b64 v[34:37], v134 offset0:67 offset1:68
	v_mul_f32_e32 v3, v19, v23
	v_fma_f32 v3, v18, v22, -v3
	v_add_f32_e32 v2, v2, v3
	v_mul_f32_e32 v3, v21, v25
	s_waitcnt vmcnt(16) lgkmcnt(0)
	v_mul_f32_e32 v43, v34, v39
	v_fmac_f32_e32 v43, v35, v38
	v_add_f32_e32 v42, v42, v43
	v_mul_f32_e32 v43, v36, v41
	v_fmac_f32_e32 v43, v37, v40
	v_add_f32_e32 v50, v42, v43
	ds_read2_b64 v[42:45], v134 offset0:69 offset1:70
	v_fma_f32 v3, v20, v24, -v3
	v_add_f32_e32 v2, v2, v3
	v_mul_f32_e32 v3, v27, v31
	v_fma_f32 v3, v26, v30, -v3
	s_waitcnt vmcnt(15) lgkmcnt(0)
	v_mul_f32_e32 v51, v42, v47
	v_fmac_f32_e32 v51, v43, v46
	v_add_f32_e32 v50, v50, v51
	v_mul_f32_e32 v51, v44, v49
	v_fmac_f32_e32 v51, v45, v48
	v_add_f32_e32 v58, v50, v51
	ds_read2_b64 v[50:53], v134 offset0:71 offset1:72
	v_add_f32_e32 v2, v2, v3
	v_mul_f32_e32 v3, v29, v33
	v_fma_f32 v3, v28, v32, -v3
	v_add_f32_e32 v2, v2, v3
	s_waitcnt vmcnt(14) lgkmcnt(0)
	v_mul_f32_e32 v59, v50, v55
	v_fmac_f32_e32 v59, v51, v54
	v_add_f32_e32 v58, v58, v59
	v_mul_f32_e32 v59, v52, v57
	v_fmac_f32_e32 v59, v53, v56
	v_add_f32_e32 v66, v58, v59
	ds_read2_b64 v[58:61], v134 offset0:73 offset1:74
	v_mul_f32_e32 v3, v35, v39
	v_fma_f32 v3, v34, v38, -v3
	v_add_f32_e32 v2, v2, v3
	v_mul_f32_e32 v3, v37, v41
	;; [unrolled: 36-line block ×6, first 2 shown]
	s_waitcnt vmcnt(1) lgkmcnt(0)
	v_mul_f32_e32 v166, v158, v163
	v_fmac_f32_e32 v166, v159, v162
	v_add_f32_e32 v187, v135, v166
	ds_read2_b64 v[166:169], v134 offset0:99 offset1:100
	scratch_load_dwordx4 v[174:177], off, off offset:376
	scratch_load_dwordx4 v[178:181], off, off offset:392
	;; [unrolled: 1-line block ×3, first 2 shown]
	scratch_load_dwordx2 v[192:193], off, off offset:424
	v_fma_f32 v3, v100, v104, -v3
	v_add_f32_e32 v2, v2, v3
	v_mul_f32_e32 v3, v107, v111
	v_fma_f32 v3, v106, v110, -v3
	v_add_f32_e32 v2, v2, v3
	v_mul_f32_e32 v3, v109, v113
	;; [unrolled: 3-line block ×14, first 2 shown]
	v_mul_f32_e32 v189, v160, v165
	v_fma_f32 v188, v160, v164, -v2
	s_waitcnt vmcnt(4) lgkmcnt(0)
	v_mul_f32_e32 v2, v167, v171
	v_mov_b32_e32 v18, v173
	v_fmac_f32_e32 v189, v161, v164
	v_mul_f32_e32 v191, v166, v171
	v_fma_f32 v190, v166, v170, -v2
	ds_read2_b64 v[2:5], v134 offset0:101 offset1:102
	ds_read2_b64 v[6:9], v134 offset0:103 offset1:104
	;; [unrolled: 1-line block ×3, first 2 shown]
	ds_read_b64 v[14:15], v134 offset:856
	v_pk_mul_f32 v[18:19], v[168:169], v[18:19] op_sel:[1,0] op_sel_hi:[0,0]
	v_fmac_f32_e32 v191, v167, v170
	v_pk_add_f32 v[16:17], v[186:187], v[188:189]
	v_pk_fma_f32 v[20:21], v[168:169], v[172:173], v[18:19] neg_lo:[0,0,1] neg_hi:[0,0,1]
	v_pk_fma_f32 v[18:19], v[168:169], v[172:173], v[18:19] op_sel_hi:[1,0,1]
	v_pk_add_f32 v[16:17], v[16:17], v[190:191]
	v_mov_b32_e32 v21, v19
	v_pk_add_f32 v[16:17], v[16:17], v[20:21]
	s_waitcnt vmcnt(3) lgkmcnt(3)
	v_pk_mul_f32 v[18:19], v[2:3], v[174:175] op_sel:[1,1] op_sel_hi:[0,1]
	v_pk_fma_f32 v[20:21], v[2:3], v[174:175], v[18:19] neg_lo:[0,0,1] neg_hi:[0,0,1]
	v_pk_fma_f32 v[2:3], v[2:3], v[174:175], v[18:19] op_sel_hi:[1,0,1]
	s_nop 0
	v_mov_b32_e32 v21, v3
	v_pk_add_f32 v[2:3], v[16:17], v[20:21]
	v_mov_b32_e32 v16, v177
	v_pk_mul_f32 v[16:17], v[4:5], v[16:17] op_sel:[1,0] op_sel_hi:[0,0]
	v_pk_fma_f32 v[18:19], v[4:5], v[176:177], v[16:17] neg_lo:[0,0,1] neg_hi:[0,0,1]
	v_pk_fma_f32 v[4:5], v[4:5], v[176:177], v[16:17] op_sel_hi:[1,0,1]
	s_nop 0
	v_mov_b32_e32 v19, v5
	s_waitcnt vmcnt(2) lgkmcnt(2)
	v_pk_mul_f32 v[4:5], v[6:7], v[178:179] op_sel:[1,1] op_sel_hi:[0,1]
	v_pk_fma_f32 v[16:17], v[6:7], v[178:179], v[4:5] neg_lo:[0,0,1] neg_hi:[0,0,1]
	v_pk_fma_f32 v[4:5], v[6:7], v[178:179], v[4:5] op_sel_hi:[1,0,1]
	v_pk_add_f32 v[2:3], v[2:3], v[18:19]
	v_mov_b32_e32 v4, v181
	v_mov_b32_e32 v17, v5
	v_pk_mul_f32 v[4:5], v[8:9], v[4:5] op_sel:[1,0] op_sel_hi:[0,0]
	v_pk_fma_f32 v[6:7], v[8:9], v[180:181], v[4:5] neg_lo:[0,0,1] neg_hi:[0,0,1]
	v_pk_fma_f32 v[4:5], v[8:9], v[180:181], v[4:5] op_sel_hi:[1,0,1]
	v_pk_add_f32 v[2:3], v[2:3], v[16:17]
	v_mov_b32_e32 v7, v5
	s_waitcnt vmcnt(1) lgkmcnt(1)
	v_pk_mul_f32 v[4:5], v[10:11], v[182:183] op_sel:[1,1] op_sel_hi:[0,1]
	v_pk_add_f32 v[2:3], v[2:3], v[6:7]
	v_pk_fma_f32 v[6:7], v[10:11], v[182:183], v[4:5] neg_lo:[0,0,1] neg_hi:[0,0,1]
	v_pk_fma_f32 v[4:5], v[10:11], v[182:183], v[4:5] op_sel_hi:[1,0,1]
	s_nop 0
	v_mov_b32_e32 v4, v185
	v_mov_b32_e32 v7, v5
	v_pk_mul_f32 v[4:5], v[12:13], v[4:5] op_sel:[1,0] op_sel_hi:[0,0]
	v_pk_add_f32 v[2:3], v[2:3], v[6:7]
	v_pk_fma_f32 v[6:7], v[12:13], v[184:185], v[4:5] neg_lo:[0,0,1] neg_hi:[0,0,1]
	v_pk_fma_f32 v[4:5], v[12:13], v[184:185], v[4:5] op_sel_hi:[1,0,1]
	s_nop 0
	v_mov_b32_e32 v7, v5
	s_waitcnt vmcnt(0) lgkmcnt(0)
	v_pk_mul_f32 v[4:5], v[14:15], v[192:193] op_sel:[1,1] op_sel_hi:[0,1]
	v_pk_add_f32 v[2:3], v[2:3], v[6:7]
	v_pk_fma_f32 v[6:7], v[14:15], v[192:193], v[4:5] neg_lo:[0,0,1] neg_hi:[0,0,1]
	v_pk_fma_f32 v[4:5], v[14:15], v[192:193], v[4:5] op_sel_hi:[1,0,1]
	s_nop 0
	v_mov_b32_e32 v7, v5
	scratch_load_dwordx2 v[4:5], off, off offset:32
	v_pk_add_f32 v[2:3], v[2:3], v[6:7]
	s_waitcnt vmcnt(0)
	v_pk_add_f32 v[2:3], v[4:5], v[2:3] neg_lo:[0,1] neg_hi:[0,1]
	scratch_store_dwordx2 off, v[2:3], off offset:32
	s_and_saveexec_b64 s[0:1], vcc
	s_cbranch_execz .LBB117_331
; %bb.330:
	scratch_load_dwordx2 v[2:3], off, off offset:24
	v_mov_b32_e32 v135, v134
	scratch_store_dwordx2 off, v[134:135], off offset:24
	s_waitcnt vmcnt(1)
	ds_write_b64 v1, v[2:3]
.LBB117_331:
	s_or_b64 exec, exec, s[0:1]
	s_waitcnt lgkmcnt(0)
	; wave barrier
	ds_read_b128 v[14:17], v134 offset:464
	ds_read_b128 v[10:13], v134 offset:480
	;; [unrolled: 1-line block ×4, first 2 shown]
	scratch_load_dwordx4 v[18:21], off, off offset:32
	scratch_load_dwordx4 v[38:41], off, off offset:96
	;; [unrolled: 1-line block ×15, first 2 shown]
	v_cmp_lt_u32_e32 vcc, 2, v0
	scratch_load_dwordx4 v[46:49], off, off offset:112
	scratch_load_dwordx4 v[54:57], off, off offset:128
	;; [unrolled: 1-line block ×3, first 2 shown]
	s_waitcnt vmcnt(17) lgkmcnt(3)
	v_mul_f32_e32 v22, v14, v19
	v_fmac_f32_e32 v22, v15, v18
	v_mul_f32_e32 v23, v16, v21
	v_add_f32_e32 v22, 0, v22
	v_fmac_f32_e32 v23, v17, v20
	v_add_f32_e32 v26, v22, v23
	scratch_load_dwordx4 v[22:25], off, off offset:48
	v_mul_f32_e32 v15, v15, v19
	v_fma_f32 v14, v14, v18, -v15
	v_mul_f32_e32 v15, v17, v21
	v_add_f32_e32 v14, 0, v14
	v_fma_f32 v15, v16, v20, -v15
	v_add_f32_e32 v14, v14, v15
	s_waitcnt vmcnt(0) lgkmcnt(2)
	v_mul_f32_e32 v27, v10, v23
	v_fmac_f32_e32 v27, v11, v22
	v_add_f32_e32 v26, v26, v27
	v_mul_f32_e32 v27, v12, v25
	v_fmac_f32_e32 v27, v13, v24
	v_add_f32_e32 v30, v26, v27
	scratch_load_dwordx4 v[26:29], off, off offset:64
	v_mul_f32_e32 v11, v11, v23
	v_fma_f32 v10, v10, v22, -v11
	v_mul_f32_e32 v11, v13, v25
	v_add_f32_e32 v10, v14, v10
	v_fma_f32 v11, v12, v24, -v11
	v_add_f32_e32 v10, v10, v11
	s_waitcnt vmcnt(0) lgkmcnt(1)
	v_mul_f32_e32 v31, v6, v27
	v_fmac_f32_e32 v31, v7, v26
	v_add_f32_e32 v30, v30, v31
	v_mul_f32_e32 v31, v8, v29
	;; [unrolled: 14-line block ×3, first 2 shown]
	v_fmac_f32_e32 v35, v5, v32
	v_add_f32_e32 v42, v34, v35
	ds_read_b128 v[34:37], v134 offset:528
	v_mul_f32_e32 v3, v3, v31
	v_fma_f32 v2, v2, v30, -v3
	v_mul_f32_e32 v3, v5, v33
	v_add_f32_e32 v2, v6, v2
	s_waitcnt lgkmcnt(0)
	v_mul_f32_e32 v43, v34, v39
	v_fmac_f32_e32 v43, v35, v38
	v_add_f32_e32 v42, v42, v43
	v_mul_f32_e32 v43, v36, v41
	v_fmac_f32_e32 v43, v37, v40
	v_add_f32_e32 v50, v42, v43
	ds_read_b128 v[42:45], v134 offset:544
	v_fma_f32 v3, v4, v32, -v3
	v_add_f32_e32 v2, v2, v3
	v_mul_f32_e32 v3, v35, v39
	v_fma_f32 v3, v34, v38, -v3
	s_waitcnt lgkmcnt(0)
	v_mul_f32_e32 v51, v42, v47
	v_fmac_f32_e32 v51, v43, v46
	v_add_f32_e32 v50, v50, v51
	v_mul_f32_e32 v51, v44, v49
	v_fmac_f32_e32 v51, v45, v48
	v_add_f32_e32 v58, v50, v51
	ds_read_b128 v[50:53], v134 offset:560
	v_add_f32_e32 v2, v2, v3
	v_mul_f32_e32 v3, v37, v41
	v_fma_f32 v3, v36, v40, -v3
	v_add_f32_e32 v2, v2, v3
	s_waitcnt lgkmcnt(0)
	v_mul_f32_e32 v59, v50, v55
	v_fmac_f32_e32 v59, v51, v54
	v_add_f32_e32 v58, v58, v59
	v_mul_f32_e32 v59, v52, v57
	v_fmac_f32_e32 v59, v53, v56
	v_add_f32_e32 v66, v58, v59
	ds_read_b128 v[58:61], v134 offset:576
	v_mul_f32_e32 v3, v43, v47
	v_fma_f32 v3, v42, v46, -v3
	v_add_f32_e32 v2, v2, v3
	v_mul_f32_e32 v3, v45, v49
	s_waitcnt lgkmcnt(0)
	v_mul_f32_e32 v67, v58, v63
	v_fmac_f32_e32 v67, v59, v62
	v_add_f32_e32 v66, v66, v67
	v_mul_f32_e32 v67, v60, v65
	v_fmac_f32_e32 v67, v61, v64
	v_add_f32_e32 v74, v66, v67
	ds_read_b128 v[66:69], v134 offset:592
	v_fma_f32 v3, v44, v48, -v3
	v_add_f32_e32 v2, v2, v3
	v_mul_f32_e32 v3, v51, v55
	v_fma_f32 v3, v50, v54, -v3
	s_waitcnt lgkmcnt(0)
	v_mul_f32_e32 v75, v66, v71
	v_fmac_f32_e32 v75, v67, v70
	v_add_f32_e32 v74, v74, v75
	v_mul_f32_e32 v75, v68, v73
	v_fmac_f32_e32 v75, v69, v72
	v_add_f32_e32 v82, v74, v75
	ds_read_b128 v[74:77], v134 offset:608
	v_add_f32_e32 v2, v2, v3
	v_mul_f32_e32 v3, v53, v57
	v_fma_f32 v3, v52, v56, -v3
	v_add_f32_e32 v2, v2, v3
	s_waitcnt lgkmcnt(0)
	v_mul_f32_e32 v83, v74, v79
	v_fmac_f32_e32 v83, v75, v78
	v_add_f32_e32 v82, v82, v83
	v_mul_f32_e32 v83, v76, v81
	v_fmac_f32_e32 v83, v77, v80
	v_add_f32_e32 v90, v82, v83
	ds_read_b128 v[82:85], v134 offset:624
	v_mul_f32_e32 v3, v59, v63
	v_fma_f32 v3, v58, v62, -v3
	v_add_f32_e32 v2, v2, v3
	v_mul_f32_e32 v3, v61, v65
	;; [unrolled: 36-line block ×5, first 2 shown]
	s_waitcnt lgkmcnt(0)
	v_mul_f32_e32 v166, v158, v163
	v_fmac_f32_e32 v166, v159, v162
	v_add_f32_e32 v135, v135, v166
	v_mul_f32_e32 v166, v160, v165
	v_fmac_f32_e32 v166, v161, v164
	v_add_f32_e32 v191, v135, v166
	ds_read_b128 v[166:169], v134 offset:784
	scratch_load_dwordx4 v[174:177], off, off offset:368
	scratch_load_dwordx4 v[178:181], off, off offset:384
	;; [unrolled: 1-line block ×4, first 2 shown]
	v_fma_f32 v3, v108, v112, -v3
	v_add_f32_e32 v2, v2, v3
	v_mul_f32_e32 v3, v115, v119
	v_fma_f32 v3, v114, v118, -v3
	v_add_f32_e32 v2, v2, v3
	v_mul_f32_e32 v3, v117, v121
	;; [unrolled: 3-line block ×12, first 2 shown]
	v_fma_f32 v3, v160, v164, -v3
	v_add_f32_e32 v190, v2, v3
	s_waitcnt lgkmcnt(0)
	v_mul_f32_e32 v2, v167, v171
	v_fma_f32 v192, v166, v170, -v2
	v_mul_f32_e32 v2, v169, v173
	v_fma_f32 v194, v168, v172, -v2
	ds_read_b128 v[2:5], v134 offset:800
	ds_read_b128 v[6:9], v134 offset:816
	;; [unrolled: 1-line block ×4, first 2 shown]
	v_mul_f32_e32 v193, v166, v171
	v_fmac_f32_e32 v193, v167, v170
	v_mul_f32_e32 v195, v168, v173
	v_fmac_f32_e32 v195, v169, v172
	v_pk_add_f32 v[18:19], v[190:191], v[192:193]
	s_waitcnt vmcnt(3) lgkmcnt(3)
	v_pk_mul_f32 v[20:21], v[2:3], v[174:175] op_sel:[1,1] op_sel_hi:[0,1]
	v_pk_fma_f32 v[22:23], v[2:3], v[174:175], v[20:21] neg_lo:[0,0,1] neg_hi:[0,0,1]
	v_pk_fma_f32 v[2:3], v[2:3], v[174:175], v[20:21] op_sel_hi:[1,0,1]
	v_pk_add_f32 v[18:19], v[18:19], v[194:195]
	v_mov_b32_e32 v23, v3
	v_pk_add_f32 v[2:3], v[18:19], v[22:23]
	v_mov_b32_e32 v18, v177
	v_pk_mul_f32 v[18:19], v[4:5], v[18:19] op_sel:[1,0] op_sel_hi:[0,0]
	v_pk_fma_f32 v[20:21], v[4:5], v[176:177], v[18:19] neg_lo:[0,0,1] neg_hi:[0,0,1]
	v_pk_fma_f32 v[4:5], v[4:5], v[176:177], v[18:19] op_sel_hi:[1,0,1]
	s_nop 0
	v_mov_b32_e32 v21, v5
	s_waitcnt vmcnt(2) lgkmcnt(2)
	v_pk_mul_f32 v[4:5], v[6:7], v[178:179] op_sel:[1,1] op_sel_hi:[0,1]
	v_pk_fma_f32 v[18:19], v[6:7], v[178:179], v[4:5] neg_lo:[0,0,1] neg_hi:[0,0,1]
	v_pk_fma_f32 v[4:5], v[6:7], v[178:179], v[4:5] op_sel_hi:[1,0,1]
	v_pk_add_f32 v[2:3], v[2:3], v[20:21]
	v_mov_b32_e32 v4, v181
	v_mov_b32_e32 v19, v5
	v_pk_mul_f32 v[4:5], v[8:9], v[4:5] op_sel:[1,0] op_sel_hi:[0,0]
	v_pk_fma_f32 v[6:7], v[8:9], v[180:181], v[4:5] neg_lo:[0,0,1] neg_hi:[0,0,1]
	v_pk_fma_f32 v[4:5], v[8:9], v[180:181], v[4:5] op_sel_hi:[1,0,1]
	v_pk_add_f32 v[2:3], v[2:3], v[18:19]
	v_mov_b32_e32 v7, v5
	s_waitcnt vmcnt(1) lgkmcnt(1)
	v_pk_mul_f32 v[4:5], v[10:11], v[182:183] op_sel:[1,1] op_sel_hi:[0,1]
	v_pk_add_f32 v[2:3], v[2:3], v[6:7]
	v_pk_fma_f32 v[6:7], v[10:11], v[182:183], v[4:5] neg_lo:[0,0,1] neg_hi:[0,0,1]
	v_pk_fma_f32 v[4:5], v[10:11], v[182:183], v[4:5] op_sel_hi:[1,0,1]
	s_nop 0
	v_mov_b32_e32 v4, v185
	v_mov_b32_e32 v7, v5
	v_pk_mul_f32 v[4:5], v[12:13], v[4:5] op_sel:[1,0] op_sel_hi:[0,0]
	v_pk_add_f32 v[2:3], v[2:3], v[6:7]
	v_pk_fma_f32 v[6:7], v[12:13], v[184:185], v[4:5] neg_lo:[0,0,1] neg_hi:[0,0,1]
	v_pk_fma_f32 v[4:5], v[12:13], v[184:185], v[4:5] op_sel_hi:[1,0,1]
	s_nop 0
	v_mov_b32_e32 v7, v5
	s_waitcnt vmcnt(0) lgkmcnt(0)
	v_pk_mul_f32 v[4:5], v[14:15], v[186:187] op_sel:[1,1] op_sel_hi:[0,1]
	v_pk_add_f32 v[2:3], v[2:3], v[6:7]
	v_pk_fma_f32 v[6:7], v[14:15], v[186:187], v[4:5] neg_lo:[0,0,1] neg_hi:[0,0,1]
	v_pk_fma_f32 v[4:5], v[14:15], v[186:187], v[4:5] op_sel_hi:[1,0,1]
	s_nop 0
	v_mov_b32_e32 v4, v189
	v_mov_b32_e32 v7, v5
	v_pk_mul_f32 v[4:5], v[16:17], v[4:5] op_sel:[1,0] op_sel_hi:[0,0]
	v_pk_add_f32 v[2:3], v[2:3], v[6:7]
	v_pk_fma_f32 v[6:7], v[16:17], v[188:189], v[4:5] neg_lo:[0,0,1] neg_hi:[0,0,1]
	v_pk_fma_f32 v[4:5], v[16:17], v[188:189], v[4:5] op_sel_hi:[1,0,1]
	s_nop 0
	v_mov_b32_e32 v7, v5
	scratch_load_dwordx2 v[4:5], off, off offset:24
	v_pk_add_f32 v[2:3], v[2:3], v[6:7]
	s_waitcnt vmcnt(0)
	v_pk_add_f32 v[2:3], v[4:5], v[2:3] neg_lo:[0,1] neg_hi:[0,1]
	scratch_store_dwordx2 off, v[2:3], off offset:24
	s_and_saveexec_b64 s[0:1], vcc
	s_cbranch_execz .LBB117_333
; %bb.332:
	scratch_load_dwordx2 v[2:3], off, off offset:16
	v_mov_b32_e32 v4, 0
	v_mov_b32_e32 v5, v4
	scratch_store_dwordx2 off, v[4:5], off offset:16
	s_waitcnt vmcnt(1)
	ds_write_b64 v1, v[2:3]
.LBB117_333:
	s_or_b64 exec, exec, s[0:1]
	s_waitcnt lgkmcnt(0)
	; wave barrier
	scratch_load_dwordx4 v[6:9], off, off offset:24
	scratch_load_dwordx4 v[14:17], off, off offset:40
	;; [unrolled: 1-line block ×10, first 2 shown]
	v_mov_b32_e32 v142, 0
	ds_read2_b64 v[2:5], v142 offset0:57 offset1:58
	scratch_load_dwordx4 v[86:89], off, off offset:184
	scratch_load_dwordx4 v[94:97], off, off offset:200
	;; [unrolled: 1-line block ×12, first 2 shown]
	v_cmp_lt_u32_e32 vcc, 1, v0
	s_waitcnt vmcnt(21) lgkmcnt(0)
	v_mul_f32_e32 v10, v2, v7
	v_fmac_f32_e32 v10, v3, v6
	v_mul_f32_e32 v11, v4, v9
	v_add_f32_e32 v10, 0, v10
	v_fmac_f32_e32 v11, v5, v8
	v_add_f32_e32 v18, v10, v11
	ds_read2_b64 v[10:13], v142 offset0:59 offset1:60
	v_mul_f32_e32 v3, v3, v7
	v_fma_f32 v2, v2, v6, -v3
	v_mul_f32_e32 v3, v5, v9
	v_add_f32_e32 v2, 0, v2
	s_waitcnt vmcnt(20) lgkmcnt(0)
	v_mul_f32_e32 v19, v10, v15
	v_fmac_f32_e32 v19, v11, v14
	v_add_f32_e32 v18, v18, v19
	v_mul_f32_e32 v19, v12, v17
	v_fmac_f32_e32 v19, v13, v16
	v_add_f32_e32 v26, v18, v19
	ds_read2_b64 v[18:21], v142 offset0:61 offset1:62
	v_fma_f32 v3, v4, v8, -v3
	v_add_f32_e32 v2, v2, v3
	v_mul_f32_e32 v3, v11, v15
	v_fma_f32 v3, v10, v14, -v3
	s_waitcnt vmcnt(19) lgkmcnt(0)
	v_mul_f32_e32 v27, v18, v23
	v_fmac_f32_e32 v27, v19, v22
	v_add_f32_e32 v26, v26, v27
	v_mul_f32_e32 v27, v20, v25
	v_fmac_f32_e32 v27, v21, v24
	v_add_f32_e32 v34, v26, v27
	ds_read2_b64 v[26:29], v142 offset0:63 offset1:64
	v_add_f32_e32 v2, v2, v3
	v_mul_f32_e32 v3, v13, v17
	v_fma_f32 v3, v12, v16, -v3
	v_add_f32_e32 v2, v2, v3
	s_waitcnt vmcnt(18) lgkmcnt(0)
	v_mul_f32_e32 v35, v26, v31
	v_fmac_f32_e32 v35, v27, v30
	v_add_f32_e32 v34, v34, v35
	v_mul_f32_e32 v35, v28, v33
	v_fmac_f32_e32 v35, v29, v32
	v_add_f32_e32 v42, v34, v35
	ds_read2_b64 v[34:37], v142 offset0:65 offset1:66
	v_mul_f32_e32 v3, v19, v23
	v_fma_f32 v3, v18, v22, -v3
	v_add_f32_e32 v2, v2, v3
	v_mul_f32_e32 v3, v21, v25
	s_waitcnt vmcnt(17) lgkmcnt(0)
	v_mul_f32_e32 v43, v34, v39
	v_fmac_f32_e32 v43, v35, v38
	v_add_f32_e32 v42, v42, v43
	v_mul_f32_e32 v43, v36, v41
	v_fmac_f32_e32 v43, v37, v40
	v_add_f32_e32 v50, v42, v43
	ds_read2_b64 v[42:45], v142 offset0:67 offset1:68
	v_fma_f32 v3, v20, v24, -v3
	v_add_f32_e32 v2, v2, v3
	v_mul_f32_e32 v3, v27, v31
	v_fma_f32 v3, v26, v30, -v3
	s_waitcnt vmcnt(16) lgkmcnt(0)
	v_mul_f32_e32 v51, v42, v47
	v_fmac_f32_e32 v51, v43, v46
	v_add_f32_e32 v50, v50, v51
	v_mul_f32_e32 v51, v44, v49
	v_fmac_f32_e32 v51, v45, v48
	v_add_f32_e32 v58, v50, v51
	ds_read2_b64 v[50:53], v142 offset0:69 offset1:70
	v_add_f32_e32 v2, v2, v3
	v_mul_f32_e32 v3, v29, v33
	v_fma_f32 v3, v28, v32, -v3
	v_add_f32_e32 v2, v2, v3
	s_waitcnt vmcnt(15) lgkmcnt(0)
	v_mul_f32_e32 v59, v50, v55
	v_fmac_f32_e32 v59, v51, v54
	v_add_f32_e32 v58, v58, v59
	v_mul_f32_e32 v59, v52, v57
	v_fmac_f32_e32 v59, v53, v56
	v_add_f32_e32 v66, v58, v59
	ds_read2_b64 v[58:61], v142 offset0:71 offset1:72
	v_mul_f32_e32 v3, v35, v39
	v_fma_f32 v3, v34, v38, -v3
	v_add_f32_e32 v2, v2, v3
	v_mul_f32_e32 v3, v37, v41
	s_waitcnt vmcnt(14) lgkmcnt(0)
	v_mul_f32_e32 v67, v58, v63
	v_fmac_f32_e32 v67, v59, v62
	v_add_f32_e32 v66, v66, v67
	v_mul_f32_e32 v67, v60, v65
	v_fmac_f32_e32 v67, v61, v64
	v_add_f32_e32 v74, v66, v67
	ds_read2_b64 v[66:69], v142 offset0:73 offset1:74
	v_fma_f32 v3, v36, v40, -v3
	v_add_f32_e32 v2, v2, v3
	v_mul_f32_e32 v3, v43, v47
	v_fma_f32 v3, v42, v46, -v3
	s_waitcnt vmcnt(13) lgkmcnt(0)
	v_mul_f32_e32 v75, v66, v71
	v_fmac_f32_e32 v75, v67, v70
	v_add_f32_e32 v74, v74, v75
	v_mul_f32_e32 v75, v68, v73
	v_fmac_f32_e32 v75, v69, v72
	v_add_f32_e32 v82, v74, v75
	ds_read2_b64 v[74:77], v142 offset0:75 offset1:76
	v_add_f32_e32 v2, v2, v3
	v_mul_f32_e32 v3, v45, v49
	v_fma_f32 v3, v44, v48, -v3
	v_add_f32_e32 v2, v2, v3
	s_waitcnt vmcnt(12) lgkmcnt(0)
	v_mul_f32_e32 v83, v74, v79
	v_fmac_f32_e32 v83, v75, v78
	v_add_f32_e32 v82, v82, v83
	v_mul_f32_e32 v83, v76, v81
	v_fmac_f32_e32 v83, v77, v80
	v_add_f32_e32 v90, v82, v83
	ds_read2_b64 v[82:85], v142 offset0:77 offset1:78
	v_mul_f32_e32 v3, v51, v55
	v_fma_f32 v3, v50, v54, -v3
	v_add_f32_e32 v2, v2, v3
	v_mul_f32_e32 v3, v53, v57
	s_waitcnt vmcnt(11) lgkmcnt(0)
	v_mul_f32_e32 v91, v82, v87
	v_fmac_f32_e32 v91, v83, v86
	v_add_f32_e32 v90, v90, v91
	v_mul_f32_e32 v91, v84, v89
	v_fmac_f32_e32 v91, v85, v88
	v_add_f32_e32 v98, v90, v91
	ds_read2_b64 v[90:93], v142 offset0:79 offset1:80
	v_fma_f32 v3, v52, v56, -v3
	v_add_f32_e32 v2, v2, v3
	v_mul_f32_e32 v3, v59, v63
	v_fma_f32 v3, v58, v62, -v3
	s_waitcnt vmcnt(10) lgkmcnt(0)
	v_mul_f32_e32 v99, v90, v95
	v_fmac_f32_e32 v99, v91, v94
	v_add_f32_e32 v98, v98, v99
	v_mul_f32_e32 v99, v92, v97
	v_fmac_f32_e32 v99, v93, v96
	v_add_f32_e32 v106, v98, v99
	ds_read2_b64 v[98:101], v142 offset0:81 offset1:82
	v_add_f32_e32 v2, v2, v3
	v_mul_f32_e32 v3, v61, v65
	v_fma_f32 v3, v60, v64, -v3
	v_add_f32_e32 v2, v2, v3
	s_waitcnt vmcnt(9) lgkmcnt(0)
	v_mul_f32_e32 v107, v98, v103
	v_fmac_f32_e32 v107, v99, v102
	v_add_f32_e32 v106, v106, v107
	v_mul_f32_e32 v107, v100, v105
	v_fmac_f32_e32 v107, v101, v104
	v_add_f32_e32 v114, v106, v107
	ds_read2_b64 v[106:109], v142 offset0:83 offset1:84
	v_mul_f32_e32 v3, v67, v71
	v_fma_f32 v3, v66, v70, -v3
	v_add_f32_e32 v2, v2, v3
	v_mul_f32_e32 v3, v69, v73
	s_waitcnt vmcnt(8) lgkmcnt(0)
	v_mul_f32_e32 v115, v106, v111
	v_fmac_f32_e32 v115, v107, v110
	v_add_f32_e32 v114, v114, v115
	v_mul_f32_e32 v115, v108, v113
	v_fmac_f32_e32 v115, v109, v112
	v_add_f32_e32 v122, v114, v115
	ds_read2_b64 v[114:117], v142 offset0:85 offset1:86
	v_fma_f32 v3, v68, v72, -v3
	v_add_f32_e32 v2, v2, v3
	v_mul_f32_e32 v3, v75, v79
	v_fma_f32 v3, v74, v78, -v3
	s_waitcnt vmcnt(7) lgkmcnt(0)
	v_mul_f32_e32 v123, v114, v119
	v_fmac_f32_e32 v123, v115, v118
	v_add_f32_e32 v122, v122, v123
	v_mul_f32_e32 v123, v116, v121
	v_fmac_f32_e32 v123, v117, v120
	v_add_f32_e32 v130, v122, v123
	ds_read2_b64 v[122:125], v142 offset0:87 offset1:88
	v_add_f32_e32 v2, v2, v3
	v_mul_f32_e32 v3, v77, v81
	v_fma_f32 v3, v76, v80, -v3
	v_add_f32_e32 v2, v2, v3
	s_waitcnt vmcnt(6) lgkmcnt(0)
	v_mul_f32_e32 v131, v122, v127
	v_fmac_f32_e32 v131, v123, v126
	v_add_f32_e32 v130, v130, v131
	v_mul_f32_e32 v131, v124, v129
	v_fmac_f32_e32 v131, v125, v128
	v_add_f32_e32 v138, v130, v131
	ds_read2_b64 v[130:133], v142 offset0:89 offset1:90
	v_mul_f32_e32 v3, v83, v87
	v_fma_f32 v3, v82, v86, -v3
	v_add_f32_e32 v2, v2, v3
	v_mul_f32_e32 v3, v85, v89
	s_waitcnt vmcnt(5) lgkmcnt(0)
	v_mul_f32_e32 v139, v130, v135
	v_fmac_f32_e32 v139, v131, v134
	v_add_f32_e32 v138, v138, v139
	v_mul_f32_e32 v139, v132, v137
	v_fmac_f32_e32 v139, v133, v136
	v_add_f32_e32 v143, v138, v139
	ds_read2_b64 v[138:141], v142 offset0:91 offset1:92
	v_fma_f32 v3, v84, v88, -v3
	v_add_f32_e32 v2, v2, v3
	v_mul_f32_e32 v3, v91, v95
	v_fma_f32 v3, v90, v94, -v3
	s_waitcnt vmcnt(4) lgkmcnt(0)
	v_mul_f32_e32 v150, v138, v145
	v_fmac_f32_e32 v150, v139, v144
	v_add_f32_e32 v143, v143, v150
	v_mul_f32_e32 v150, v140, v147
	v_fmac_f32_e32 v150, v141, v146
	v_add_f32_e32 v143, v143, v150
	ds_read2_b64 v[150:153], v142 offset0:93 offset1:94
	v_add_f32_e32 v2, v2, v3
	v_mul_f32_e32 v3, v93, v97
	v_fma_f32 v3, v92, v96, -v3
	v_add_f32_e32 v2, v2, v3
	s_waitcnt vmcnt(3) lgkmcnt(0)
	v_mul_f32_e32 v158, v150, v155
	v_fmac_f32_e32 v158, v151, v154
	v_add_f32_e32 v143, v143, v158
	v_mul_f32_e32 v158, v152, v157
	v_fmac_f32_e32 v158, v153, v156
	v_add_f32_e32 v143, v143, v158
	ds_read2_b64 v[158:161], v142 offset0:95 offset1:96
	v_mul_f32_e32 v3, v99, v103
	v_fma_f32 v3, v98, v102, -v3
	v_add_f32_e32 v2, v2, v3
	v_mul_f32_e32 v3, v101, v105
	s_waitcnt vmcnt(2) lgkmcnt(0)
	v_mul_f32_e32 v166, v158, v163
	v_fmac_f32_e32 v166, v159, v162
	v_add_f32_e32 v143, v143, v166
	v_mul_f32_e32 v166, v160, v165
	v_fmac_f32_e32 v166, v161, v164
	v_add_f32_e32 v143, v143, v166
	ds_read2_b64 v[166:169], v142 offset0:97 offset1:98
	v_fma_f32 v3, v100, v104, -v3
	v_add_f32_e32 v2, v2, v3
	v_mul_f32_e32 v3, v107, v111
	v_fma_f32 v3, v106, v110, -v3
	s_waitcnt vmcnt(1) lgkmcnt(0)
	v_mul_f32_e32 v174, v166, v171
	v_fmac_f32_e32 v174, v167, v170
	v_add_f32_e32 v195, v143, v174
	ds_read2_b64 v[174:177], v142 offset0:99 offset1:100
	scratch_load_dwordx4 v[182:185], off, off offset:376
	scratch_load_dwordx4 v[186:189], off, off offset:392
	;; [unrolled: 1-line block ×3, first 2 shown]
	scratch_load_dwordx2 v[200:201], off, off offset:424
	v_add_f32_e32 v2, v2, v3
	v_mul_f32_e32 v3, v109, v113
	v_fma_f32 v3, v108, v112, -v3
	v_add_f32_e32 v2, v2, v3
	v_mul_f32_e32 v3, v115, v119
	v_fma_f32 v3, v114, v118, -v3
	v_add_f32_e32 v2, v2, v3
	v_mul_f32_e32 v3, v117, v121
	v_fma_f32 v3, v116, v120, -v3
	v_add_f32_e32 v2, v2, v3
	v_mul_f32_e32 v3, v123, v127
	v_fma_f32 v3, v122, v126, -v3
	v_add_f32_e32 v2, v2, v3
	v_mul_f32_e32 v3, v125, v129
	v_fma_f32 v3, v124, v128, -v3
	v_add_f32_e32 v2, v2, v3
	v_mul_f32_e32 v3, v131, v135
	v_fma_f32 v3, v130, v134, -v3
	v_add_f32_e32 v2, v2, v3
	v_mul_f32_e32 v3, v133, v137
	v_fma_f32 v3, v132, v136, -v3
	v_add_f32_e32 v2, v2, v3
	v_mul_f32_e32 v3, v139, v145
	v_fma_f32 v3, v138, v144, -v3
	v_add_f32_e32 v2, v2, v3
	v_mul_f32_e32 v3, v141, v147
	v_fma_f32 v3, v140, v146, -v3
	v_add_f32_e32 v2, v2, v3
	v_mul_f32_e32 v3, v151, v155
	v_fma_f32 v3, v150, v154, -v3
	v_add_f32_e32 v2, v2, v3
	v_mul_f32_e32 v3, v153, v157
	v_fma_f32 v3, v152, v156, -v3
	v_add_f32_e32 v2, v2, v3
	v_mul_f32_e32 v3, v159, v163
	v_fma_f32 v3, v158, v162, -v3
	v_add_f32_e32 v2, v2, v3
	v_mul_f32_e32 v3, v161, v165
	v_fma_f32 v3, v160, v164, -v3
	v_add_f32_e32 v2, v2, v3
	v_mul_f32_e32 v3, v167, v171
	v_fma_f32 v3, v166, v170, -v3
	v_add_f32_e32 v194, v2, v3
	v_mul_f32_e32 v2, v169, v173
	v_mul_f32_e32 v197, v168, v173
	v_fma_f32 v196, v168, v172, -v2
	s_waitcnt vmcnt(4) lgkmcnt(0)
	v_mul_f32_e32 v2, v175, v179
	v_mov_b32_e32 v18, v181
	v_fmac_f32_e32 v197, v169, v172
	v_mul_f32_e32 v199, v174, v179
	v_fma_f32 v198, v174, v178, -v2
	ds_read2_b64 v[2:5], v142 offset0:101 offset1:102
	ds_read2_b64 v[6:9], v142 offset0:103 offset1:104
	;; [unrolled: 1-line block ×3, first 2 shown]
	ds_read_b64 v[14:15], v142 offset:856
	v_pk_mul_f32 v[18:19], v[176:177], v[18:19] op_sel:[1,0] op_sel_hi:[0,0]
	v_fmac_f32_e32 v199, v175, v178
	v_pk_add_f32 v[16:17], v[194:195], v[196:197]
	v_pk_fma_f32 v[20:21], v[176:177], v[180:181], v[18:19] neg_lo:[0,0,1] neg_hi:[0,0,1]
	v_pk_fma_f32 v[18:19], v[176:177], v[180:181], v[18:19] op_sel_hi:[1,0,1]
	v_pk_add_f32 v[16:17], v[16:17], v[198:199]
	v_mov_b32_e32 v21, v19
	v_pk_add_f32 v[16:17], v[16:17], v[20:21]
	s_waitcnt vmcnt(3) lgkmcnt(3)
	v_pk_mul_f32 v[18:19], v[2:3], v[182:183] op_sel:[1,1] op_sel_hi:[0,1]
	v_pk_fma_f32 v[20:21], v[2:3], v[182:183], v[18:19] neg_lo:[0,0,1] neg_hi:[0,0,1]
	v_pk_fma_f32 v[2:3], v[2:3], v[182:183], v[18:19] op_sel_hi:[1,0,1]
	s_nop 0
	v_mov_b32_e32 v21, v3
	v_pk_add_f32 v[2:3], v[16:17], v[20:21]
	v_mov_b32_e32 v16, v185
	v_pk_mul_f32 v[16:17], v[4:5], v[16:17] op_sel:[1,0] op_sel_hi:[0,0]
	v_pk_fma_f32 v[18:19], v[4:5], v[184:185], v[16:17] neg_lo:[0,0,1] neg_hi:[0,0,1]
	v_pk_fma_f32 v[4:5], v[4:5], v[184:185], v[16:17] op_sel_hi:[1,0,1]
	s_nop 0
	v_mov_b32_e32 v19, v5
	s_waitcnt vmcnt(2) lgkmcnt(2)
	v_pk_mul_f32 v[4:5], v[6:7], v[186:187] op_sel:[1,1] op_sel_hi:[0,1]
	v_pk_fma_f32 v[16:17], v[6:7], v[186:187], v[4:5] neg_lo:[0,0,1] neg_hi:[0,0,1]
	v_pk_fma_f32 v[4:5], v[6:7], v[186:187], v[4:5] op_sel_hi:[1,0,1]
	v_pk_add_f32 v[2:3], v[2:3], v[18:19]
	v_mov_b32_e32 v4, v189
	v_mov_b32_e32 v17, v5
	v_pk_mul_f32 v[4:5], v[8:9], v[4:5] op_sel:[1,0] op_sel_hi:[0,0]
	v_pk_fma_f32 v[6:7], v[8:9], v[188:189], v[4:5] neg_lo:[0,0,1] neg_hi:[0,0,1]
	v_pk_fma_f32 v[4:5], v[8:9], v[188:189], v[4:5] op_sel_hi:[1,0,1]
	v_pk_add_f32 v[2:3], v[2:3], v[16:17]
	v_mov_b32_e32 v7, v5
	s_waitcnt vmcnt(1) lgkmcnt(1)
	v_pk_mul_f32 v[4:5], v[10:11], v[190:191] op_sel:[1,1] op_sel_hi:[0,1]
	v_pk_add_f32 v[2:3], v[2:3], v[6:7]
	v_pk_fma_f32 v[6:7], v[10:11], v[190:191], v[4:5] neg_lo:[0,0,1] neg_hi:[0,0,1]
	v_pk_fma_f32 v[4:5], v[10:11], v[190:191], v[4:5] op_sel_hi:[1,0,1]
	s_nop 0
	v_mov_b32_e32 v4, v193
	v_mov_b32_e32 v7, v5
	v_pk_mul_f32 v[4:5], v[12:13], v[4:5] op_sel:[1,0] op_sel_hi:[0,0]
	v_pk_add_f32 v[2:3], v[2:3], v[6:7]
	v_pk_fma_f32 v[6:7], v[12:13], v[192:193], v[4:5] neg_lo:[0,0,1] neg_hi:[0,0,1]
	v_pk_fma_f32 v[4:5], v[12:13], v[192:193], v[4:5] op_sel_hi:[1,0,1]
	s_nop 0
	v_mov_b32_e32 v7, v5
	s_waitcnt vmcnt(0) lgkmcnt(0)
	v_pk_mul_f32 v[4:5], v[14:15], v[200:201] op_sel:[1,1] op_sel_hi:[0,1]
	v_pk_add_f32 v[2:3], v[2:3], v[6:7]
	v_pk_fma_f32 v[6:7], v[14:15], v[200:201], v[4:5] neg_lo:[0,0,1] neg_hi:[0,0,1]
	v_pk_fma_f32 v[4:5], v[14:15], v[200:201], v[4:5] op_sel_hi:[1,0,1]
	s_nop 0
	v_mov_b32_e32 v7, v5
	scratch_load_dwordx2 v[4:5], off, off offset:16
	v_pk_add_f32 v[2:3], v[2:3], v[6:7]
	s_waitcnt vmcnt(0)
	v_pk_add_f32 v[2:3], v[4:5], v[2:3] neg_lo:[0,1] neg_hi:[0,1]
	scratch_store_dwordx2 off, v[2:3], off offset:16
	s_and_saveexec_b64 s[0:1], vcc
	s_cbranch_execz .LBB117_335
; %bb.334:
	scratch_load_dwordx2 v[2:3], off, off offset:8
	v_mov_b32_e32 v143, v142
	scratch_store_dwordx2 off, v[142:143], off offset:8
	s_waitcnt vmcnt(1)
	ds_write_b64 v1, v[2:3]
.LBB117_335:
	s_or_b64 exec, exec, s[0:1]
	s_waitcnt lgkmcnt(0)
	; wave barrier
	ds_read_b128 v[14:17], v142 offset:448
	ds_read_b128 v[10:13], v142 offset:464
	;; [unrolled: 1-line block ×4, first 2 shown]
	scratch_load_dwordx4 v[18:21], off, off offset:16
	scratch_load_dwordx4 v[38:41], off, off offset:80
	;; [unrolled: 1-line block ×16, first 2 shown]
	v_cmp_ne_u32_e32 vcc, 0, v0
	scratch_load_dwordx4 v[46:49], off, off offset:96
	scratch_load_dwordx4 v[54:57], off, off offset:112
	;; [unrolled: 1-line block ×3, first 2 shown]
	s_waitcnt vmcnt(18) lgkmcnt(3)
	v_mul_f32_e32 v22, v14, v19
	v_fmac_f32_e32 v22, v15, v18
	v_mul_f32_e32 v23, v16, v21
	v_add_f32_e32 v22, 0, v22
	v_fmac_f32_e32 v23, v17, v20
	v_add_f32_e32 v26, v22, v23
	scratch_load_dwordx4 v[22:25], off, off offset:32
	v_mul_f32_e32 v15, v15, v19
	v_fma_f32 v14, v14, v18, -v15
	v_mul_f32_e32 v15, v17, v21
	v_add_f32_e32 v14, 0, v14
	v_fma_f32 v15, v16, v20, -v15
	v_add_f32_e32 v14, v14, v15
	s_waitcnt vmcnt(0) lgkmcnt(2)
	v_mul_f32_e32 v27, v10, v23
	v_fmac_f32_e32 v27, v11, v22
	v_add_f32_e32 v26, v26, v27
	v_mul_f32_e32 v27, v12, v25
	v_fmac_f32_e32 v27, v13, v24
	v_add_f32_e32 v30, v26, v27
	scratch_load_dwordx4 v[26:29], off, off offset:48
	v_mul_f32_e32 v11, v11, v23
	v_fma_f32 v10, v10, v22, -v11
	v_mul_f32_e32 v11, v13, v25
	v_add_f32_e32 v10, v14, v10
	v_fma_f32 v11, v12, v24, -v11
	v_add_f32_e32 v10, v10, v11
	s_waitcnt vmcnt(0) lgkmcnt(1)
	v_mul_f32_e32 v31, v6, v27
	v_fmac_f32_e32 v31, v7, v26
	v_add_f32_e32 v30, v30, v31
	v_mul_f32_e32 v31, v8, v29
	v_fmac_f32_e32 v31, v9, v28
	v_add_f32_e32 v34, v30, v31
	scratch_load_dwordx4 v[30:33], off, off offset:64
	v_mul_f32_e32 v7, v7, v27
	v_fma_f32 v6, v6, v26, -v7
	v_mul_f32_e32 v7, v9, v29
	v_add_f32_e32 v6, v10, v6
	v_fma_f32 v7, v8, v28, -v7
	v_add_f32_e32 v6, v6, v7
	s_waitcnt vmcnt(0) lgkmcnt(0)
	v_mul_f32_e32 v35, v2, v31
	v_fmac_f32_e32 v35, v3, v30
	v_add_f32_e32 v34, v34, v35
	v_mul_f32_e32 v35, v4, v33
	v_fmac_f32_e32 v35, v5, v32
	v_add_f32_e32 v42, v34, v35
	ds_read_b128 v[34:37], v142 offset:512
	v_mul_f32_e32 v3, v3, v31
	v_fma_f32 v2, v2, v30, -v3
	v_mul_f32_e32 v3, v5, v33
	v_add_f32_e32 v2, v6, v2
	s_waitcnt lgkmcnt(0)
	v_mul_f32_e32 v43, v34, v39
	v_fmac_f32_e32 v43, v35, v38
	v_add_f32_e32 v42, v42, v43
	v_mul_f32_e32 v43, v36, v41
	v_fmac_f32_e32 v43, v37, v40
	v_add_f32_e32 v50, v42, v43
	ds_read_b128 v[42:45], v142 offset:528
	v_fma_f32 v3, v4, v32, -v3
	v_add_f32_e32 v2, v2, v3
	v_mul_f32_e32 v3, v35, v39
	v_fma_f32 v3, v34, v38, -v3
	s_waitcnt lgkmcnt(0)
	v_mul_f32_e32 v51, v42, v47
	v_fmac_f32_e32 v51, v43, v46
	v_add_f32_e32 v50, v50, v51
	v_mul_f32_e32 v51, v44, v49
	v_fmac_f32_e32 v51, v45, v48
	v_add_f32_e32 v58, v50, v51
	ds_read_b128 v[50:53], v142 offset:544
	v_add_f32_e32 v2, v2, v3
	v_mul_f32_e32 v3, v37, v41
	v_fma_f32 v3, v36, v40, -v3
	v_add_f32_e32 v2, v2, v3
	s_waitcnt lgkmcnt(0)
	v_mul_f32_e32 v59, v50, v55
	v_fmac_f32_e32 v59, v51, v54
	v_add_f32_e32 v58, v58, v59
	v_mul_f32_e32 v59, v52, v57
	v_fmac_f32_e32 v59, v53, v56
	v_add_f32_e32 v66, v58, v59
	ds_read_b128 v[58:61], v142 offset:560
	v_mul_f32_e32 v3, v43, v47
	v_fma_f32 v3, v42, v46, -v3
	v_add_f32_e32 v2, v2, v3
	v_mul_f32_e32 v3, v45, v49
	s_waitcnt lgkmcnt(0)
	v_mul_f32_e32 v67, v58, v63
	v_fmac_f32_e32 v67, v59, v62
	v_add_f32_e32 v66, v66, v67
	v_mul_f32_e32 v67, v60, v65
	v_fmac_f32_e32 v67, v61, v64
	v_add_f32_e32 v74, v66, v67
	ds_read_b128 v[66:69], v142 offset:576
	v_fma_f32 v3, v44, v48, -v3
	v_add_f32_e32 v2, v2, v3
	v_mul_f32_e32 v3, v51, v55
	v_fma_f32 v3, v50, v54, -v3
	s_waitcnt lgkmcnt(0)
	v_mul_f32_e32 v75, v66, v71
	v_fmac_f32_e32 v75, v67, v70
	v_add_f32_e32 v74, v74, v75
	v_mul_f32_e32 v75, v68, v73
	v_fmac_f32_e32 v75, v69, v72
	v_add_f32_e32 v82, v74, v75
	ds_read_b128 v[74:77], v142 offset:592
	v_add_f32_e32 v2, v2, v3
	v_mul_f32_e32 v3, v53, v57
	v_fma_f32 v3, v52, v56, -v3
	v_add_f32_e32 v2, v2, v3
	s_waitcnt lgkmcnt(0)
	v_mul_f32_e32 v83, v74, v79
	v_fmac_f32_e32 v83, v75, v78
	v_add_f32_e32 v82, v82, v83
	v_mul_f32_e32 v83, v76, v81
	v_fmac_f32_e32 v83, v77, v80
	v_add_f32_e32 v90, v82, v83
	ds_read_b128 v[82:85], v142 offset:608
	v_mul_f32_e32 v3, v59, v63
	v_fma_f32 v3, v58, v62, -v3
	v_add_f32_e32 v2, v2, v3
	v_mul_f32_e32 v3, v61, v65
	;; [unrolled: 36-line block ×5, first 2 shown]
	s_waitcnt lgkmcnt(0)
	v_mul_f32_e32 v166, v158, v163
	v_fmac_f32_e32 v166, v159, v162
	v_add_f32_e32 v143, v143, v166
	v_mul_f32_e32 v166, v160, v165
	v_fmac_f32_e32 v166, v161, v164
	v_add_f32_e32 v143, v143, v166
	ds_read_b128 v[166:169], v142 offset:768
	v_fma_f32 v3, v108, v112, -v3
	v_add_f32_e32 v2, v2, v3
	v_mul_f32_e32 v3, v115, v119
	v_fma_f32 v3, v114, v118, -v3
	s_waitcnt lgkmcnt(0)
	v_mul_f32_e32 v174, v166, v171
	v_fmac_f32_e32 v174, v167, v170
	v_add_f32_e32 v143, v143, v174
	v_mul_f32_e32 v174, v168, v173
	v_fmac_f32_e32 v174, v169, v172
	v_add_f32_e32 v199, v143, v174
	ds_read_b128 v[174:177], v142 offset:784
	scratch_load_dwordx4 v[182:185], off, off offset:368
	scratch_load_dwordx4 v[186:189], off, off offset:384
	scratch_load_dwordx4 v[190:193], off, off offset:400
	scratch_load_dwordx4 v[194:197], off, off offset:416
	v_add_f32_e32 v2, v2, v3
	v_mul_f32_e32 v3, v117, v121
	v_fma_f32 v3, v116, v120, -v3
	v_add_f32_e32 v2, v2, v3
	v_mul_f32_e32 v3, v123, v127
	v_fma_f32 v3, v122, v126, -v3
	;; [unrolled: 3-line block ×13, first 2 shown]
	v_add_f32_e32 v198, v2, v3
	s_waitcnt lgkmcnt(0)
	v_mul_f32_e32 v2, v175, v179
	v_fma_f32 v200, v174, v178, -v2
	v_mul_f32_e32 v2, v177, v181
	v_fma_f32 v202, v176, v180, -v2
	ds_read_b128 v[2:5], v142 offset:800
	ds_read_b128 v[6:9], v142 offset:816
	;; [unrolled: 1-line block ×4, first 2 shown]
	v_mul_f32_e32 v201, v174, v179
	v_fmac_f32_e32 v201, v175, v178
	v_mul_f32_e32 v203, v176, v181
	v_fmac_f32_e32 v203, v177, v180
	v_pk_add_f32 v[18:19], v[198:199], v[200:201]
	s_waitcnt vmcnt(3) lgkmcnt(3)
	v_pk_mul_f32 v[20:21], v[2:3], v[182:183] op_sel:[1,1] op_sel_hi:[0,1]
	v_pk_fma_f32 v[22:23], v[2:3], v[182:183], v[20:21] neg_lo:[0,0,1] neg_hi:[0,0,1]
	v_pk_fma_f32 v[2:3], v[2:3], v[182:183], v[20:21] op_sel_hi:[1,0,1]
	v_pk_add_f32 v[18:19], v[18:19], v[202:203]
	v_mov_b32_e32 v23, v3
	v_pk_add_f32 v[2:3], v[18:19], v[22:23]
	v_mov_b32_e32 v18, v185
	v_pk_mul_f32 v[18:19], v[4:5], v[18:19] op_sel:[1,0] op_sel_hi:[0,0]
	v_pk_fma_f32 v[20:21], v[4:5], v[184:185], v[18:19] neg_lo:[0,0,1] neg_hi:[0,0,1]
	v_pk_fma_f32 v[4:5], v[4:5], v[184:185], v[18:19] op_sel_hi:[1,0,1]
	s_nop 0
	v_mov_b32_e32 v21, v5
	s_waitcnt vmcnt(2) lgkmcnt(2)
	v_pk_mul_f32 v[4:5], v[6:7], v[186:187] op_sel:[1,1] op_sel_hi:[0,1]
	v_pk_fma_f32 v[18:19], v[6:7], v[186:187], v[4:5] neg_lo:[0,0,1] neg_hi:[0,0,1]
	v_pk_fma_f32 v[4:5], v[6:7], v[186:187], v[4:5] op_sel_hi:[1,0,1]
	v_pk_add_f32 v[2:3], v[2:3], v[20:21]
	v_mov_b32_e32 v4, v189
	v_mov_b32_e32 v19, v5
	v_pk_mul_f32 v[4:5], v[8:9], v[4:5] op_sel:[1,0] op_sel_hi:[0,0]
	v_pk_fma_f32 v[6:7], v[8:9], v[188:189], v[4:5] neg_lo:[0,0,1] neg_hi:[0,0,1]
	v_pk_fma_f32 v[4:5], v[8:9], v[188:189], v[4:5] op_sel_hi:[1,0,1]
	v_pk_add_f32 v[2:3], v[2:3], v[18:19]
	v_mov_b32_e32 v7, v5
	s_waitcnt vmcnt(1) lgkmcnt(1)
	v_pk_mul_f32 v[4:5], v[10:11], v[190:191] op_sel:[1,1] op_sel_hi:[0,1]
	v_pk_add_f32 v[2:3], v[2:3], v[6:7]
	v_pk_fma_f32 v[6:7], v[10:11], v[190:191], v[4:5] neg_lo:[0,0,1] neg_hi:[0,0,1]
	v_pk_fma_f32 v[4:5], v[10:11], v[190:191], v[4:5] op_sel_hi:[1,0,1]
	s_nop 0
	v_mov_b32_e32 v4, v193
	v_mov_b32_e32 v7, v5
	v_pk_mul_f32 v[4:5], v[12:13], v[4:5] op_sel:[1,0] op_sel_hi:[0,0]
	v_pk_add_f32 v[2:3], v[2:3], v[6:7]
	v_pk_fma_f32 v[6:7], v[12:13], v[192:193], v[4:5] neg_lo:[0,0,1] neg_hi:[0,0,1]
	v_pk_fma_f32 v[4:5], v[12:13], v[192:193], v[4:5] op_sel_hi:[1,0,1]
	s_nop 0
	v_mov_b32_e32 v7, v5
	s_waitcnt vmcnt(0) lgkmcnt(0)
	v_pk_mul_f32 v[4:5], v[14:15], v[194:195] op_sel:[1,1] op_sel_hi:[0,1]
	v_pk_add_f32 v[2:3], v[2:3], v[6:7]
	v_pk_fma_f32 v[6:7], v[14:15], v[194:195], v[4:5] neg_lo:[0,0,1] neg_hi:[0,0,1]
	v_pk_fma_f32 v[4:5], v[14:15], v[194:195], v[4:5] op_sel_hi:[1,0,1]
	s_nop 0
	v_mov_b32_e32 v4, v197
	v_mov_b32_e32 v7, v5
	v_pk_mul_f32 v[4:5], v[16:17], v[4:5] op_sel:[1,0] op_sel_hi:[0,0]
	v_pk_add_f32 v[2:3], v[2:3], v[6:7]
	v_pk_fma_f32 v[6:7], v[16:17], v[196:197], v[4:5] neg_lo:[0,0,1] neg_hi:[0,0,1]
	v_pk_fma_f32 v[4:5], v[16:17], v[196:197], v[4:5] op_sel_hi:[1,0,1]
	s_nop 0
	v_mov_b32_e32 v7, v5
	scratch_load_dwordx2 v[4:5], off, off offset:8
	v_pk_add_f32 v[2:3], v[2:3], v[6:7]
	s_waitcnt vmcnt(0)
	v_pk_add_f32 v[2:3], v[4:5], v[2:3] neg_lo:[0,1] neg_hi:[0,1]
	scratch_store_dwordx2 off, v[2:3], off offset:8
	s_and_saveexec_b64 s[0:1], vcc
	s_cbranch_execz .LBB117_337
; %bb.336:
	scratch_load_dwordx2 v[2:3], off, off
	v_mov_b32_e32 v4, 0
	v_mov_b32_e32 v5, v4
	scratch_store_dwordx2 off, v[4:5], off
	s_waitcnt vmcnt(1)
	ds_write_b64 v1, v[2:3]
.LBB117_337:
	s_or_b64 exec, exec, s[0:1]
	s_waitcnt lgkmcnt(0)
	; wave barrier
	scratch_load_dwordx4 v[4:7], off, off offset:8
	scratch_load_dwordx4 v[12:15], off, off offset:24
	;; [unrolled: 1-line block ×10, first 2 shown]
	v_mov_b32_e32 v150, 0
	ds_read2_b64 v[0:3], v150 offset0:55 offset1:56
	scratch_load_dwordx4 v[84:87], off, off offset:168
	scratch_load_dwordx4 v[92:95], off, off offset:184
	;; [unrolled: 1-line block ×13, first 2 shown]
	s_and_b64 vcc, exec, s[10:11]
	s_waitcnt vmcnt(22) lgkmcnt(0)
	v_mul_f32_e32 v8, v0, v5
	v_fmac_f32_e32 v8, v1, v4
	v_mul_f32_e32 v9, v2, v7
	v_add_f32_e32 v8, 0, v8
	v_fmac_f32_e32 v9, v3, v6
	v_add_f32_e32 v16, v8, v9
	ds_read2_b64 v[8:11], v150 offset0:57 offset1:58
	v_mul_f32_e32 v1, v1, v5
	v_fma_f32 v0, v0, v4, -v1
	v_mul_f32_e32 v1, v3, v7
	v_add_f32_e32 v0, 0, v0
	s_waitcnt vmcnt(21) lgkmcnt(0)
	v_mul_f32_e32 v17, v8, v13
	v_fmac_f32_e32 v17, v9, v12
	v_add_f32_e32 v16, v16, v17
	v_mul_f32_e32 v17, v10, v15
	v_fmac_f32_e32 v17, v11, v14
	v_add_f32_e32 v24, v16, v17
	ds_read2_b64 v[16:19], v150 offset0:59 offset1:60
	v_fma_f32 v1, v2, v6, -v1
	v_add_f32_e32 v0, v0, v1
	v_mul_f32_e32 v1, v9, v13
	v_fma_f32 v1, v8, v12, -v1
	s_waitcnt vmcnt(20) lgkmcnt(0)
	v_mul_f32_e32 v25, v16, v21
	v_fmac_f32_e32 v25, v17, v20
	v_add_f32_e32 v24, v24, v25
	v_mul_f32_e32 v25, v18, v23
	v_fmac_f32_e32 v25, v19, v22
	v_add_f32_e32 v32, v24, v25
	ds_read2_b64 v[24:27], v150 offset0:61 offset1:62
	v_add_f32_e32 v0, v0, v1
	v_mul_f32_e32 v1, v11, v15
	v_fma_f32 v1, v10, v14, -v1
	v_add_f32_e32 v0, v0, v1
	s_waitcnt vmcnt(19) lgkmcnt(0)
	v_mul_f32_e32 v33, v24, v29
	v_fmac_f32_e32 v33, v25, v28
	v_add_f32_e32 v32, v32, v33
	v_mul_f32_e32 v33, v26, v31
	v_fmac_f32_e32 v33, v27, v30
	v_add_f32_e32 v40, v32, v33
	ds_read2_b64 v[32:35], v150 offset0:63 offset1:64
	v_mul_f32_e32 v1, v17, v21
	v_fma_f32 v1, v16, v20, -v1
	v_add_f32_e32 v0, v0, v1
	v_mul_f32_e32 v1, v19, v23
	s_waitcnt vmcnt(18) lgkmcnt(0)
	v_mul_f32_e32 v41, v32, v37
	v_fmac_f32_e32 v41, v33, v36
	v_add_f32_e32 v40, v40, v41
	v_mul_f32_e32 v41, v34, v39
	v_fmac_f32_e32 v41, v35, v38
	v_add_f32_e32 v48, v40, v41
	ds_read2_b64 v[40:43], v150 offset0:65 offset1:66
	v_fma_f32 v1, v18, v22, -v1
	v_add_f32_e32 v0, v0, v1
	v_mul_f32_e32 v1, v25, v29
	v_fma_f32 v1, v24, v28, -v1
	s_waitcnt vmcnt(17) lgkmcnt(0)
	v_mul_f32_e32 v49, v40, v45
	v_fmac_f32_e32 v49, v41, v44
	v_add_f32_e32 v48, v48, v49
	v_mul_f32_e32 v49, v42, v47
	v_fmac_f32_e32 v49, v43, v46
	v_add_f32_e32 v56, v48, v49
	ds_read2_b64 v[48:51], v150 offset0:67 offset1:68
	v_add_f32_e32 v0, v0, v1
	v_mul_f32_e32 v1, v27, v31
	v_fma_f32 v1, v26, v30, -v1
	v_add_f32_e32 v0, v0, v1
	s_waitcnt vmcnt(16) lgkmcnt(0)
	v_mul_f32_e32 v57, v48, v53
	v_fmac_f32_e32 v57, v49, v52
	v_add_f32_e32 v56, v56, v57
	v_mul_f32_e32 v57, v50, v55
	v_fmac_f32_e32 v57, v51, v54
	v_add_f32_e32 v64, v56, v57
	ds_read2_b64 v[56:59], v150 offset0:69 offset1:70
	v_mul_f32_e32 v1, v33, v37
	v_fma_f32 v1, v32, v36, -v1
	v_add_f32_e32 v0, v0, v1
	v_mul_f32_e32 v1, v35, v39
	s_waitcnt vmcnt(15) lgkmcnt(0)
	v_mul_f32_e32 v65, v56, v61
	v_fmac_f32_e32 v65, v57, v60
	v_add_f32_e32 v64, v64, v65
	v_mul_f32_e32 v65, v58, v63
	v_fmac_f32_e32 v65, v59, v62
	v_add_f32_e32 v72, v64, v65
	ds_read2_b64 v[64:67], v150 offset0:71 offset1:72
	v_fma_f32 v1, v34, v38, -v1
	v_add_f32_e32 v0, v0, v1
	v_mul_f32_e32 v1, v41, v45
	v_fma_f32 v1, v40, v44, -v1
	s_waitcnt vmcnt(14) lgkmcnt(0)
	v_mul_f32_e32 v73, v64, v69
	v_fmac_f32_e32 v73, v65, v68
	v_add_f32_e32 v72, v72, v73
	v_mul_f32_e32 v73, v66, v71
	v_fmac_f32_e32 v73, v67, v70
	v_add_f32_e32 v80, v72, v73
	ds_read2_b64 v[72:75], v150 offset0:73 offset1:74
	v_add_f32_e32 v0, v0, v1
	v_mul_f32_e32 v1, v43, v47
	v_fma_f32 v1, v42, v46, -v1
	v_add_f32_e32 v0, v0, v1
	s_waitcnt vmcnt(13) lgkmcnt(0)
	v_mul_f32_e32 v81, v72, v77
	v_fmac_f32_e32 v81, v73, v76
	v_add_f32_e32 v80, v80, v81
	v_mul_f32_e32 v81, v74, v79
	v_fmac_f32_e32 v81, v75, v78
	v_add_f32_e32 v88, v80, v81
	ds_read2_b64 v[80:83], v150 offset0:75 offset1:76
	v_mul_f32_e32 v1, v49, v53
	v_fma_f32 v1, v48, v52, -v1
	v_add_f32_e32 v0, v0, v1
	v_mul_f32_e32 v1, v51, v55
	s_waitcnt vmcnt(12) lgkmcnt(0)
	v_mul_f32_e32 v89, v80, v85
	v_fmac_f32_e32 v89, v81, v84
	v_add_f32_e32 v88, v88, v89
	v_mul_f32_e32 v89, v82, v87
	v_fmac_f32_e32 v89, v83, v86
	v_add_f32_e32 v96, v88, v89
	ds_read2_b64 v[88:91], v150 offset0:77 offset1:78
	v_fma_f32 v1, v50, v54, -v1
	v_add_f32_e32 v0, v0, v1
	v_mul_f32_e32 v1, v57, v61
	v_fma_f32 v1, v56, v60, -v1
	s_waitcnt vmcnt(11) lgkmcnt(0)
	v_mul_f32_e32 v97, v88, v93
	v_fmac_f32_e32 v97, v89, v92
	v_add_f32_e32 v96, v96, v97
	v_mul_f32_e32 v97, v90, v95
	v_fmac_f32_e32 v97, v91, v94
	v_add_f32_e32 v104, v96, v97
	ds_read2_b64 v[96:99], v150 offset0:79 offset1:80
	v_add_f32_e32 v0, v0, v1
	v_mul_f32_e32 v1, v59, v63
	v_fma_f32 v1, v58, v62, -v1
	v_add_f32_e32 v0, v0, v1
	s_waitcnt vmcnt(10) lgkmcnt(0)
	v_mul_f32_e32 v105, v96, v101
	v_fmac_f32_e32 v105, v97, v100
	v_add_f32_e32 v104, v104, v105
	v_mul_f32_e32 v105, v98, v103
	v_fmac_f32_e32 v105, v99, v102
	v_add_f32_e32 v112, v104, v105
	ds_read2_b64 v[104:107], v150 offset0:81 offset1:82
	v_mul_f32_e32 v1, v65, v69
	v_fma_f32 v1, v64, v68, -v1
	v_add_f32_e32 v0, v0, v1
	v_mul_f32_e32 v1, v67, v71
	s_waitcnt vmcnt(9) lgkmcnt(0)
	v_mul_f32_e32 v113, v104, v109
	v_fmac_f32_e32 v113, v105, v108
	v_add_f32_e32 v112, v112, v113
	v_mul_f32_e32 v113, v106, v111
	v_fmac_f32_e32 v113, v107, v110
	v_add_f32_e32 v120, v112, v113
	ds_read2_b64 v[112:115], v150 offset0:83 offset1:84
	v_fma_f32 v1, v66, v70, -v1
	v_add_f32_e32 v0, v0, v1
	v_mul_f32_e32 v1, v73, v77
	v_fma_f32 v1, v72, v76, -v1
	s_waitcnt vmcnt(8) lgkmcnt(0)
	v_mul_f32_e32 v121, v112, v117
	v_fmac_f32_e32 v121, v113, v116
	v_add_f32_e32 v120, v120, v121
	v_mul_f32_e32 v121, v114, v119
	v_fmac_f32_e32 v121, v115, v118
	v_add_f32_e32 v128, v120, v121
	ds_read2_b64 v[120:123], v150 offset0:85 offset1:86
	v_add_f32_e32 v0, v0, v1
	v_mul_f32_e32 v1, v75, v79
	v_fma_f32 v1, v74, v78, -v1
	v_add_f32_e32 v0, v0, v1
	s_waitcnt vmcnt(7) lgkmcnt(0)
	v_mul_f32_e32 v129, v120, v125
	v_fmac_f32_e32 v129, v121, v124
	v_add_f32_e32 v128, v128, v129
	v_mul_f32_e32 v129, v122, v127
	v_fmac_f32_e32 v129, v123, v126
	v_add_f32_e32 v136, v128, v129
	ds_read2_b64 v[128:131], v150 offset0:87 offset1:88
	v_mul_f32_e32 v1, v81, v85
	v_fma_f32 v1, v80, v84, -v1
	v_add_f32_e32 v0, v0, v1
	v_mul_f32_e32 v1, v83, v87
	s_waitcnt vmcnt(6) lgkmcnt(0)
	v_mul_f32_e32 v137, v128, v133
	v_fmac_f32_e32 v137, v129, v132
	v_add_f32_e32 v136, v136, v137
	v_mul_f32_e32 v137, v130, v135
	v_fmac_f32_e32 v137, v131, v134
	v_add_f32_e32 v144, v136, v137
	ds_read2_b64 v[136:139], v150 offset0:89 offset1:90
	v_fma_f32 v1, v82, v86, -v1
	v_add_f32_e32 v0, v0, v1
	v_mul_f32_e32 v1, v89, v93
	v_fma_f32 v1, v88, v92, -v1
	s_waitcnt vmcnt(5) lgkmcnt(0)
	v_mul_f32_e32 v145, v136, v141
	v_fmac_f32_e32 v145, v137, v140
	v_add_f32_e32 v144, v144, v145
	v_mul_f32_e32 v145, v138, v143
	v_fmac_f32_e32 v145, v139, v142
	v_add_f32_e32 v151, v144, v145
	ds_read2_b64 v[144:147], v150 offset0:91 offset1:92
	v_add_f32_e32 v0, v0, v1
	v_mul_f32_e32 v1, v91, v95
	v_fma_f32 v1, v90, v94, -v1
	v_add_f32_e32 v0, v0, v1
	s_waitcnt vmcnt(4) lgkmcnt(0)
	v_mul_f32_e32 v156, v144, v153
	v_fmac_f32_e32 v156, v145, v152
	v_add_f32_e32 v151, v151, v156
	v_mul_f32_e32 v156, v146, v155
	v_fmac_f32_e32 v156, v147, v154
	v_add_f32_e32 v151, v151, v156
	ds_read2_b64 v[156:159], v150 offset0:93 offset1:94
	v_mul_f32_e32 v1, v97, v101
	v_fma_f32 v1, v96, v100, -v1
	v_add_f32_e32 v0, v0, v1
	v_mul_f32_e32 v1, v99, v103
	s_waitcnt vmcnt(3) lgkmcnt(0)
	v_mul_f32_e32 v164, v156, v161
	v_fmac_f32_e32 v164, v157, v160
	v_add_f32_e32 v151, v151, v164
	v_mul_f32_e32 v164, v158, v163
	v_fmac_f32_e32 v164, v159, v162
	v_add_f32_e32 v151, v151, v164
	ds_read2_b64 v[164:167], v150 offset0:95 offset1:96
	v_fma_f32 v1, v98, v102, -v1
	v_add_f32_e32 v0, v0, v1
	v_mul_f32_e32 v1, v105, v109
	v_fma_f32 v1, v104, v108, -v1
	s_waitcnt vmcnt(2) lgkmcnt(0)
	v_mul_f32_e32 v172, v164, v169
	v_fmac_f32_e32 v172, v165, v168
	v_add_f32_e32 v151, v151, v172
	v_mul_f32_e32 v172, v166, v171
	v_fmac_f32_e32 v172, v167, v170
	v_add_f32_e32 v151, v151, v172
	ds_read2_b64 v[172:175], v150 offset0:97 offset1:98
	v_add_f32_e32 v0, v0, v1
	v_mul_f32_e32 v1, v107, v111
	v_fma_f32 v1, v106, v110, -v1
	v_add_f32_e32 v0, v0, v1
	s_waitcnt vmcnt(1) lgkmcnt(0)
	v_mul_f32_e32 v180, v172, v177
	v_fmac_f32_e32 v180, v173, v176
	v_add_f32_e32 v201, v151, v180
	ds_read2_b64 v[180:183], v150 offset0:99 offset1:100
	scratch_load_dwordx4 v[188:191], off, off offset:376
	scratch_load_dwordx4 v[192:195], off, off offset:392
	;; [unrolled: 1-line block ×3, first 2 shown]
	scratch_load_dwordx2 v[206:207], off, off offset:424
	v_mul_f32_e32 v1, v113, v117
	v_fma_f32 v1, v112, v116, -v1
	v_add_f32_e32 v0, v0, v1
	v_mul_f32_e32 v1, v115, v119
	v_fma_f32 v1, v114, v118, -v1
	v_add_f32_e32 v0, v0, v1
	;; [unrolled: 3-line block ×15, first 2 shown]
	v_mul_f32_e32 v0, v175, v179
	v_mul_f32_e32 v203, v174, v179
	v_fma_f32 v202, v174, v178, -v0
	s_waitcnt vmcnt(4) lgkmcnt(0)
	v_mul_f32_e32 v0, v181, v185
	v_mov_b32_e32 v16, v187
	v_fmac_f32_e32 v203, v175, v178
	v_mul_f32_e32 v205, v180, v185
	v_fma_f32 v204, v180, v184, -v0
	ds_read2_b64 v[0:3], v150 offset0:101 offset1:102
	ds_read2_b64 v[4:7], v150 offset0:103 offset1:104
	;; [unrolled: 1-line block ×3, first 2 shown]
	ds_read_b64 v[12:13], v150 offset:856
	v_pk_mul_f32 v[16:17], v[182:183], v[16:17] op_sel:[1,0] op_sel_hi:[0,0]
	v_fmac_f32_e32 v205, v181, v184
	v_pk_add_f32 v[14:15], v[200:201], v[202:203]
	v_pk_fma_f32 v[18:19], v[182:183], v[186:187], v[16:17] neg_lo:[0,0,1] neg_hi:[0,0,1]
	v_pk_fma_f32 v[16:17], v[182:183], v[186:187], v[16:17] op_sel_hi:[1,0,1]
	v_pk_add_f32 v[14:15], v[14:15], v[204:205]
	v_mov_b32_e32 v19, v17
	v_pk_add_f32 v[14:15], v[14:15], v[18:19]
	s_waitcnt vmcnt(3) lgkmcnt(3)
	v_pk_mul_f32 v[16:17], v[0:1], v[188:189] op_sel:[1,1] op_sel_hi:[0,1]
	v_pk_fma_f32 v[18:19], v[0:1], v[188:189], v[16:17] neg_lo:[0,0,1] neg_hi:[0,0,1]
	v_pk_fma_f32 v[0:1], v[0:1], v[188:189], v[16:17] op_sel_hi:[1,0,1]
	s_nop 0
	v_mov_b32_e32 v19, v1
	v_pk_add_f32 v[0:1], v[14:15], v[18:19]
	v_mov_b32_e32 v14, v191
	v_pk_mul_f32 v[14:15], v[2:3], v[14:15] op_sel:[1,0] op_sel_hi:[0,0]
	v_pk_fma_f32 v[16:17], v[2:3], v[190:191], v[14:15] neg_lo:[0,0,1] neg_hi:[0,0,1]
	v_pk_fma_f32 v[2:3], v[2:3], v[190:191], v[14:15] op_sel_hi:[1,0,1]
	s_nop 0
	v_mov_b32_e32 v17, v3
	s_waitcnt vmcnt(2) lgkmcnt(2)
	v_pk_mul_f32 v[2:3], v[4:5], v[192:193] op_sel:[1,1] op_sel_hi:[0,1]
	v_pk_fma_f32 v[14:15], v[4:5], v[192:193], v[2:3] neg_lo:[0,0,1] neg_hi:[0,0,1]
	v_pk_fma_f32 v[2:3], v[4:5], v[192:193], v[2:3] op_sel_hi:[1,0,1]
	v_pk_add_f32 v[0:1], v[0:1], v[16:17]
	v_mov_b32_e32 v2, v195
	v_mov_b32_e32 v15, v3
	v_pk_mul_f32 v[2:3], v[6:7], v[2:3] op_sel:[1,0] op_sel_hi:[0,0]
	v_pk_fma_f32 v[4:5], v[6:7], v[194:195], v[2:3] neg_lo:[0,0,1] neg_hi:[0,0,1]
	v_pk_fma_f32 v[2:3], v[6:7], v[194:195], v[2:3] op_sel_hi:[1,0,1]
	v_pk_add_f32 v[0:1], v[0:1], v[14:15]
	v_mov_b32_e32 v5, v3
	s_waitcnt vmcnt(1) lgkmcnt(1)
	v_pk_mul_f32 v[2:3], v[8:9], v[196:197] op_sel:[1,1] op_sel_hi:[0,1]
	v_pk_add_f32 v[0:1], v[0:1], v[4:5]
	v_pk_fma_f32 v[4:5], v[8:9], v[196:197], v[2:3] neg_lo:[0,0,1] neg_hi:[0,0,1]
	v_pk_fma_f32 v[2:3], v[8:9], v[196:197], v[2:3] op_sel_hi:[1,0,1]
	s_nop 0
	v_mov_b32_e32 v2, v199
	v_mov_b32_e32 v5, v3
	v_pk_mul_f32 v[2:3], v[10:11], v[2:3] op_sel:[1,0] op_sel_hi:[0,0]
	v_pk_add_f32 v[0:1], v[0:1], v[4:5]
	v_pk_fma_f32 v[4:5], v[10:11], v[198:199], v[2:3] neg_lo:[0,0,1] neg_hi:[0,0,1]
	v_pk_fma_f32 v[2:3], v[10:11], v[198:199], v[2:3] op_sel_hi:[1,0,1]
	s_nop 0
	v_mov_b32_e32 v5, v3
	s_waitcnt vmcnt(0) lgkmcnt(0)
	v_pk_mul_f32 v[2:3], v[12:13], v[206:207] op_sel:[1,1] op_sel_hi:[0,1]
	v_pk_add_f32 v[0:1], v[0:1], v[4:5]
	v_pk_fma_f32 v[4:5], v[12:13], v[206:207], v[2:3] neg_lo:[0,0,1] neg_hi:[0,0,1]
	v_pk_fma_f32 v[2:3], v[12:13], v[206:207], v[2:3] op_sel_hi:[1,0,1]
	s_nop 0
	v_mov_b32_e32 v5, v3
	scratch_load_dwordx2 v[2:3], off, off
	v_pk_add_f32 v[0:1], v[0:1], v[4:5]
	s_waitcnt vmcnt(0)
	v_pk_add_f32 v[0:1], v[2:3], v[0:1] neg_lo:[0,1] neg_hi:[0,1]
	scratch_store_dwordx2 off, v[0:1], off
	s_cbranch_vccz .LBB117_444
; %bb.338:
	global_load_dword v0, v150, s[8:9] offset:208
	s_waitcnt vmcnt(0)
	v_readfirstlane_b32 s0, v0
	s_add_i32 s0, s0, -1
	s_cmp_lg_u32 s0, 52
	s_cbranch_scc0 .LBB117_340
; %bb.339:
	s_lshl_b32 s0, s0, 3
	s_nop 0
	scratch_load_dwordx2 v[0:1], off, s0
	scratch_load_dwordx2 v[2:3], off, off offset:416
	s_waitcnt vmcnt(1)
	scratch_store_dwordx2 off, v[0:1], off offset:416
	s_waitcnt vmcnt(1)
	scratch_store_dwordx2 off, v[2:3], s0
.LBB117_340:
	v_mov_b32_e32 v0, 0
	global_load_dword v1, v0, s[8:9] offset:204
	s_waitcnt vmcnt(0)
	v_readfirstlane_b32 s0, v1
	s_add_i32 s0, s0, -1
	s_cmp_eq_u32 s0, 51
	s_cbranch_scc1 .LBB117_342
; %bb.341:
	s_lshl_b32 s0, s0, 3
	s_nop 0
	scratch_load_dwordx2 v[2:3], off, s0
	scratch_load_dwordx2 v[4:5], off, off offset:408
	s_waitcnt vmcnt(1)
	scratch_store_dwordx2 off, v[2:3], off offset:408
	s_waitcnt vmcnt(1)
	scratch_store_dwordx2 off, v[4:5], s0
.LBB117_342:
	global_load_dword v0, v0, s[8:9] offset:200
	s_waitcnt vmcnt(0)
	v_readfirstlane_b32 s0, v0
	s_add_i32 s0, s0, -1
	s_cmp_eq_u32 s0, 50
	s_cbranch_scc1 .LBB117_344
; %bb.343:
	s_lshl_b32 s0, s0, 3
	s_nop 0
	scratch_load_dwordx2 v[0:1], off, s0
	scratch_load_dwordx2 v[2:3], off, off offset:400
	s_waitcnt vmcnt(1)
	scratch_store_dwordx2 off, v[0:1], off offset:400
	s_waitcnt vmcnt(1)
	scratch_store_dwordx2 off, v[2:3], s0
.LBB117_344:
	v_mov_b32_e32 v0, 0
	global_load_dword v1, v0, s[8:9] offset:196
	s_waitcnt vmcnt(0)
	v_readfirstlane_b32 s0, v1
	s_add_i32 s0, s0, -1
	s_cmp_eq_u32 s0, 49
	s_cbranch_scc1 .LBB117_346
; %bb.345:
	s_lshl_b32 s0, s0, 3
	s_nop 0
	scratch_load_dwordx2 v[2:3], off, s0
	scratch_load_dwordx2 v[4:5], off, off offset:392
	s_waitcnt vmcnt(1)
	scratch_store_dwordx2 off, v[2:3], off offset:392
	s_waitcnt vmcnt(1)
	scratch_store_dwordx2 off, v[4:5], s0
.LBB117_346:
	global_load_dword v0, v0, s[8:9] offset:192
	s_waitcnt vmcnt(0)
	v_readfirstlane_b32 s0, v0
	s_add_i32 s0, s0, -1
	s_cmp_eq_u32 s0, 48
	s_cbranch_scc1 .LBB117_348
; %bb.347:
	s_lshl_b32 s0, s0, 3
	s_nop 0
	scratch_load_dwordx2 v[0:1], off, s0
	scratch_load_dwordx2 v[2:3], off, off offset:384
	s_waitcnt vmcnt(1)
	scratch_store_dwordx2 off, v[0:1], off offset:384
	s_waitcnt vmcnt(1)
	scratch_store_dwordx2 off, v[2:3], s0
.LBB117_348:
	;; [unrolled: 33-line block ×25, first 2 shown]
	v_mov_b32_e32 v0, 0
	global_load_dword v1, v0, s[8:9] offset:4
	s_waitcnt vmcnt(0)
	v_readfirstlane_b32 s0, v1
	s_add_i32 s0, s0, -1
	s_cmp_eq_u32 s0, 1
	s_cbranch_scc1 .LBB117_442
; %bb.441:
	s_lshl_b32 s0, s0, 3
	s_nop 0
	scratch_load_dwordx2 v[2:3], off, s0
	scratch_load_dwordx2 v[4:5], off, off offset:8
	s_waitcnt vmcnt(1)
	scratch_store_dwordx2 off, v[2:3], off offset:8
	s_waitcnt vmcnt(1)
	scratch_store_dwordx2 off, v[4:5], s0
.LBB117_442:
	global_load_dword v2, v0, s[8:9]
	s_nop 0
	scratch_load_dwordx2 v[0:1], off, off
	s_waitcnt vmcnt(1)
	v_readfirstlane_b32 s0, v2
	s_add_i32 s0, s0, -1
	s_cmp_eq_u32 s0, 0
	s_cbranch_scc1 .LBB117_444
; %bb.443:
	s_lshl_b32 s0, s0, 3
	s_nop 0
	scratch_load_dwordx2 v[2:3], off, s0
	s_waitcnt vmcnt(0)
	scratch_store_dwordx2 off, v[2:3], off
	scratch_store_dwordx2 off, v[0:1], s0
	scratch_load_dwordx2 v[0:1], off, off
.LBB117_444:
	s_waitcnt vmcnt(0)
	flat_store_dwordx2 v[148:149], v[0:1]
	scratch_load_dwordx2 v[0:1], off, off offset:8
	v_accvgpr_read_b32 v3, a1
	v_accvgpr_read_b32 v2, a0
	s_waitcnt vmcnt(0)
	flat_store_dwordx2 v[2:3], v[0:1]
	scratch_load_dwordx2 v[0:1], off, off offset:16
	v_accvgpr_read_b32 v2, a2
	v_accvgpr_read_b32 v3, a3
	;; [unrolled: 5-line block ×29, first 2 shown]
	s_waitcnt vmcnt(0)
	flat_store_dwordx2 v[2:3], v[0:1]
	scratch_load_dwordx2 v[0:1], off, off offset:240
	s_waitcnt vmcnt(0)
	flat_store_dwordx2 v[208:209], v[0:1]
	scratch_load_dwordx2 v[0:1], off, off offset:248
	;; [unrolled: 3-line block ×24, first 2 shown]
	s_waitcnt vmcnt(0)
	flat_store_dwordx2 v[254:255], v[0:1]
	s_endpgm
	.section	.rodata,"a",@progbits
	.p2align	6, 0x0
	.amdhsa_kernel _ZN9rocsolver6v33100L18getri_kernel_smallILi54E19rocblas_complex_numIfEPKPS3_EEvT1_iilPiilS8_bb
		.amdhsa_group_segment_fixed_size 868
		.amdhsa_private_segment_fixed_size 448
		.amdhsa_kernarg_size 60
		.amdhsa_user_sgpr_count 2
		.amdhsa_user_sgpr_dispatch_ptr 0
		.amdhsa_user_sgpr_queue_ptr 0
		.amdhsa_user_sgpr_kernarg_segment_ptr 1
		.amdhsa_user_sgpr_dispatch_id 0
		.amdhsa_user_sgpr_kernarg_preload_length 0
		.amdhsa_user_sgpr_kernarg_preload_offset 0
		.amdhsa_user_sgpr_private_segment_size 0
		.amdhsa_uses_dynamic_stack 0
		.amdhsa_enable_private_segment 1
		.amdhsa_system_sgpr_workgroup_id_x 1
		.amdhsa_system_sgpr_workgroup_id_y 0
		.amdhsa_system_sgpr_workgroup_id_z 0
		.amdhsa_system_sgpr_workgroup_info 0
		.amdhsa_system_vgpr_workitem_id 0
		.amdhsa_next_free_vgpr 314
		.amdhsa_next_free_sgpr 17
		.amdhsa_accum_offset 256
		.amdhsa_reserve_vcc 1
		.amdhsa_float_round_mode_32 0
		.amdhsa_float_round_mode_16_64 0
		.amdhsa_float_denorm_mode_32 3
		.amdhsa_float_denorm_mode_16_64 3
		.amdhsa_dx10_clamp 1
		.amdhsa_ieee_mode 1
		.amdhsa_fp16_overflow 0
		.amdhsa_tg_split 0
		.amdhsa_exception_fp_ieee_invalid_op 0
		.amdhsa_exception_fp_denorm_src 0
		.amdhsa_exception_fp_ieee_div_zero 0
		.amdhsa_exception_fp_ieee_overflow 0
		.amdhsa_exception_fp_ieee_underflow 0
		.amdhsa_exception_fp_ieee_inexact 0
		.amdhsa_exception_int_div_zero 0
	.end_amdhsa_kernel
	.section	.text._ZN9rocsolver6v33100L18getri_kernel_smallILi54E19rocblas_complex_numIfEPKPS3_EEvT1_iilPiilS8_bb,"axG",@progbits,_ZN9rocsolver6v33100L18getri_kernel_smallILi54E19rocblas_complex_numIfEPKPS3_EEvT1_iilPiilS8_bb,comdat
.Lfunc_end117:
	.size	_ZN9rocsolver6v33100L18getri_kernel_smallILi54E19rocblas_complex_numIfEPKPS3_EEvT1_iilPiilS8_bb, .Lfunc_end117-_ZN9rocsolver6v33100L18getri_kernel_smallILi54E19rocblas_complex_numIfEPKPS3_EEvT1_iilPiilS8_bb
                                        ; -- End function
	.set _ZN9rocsolver6v33100L18getri_kernel_smallILi54E19rocblas_complex_numIfEPKPS3_EEvT1_iilPiilS8_bb.num_vgpr, 256
	.set _ZN9rocsolver6v33100L18getri_kernel_smallILi54E19rocblas_complex_numIfEPKPS3_EEvT1_iilPiilS8_bb.num_agpr, 58
	.set _ZN9rocsolver6v33100L18getri_kernel_smallILi54E19rocblas_complex_numIfEPKPS3_EEvT1_iilPiilS8_bb.numbered_sgpr, 17
	.set _ZN9rocsolver6v33100L18getri_kernel_smallILi54E19rocblas_complex_numIfEPKPS3_EEvT1_iilPiilS8_bb.num_named_barrier, 0
	.set _ZN9rocsolver6v33100L18getri_kernel_smallILi54E19rocblas_complex_numIfEPKPS3_EEvT1_iilPiilS8_bb.private_seg_size, 448
	.set _ZN9rocsolver6v33100L18getri_kernel_smallILi54E19rocblas_complex_numIfEPKPS3_EEvT1_iilPiilS8_bb.uses_vcc, 1
	.set _ZN9rocsolver6v33100L18getri_kernel_smallILi54E19rocblas_complex_numIfEPKPS3_EEvT1_iilPiilS8_bb.uses_flat_scratch, 0
	.set _ZN9rocsolver6v33100L18getri_kernel_smallILi54E19rocblas_complex_numIfEPKPS3_EEvT1_iilPiilS8_bb.has_dyn_sized_stack, 0
	.set _ZN9rocsolver6v33100L18getri_kernel_smallILi54E19rocblas_complex_numIfEPKPS3_EEvT1_iilPiilS8_bb.has_recursion, 0
	.set _ZN9rocsolver6v33100L18getri_kernel_smallILi54E19rocblas_complex_numIfEPKPS3_EEvT1_iilPiilS8_bb.has_indirect_call, 0
	.section	.AMDGPU.csdata,"",@progbits
; Kernel info:
; codeLenInByte = 84284
; TotalNumSgprs: 23
; NumVgprs: 256
; NumAgprs: 58
; TotalNumVgprs: 314
; ScratchSize: 448
; MemoryBound: 0
; FloatMode: 240
; IeeeMode: 1
; LDSByteSize: 868 bytes/workgroup (compile time only)
; SGPRBlocks: 2
; VGPRBlocks: 39
; NumSGPRsForWavesPerEU: 23
; NumVGPRsForWavesPerEU: 314
; AccumOffset: 256
; Occupancy: 1
; WaveLimiterHint : 1
; COMPUTE_PGM_RSRC2:SCRATCH_EN: 1
; COMPUTE_PGM_RSRC2:USER_SGPR: 2
; COMPUTE_PGM_RSRC2:TRAP_HANDLER: 0
; COMPUTE_PGM_RSRC2:TGID_X_EN: 1
; COMPUTE_PGM_RSRC2:TGID_Y_EN: 0
; COMPUTE_PGM_RSRC2:TGID_Z_EN: 0
; COMPUTE_PGM_RSRC2:TIDIG_COMP_CNT: 0
; COMPUTE_PGM_RSRC3_GFX90A:ACCUM_OFFSET: 63
; COMPUTE_PGM_RSRC3_GFX90A:TG_SPLIT: 0
	.section	.text._ZN9rocsolver6v33100L18getri_kernel_smallILi55E19rocblas_complex_numIfEPKPS3_EEvT1_iilPiilS8_bb,"axG",@progbits,_ZN9rocsolver6v33100L18getri_kernel_smallILi55E19rocblas_complex_numIfEPKPS3_EEvT1_iilPiilS8_bb,comdat
	.globl	_ZN9rocsolver6v33100L18getri_kernel_smallILi55E19rocblas_complex_numIfEPKPS3_EEvT1_iilPiilS8_bb ; -- Begin function _ZN9rocsolver6v33100L18getri_kernel_smallILi55E19rocblas_complex_numIfEPKPS3_EEvT1_iilPiilS8_bb
	.p2align	8
	.type	_ZN9rocsolver6v33100L18getri_kernel_smallILi55E19rocblas_complex_numIfEPKPS3_EEvT1_iilPiilS8_bb,@function
_ZN9rocsolver6v33100L18getri_kernel_smallILi55E19rocblas_complex_numIfEPKPS3_EEvT1_iilPiilS8_bb: ; @_ZN9rocsolver6v33100L18getri_kernel_smallILi55E19rocblas_complex_numIfEPKPS3_EEvT1_iilPiilS8_bb
; %bb.0:
	v_cmp_gt_u32_e32 vcc, 55, v0
	s_and_saveexec_b64 s[4:5], vcc
	s_cbranch_execz .LBB118_234
; %bb.1:
	s_load_dword s14, s[0:1], 0x38
	s_load_dwordx2 s[8:9], s[0:1], 0x0
	s_load_dwordx4 s[4:7], s[0:1], 0x28
	s_waitcnt lgkmcnt(0)
	s_bitcmp1_b32 s14, 8
	s_cselect_b64 s[10:11], -1, 0
	s_ashr_i32 s3, s2, 31
	s_lshl_b64 s[12:13], s[2:3], 3
	s_add_u32 s8, s8, s12
	s_addc_u32 s9, s9, s13
	s_load_dwordx2 s[12:13], s[8:9], 0x0
	s_bfe_u32 s8, s14, 0x10008
	s_cmp_eq_u32 s8, 0
                                        ; implicit-def: $sgpr8_sgpr9
	s_cbranch_scc1 .LBB118_3
; %bb.2:
	s_load_dword s8, s[0:1], 0x20
	s_load_dwordx2 s[14:15], s[0:1], 0x18
	s_mul_i32 s9, s4, s3
	s_mul_hi_u32 s16, s4, s2
	s_add_i32 s16, s16, s9
	s_mul_i32 s5, s5, s2
	s_add_i32 s5, s16, s5
	s_mul_i32 s4, s4, s2
	s_waitcnt lgkmcnt(0)
	s_ashr_i32 s9, s8, 31
	s_lshl_b64 s[4:5], s[4:5], 2
	s_add_u32 s14, s14, s4
	s_addc_u32 s15, s15, s5
	s_lshl_b64 s[4:5], s[8:9], 2
	s_add_u32 s8, s14, s4
	s_addc_u32 s9, s15, s5
.LBB118_3:
	s_load_dwordx2 s[4:5], s[0:1], 0x8
	s_load_dword s14, s[0:1], 0x38
	v_lshlrev_b32_e32 v2, 3, v0
	v_mov_b32_e32 v3, 0
	s_waitcnt lgkmcnt(0)
	s_ashr_i32 s1, s4, 31
	s_mov_b32 s0, s4
	s_lshl_b64 s[0:1], s[0:1], 3
	s_add_u32 s0, s12, s0
	s_addc_u32 s1, s13, s1
	v_lshl_add_u64 v[150:151], s[0:1], 0, v[2:3]
	flat_load_dwordx2 v[4:5], v[150:151]
	s_mov_b32 s12, s5
	s_ashr_i32 s13, s5, 31
	v_lshl_add_u64 v[6:7], s[12:13], 3, v[150:151]
	v_accvgpr_write_b32 a0, v6
	s_add_i32 s4, s5, s5
	v_accvgpr_write_b32 a1, v7
	s_bitcmp0_b32 s14, 0
	s_waitcnt vmcnt(0) lgkmcnt(0)
	scratch_store_dwordx2 off, v[4:5], off
	flat_load_dwordx2 v[4:5], v[6:7]
	v_add_u32_e32 v6, s4, v0
	v_ashrrev_i32_e32 v7, 31, v6
	v_lshl_add_u64 v[8:9], v[6:7], 3, s[0:1]
	v_add_u32_e32 v6, s5, v6
	v_accvgpr_write_b32 a2, v8
	v_ashrrev_i32_e32 v7, 31, v6
	v_accvgpr_write_b32 a3, v9
	s_waitcnt vmcnt(0) lgkmcnt(0)
	scratch_store_dwordx2 off, v[4:5], off offset:8
	flat_load_dwordx2 v[4:5], v[8:9]
	v_lshl_add_u64 v[8:9], v[6:7], 3, s[0:1]
	v_add_u32_e32 v6, s5, v6
	v_accvgpr_write_b32 a4, v8
	v_ashrrev_i32_e32 v7, 31, v6
	v_accvgpr_write_b32 a5, v9
	s_waitcnt vmcnt(0) lgkmcnt(0)
	scratch_store_dwordx2 off, v[4:5], off offset:16
	flat_load_dwordx2 v[4:5], v[8:9]
	v_lshl_add_u64 v[8:9], v[6:7], 3, s[0:1]
	v_add_u32_e32 v6, s5, v6
	v_accvgpr_write_b32 a6, v8
	v_ashrrev_i32_e32 v7, 31, v6
	v_accvgpr_write_b32 a7, v9
	s_waitcnt vmcnt(0) lgkmcnt(0)
	scratch_store_dwordx2 off, v[4:5], off offset:24
	flat_load_dwordx2 v[4:5], v[8:9]
	v_lshl_add_u64 v[8:9], v[6:7], 3, s[0:1]
	v_add_u32_e32 v6, s5, v6
	v_accvgpr_write_b32 a8, v8
	v_ashrrev_i32_e32 v7, 31, v6
	v_accvgpr_write_b32 a9, v9
	s_waitcnt vmcnt(0) lgkmcnt(0)
	scratch_store_dwordx2 off, v[4:5], off offset:32
	flat_load_dwordx2 v[4:5], v[8:9]
	v_lshl_add_u64 v[8:9], v[6:7], 3, s[0:1]
	v_add_u32_e32 v6, s5, v6
	v_accvgpr_write_b32 a11, v9
	v_ashrrev_i32_e32 v7, 31, v6
	v_accvgpr_write_b32 a10, v8
	s_waitcnt vmcnt(0) lgkmcnt(0)
	scratch_store_dwordx2 off, v[4:5], off offset:40
	flat_load_dwordx2 v[4:5], v[8:9]
	v_lshl_add_u64 v[8:9], v[6:7], 3, s[0:1]
	v_add_u32_e32 v6, s5, v6
	v_accvgpr_write_b32 a13, v9
	v_ashrrev_i32_e32 v7, 31, v6
	v_accvgpr_write_b32 a12, v8
	s_waitcnt vmcnt(0) lgkmcnt(0)
	scratch_store_dwordx2 off, v[4:5], off offset:48
	flat_load_dwordx2 v[4:5], v[8:9]
	v_lshl_add_u64 v[8:9], v[6:7], 3, s[0:1]
	v_add_u32_e32 v6, s5, v6
	v_accvgpr_write_b32 a15, v9
	v_ashrrev_i32_e32 v7, 31, v6
	v_accvgpr_write_b32 a14, v8
	s_waitcnt vmcnt(0) lgkmcnt(0)
	scratch_store_dwordx2 off, v[4:5], off offset:56
	flat_load_dwordx2 v[4:5], v[8:9]
	v_lshl_add_u64 v[8:9], v[6:7], 3, s[0:1]
	v_add_u32_e32 v6, s5, v6
	v_accvgpr_write_b32 a17, v9
	v_ashrrev_i32_e32 v7, 31, v6
	v_accvgpr_write_b32 a16, v8
	s_waitcnt vmcnt(0) lgkmcnt(0)
	scratch_store_dwordx2 off, v[4:5], off offset:64
	flat_load_dwordx2 v[4:5], v[8:9]
	v_lshl_add_u64 v[8:9], v[6:7], 3, s[0:1]
	v_add_u32_e32 v6, s5, v6
	v_accvgpr_write_b32 a19, v9
	v_ashrrev_i32_e32 v7, 31, v6
	v_accvgpr_write_b32 a18, v8
	s_waitcnt vmcnt(0) lgkmcnt(0)
	scratch_store_dwordx2 off, v[4:5], off offset:72
	flat_load_dwordx2 v[4:5], v[8:9]
	v_lshl_add_u64 v[8:9], v[6:7], 3, s[0:1]
	v_add_u32_e32 v6, s5, v6
	v_accvgpr_write_b32 a21, v9
	v_ashrrev_i32_e32 v7, 31, v6
	v_accvgpr_write_b32 a20, v8
	s_waitcnt vmcnt(0) lgkmcnt(0)
	scratch_store_dwordx2 off, v[4:5], off offset:80
	flat_load_dwordx2 v[4:5], v[8:9]
	v_lshl_add_u64 v[8:9], v[6:7], 3, s[0:1]
	v_add_u32_e32 v6, s5, v6
	v_accvgpr_write_b32 a23, v9
	v_ashrrev_i32_e32 v7, 31, v6
	v_accvgpr_write_b32 a22, v8
	s_waitcnt vmcnt(0) lgkmcnt(0)
	scratch_store_dwordx2 off, v[4:5], off offset:88
	flat_load_dwordx2 v[4:5], v[8:9]
	v_lshl_add_u64 v[8:9], v[6:7], 3, s[0:1]
	v_add_u32_e32 v6, s5, v6
	v_accvgpr_write_b32 a25, v9
	v_ashrrev_i32_e32 v7, 31, v6
	v_accvgpr_write_b32 a24, v8
	s_waitcnt vmcnt(0) lgkmcnt(0)
	scratch_store_dwordx2 off, v[4:5], off offset:96
	flat_load_dwordx2 v[4:5], v[8:9]
	v_lshl_add_u64 v[8:9], v[6:7], 3, s[0:1]
	v_add_u32_e32 v6, s5, v6
	v_accvgpr_write_b32 a27, v9
	v_ashrrev_i32_e32 v7, 31, v6
	v_accvgpr_write_b32 a26, v8
	s_waitcnt vmcnt(0) lgkmcnt(0)
	scratch_store_dwordx2 off, v[4:5], off offset:104
	flat_load_dwordx2 v[4:5], v[8:9]
	v_lshl_add_u64 v[8:9], v[6:7], 3, s[0:1]
	v_add_u32_e32 v6, s5, v6
	v_accvgpr_write_b32 a29, v9
	v_ashrrev_i32_e32 v7, 31, v6
	v_accvgpr_write_b32 a28, v8
	s_waitcnt vmcnt(0) lgkmcnt(0)
	scratch_store_dwordx2 off, v[4:5], off offset:112
	flat_load_dwordx2 v[4:5], v[8:9]
	v_lshl_add_u64 v[8:9], v[6:7], 3, s[0:1]
	v_add_u32_e32 v6, s5, v6
	v_accvgpr_write_b32 a31, v9
	v_ashrrev_i32_e32 v7, 31, v6
	v_accvgpr_write_b32 a30, v8
	s_waitcnt vmcnt(0) lgkmcnt(0)
	scratch_store_dwordx2 off, v[4:5], off offset:120
	flat_load_dwordx2 v[4:5], v[8:9]
	v_lshl_add_u64 v[8:9], v[6:7], 3, s[0:1]
	v_add_u32_e32 v6, s5, v6
	v_accvgpr_write_b32 a33, v9
	v_ashrrev_i32_e32 v7, 31, v6
	v_accvgpr_write_b32 a32, v8
	s_waitcnt vmcnt(0) lgkmcnt(0)
	scratch_store_dwordx2 off, v[4:5], off offset:128
	flat_load_dwordx2 v[4:5], v[8:9]
	v_lshl_add_u64 v[8:9], v[6:7], 3, s[0:1]
	v_add_u32_e32 v6, s5, v6
	v_accvgpr_write_b32 a35, v9
	v_ashrrev_i32_e32 v7, 31, v6
	v_accvgpr_write_b32 a34, v8
	s_waitcnt vmcnt(0) lgkmcnt(0)
	scratch_store_dwordx2 off, v[4:5], off offset:136
	flat_load_dwordx2 v[4:5], v[8:9]
	v_lshl_add_u64 v[8:9], v[6:7], 3, s[0:1]
	v_add_u32_e32 v6, s5, v6
	v_accvgpr_write_b32 a37, v9
	v_ashrrev_i32_e32 v7, 31, v6
	v_accvgpr_write_b32 a36, v8
	s_waitcnt vmcnt(0) lgkmcnt(0)
	scratch_store_dwordx2 off, v[4:5], off offset:144
	flat_load_dwordx2 v[4:5], v[8:9]
	v_lshl_add_u64 v[8:9], v[6:7], 3, s[0:1]
	v_add_u32_e32 v6, s5, v6
	v_accvgpr_write_b32 a39, v9
	v_ashrrev_i32_e32 v7, 31, v6
	v_accvgpr_write_b32 a38, v8
	s_waitcnt vmcnt(0) lgkmcnt(0)
	scratch_store_dwordx2 off, v[4:5], off offset:152
	flat_load_dwordx2 v[4:5], v[8:9]
	v_lshl_add_u64 v[8:9], v[6:7], 3, s[0:1]
	v_add_u32_e32 v6, s5, v6
	v_accvgpr_write_b32 a41, v9
	v_ashrrev_i32_e32 v7, 31, v6
	v_accvgpr_write_b32 a40, v8
	s_waitcnt vmcnt(0) lgkmcnt(0)
	scratch_store_dwordx2 off, v[4:5], off offset:160
	flat_load_dwordx2 v[4:5], v[8:9]
	v_lshl_add_u64 v[8:9], v[6:7], 3, s[0:1]
	v_add_u32_e32 v6, s5, v6
	v_accvgpr_write_b32 a43, v9
	v_ashrrev_i32_e32 v7, 31, v6
	v_accvgpr_write_b32 a42, v8
	s_waitcnt vmcnt(0) lgkmcnt(0)
	scratch_store_dwordx2 off, v[4:5], off offset:168
	flat_load_dwordx2 v[4:5], v[8:9]
	v_lshl_add_u64 v[8:9], v[6:7], 3, s[0:1]
	v_add_u32_e32 v6, s5, v6
	v_accvgpr_write_b32 a45, v9
	v_ashrrev_i32_e32 v7, 31, v6
	v_accvgpr_write_b32 a44, v8
	s_waitcnt vmcnt(0) lgkmcnt(0)
	scratch_store_dwordx2 off, v[4:5], off offset:176
	flat_load_dwordx2 v[4:5], v[8:9]
	v_lshl_add_u64 v[8:9], v[6:7], 3, s[0:1]
	v_add_u32_e32 v6, s5, v6
	v_accvgpr_write_b32 a47, v9
	v_ashrrev_i32_e32 v7, 31, v6
	v_accvgpr_write_b32 a46, v8
	s_waitcnt vmcnt(0) lgkmcnt(0)
	scratch_store_dwordx2 off, v[4:5], off offset:184
	flat_load_dwordx2 v[4:5], v[8:9]
	v_lshl_add_u64 v[8:9], v[6:7], 3, s[0:1]
	v_add_u32_e32 v6, s5, v6
	v_accvgpr_write_b32 a49, v9
	v_ashrrev_i32_e32 v7, 31, v6
	v_accvgpr_write_b32 a48, v8
	s_waitcnt vmcnt(0) lgkmcnt(0)
	scratch_store_dwordx2 off, v[4:5], off offset:192
	flat_load_dwordx2 v[4:5], v[8:9]
	v_lshl_add_u64 v[8:9], v[6:7], 3, s[0:1]
	v_add_u32_e32 v6, s5, v6
	v_accvgpr_write_b32 a51, v9
	v_ashrrev_i32_e32 v7, 31, v6
	v_accvgpr_write_b32 a50, v8
	s_waitcnt vmcnt(0) lgkmcnt(0)
	scratch_store_dwordx2 off, v[4:5], off offset:200
	flat_load_dwordx2 v[4:5], v[8:9]
	v_lshl_add_u64 v[8:9], v[6:7], 3, s[0:1]
	v_add_u32_e32 v6, s5, v6
	v_accvgpr_write_b32 a53, v9
	v_ashrrev_i32_e32 v7, 31, v6
	v_accvgpr_write_b32 a52, v8
	s_waitcnt vmcnt(0) lgkmcnt(0)
	scratch_store_dwordx2 off, v[4:5], off offset:208
	flat_load_dwordx2 v[4:5], v[8:9]
	v_lshl_add_u64 v[8:9], v[6:7], 3, s[0:1]
	v_add_u32_e32 v6, s5, v6
	v_accvgpr_write_b32 a55, v9
	v_ashrrev_i32_e32 v7, 31, v6
	v_accvgpr_write_b32 a54, v8
	s_waitcnt vmcnt(0) lgkmcnt(0)
	scratch_store_dwordx2 off, v[4:5], off offset:216
	flat_load_dwordx2 v[4:5], v[8:9]
	v_lshl_add_u64 v[8:9], v[6:7], 3, s[0:1]
	v_add_u32_e32 v6, s5, v6
	v_accvgpr_write_b32 a57, v9
	v_ashrrev_i32_e32 v7, 31, v6
	v_accvgpr_write_b32 a56, v8
	s_waitcnt vmcnt(0) lgkmcnt(0)
	scratch_store_dwordx2 off, v[4:5], off offset:224
	flat_load_dwordx2 v[4:5], v[8:9]
	v_lshl_add_u64 v[8:9], v[6:7], 3, s[0:1]
	v_add_u32_e32 v6, s5, v6
	v_accvgpr_write_b32 a59, v9
	v_ashrrev_i32_e32 v7, 31, v6
	v_accvgpr_write_b32 a58, v8
	s_waitcnt vmcnt(0) lgkmcnt(0)
	scratch_store_dwordx2 off, v[4:5], off offset:232
	flat_load_dwordx2 v[4:5], v[8:9]
	v_lshl_add_u64 v[8:9], v[6:7], 3, s[0:1]
	v_add_u32_e32 v6, s5, v6
	v_ashrrev_i32_e32 v7, 31, v6
	v_lshl_add_u64 v[214:215], v[6:7], 3, s[0:1]
	v_add_u32_e32 v6, s5, v6
	v_ashrrev_i32_e32 v7, 31, v6
	;; [unrolled: 3-line block ×23, first 2 shown]
	v_lshl_add_u64 v[154:155], v[6:7], 3, s[0:1]
	v_accvgpr_write_b32 a61, v9
	v_accvgpr_write_b32 a60, v8
	s_mov_b64 s[4:5], -1
	s_waitcnt vmcnt(0) lgkmcnt(0)
	scratch_store_dwordx2 off, v[4:5], off offset:240
	flat_load_dwordx2 v[4:5], v[8:9]
	s_waitcnt vmcnt(0) lgkmcnt(0)
	scratch_store_dwordx2 off, v[4:5], off offset:248
	flat_load_dwordx2 v[4:5], v[214:215]
	;; [unrolled: 3-line block ×24, first 2 shown]
	s_waitcnt vmcnt(0) lgkmcnt(0)
	scratch_store_dwordx2 off, v[4:5], off offset:432
	s_cbranch_scc1 .LBB118_232
; %bb.4:
	v_cmp_eq_u32_e64 s[0:1], 0, v0
	s_and_saveexec_b64 s[4:5], s[0:1]
; %bb.5:
	v_mov_b32_e32 v1, 0
	ds_write_b32 v1, v1 offset:440
; %bb.6:
	s_or_b64 exec, exec, s[4:5]
	s_waitcnt lgkmcnt(0)
	; wave barrier
	scratch_load_dwordx2 v[4:5], v2, off
	s_waitcnt vmcnt(0)
	v_cmp_eq_f32_e32 vcc, 0, v4
	v_cmp_eq_f32_e64 s[4:5], 0, v5
	s_and_b64 s[4:5], vcc, s[4:5]
	s_and_saveexec_b64 s[12:13], s[4:5]
	s_cbranch_execz .LBB118_10
; %bb.7:
	v_mov_b32_e32 v1, 0
	ds_read_b32 v4, v1 offset:440
	v_add_u32_e32 v3, 1, v0
	s_waitcnt lgkmcnt(0)
	v_readfirstlane_b32 s4, v4
	s_cmp_eq_u32 s4, 0
	s_cselect_b64 s[14:15], -1, 0
	v_cmp_gt_i32_e32 vcc, s4, v3
	s_or_b64 s[14:15], s[14:15], vcc
	s_and_b64 exec, exec, s[14:15]
	s_cbranch_execz .LBB118_10
; %bb.8:
	s_mov_b64 s[14:15], 0
	v_mov_b32_e32 v4, s4
.LBB118_9:                              ; =>This Inner Loop Header: Depth=1
	ds_cmpst_rtn_b32 v4, v1, v4, v3 offset:440
	s_waitcnt lgkmcnt(0)
	v_cmp_ne_u32_e32 vcc, 0, v4
	v_cmp_le_i32_e64 s[4:5], v4, v3
	s_and_b64 s[4:5], vcc, s[4:5]
	s_and_b64 s[4:5], exec, s[4:5]
	s_or_b64 s[14:15], s[4:5], s[14:15]
	s_andn2_b64 exec, exec, s[14:15]
	s_cbranch_execnz .LBB118_9
.LBB118_10:
	s_or_b64 exec, exec, s[12:13]
	v_mov_b32_e32 v3, 0
	; wave barrier
	ds_read_b32 v1, v3 offset:440
	s_and_saveexec_b64 s[4:5], s[0:1]
	s_cbranch_execz .LBB118_12
; %bb.11:
	s_lshl_b64 s[12:13], s[2:3], 2
	s_add_u32 s12, s6, s12
	s_addc_u32 s13, s7, s13
	s_waitcnt lgkmcnt(0)
	global_store_dword v3, v1, s[12:13]
.LBB118_12:
	s_or_b64 exec, exec, s[4:5]
	s_waitcnt lgkmcnt(0)
	v_cmp_ne_u32_e32 vcc, 0, v1
	s_mov_b64 s[4:5], 0
	s_cbranch_vccnz .LBB118_232
; %bb.13:
	v_mov_b32_e32 v3, v2
	scratch_load_dwordx2 v[4:5], v3, off
                                        ; implicit-def: $vgpr7
                                        ; implicit-def: $vgpr8
	s_waitcnt vmcnt(0)
	v_cmp_ngt_f32_e64 s[4:5], |v4|, |v5|
	s_and_saveexec_b64 s[12:13], s[4:5]
	s_xor_b64 s[4:5], exec, s[12:13]
	s_cbranch_execz .LBB118_15
; %bb.14:
	v_div_scale_f32 v1, s[12:13], v5, v5, v4
	v_rcp_f32_e32 v6, v1
	v_div_scale_f32 v7, vcc, v4, v5, v4
	v_fma_f32 v8, -v1, v6, 1.0
	v_fmac_f32_e32 v6, v8, v6
	v_mul_f32_e32 v8, v7, v6
	v_fma_f32 v9, -v1, v8, v7
	v_fmac_f32_e32 v8, v9, v6
	v_fma_f32 v1, -v1, v8, v7
	v_div_fmas_f32 v1, v1, v6, v8
	v_div_fixup_f32 v1, v1, v5, v4
	v_fmac_f32_e32 v5, v4, v1
	v_div_scale_f32 v4, s[12:13], v5, v5, -1.0
	v_rcp_f32_e32 v6, v4
	s_nop 0
	v_fma_f32 v7, -v4, v6, 1.0
	v_fmac_f32_e32 v6, v7, v6
	v_div_scale_f32 v7, vcc, -1.0, v5, -1.0
	v_mul_f32_e32 v8, v7, v6
	v_fma_f32 v9, -v4, v8, v7
	v_fmac_f32_e32 v8, v9, v6
	v_fma_f32 v4, -v4, v8, v7
	v_div_fmas_f32 v4, v4, v6, v8
	v_div_fixup_f32 v7, v4, v5, -1.0
	v_mul_f32_e32 v8, v1, v7
	v_xor_b32_e32 v6, 0x80000000, v8
                                        ; implicit-def: $vgpr4_vgpr5
.LBB118_15:
	s_andn2_saveexec_b64 s[4:5], s[4:5]
	s_cbranch_execz .LBB118_17
; %bb.16:
	v_div_scale_f32 v1, s[12:13], v4, v4, v5
	v_rcp_f32_e32 v6, v1
	v_div_scale_f32 v7, vcc, v5, v4, v5
	v_fma_f32 v8, -v1, v6, 1.0
	v_fmac_f32_e32 v6, v8, v6
	v_mul_f32_e32 v8, v7, v6
	v_fma_f32 v9, -v1, v8, v7
	v_fmac_f32_e32 v8, v9, v6
	v_fma_f32 v1, -v1, v8, v7
	v_div_fmas_f32 v1, v1, v6, v8
	v_div_fixup_f32 v1, v1, v4, v5
	v_fmac_f32_e32 v4, v5, v1
	v_div_scale_f32 v5, s[12:13], v4, v4, 1.0
	v_rcp_f32_e32 v6, v5
	s_nop 0
	v_fma_f32 v7, -v5, v6, 1.0
	v_fmac_f32_e32 v6, v7, v6
	v_div_scale_f32 v7, vcc, 1.0, v4, 1.0
	v_mul_f32_e32 v8, v7, v6
	v_fma_f32 v9, -v5, v8, v7
	v_fmac_f32_e32 v8, v9, v6
	v_fma_f32 v5, -v5, v8, v7
	v_div_fmas_f32 v5, v5, v6, v8
	v_div_fixup_f32 v6, v5, v4, 1.0
	v_xor_b32_e32 v8, 0x80000000, v6
	v_mul_f32_e64 v7, v1, -v6
.LBB118_17:
	s_or_b64 exec, exec, s[4:5]
	scratch_store_dwordx2 v3, v[6:7], off
	scratch_load_dwordx2 v[4:5], off, off offset:8
	v_xor_b32_e32 v9, 0x80000000, v7
	v_add_u32_e32 v1, 0x1c0, v2
	s_waitcnt vmcnt(0)
	ds_write2_b64 v2, v[8:9], v[4:5] offset1:56
	s_waitcnt lgkmcnt(0)
	; wave barrier
	s_and_saveexec_b64 s[4:5], s[0:1]
	s_cbranch_execz .LBB118_19
; %bb.18:
	scratch_load_dwordx2 v[4:5], v3, off
	ds_read_b64 v[6:7], v1
	v_mov_b32_e32 v8, 0
	ds_read_b64 v[8:9], v8 offset:8
	s_waitcnt vmcnt(0) lgkmcnt(1)
	v_pk_mul_f32 v[10:11], v[6:7], v[4:5] op_sel:[1,1] op_sel_hi:[0,1]
	v_pk_fma_f32 v[12:13], v[6:7], v[4:5], v[10:11] neg_lo:[0,0,1] neg_hi:[0,0,1]
	v_pk_fma_f32 v[4:5], v[6:7], v[4:5], v[10:11] op_sel_hi:[1,0,1]
	s_nop 0
	v_mov_b32_e32 v13, v5
	v_pk_add_f32 v[4:5], v[12:13], 0 op_sel_hi:[1,0]
	s_waitcnt lgkmcnt(0)
	v_pk_mul_f32 v[6:7], v[4:5], v[8:9] op_sel:[1,1] op_sel_hi:[0,1]
	v_pk_fma_f32 v[10:11], v[4:5], v[8:9], v[6:7] neg_lo:[0,0,1] neg_hi:[0,0,1]
	v_pk_fma_f32 v[4:5], v[4:5], v[8:9], v[6:7] op_sel_hi:[1,0,1]
	s_nop 0
	v_mov_b32_e32 v11, v5
	scratch_store_dwordx2 off, v[10:11], off offset:8
.LBB118_19:
	s_or_b64 exec, exec, s[4:5]
	; wave barrier
	scratch_load_dwordx2 v[4:5], off, off offset:16
	v_cmp_gt_u32_e32 vcc, 2, v0
	s_waitcnt vmcnt(0)
	ds_write_b64 v1, v[4:5]
	s_waitcnt lgkmcnt(0)
	; wave barrier
	s_and_saveexec_b64 s[4:5], vcc
	s_cbranch_execz .LBB118_23
; %bb.20:
	scratch_load_dwordx2 v[4:5], v3, off
	ds_read_b64 v[6:7], v1
	s_waitcnt vmcnt(0) lgkmcnt(0)
	v_pk_mul_f32 v[8:9], v[6:7], v[4:5] op_sel:[1,1] op_sel_hi:[0,1]
	v_pk_fma_f32 v[10:11], v[6:7], v[4:5], v[8:9] neg_lo:[0,0,1] neg_hi:[0,0,1]
	v_pk_fma_f32 v[4:5], v[6:7], v[4:5], v[8:9] op_sel_hi:[1,0,1]
	s_nop 0
	v_mov_b32_e32 v11, v5
	v_pk_add_f32 v[4:5], v[10:11], 0 op_sel_hi:[1,0]
	s_and_saveexec_b64 s[12:13], s[0:1]
	s_cbranch_execz .LBB118_22
; %bb.21:
	scratch_load_dwordx2 v[6:7], off, off offset:8
	v_mov_b32_e32 v3, 0
	ds_read_b64 v[8:9], v3 offset:456
	s_waitcnt vmcnt(0) lgkmcnt(0)
	v_pk_mul_f32 v[10:11], v[8:9], v[6:7] op_sel:[1,1] op_sel_hi:[0,1]
	v_pk_fma_f32 v[12:13], v[8:9], v[6:7], v[10:11] neg_lo:[0,0,1] neg_hi:[0,0,1]
	v_pk_fma_f32 v[6:7], v[8:9], v[6:7], v[10:11] op_sel_hi:[1,0,1]
	s_nop 0
	v_mov_b32_e32 v13, v7
	v_pk_add_f32 v[4:5], v[4:5], v[12:13]
.LBB118_22:
	s_or_b64 exec, exec, s[12:13]
	v_mov_b32_e32 v3, 0
	ds_read_b64 v[6:7], v3 offset:16
	s_waitcnt lgkmcnt(0)
	v_pk_mul_f32 v[8:9], v[4:5], v[6:7] op_sel:[1,1] op_sel_hi:[0,1]
	v_pk_fma_f32 v[10:11], v[4:5], v[6:7], v[8:9] neg_lo:[0,0,1] neg_hi:[0,0,1]
	v_pk_fma_f32 v[4:5], v[4:5], v[6:7], v[8:9] op_sel_hi:[1,0,1]
	s_nop 0
	v_mov_b32_e32 v11, v5
	scratch_store_dwordx2 off, v[10:11], off offset:16
.LBB118_23:
	s_or_b64 exec, exec, s[4:5]
	; wave barrier
	scratch_load_dwordx2 v[4:5], off, off offset:24
	v_cmp_gt_u32_e32 vcc, 3, v0
	v_add_u32_e32 v6, -1, v0
	s_waitcnt vmcnt(0)
	ds_write_b64 v1, v[4:5]
	s_waitcnt lgkmcnt(0)
	; wave barrier
	s_and_saveexec_b64 s[0:1], vcc
	s_cbranch_execz .LBB118_27
; %bb.24:
	v_mov_b32_e32 v4, 0
	v_add_u32_e32 v3, -1, v0
	v_add_u32_e32 v7, 0x1c0, v2
	v_mov_b32_e32 v8, v2
	s_mov_b64 s[4:5], 0
	v_mov_b32_e32 v5, v4
.LBB118_25:                             ; =>This Inner Loop Header: Depth=1
	scratch_load_dwordx2 v[10:11], v8, off
	ds_read_b64 v[12:13], v7
	v_add_u32_e32 v3, 1, v3
	v_cmp_lt_u32_e32 vcc, 1, v3
	v_add_u32_e32 v7, 8, v7
	v_add_u32_e32 v8, 8, v8
	s_or_b64 s[4:5], vcc, s[4:5]
	s_waitcnt vmcnt(0) lgkmcnt(0)
	v_pk_mul_f32 v[14:15], v[12:13], v[10:11] op_sel:[1,1] op_sel_hi:[0,1]
	v_pk_fma_f32 v[16:17], v[12:13], v[10:11], v[14:15] neg_lo:[0,0,1] neg_hi:[0,0,1]
	v_pk_fma_f32 v[10:11], v[12:13], v[10:11], v[14:15] op_sel_hi:[1,0,1]
	s_nop 0
	v_mov_b32_e32 v17, v11
	v_pk_add_f32 v[4:5], v[4:5], v[16:17]
	s_andn2_b64 exec, exec, s[4:5]
	s_cbranch_execnz .LBB118_25
; %bb.26:
	s_or_b64 exec, exec, s[4:5]
	v_mov_b32_e32 v3, 0
	ds_read_b64 v[8:9], v3 offset:24
	s_waitcnt lgkmcnt(0)
	v_pk_mul_f32 v[10:11], v[4:5], v[8:9] op_sel:[1,1] op_sel_hi:[0,1]
	v_pk_fma_f32 v[12:13], v[4:5], v[8:9], v[10:11] neg_lo:[0,0,1] neg_hi:[0,0,1]
	v_pk_fma_f32 v[4:5], v[4:5], v[8:9], v[10:11] op_sel_hi:[1,0,1]
	s_nop 0
	v_mov_b32_e32 v13, v5
	scratch_store_dwordx2 off, v[12:13], off offset:24
.LBB118_27:
	s_or_b64 exec, exec, s[0:1]
	; wave barrier
	scratch_load_dwordx2 v[4:5], off, off offset:32
	v_cmp_gt_u32_e32 vcc, 4, v0
	s_waitcnt vmcnt(0)
	ds_write_b64 v1, v[4:5]
	s_waitcnt lgkmcnt(0)
	; wave barrier
	s_and_saveexec_b64 s[0:1], vcc
	s_cbranch_execz .LBB118_31
; %bb.28:
	v_mov_b32_e32 v4, 0
	v_add_u32_e32 v3, -1, v0
	v_add_u32_e32 v7, 0x1c0, v2
	v_mov_b32_e32 v8, v2
	s_mov_b64 s[4:5], 0
	v_mov_b32_e32 v5, v4
.LBB118_29:                             ; =>This Inner Loop Header: Depth=1
	scratch_load_dwordx2 v[10:11], v8, off
	ds_read_b64 v[12:13], v7
	v_add_u32_e32 v3, 1, v3
	v_cmp_lt_u32_e32 vcc, 2, v3
	v_add_u32_e32 v7, 8, v7
	v_add_u32_e32 v8, 8, v8
	s_or_b64 s[4:5], vcc, s[4:5]
	s_waitcnt vmcnt(0) lgkmcnt(0)
	v_pk_mul_f32 v[14:15], v[12:13], v[10:11] op_sel:[1,1] op_sel_hi:[0,1]
	v_pk_fma_f32 v[16:17], v[12:13], v[10:11], v[14:15] neg_lo:[0,0,1] neg_hi:[0,0,1]
	v_pk_fma_f32 v[10:11], v[12:13], v[10:11], v[14:15] op_sel_hi:[1,0,1]
	s_nop 0
	v_mov_b32_e32 v17, v11
	v_pk_add_f32 v[4:5], v[4:5], v[16:17]
	s_andn2_b64 exec, exec, s[4:5]
	s_cbranch_execnz .LBB118_29
; %bb.30:
	s_or_b64 exec, exec, s[4:5]
	v_mov_b32_e32 v3, 0
	ds_read_b64 v[8:9], v3 offset:32
	s_waitcnt lgkmcnt(0)
	v_pk_mul_f32 v[10:11], v[4:5], v[8:9] op_sel:[1,1] op_sel_hi:[0,1]
	v_pk_fma_f32 v[12:13], v[4:5], v[8:9], v[10:11] neg_lo:[0,0,1] neg_hi:[0,0,1]
	v_pk_fma_f32 v[4:5], v[4:5], v[8:9], v[10:11] op_sel_hi:[1,0,1]
	s_nop 0
	v_mov_b32_e32 v13, v5
	scratch_store_dwordx2 off, v[12:13], off offset:32
.LBB118_31:
	s_or_b64 exec, exec, s[0:1]
	; wave barrier
	scratch_load_dwordx2 v[4:5], off, off offset:40
	v_cmp_gt_u32_e32 vcc, 5, v0
	;; [unrolled: 46-line block ×19, first 2 shown]
	s_waitcnt vmcnt(0)
	ds_write_b64 v1, v[4:5]
	s_waitcnt lgkmcnt(0)
	; wave barrier
	s_and_saveexec_b64 s[0:1], vcc
	s_cbranch_execz .LBB118_103
; %bb.100:
	v_mov_b32_e32 v4, 0
	v_add_u32_e32 v3, -1, v0
	v_add_u32_e32 v7, 0x1c0, v2
	v_mov_b32_e32 v8, v2
	s_mov_b64 s[4:5], 0
	v_mov_b32_e32 v5, v4
.LBB118_101:                            ; =>This Inner Loop Header: Depth=1
	scratch_load_dwordx2 v[10:11], v8, off
	ds_read_b64 v[12:13], v7
	v_add_u32_e32 v3, 1, v3
	v_cmp_lt_u32_e32 vcc, 20, v3
	v_add_u32_e32 v7, 8, v7
	v_add_u32_e32 v8, 8, v8
	s_or_b64 s[4:5], vcc, s[4:5]
	s_waitcnt vmcnt(0) lgkmcnt(0)
	v_pk_mul_f32 v[14:15], v[12:13], v[10:11] op_sel:[1,1] op_sel_hi:[0,1]
	v_pk_fma_f32 v[16:17], v[12:13], v[10:11], v[14:15] neg_lo:[0,0,1] neg_hi:[0,0,1]
	v_pk_fma_f32 v[10:11], v[12:13], v[10:11], v[14:15] op_sel_hi:[1,0,1]
	s_nop 0
	v_mov_b32_e32 v17, v11
	v_pk_add_f32 v[4:5], v[4:5], v[16:17]
	s_andn2_b64 exec, exec, s[4:5]
	s_cbranch_execnz .LBB118_101
; %bb.102:
	s_or_b64 exec, exec, s[4:5]
	v_mov_b32_e32 v3, 0
	ds_read_b64 v[8:9], v3 offset:176
	s_waitcnt lgkmcnt(0)
	v_pk_mul_f32 v[10:11], v[4:5], v[8:9] op_sel:[1,1] op_sel_hi:[0,1]
	v_pk_fma_f32 v[12:13], v[4:5], v[8:9], v[10:11] neg_lo:[0,0,1] neg_hi:[0,0,1]
	v_pk_fma_f32 v[4:5], v[4:5], v[8:9], v[10:11] op_sel_hi:[1,0,1]
	s_nop 0
	v_mov_b32_e32 v13, v5
	scratch_store_dwordx2 off, v[12:13], off offset:176
.LBB118_103:
	s_or_b64 exec, exec, s[0:1]
	; wave barrier
	scratch_load_dwordx2 v[4:5], off, off offset:184
	v_cmp_gt_u32_e32 vcc, 23, v0
	s_waitcnt vmcnt(0)
	ds_write_b64 v1, v[4:5]
	s_waitcnt lgkmcnt(0)
	; wave barrier
	s_and_saveexec_b64 s[0:1], vcc
	s_cbranch_execz .LBB118_107
; %bb.104:
	v_mov_b32_e32 v4, 0
	v_add_u32_e32 v3, -1, v0
	v_add_u32_e32 v7, 0x1c0, v2
	v_mov_b32_e32 v8, v2
	s_mov_b64 s[4:5], 0
	v_mov_b32_e32 v5, v4
.LBB118_105:                            ; =>This Inner Loop Header: Depth=1
	scratch_load_dwordx2 v[10:11], v8, off
	ds_read_b64 v[12:13], v7
	v_add_u32_e32 v3, 1, v3
	v_cmp_lt_u32_e32 vcc, 21, v3
	v_add_u32_e32 v7, 8, v7
	v_add_u32_e32 v8, 8, v8
	s_or_b64 s[4:5], vcc, s[4:5]
	s_waitcnt vmcnt(0) lgkmcnt(0)
	v_pk_mul_f32 v[14:15], v[12:13], v[10:11] op_sel:[1,1] op_sel_hi:[0,1]
	v_pk_fma_f32 v[16:17], v[12:13], v[10:11], v[14:15] neg_lo:[0,0,1] neg_hi:[0,0,1]
	v_pk_fma_f32 v[10:11], v[12:13], v[10:11], v[14:15] op_sel_hi:[1,0,1]
	s_nop 0
	v_mov_b32_e32 v17, v11
	v_pk_add_f32 v[4:5], v[4:5], v[16:17]
	s_andn2_b64 exec, exec, s[4:5]
	s_cbranch_execnz .LBB118_105
; %bb.106:
	s_or_b64 exec, exec, s[4:5]
	v_mov_b32_e32 v3, 0
	ds_read_b64 v[8:9], v3 offset:184
	s_waitcnt lgkmcnt(0)
	v_pk_mul_f32 v[10:11], v[4:5], v[8:9] op_sel:[1,1] op_sel_hi:[0,1]
	v_pk_fma_f32 v[12:13], v[4:5], v[8:9], v[10:11] neg_lo:[0,0,1] neg_hi:[0,0,1]
	v_pk_fma_f32 v[4:5], v[4:5], v[8:9], v[10:11] op_sel_hi:[1,0,1]
	s_nop 0
	v_mov_b32_e32 v13, v5
	scratch_store_dwordx2 off, v[12:13], off offset:184
.LBB118_107:
	s_or_b64 exec, exec, s[0:1]
	; wave barrier
	scratch_load_dwordx2 v[4:5], off, off offset:192
	v_cmp_gt_u32_e32 vcc, 24, v0
	;; [unrolled: 46-line block ×31, first 2 shown]
	s_waitcnt vmcnt(0)
	ds_write_b64 v1, v[4:5]
	s_waitcnt lgkmcnt(0)
	; wave barrier
	s_and_saveexec_b64 s[0:1], vcc
	s_cbranch_execz .LBB118_227
; %bb.224:
	v_mov_b32_e32 v4, 0
	v_add_u32_e32 v3, -1, v0
	v_add_u32_e32 v7, 0x1c0, v2
	v_mov_b32_e32 v8, v2
	s_mov_b64 s[4:5], 0
	v_mov_b32_e32 v5, v4
.LBB118_225:                            ; =>This Inner Loop Header: Depth=1
	scratch_load_dwordx2 v[10:11], v8, off
	ds_read_b64 v[12:13], v7
	v_add_u32_e32 v3, 1, v3
	v_cmp_lt_u32_e32 vcc, 51, v3
	v_add_u32_e32 v7, 8, v7
	v_add_u32_e32 v8, 8, v8
	s_or_b64 s[4:5], vcc, s[4:5]
	s_waitcnt vmcnt(0) lgkmcnt(0)
	v_pk_mul_f32 v[14:15], v[12:13], v[10:11] op_sel:[1,1] op_sel_hi:[0,1]
	v_pk_fma_f32 v[16:17], v[12:13], v[10:11], v[14:15] neg_lo:[0,0,1] neg_hi:[0,0,1]
	v_pk_fma_f32 v[10:11], v[12:13], v[10:11], v[14:15] op_sel_hi:[1,0,1]
	s_nop 0
	v_mov_b32_e32 v17, v11
	v_pk_add_f32 v[4:5], v[4:5], v[16:17]
	s_andn2_b64 exec, exec, s[4:5]
	s_cbranch_execnz .LBB118_225
; %bb.226:
	s_or_b64 exec, exec, s[4:5]
	v_mov_b32_e32 v3, 0
	ds_read_b64 v[8:9], v3 offset:424
	s_waitcnt lgkmcnt(0)
	v_pk_mul_f32 v[10:11], v[4:5], v[8:9] op_sel:[1,1] op_sel_hi:[0,1]
	v_pk_fma_f32 v[12:13], v[4:5], v[8:9], v[10:11] neg_lo:[0,0,1] neg_hi:[0,0,1]
	v_pk_fma_f32 v[4:5], v[4:5], v[8:9], v[10:11] op_sel_hi:[1,0,1]
	s_nop 0
	v_mov_b32_e32 v13, v5
	scratch_store_dwordx2 off, v[12:13], off offset:424
.LBB118_227:
	s_or_b64 exec, exec, s[0:1]
	; wave barrier
	scratch_load_dwordx2 v[4:5], off, off offset:432
	v_cmp_ne_u32_e32 vcc, 54, v0
	s_waitcnt vmcnt(0)
	ds_write_b64 v1, v[4:5]
	s_waitcnt lgkmcnt(0)
	; wave barrier
	s_and_saveexec_b64 s[0:1], vcc
	s_cbranch_execz .LBB118_231
; %bb.228:
	v_add_u32_e32 v1, 0x1c0, v2
	v_mov_b32_e32 v4, v2
	v_mov_b32_e32 v2, 0
	s_mov_b64 s[4:5], 0
	v_mov_b32_e32 v3, v2
.LBB118_229:                            ; =>This Inner Loop Header: Depth=1
	scratch_load_dwordx2 v[8:9], v4, off
	ds_read_b64 v[10:11], v1
	v_add_u32_e32 v6, 1, v6
	v_cmp_lt_u32_e32 vcc, 52, v6
	v_add_u32_e32 v1, 8, v1
	v_add_u32_e32 v4, 8, v4
	s_or_b64 s[4:5], vcc, s[4:5]
	s_waitcnt vmcnt(0) lgkmcnt(0)
	v_pk_mul_f32 v[12:13], v[10:11], v[8:9] op_sel:[1,1] op_sel_hi:[0,1]
	v_pk_fma_f32 v[14:15], v[10:11], v[8:9], v[12:13] neg_lo:[0,0,1] neg_hi:[0,0,1]
	v_pk_fma_f32 v[8:9], v[10:11], v[8:9], v[12:13] op_sel_hi:[1,0,1]
	s_nop 0
	v_mov_b32_e32 v15, v9
	v_pk_add_f32 v[2:3], v[2:3], v[14:15]
	s_andn2_b64 exec, exec, s[4:5]
	s_cbranch_execnz .LBB118_229
; %bb.230:
	s_or_b64 exec, exec, s[4:5]
	v_mov_b32_e32 v1, 0
	ds_read_b64 v[4:5], v1 offset:432
	s_waitcnt lgkmcnt(0)
	v_pk_mul_f32 v[6:7], v[2:3], v[4:5] op_sel:[1,1] op_sel_hi:[0,1]
	v_pk_fma_f32 v[8:9], v[2:3], v[4:5], v[6:7] neg_lo:[0,0,1] neg_hi:[0,0,1]
	v_pk_fma_f32 v[2:3], v[2:3], v[4:5], v[6:7] op_sel_hi:[1,0,1]
	s_nop 0
	v_mov_b32_e32 v9, v3
	scratch_store_dwordx2 off, v[8:9], off offset:432
.LBB118_231:
	s_or_b64 exec, exec, s[0:1]
	s_mov_b64 s[4:5], -1
	; wave barrier
.LBB118_232:
	s_and_b64 vcc, exec, s[4:5]
	s_cbranch_vccz .LBB118_234
; %bb.233:
	s_lshl_b64 s[0:1], s[2:3], 2
	s_add_u32 s0, s6, s0
	s_addc_u32 s1, s7, s1
	v_mov_b32_e32 v1, 0
	global_load_dword v1, v1, s[0:1]
	s_waitcnt vmcnt(0)
	v_cmp_ne_u32_e32 vcc, 0, v1
	s_cbranch_vccz .LBB118_235
.LBB118_234:
	s_endpgm
.LBB118_235:
	v_mov_b32_e32 v1, 0x1c0
	v_lshl_add_u32 v1, v0, 3, v1
	v_cmp_eq_u32_e32 vcc, 54, v0
	s_and_saveexec_b64 s[0:1], vcc
	s_cbranch_execz .LBB118_237
; %bb.236:
	scratch_load_dwordx2 v[2:3], off, off offset:424
	v_mov_b32_e32 v4, 0
	v_mov_b32_e32 v5, v4
	scratch_store_dwordx2 off, v[4:5], off offset:424
	s_waitcnt vmcnt(1)
	ds_write_b64 v1, v[2:3]
.LBB118_237:
	s_or_b64 exec, exec, s[0:1]
	s_waitcnt lgkmcnt(0)
	; wave barrier
	scratch_load_dwordx2 v[4:5], off, off offset:432
	scratch_load_dwordx2 v[6:7], off, off offset:424
	v_mov_b32_e32 v2, 0
	ds_read_b64 v[8:9], v2 offset:880
	v_cmp_lt_u32_e32 vcc, 52, v0
	s_waitcnt vmcnt(1) lgkmcnt(0)
	v_pk_mul_f32 v[10:11], v[8:9], v[4:5] op_sel:[1,1] op_sel_hi:[0,1]
	v_pk_fma_f32 v[12:13], v[8:9], v[4:5], v[10:11] neg_lo:[0,0,1] neg_hi:[0,0,1]
	v_pk_fma_f32 v[4:5], v[8:9], v[4:5], v[10:11] op_sel_hi:[1,0,1]
	s_nop 0
	v_mov_b32_e32 v13, v5
	v_pk_add_f32 v[4:5], v[12:13], 0 op_sel_hi:[1,0]
	s_waitcnt vmcnt(0)
	v_pk_add_f32 v[4:5], v[6:7], v[4:5] neg_lo:[0,1] neg_hi:[0,1]
	scratch_store_dwordx2 off, v[4:5], off offset:424
	s_and_saveexec_b64 s[0:1], vcc
	s_cbranch_execz .LBB118_239
; %bb.238:
	scratch_load_dwordx2 v[4:5], off, off offset:416
	v_mov_b32_e32 v3, v2
	scratch_store_dwordx2 off, v[2:3], off offset:416
	s_waitcnt vmcnt(1)
	ds_write_b64 v1, v[4:5]
.LBB118_239:
	s_or_b64 exec, exec, s[0:1]
	s_waitcnt lgkmcnt(0)
	; wave barrier
	scratch_load_dwordx4 v[4:7], off, off offset:424
	scratch_load_dwordx2 v[12:13], off, off offset:416
	ds_read2_b64 v[8:11], v2 offset0:109 offset1:110
	v_cmp_lt_u32_e32 vcc, 51, v0
	s_waitcnt vmcnt(1) lgkmcnt(0)
	v_pk_mul_f32 v[2:3], v[8:9], v[4:5] op_sel:[1,1] op_sel_hi:[0,1]
	v_mov_b32_e32 v14, v7
	v_pk_fma_f32 v[16:17], v[8:9], v[4:5], v[2:3] neg_lo:[0,0,1] neg_hi:[0,0,1]
	v_pk_fma_f32 v[2:3], v[8:9], v[4:5], v[2:3] op_sel_hi:[1,0,1]
	v_pk_mul_f32 v[4:5], v[10:11], v[14:15] op_sel:[1,0] op_sel_hi:[0,0]
	v_mov_b32_e32 v17, v3
	v_pk_fma_f32 v[2:3], v[10:11], v[6:7], v[4:5] neg_lo:[0,0,1] neg_hi:[0,0,1]
	v_pk_fma_f32 v[4:5], v[10:11], v[6:7], v[4:5] op_sel_hi:[1,0,1]
	v_pk_add_f32 v[6:7], v[16:17], 0 op_sel_hi:[1,0]
	v_mov_b32_e32 v3, v5
	v_pk_add_f32 v[2:3], v[6:7], v[2:3]
	s_waitcnt vmcnt(0)
	v_pk_add_f32 v[2:3], v[12:13], v[2:3] neg_lo:[0,1] neg_hi:[0,1]
	scratch_store_dwordx2 off, v[2:3], off offset:416
	s_and_saveexec_b64 s[0:1], vcc
	s_cbranch_execz .LBB118_241
; %bb.240:
	scratch_load_dwordx2 v[2:3], off, off offset:408
	v_mov_b32_e32 v4, 0
	v_mov_b32_e32 v5, v4
	scratch_store_dwordx2 off, v[4:5], off offset:408
	s_waitcnt vmcnt(1)
	ds_write_b64 v1, v[2:3]
.LBB118_241:
	s_or_b64 exec, exec, s[0:1]
	s_waitcnt lgkmcnt(0)
	; wave barrier
	scratch_load_dwordx4 v[4:7], off, off offset:416
	scratch_load_dwordx2 v[12:13], off, off offset:432
	scratch_load_dwordx2 v[14:15], off, off offset:408
	v_mov_b32_e32 v2, 0
	ds_read_b128 v[8:11], v2 offset:864
	ds_read_b64 v[16:17], v2 offset:880
	v_cmp_lt_u32_e32 vcc, 50, v0
	s_waitcnt vmcnt(2) lgkmcnt(1)
	v_pk_mul_f32 v[18:19], v[8:9], v[4:5] op_sel:[1,1] op_sel_hi:[0,1]
	v_mov_b32_e32 v20, v7
	v_pk_fma_f32 v[24:25], v[8:9], v[4:5], v[18:19] neg_lo:[0,0,1] neg_hi:[0,0,1]
	v_pk_fma_f32 v[4:5], v[8:9], v[4:5], v[18:19] op_sel_hi:[1,0,1]
	v_pk_mul_f32 v[8:9], v[10:11], v[20:21] op_sel:[1,0] op_sel_hi:[0,0]
	s_waitcnt vmcnt(1) lgkmcnt(0)
	v_pk_mul_f32 v[22:23], v[16:17], v[12:13] op_sel:[1,1] op_sel_hi:[0,1]
	v_mov_b32_e32 v25, v5
	v_pk_fma_f32 v[4:5], v[10:11], v[6:7], v[8:9] neg_lo:[0,0,1] neg_hi:[0,0,1]
	v_pk_fma_f32 v[6:7], v[10:11], v[6:7], v[8:9] op_sel_hi:[1,0,1]
	v_pk_fma_f32 v[18:19], v[16:17], v[12:13], v[22:23] neg_lo:[0,0,1] neg_hi:[0,0,1]
	v_pk_fma_f32 v[12:13], v[16:17], v[12:13], v[22:23] op_sel_hi:[1,0,1]
	v_pk_add_f32 v[8:9], v[24:25], 0 op_sel_hi:[1,0]
	v_mov_b32_e32 v5, v7
	v_mov_b32_e32 v19, v13
	v_pk_add_f32 v[4:5], v[8:9], v[4:5]
	s_nop 0
	v_pk_add_f32 v[4:5], v[4:5], v[18:19]
	s_waitcnt vmcnt(0)
	v_pk_add_f32 v[4:5], v[14:15], v[4:5] neg_lo:[0,1] neg_hi:[0,1]
	scratch_store_dwordx2 off, v[4:5], off offset:408
	s_and_saveexec_b64 s[0:1], vcc
	s_cbranch_execz .LBB118_243
; %bb.242:
	scratch_load_dwordx2 v[4:5], off, off offset:400
	v_mov_b32_e32 v3, v2
	scratch_store_dwordx2 off, v[2:3], off offset:400
	s_waitcnt vmcnt(1)
	ds_write_b64 v1, v[4:5]
.LBB118_243:
	s_or_b64 exec, exec, s[0:1]
	s_waitcnt lgkmcnt(0)
	; wave barrier
	scratch_load_dwordx4 v[4:7], off, off offset:408
	scratch_load_dwordx4 v[8:11], off, off offset:424
	scratch_load_dwordx2 v[20:21], off, off offset:400
	ds_read2_b64 v[12:15], v2 offset0:107 offset1:108
	ds_read2_b64 v[16:19], v2 offset0:109 offset1:110
	v_cmp_lt_u32_e32 vcc, 49, v0
	s_waitcnt vmcnt(2) lgkmcnt(1)
	v_pk_mul_f32 v[2:3], v[12:13], v[4:5] op_sel:[1,1] op_sel_hi:[0,1]
	v_mov_b32_e32 v22, v7
	s_waitcnt vmcnt(1) lgkmcnt(0)
	v_pk_mul_f32 v[24:25], v[16:17], v[8:9] op_sel:[1,1] op_sel_hi:[0,1]
	v_mov_b32_e32 v26, v11
	v_pk_fma_f32 v[28:29], v[12:13], v[4:5], v[2:3] neg_lo:[0,0,1] neg_hi:[0,0,1]
	v_pk_fma_f32 v[2:3], v[12:13], v[4:5], v[2:3] op_sel_hi:[1,0,1]
	v_pk_mul_f32 v[4:5], v[14:15], v[22:23] op_sel:[1,0] op_sel_hi:[0,0]
	v_pk_fma_f32 v[12:13], v[16:17], v[8:9], v[24:25] neg_lo:[0,0,1] neg_hi:[0,0,1]
	v_pk_fma_f32 v[8:9], v[16:17], v[8:9], v[24:25] op_sel_hi:[1,0,1]
	v_pk_mul_f32 v[16:17], v[18:19], v[26:27] op_sel:[1,0] op_sel_hi:[0,0]
	v_mov_b32_e32 v29, v3
	v_pk_fma_f32 v[2:3], v[14:15], v[6:7], v[4:5] neg_lo:[0,0,1] neg_hi:[0,0,1]
	v_pk_fma_f32 v[4:5], v[14:15], v[6:7], v[4:5] op_sel_hi:[1,0,1]
	v_mov_b32_e32 v13, v9
	v_pk_fma_f32 v[6:7], v[18:19], v[10:11], v[16:17] neg_lo:[0,0,1] neg_hi:[0,0,1]
	v_pk_fma_f32 v[8:9], v[18:19], v[10:11], v[16:17] op_sel_hi:[1,0,1]
	v_pk_add_f32 v[10:11], v[28:29], 0 op_sel_hi:[1,0]
	v_mov_b32_e32 v3, v5
	v_pk_add_f32 v[2:3], v[10:11], v[2:3]
	v_mov_b32_e32 v7, v9
	v_pk_add_f32 v[2:3], v[2:3], v[12:13]
	s_nop 0
	v_pk_add_f32 v[2:3], v[2:3], v[6:7]
	s_waitcnt vmcnt(0)
	v_pk_add_f32 v[2:3], v[20:21], v[2:3] neg_lo:[0,1] neg_hi:[0,1]
	scratch_store_dwordx2 off, v[2:3], off offset:400
	s_and_saveexec_b64 s[0:1], vcc
	s_cbranch_execz .LBB118_245
; %bb.244:
	scratch_load_dwordx2 v[2:3], off, off offset:392
	v_mov_b32_e32 v4, 0
	v_mov_b32_e32 v5, v4
	scratch_store_dwordx2 off, v[4:5], off offset:392
	s_waitcnt vmcnt(1)
	ds_write_b64 v1, v[2:3]
.LBB118_245:
	s_or_b64 exec, exec, s[0:1]
	s_waitcnt lgkmcnt(0)
	; wave barrier
	scratch_load_dwordx4 v[4:7], off, off offset:400
	scratch_load_dwordx4 v[8:11], off, off offset:416
	scratch_load_dwordx2 v[20:21], off, off offset:432
	scratch_load_dwordx2 v[22:23], off, off offset:392
	v_mov_b32_e32 v2, 0
	ds_read_b128 v[12:15], v2 offset:848
	ds_read_b128 v[16:19], v2 offset:864
	ds_read_b64 v[24:25], v2 offset:880
	v_cmp_lt_u32_e32 vcc, 48, v0
	s_waitcnt vmcnt(3) lgkmcnt(2)
	v_pk_mul_f32 v[26:27], v[12:13], v[4:5] op_sel:[1,1] op_sel_hi:[0,1]
	v_mov_b32_e32 v28, v7
	v_pk_fma_f32 v[36:37], v[12:13], v[4:5], v[26:27] neg_lo:[0,0,1] neg_hi:[0,0,1]
	v_pk_fma_f32 v[4:5], v[12:13], v[4:5], v[26:27] op_sel_hi:[1,0,1]
	v_pk_mul_f32 v[12:13], v[14:15], v[28:29] op_sel:[1,0] op_sel_hi:[0,0]
	s_waitcnt vmcnt(2) lgkmcnt(1)
	v_pk_mul_f32 v[30:31], v[16:17], v[8:9] op_sel:[1,1] op_sel_hi:[0,1]
	v_mov_b32_e32 v32, v11
	v_mov_b32_e32 v37, v5
	v_pk_fma_f32 v[4:5], v[14:15], v[6:7], v[12:13] neg_lo:[0,0,1] neg_hi:[0,0,1]
	v_pk_fma_f32 v[6:7], v[14:15], v[6:7], v[12:13] op_sel_hi:[1,0,1]
	v_pk_fma_f32 v[26:27], v[16:17], v[8:9], v[30:31] neg_lo:[0,0,1] neg_hi:[0,0,1]
	v_pk_fma_f32 v[8:9], v[16:17], v[8:9], v[30:31] op_sel_hi:[1,0,1]
	v_pk_mul_f32 v[16:17], v[18:19], v[32:33] op_sel:[1,0] op_sel_hi:[0,0]
	v_pk_add_f32 v[12:13], v[36:37], 0 op_sel_hi:[1,0]
	v_mov_b32_e32 v5, v7
	s_waitcnt vmcnt(1) lgkmcnt(0)
	v_pk_mul_f32 v[34:35], v[24:25], v[20:21] op_sel:[1,1] op_sel_hi:[0,1]
	v_mov_b32_e32 v27, v9
	v_pk_fma_f32 v[8:9], v[18:19], v[10:11], v[16:17] neg_lo:[0,0,1] neg_hi:[0,0,1]
	v_pk_fma_f32 v[10:11], v[18:19], v[10:11], v[16:17] op_sel_hi:[1,0,1]
	v_pk_add_f32 v[4:5], v[12:13], v[4:5]
	v_pk_fma_f32 v[28:29], v[24:25], v[20:21], v[34:35] neg_lo:[0,0,1] neg_hi:[0,0,1]
	v_pk_fma_f32 v[20:21], v[24:25], v[20:21], v[34:35] op_sel_hi:[1,0,1]
	v_mov_b32_e32 v9, v11
	v_pk_add_f32 v[4:5], v[4:5], v[26:27]
	v_mov_b32_e32 v29, v21
	v_pk_add_f32 v[4:5], v[4:5], v[8:9]
	s_nop 0
	v_pk_add_f32 v[4:5], v[4:5], v[28:29]
	s_waitcnt vmcnt(0)
	v_pk_add_f32 v[4:5], v[22:23], v[4:5] neg_lo:[0,1] neg_hi:[0,1]
	scratch_store_dwordx2 off, v[4:5], off offset:392
	s_and_saveexec_b64 s[0:1], vcc
	s_cbranch_execz .LBB118_247
; %bb.246:
	scratch_load_dwordx2 v[4:5], off, off offset:384
	v_mov_b32_e32 v3, v2
	scratch_store_dwordx2 off, v[2:3], off offset:384
	s_waitcnt vmcnt(1)
	ds_write_b64 v1, v[4:5]
.LBB118_247:
	s_or_b64 exec, exec, s[0:1]
	s_waitcnt lgkmcnt(0)
	; wave barrier
	scratch_load_dwordx4 v[4:7], off, off offset:392
	scratch_load_dwordx4 v[8:11], off, off offset:408
	scratch_load_dwordx4 v[12:15], off, off offset:424
	scratch_load_dwordx2 v[28:29], off, off offset:384
	ds_read2_b64 v[16:19], v2 offset0:105 offset1:106
	ds_read2_b64 v[20:23], v2 offset0:107 offset1:108
	;; [unrolled: 1-line block ×3, first 2 shown]
	v_cmp_lt_u32_e32 vcc, 47, v0
	s_waitcnt vmcnt(3) lgkmcnt(2)
	v_pk_mul_f32 v[2:3], v[16:17], v[4:5] op_sel:[1,1] op_sel_hi:[0,1]
	v_mov_b32_e32 v30, v7
	s_waitcnt vmcnt(2) lgkmcnt(1)
	v_pk_mul_f32 v[32:33], v[20:21], v[8:9] op_sel:[1,1] op_sel_hi:[0,1]
	v_mov_b32_e32 v34, v11
	;; [unrolled: 3-line block ×3, first 2 shown]
	v_pk_fma_f32 v[40:41], v[16:17], v[4:5], v[2:3] neg_lo:[0,0,1] neg_hi:[0,0,1]
	v_pk_fma_f32 v[2:3], v[16:17], v[4:5], v[2:3] op_sel_hi:[1,0,1]
	v_pk_mul_f32 v[4:5], v[18:19], v[30:31] op_sel:[1,0] op_sel_hi:[0,0]
	v_pk_fma_f32 v[16:17], v[20:21], v[8:9], v[32:33] neg_lo:[0,0,1] neg_hi:[0,0,1]
	v_pk_fma_f32 v[8:9], v[20:21], v[8:9], v[32:33] op_sel_hi:[1,0,1]
	v_pk_mul_f32 v[20:21], v[22:23], v[34:35] op_sel:[1,0] op_sel_hi:[0,0]
	;; [unrolled: 3-line block ×3, first 2 shown]
	v_mov_b32_e32 v41, v3
	v_pk_fma_f32 v[2:3], v[18:19], v[6:7], v[4:5] neg_lo:[0,0,1] neg_hi:[0,0,1]
	v_pk_fma_f32 v[4:5], v[18:19], v[6:7], v[4:5] op_sel_hi:[1,0,1]
	v_mov_b32_e32 v17, v9
	v_pk_fma_f32 v[6:7], v[22:23], v[10:11], v[20:21] neg_lo:[0,0,1] neg_hi:[0,0,1]
	v_pk_fma_f32 v[8:9], v[22:23], v[10:11], v[20:21] op_sel_hi:[1,0,1]
	;; [unrolled: 3-line block ×3, first 2 shown]
	v_pk_add_f32 v[14:15], v[40:41], 0 op_sel_hi:[1,0]
	v_mov_b32_e32 v3, v5
	v_pk_add_f32 v[2:3], v[14:15], v[2:3]
	v_mov_b32_e32 v7, v9
	v_pk_add_f32 v[2:3], v[2:3], v[16:17]
	;; [unrolled: 2-line block ×3, first 2 shown]
	s_nop 0
	v_pk_add_f32 v[2:3], v[2:3], v[30:31]
	s_nop 0
	v_pk_add_f32 v[2:3], v[2:3], v[10:11]
	s_waitcnt vmcnt(0)
	v_pk_add_f32 v[2:3], v[28:29], v[2:3] neg_lo:[0,1] neg_hi:[0,1]
	scratch_store_dwordx2 off, v[2:3], off offset:384
	s_and_saveexec_b64 s[0:1], vcc
	s_cbranch_execz .LBB118_249
; %bb.248:
	scratch_load_dwordx2 v[2:3], off, off offset:376
	v_mov_b32_e32 v4, 0
	v_mov_b32_e32 v5, v4
	scratch_store_dwordx2 off, v[4:5], off offset:376
	s_waitcnt vmcnt(1)
	ds_write_b64 v1, v[2:3]
.LBB118_249:
	s_or_b64 exec, exec, s[0:1]
	s_waitcnt lgkmcnt(0)
	; wave barrier
	scratch_load_dwordx4 v[4:7], off, off offset:384
	scratch_load_dwordx4 v[8:11], off, off offset:400
	;; [unrolled: 1-line block ×3, first 2 shown]
	scratch_load_dwordx2 v[28:29], off, off offset:432
	scratch_load_dwordx2 v[30:31], off, off offset:376
	v_mov_b32_e32 v2, 0
	ds_read_b128 v[16:19], v2 offset:832
	ds_read_b128 v[20:23], v2 offset:848
	;; [unrolled: 1-line block ×3, first 2 shown]
	ds_read_b64 v[32:33], v2 offset:880
	v_cmp_lt_u32_e32 vcc, 46, v0
	s_waitcnt vmcnt(4) lgkmcnt(3)
	v_pk_mul_f32 v[34:35], v[16:17], v[4:5] op_sel:[1,1] op_sel_hi:[0,1]
	v_mov_b32_e32 v36, v7
	v_pk_fma_f32 v[48:49], v[16:17], v[4:5], v[34:35] neg_lo:[0,0,1] neg_hi:[0,0,1]
	v_pk_fma_f32 v[4:5], v[16:17], v[4:5], v[34:35] op_sel_hi:[1,0,1]
	v_pk_mul_f32 v[16:17], v[18:19], v[36:37] op_sel:[1,0] op_sel_hi:[0,0]
	s_waitcnt vmcnt(3) lgkmcnt(2)
	v_pk_mul_f32 v[38:39], v[20:21], v[8:9] op_sel:[1,1] op_sel_hi:[0,1]
	v_mov_b32_e32 v40, v11
	v_mov_b32_e32 v49, v5
	v_pk_fma_f32 v[4:5], v[18:19], v[6:7], v[16:17] neg_lo:[0,0,1] neg_hi:[0,0,1]
	v_pk_fma_f32 v[6:7], v[18:19], v[6:7], v[16:17] op_sel_hi:[1,0,1]
	v_pk_fma_f32 v[34:35], v[20:21], v[8:9], v[38:39] neg_lo:[0,0,1] neg_hi:[0,0,1]
	v_pk_fma_f32 v[8:9], v[20:21], v[8:9], v[38:39] op_sel_hi:[1,0,1]
	v_pk_mul_f32 v[20:21], v[22:23], v[40:41] op_sel:[1,0] op_sel_hi:[0,0]
	v_pk_add_f32 v[16:17], v[48:49], 0 op_sel_hi:[1,0]
	v_mov_b32_e32 v5, v7
	s_waitcnt vmcnt(2) lgkmcnt(1)
	v_pk_mul_f32 v[42:43], v[24:25], v[12:13] op_sel:[1,1] op_sel_hi:[0,1]
	v_mov_b32_e32 v44, v15
	v_mov_b32_e32 v35, v9
	v_pk_fma_f32 v[8:9], v[22:23], v[10:11], v[20:21] neg_lo:[0,0,1] neg_hi:[0,0,1]
	v_pk_fma_f32 v[10:11], v[22:23], v[10:11], v[20:21] op_sel_hi:[1,0,1]
	v_pk_add_f32 v[4:5], v[16:17], v[4:5]
	v_pk_fma_f32 v[36:37], v[24:25], v[12:13], v[42:43] neg_lo:[0,0,1] neg_hi:[0,0,1]
	v_pk_fma_f32 v[12:13], v[24:25], v[12:13], v[42:43] op_sel_hi:[1,0,1]
	v_pk_mul_f32 v[24:25], v[26:27], v[44:45] op_sel:[1,0] op_sel_hi:[0,0]
	v_mov_b32_e32 v9, v11
	v_pk_add_f32 v[4:5], v[4:5], v[34:35]
	s_waitcnt vmcnt(1) lgkmcnt(0)
	v_pk_mul_f32 v[46:47], v[32:33], v[28:29] op_sel:[1,1] op_sel_hi:[0,1]
	v_mov_b32_e32 v37, v13
	v_pk_fma_f32 v[12:13], v[26:27], v[14:15], v[24:25] neg_lo:[0,0,1] neg_hi:[0,0,1]
	v_pk_fma_f32 v[14:15], v[26:27], v[14:15], v[24:25] op_sel_hi:[1,0,1]
	v_pk_add_f32 v[4:5], v[4:5], v[8:9]
	v_pk_fma_f32 v[38:39], v[32:33], v[28:29], v[46:47] neg_lo:[0,0,1] neg_hi:[0,0,1]
	v_pk_fma_f32 v[28:29], v[32:33], v[28:29], v[46:47] op_sel_hi:[1,0,1]
	v_mov_b32_e32 v13, v15
	v_pk_add_f32 v[4:5], v[4:5], v[36:37]
	v_mov_b32_e32 v39, v29
	v_pk_add_f32 v[4:5], v[4:5], v[12:13]
	s_nop 0
	v_pk_add_f32 v[4:5], v[4:5], v[38:39]
	s_waitcnt vmcnt(0)
	v_pk_add_f32 v[4:5], v[30:31], v[4:5] neg_lo:[0,1] neg_hi:[0,1]
	scratch_store_dwordx2 off, v[4:5], off offset:376
	s_and_saveexec_b64 s[0:1], vcc
	s_cbranch_execz .LBB118_251
; %bb.250:
	scratch_load_dwordx2 v[4:5], off, off offset:368
	v_mov_b32_e32 v3, v2
	scratch_store_dwordx2 off, v[2:3], off offset:368
	s_waitcnt vmcnt(1)
	ds_write_b64 v1, v[4:5]
.LBB118_251:
	s_or_b64 exec, exec, s[0:1]
	s_waitcnt lgkmcnt(0)
	; wave barrier
	scratch_load_dwordx4 v[4:7], off, off offset:376
	scratch_load_dwordx4 v[8:11], off, off offset:392
	;; [unrolled: 1-line block ×4, first 2 shown]
	scratch_load_dwordx2 v[36:37], off, off offset:368
	ds_read2_b64 v[20:23], v2 offset0:103 offset1:104
	ds_read2_b64 v[24:27], v2 offset0:105 offset1:106
	;; [unrolled: 1-line block ×4, first 2 shown]
	v_cmp_lt_u32_e32 vcc, 45, v0
	s_waitcnt vmcnt(4) lgkmcnt(3)
	v_pk_mul_f32 v[2:3], v[20:21], v[4:5] op_sel:[1,1] op_sel_hi:[0,1]
	v_mov_b32_e32 v38, v7
	s_waitcnt vmcnt(3) lgkmcnt(2)
	v_pk_mul_f32 v[40:41], v[24:25], v[8:9] op_sel:[1,1] op_sel_hi:[0,1]
	v_mov_b32_e32 v42, v11
	s_waitcnt vmcnt(2) lgkmcnt(1)
	v_pk_mul_f32 v[44:45], v[28:29], v[12:13] op_sel:[1,1] op_sel_hi:[0,1]
	v_mov_b32_e32 v46, v15
	s_waitcnt vmcnt(1) lgkmcnt(0)
	v_pk_mul_f32 v[48:49], v[32:33], v[16:17] op_sel:[1,1] op_sel_hi:[0,1]
	v_mov_b32_e32 v50, v19
	v_pk_fma_f32 v[52:53], v[20:21], v[4:5], v[2:3] neg_lo:[0,0,1] neg_hi:[0,0,1]
	v_pk_fma_f32 v[2:3], v[20:21], v[4:5], v[2:3] op_sel_hi:[1,0,1]
	v_pk_mul_f32 v[4:5], v[22:23], v[38:39] op_sel:[1,0] op_sel_hi:[0,0]
	v_pk_fma_f32 v[20:21], v[24:25], v[8:9], v[40:41] neg_lo:[0,0,1] neg_hi:[0,0,1]
	v_pk_fma_f32 v[8:9], v[24:25], v[8:9], v[40:41] op_sel_hi:[1,0,1]
	v_pk_mul_f32 v[24:25], v[26:27], v[42:43] op_sel:[1,0] op_sel_hi:[0,0]
	;; [unrolled: 3-line block ×4, first 2 shown]
	v_mov_b32_e32 v53, v3
	v_pk_fma_f32 v[2:3], v[22:23], v[6:7], v[4:5] neg_lo:[0,0,1] neg_hi:[0,0,1]
	v_pk_fma_f32 v[4:5], v[22:23], v[6:7], v[4:5] op_sel_hi:[1,0,1]
	v_mov_b32_e32 v21, v9
	v_pk_fma_f32 v[6:7], v[26:27], v[10:11], v[24:25] neg_lo:[0,0,1] neg_hi:[0,0,1]
	v_pk_fma_f32 v[8:9], v[26:27], v[10:11], v[24:25] op_sel_hi:[1,0,1]
	;; [unrolled: 3-line block ×4, first 2 shown]
	v_pk_add_f32 v[18:19], v[52:53], 0 op_sel_hi:[1,0]
	v_mov_b32_e32 v3, v5
	v_pk_add_f32 v[2:3], v[18:19], v[2:3]
	v_mov_b32_e32 v7, v9
	v_pk_add_f32 v[2:3], v[2:3], v[20:21]
	;; [unrolled: 2-line block ×4, first 2 shown]
	s_nop 0
	v_pk_add_f32 v[2:3], v[2:3], v[10:11]
	s_nop 0
	v_pk_add_f32 v[2:3], v[2:3], v[40:41]
	;; [unrolled: 2-line block ×3, first 2 shown]
	s_waitcnt vmcnt(0)
	v_pk_add_f32 v[2:3], v[36:37], v[2:3] neg_lo:[0,1] neg_hi:[0,1]
	scratch_store_dwordx2 off, v[2:3], off offset:368
	s_and_saveexec_b64 s[0:1], vcc
	s_cbranch_execz .LBB118_253
; %bb.252:
	scratch_load_dwordx2 v[2:3], off, off offset:360
	v_mov_b32_e32 v4, 0
	v_mov_b32_e32 v5, v4
	scratch_store_dwordx2 off, v[4:5], off offset:360
	s_waitcnt vmcnt(1)
	ds_write_b64 v1, v[2:3]
.LBB118_253:
	s_or_b64 exec, exec, s[0:1]
	s_waitcnt lgkmcnt(0)
	; wave barrier
	scratch_load_dwordx4 v[4:7], off, off offset:368
	scratch_load_dwordx4 v[8:11], off, off offset:384
	;; [unrolled: 1-line block ×4, first 2 shown]
	scratch_load_dwordx2 v[36:37], off, off offset:432
	scratch_load_dwordx2 v[38:39], off, off offset:360
	v_mov_b32_e32 v2, 0
	ds_read_b128 v[20:23], v2 offset:816
	ds_read_b128 v[24:27], v2 offset:832
	;; [unrolled: 1-line block ×4, first 2 shown]
	ds_read_b64 v[40:41], v2 offset:880
	v_cmp_lt_u32_e32 vcc, 44, v0
	s_waitcnt vmcnt(5) lgkmcnt(4)
	v_mul_f32_e32 v43, v20, v5
	v_mul_f32_e32 v3, v21, v5
	v_mov_b32_e32 v44, v7
	s_waitcnt vmcnt(4) lgkmcnt(3)
	v_pk_mul_f32 v[46:47], v[24:25], v[8:9] op_sel:[1,1] op_sel_hi:[0,1]
	v_mov_b32_e32 v48, v11
	s_waitcnt vmcnt(1) lgkmcnt(0)
	v_pk_mul_f32 v[58:59], v[40:41], v[36:37] op_sel:[1,1] op_sel_hi:[0,1]
	v_fmac_f32_e32 v43, v21, v4
	v_fma_f32 v42, v20, v4, -v3
	v_pk_mul_f32 v[4:5], v[22:23], v[44:45] op_sel:[1,0] op_sel_hi:[0,0]
	v_pk_fma_f32 v[20:21], v[24:25], v[8:9], v[46:47] neg_lo:[0,0,1] neg_hi:[0,0,1]
	v_pk_fma_f32 v[8:9], v[24:25], v[8:9], v[46:47] op_sel_hi:[1,0,1]
	v_pk_mul_f32 v[24:25], v[26:27], v[48:49] op_sel:[1,0] op_sel_hi:[0,0]
	v_pk_fma_f32 v[48:49], v[40:41], v[36:37], v[58:59] neg_lo:[0,0,1] neg_hi:[0,0,1]
	v_pk_fma_f32 v[36:37], v[40:41], v[36:37], v[58:59] op_sel_hi:[1,0,1]
	v_pk_add_f32 v[40:41], v[42:43], 0 op_sel_hi:[1,0]
	v_pk_fma_f32 v[42:43], v[22:23], v[6:7], v[4:5] neg_lo:[0,0,1] neg_hi:[0,0,1]
	v_pk_fma_f32 v[4:5], v[22:23], v[6:7], v[4:5] op_sel_hi:[1,0,1]
	v_pk_mul_f32 v[50:51], v[28:29], v[12:13] op_sel:[1,1] op_sel_hi:[0,1]
	v_mov_b32_e32 v43, v5
	v_mov_b32_e32 v52, v15
	;; [unrolled: 1-line block ×3, first 2 shown]
	v_pk_fma_f32 v[6:7], v[26:27], v[10:11], v[24:25] neg_lo:[0,0,1] neg_hi:[0,0,1]
	v_pk_fma_f32 v[8:9], v[26:27], v[10:11], v[24:25] op_sel_hi:[1,0,1]
	v_pk_add_f32 v[4:5], v[40:41], v[42:43]
	v_pk_fma_f32 v[44:45], v[28:29], v[12:13], v[50:51] neg_lo:[0,0,1] neg_hi:[0,0,1]
	v_pk_fma_f32 v[12:13], v[28:29], v[12:13], v[50:51] op_sel_hi:[1,0,1]
	v_pk_mul_f32 v[28:29], v[30:31], v[52:53] op_sel:[1,0] op_sel_hi:[0,0]
	v_mov_b32_e32 v7, v9
	v_pk_add_f32 v[4:5], v[4:5], v[20:21]
	v_pk_mul_f32 v[54:55], v[32:33], v[16:17] op_sel:[1,1] op_sel_hi:[0,1]
	v_mov_b32_e32 v56, v19
	v_mov_b32_e32 v45, v13
	v_pk_fma_f32 v[10:11], v[30:31], v[14:15], v[28:29] neg_lo:[0,0,1] neg_hi:[0,0,1]
	v_pk_fma_f32 v[12:13], v[30:31], v[14:15], v[28:29] op_sel_hi:[1,0,1]
	v_pk_add_f32 v[4:5], v[4:5], v[6:7]
	v_pk_fma_f32 v[46:47], v[32:33], v[16:17], v[54:55] neg_lo:[0,0,1] neg_hi:[0,0,1]
	v_pk_fma_f32 v[16:17], v[32:33], v[16:17], v[54:55] op_sel_hi:[1,0,1]
	v_pk_mul_f32 v[32:33], v[34:35], v[56:57] op_sel:[1,0] op_sel_hi:[0,0]
	v_mov_b32_e32 v11, v13
	v_pk_add_f32 v[4:5], v[4:5], v[44:45]
	v_mov_b32_e32 v47, v17
	v_pk_fma_f32 v[14:15], v[34:35], v[18:19], v[32:33] neg_lo:[0,0,1] neg_hi:[0,0,1]
	v_pk_fma_f32 v[16:17], v[34:35], v[18:19], v[32:33] op_sel_hi:[1,0,1]
	v_pk_add_f32 v[4:5], v[4:5], v[10:11]
	v_mov_b32_e32 v15, v17
	v_pk_add_f32 v[4:5], v[4:5], v[46:47]
	v_mov_b32_e32 v49, v37
	v_pk_add_f32 v[4:5], v[4:5], v[14:15]
	s_nop 0
	v_pk_add_f32 v[4:5], v[4:5], v[48:49]
	s_waitcnt vmcnt(0)
	v_pk_add_f32 v[4:5], v[38:39], v[4:5] neg_lo:[0,1] neg_hi:[0,1]
	scratch_store_dwordx2 off, v[4:5], off offset:360
	s_and_saveexec_b64 s[0:1], vcc
	s_cbranch_execz .LBB118_255
; %bb.254:
	scratch_load_dwordx2 v[4:5], off, off offset:352
	v_mov_b32_e32 v3, v2
	scratch_store_dwordx2 off, v[2:3], off offset:352
	s_waitcnt vmcnt(1)
	ds_write_b64 v1, v[4:5]
.LBB118_255:
	s_or_b64 exec, exec, s[0:1]
	s_waitcnt lgkmcnt(0)
	; wave barrier
	scratch_load_dwordx4 v[4:7], off, off offset:360
	scratch_load_dwordx4 v[8:11], off, off offset:376
	;; [unrolled: 1-line block ×5, first 2 shown]
	scratch_load_dwordx2 v[44:45], off, off offset:352
	ds_read2_b64 v[24:27], v2 offset0:101 offset1:102
	ds_read2_b64 v[28:31], v2 offset0:103 offset1:104
	;; [unrolled: 1-line block ×5, first 2 shown]
	v_cmp_lt_u32_e32 vcc, 43, v0
	s_waitcnt vmcnt(5) lgkmcnt(4)
	v_mul_f32_e32 v3, v24, v5
	v_mul_f32_e32 v2, v25, v5
	;; [unrolled: 1-line block ×4, first 2 shown]
	s_waitcnt vmcnt(4) lgkmcnt(3)
	v_pk_mul_f32 v[48:49], v[28:29], v[8:9] op_sel:[1,1] op_sel_hi:[0,1]
	v_mov_b32_e32 v50, v11
	v_fmac_f32_e32 v3, v25, v4
	v_fma_f32 v2, v24, v4, -v2
	v_fmac_f32_e32 v47, v27, v6
	v_fma_f32 v46, v26, v6, -v5
	v_pk_fma_f32 v[4:5], v[28:29], v[8:9], v[48:49] neg_lo:[0,0,1] neg_hi:[0,0,1]
	v_pk_fma_f32 v[6:7], v[28:29], v[8:9], v[48:49] op_sel_hi:[1,0,1]
	v_pk_mul_f32 v[8:9], v[30:31], v[50:51] op_sel:[1,0] op_sel_hi:[0,0]
	v_pk_add_f32 v[2:3], v[2:3], 0 op_sel_hi:[1,0]
	s_waitcnt vmcnt(3) lgkmcnt(2)
	v_pk_mul_f32 v[52:53], v[32:33], v[12:13] op_sel:[1,1] op_sel_hi:[0,1]
	v_mov_b32_e32 v54, v15
	v_mov_b32_e32 v5, v7
	v_pk_fma_f32 v[6:7], v[30:31], v[10:11], v[8:9] neg_lo:[0,0,1] neg_hi:[0,0,1]
	v_pk_fma_f32 v[8:9], v[30:31], v[10:11], v[8:9] op_sel_hi:[1,0,1]
	v_pk_add_f32 v[2:3], v[2:3], v[46:47]
	v_pk_fma_f32 v[24:25], v[32:33], v[12:13], v[52:53] neg_lo:[0,0,1] neg_hi:[0,0,1]
	v_pk_fma_f32 v[12:13], v[32:33], v[12:13], v[52:53] op_sel_hi:[1,0,1]
	v_pk_mul_f32 v[26:27], v[34:35], v[54:55] op_sel:[1,0] op_sel_hi:[0,0]
	v_mov_b32_e32 v7, v9
	v_pk_add_f32 v[2:3], v[2:3], v[4:5]
	s_waitcnt vmcnt(2) lgkmcnt(1)
	v_pk_mul_f32 v[56:57], v[36:37], v[16:17] op_sel:[1,1] op_sel_hi:[0,1]
	v_mov_b32_e32 v58, v19
	v_mov_b32_e32 v25, v13
	v_pk_fma_f32 v[10:11], v[34:35], v[14:15], v[26:27] neg_lo:[0,0,1] neg_hi:[0,0,1]
	v_pk_fma_f32 v[12:13], v[34:35], v[14:15], v[26:27] op_sel_hi:[1,0,1]
	v_pk_add_f32 v[2:3], v[2:3], v[6:7]
	v_pk_fma_f32 v[28:29], v[36:37], v[16:17], v[56:57] neg_lo:[0,0,1] neg_hi:[0,0,1]
	v_pk_fma_f32 v[16:17], v[36:37], v[16:17], v[56:57] op_sel_hi:[1,0,1]
	v_pk_mul_f32 v[32:33], v[38:39], v[58:59] op_sel:[1,0] op_sel_hi:[0,0]
	v_mov_b32_e32 v11, v13
	v_pk_add_f32 v[2:3], v[2:3], v[24:25]
	s_waitcnt vmcnt(1) lgkmcnt(0)
	v_pk_mul_f32 v[60:61], v[40:41], v[20:21] op_sel:[1,1] op_sel_hi:[0,1]
	v_mov_b32_e32 v62, v23
	v_mov_b32_e32 v29, v17
	v_pk_fma_f32 v[14:15], v[38:39], v[18:19], v[32:33] neg_lo:[0,0,1] neg_hi:[0,0,1]
	v_pk_fma_f32 v[16:17], v[38:39], v[18:19], v[32:33] op_sel_hi:[1,0,1]
	v_pk_add_f32 v[2:3], v[2:3], v[10:11]
	v_pk_fma_f32 v[36:37], v[40:41], v[20:21], v[60:61] neg_lo:[0,0,1] neg_hi:[0,0,1]
	v_pk_fma_f32 v[20:21], v[40:41], v[20:21], v[60:61] op_sel_hi:[1,0,1]
	v_pk_mul_f32 v[40:41], v[42:43], v[62:63] op_sel:[1,0] op_sel_hi:[0,0]
	v_mov_b32_e32 v15, v17
	v_pk_add_f32 v[2:3], v[2:3], v[28:29]
	v_mov_b32_e32 v37, v21
	v_pk_fma_f32 v[18:19], v[42:43], v[22:23], v[40:41] neg_lo:[0,0,1] neg_hi:[0,0,1]
	v_pk_fma_f32 v[20:21], v[42:43], v[22:23], v[40:41] op_sel_hi:[1,0,1]
	v_pk_add_f32 v[2:3], v[2:3], v[14:15]
	v_mov_b32_e32 v19, v21
	v_pk_add_f32 v[2:3], v[2:3], v[36:37]
	s_nop 0
	v_pk_add_f32 v[2:3], v[2:3], v[18:19]
	s_waitcnt vmcnt(0)
	v_pk_add_f32 v[2:3], v[44:45], v[2:3] neg_lo:[0,1] neg_hi:[0,1]
	scratch_store_dwordx2 off, v[2:3], off offset:352
	s_and_saveexec_b64 s[0:1], vcc
	s_cbranch_execz .LBB118_257
; %bb.256:
	scratch_load_dwordx2 v[2:3], off, off offset:344
	v_mov_b32_e32 v4, 0
	v_mov_b32_e32 v5, v4
	scratch_store_dwordx2 off, v[4:5], off offset:344
	s_waitcnt vmcnt(1)
	ds_write_b64 v1, v[2:3]
.LBB118_257:
	s_or_b64 exec, exec, s[0:1]
	v_mov_b32_e32 v2, 0
	s_waitcnt lgkmcnt(0)
	; wave barrier
	ds_read_b128 v[4:7], v2 offset:800
	ds_read_b128 v[8:11], v2 offset:816
	;; [unrolled: 1-line block ×4, first 2 shown]
	scratch_load_dwordx4 v[20:23], off, off offset:352
	scratch_load_dwordx4 v[24:27], off, off offset:368
	;; [unrolled: 1-line block ×5, first 2 shown]
	scratch_load_dwordx2 v[46:47], off, off offset:432
	v_cmp_lt_u32_e32 vcc, 42, v0
	s_waitcnt vmcnt(5) lgkmcnt(3)
	v_mul_f32_e32 v3, v4, v21
	v_fmac_f32_e32 v3, v5, v20
	v_add_f32_e32 v41, 0, v3
	v_mul_f32_e32 v3, v5, v21
	v_fma_f32 v3, v4, v20, -v3
	v_mul_f32_e32 v43, v6, v23
	v_add_f32_e32 v40, 0, v3
	v_mul_f32_e32 v3, v7, v23
	v_fmac_f32_e32 v43, v7, v22
	v_fma_f32 v42, v6, v22, -v3
	s_waitcnt vmcnt(4)
	v_mov_b32_e32 v22, v27
	s_waitcnt lgkmcnt(2)
	v_mul_f32_e32 v45, v8, v25
	v_mul_f32_e32 v3, v9, v25
	v_pk_mul_f32 v[22:23], v[10:11], v[22:23] op_sel:[1,0] op_sel_hi:[0,0]
	v_fmac_f32_e32 v45, v9, v24
	v_fma_f32 v44, v8, v24, -v3
	v_pk_add_f32 v[20:21], v[40:41], v[42:43]
	v_pk_fma_f32 v[24:25], v[10:11], v[26:27], v[22:23] neg_lo:[0,0,1] neg_hi:[0,0,1]
	v_pk_fma_f32 v[10:11], v[10:11], v[26:27], v[22:23] op_sel_hi:[1,0,1]
	v_pk_add_f32 v[20:21], v[20:21], v[44:45]
	v_mov_b32_e32 v25, v11
	v_pk_add_f32 v[10:11], v[20:21], v[24:25]
	s_waitcnt vmcnt(3) lgkmcnt(1)
	v_pk_mul_f32 v[20:21], v[12:13], v[28:29] op_sel:[1,1] op_sel_hi:[0,1]
	v_pk_fma_f32 v[22:23], v[12:13], v[28:29], v[20:21] neg_lo:[0,0,1] neg_hi:[0,0,1]
	v_pk_fma_f32 v[12:13], v[12:13], v[28:29], v[20:21] op_sel_hi:[1,0,1]
	ds_read_b128 v[4:7], v2 offset:864
	ds_read_b64 v[8:9], v2 offset:880
	v_mov_b32_e32 v12, v31
	v_mov_b32_e32 v23, v13
	v_pk_mul_f32 v[12:13], v[14:15], v[12:13] op_sel:[1,0] op_sel_hi:[0,0]
	v_pk_fma_f32 v[20:21], v[14:15], v[30:31], v[12:13] neg_lo:[0,0,1] neg_hi:[0,0,1]
	v_pk_fma_f32 v[12:13], v[14:15], v[30:31], v[12:13] op_sel_hi:[1,0,1]
	v_pk_add_f32 v[10:11], v[10:11], v[22:23]
	v_mov_b32_e32 v21, v13
	s_waitcnt vmcnt(2) lgkmcnt(2)
	v_pk_mul_f32 v[12:13], v[16:17], v[32:33] op_sel:[1,1] op_sel_hi:[0,1]
	v_pk_fma_f32 v[14:15], v[16:17], v[32:33], v[12:13] neg_lo:[0,0,1] neg_hi:[0,0,1]
	v_pk_fma_f32 v[12:13], v[16:17], v[32:33], v[12:13] op_sel_hi:[1,0,1]
	v_pk_add_f32 v[10:11], v[10:11], v[20:21]
	v_mov_b32_e32 v12, v35
	v_mov_b32_e32 v15, v13
	v_pk_mul_f32 v[12:13], v[18:19], v[12:13] op_sel:[1,0] op_sel_hi:[0,0]
	v_pk_add_f32 v[10:11], v[10:11], v[14:15]
	v_pk_fma_f32 v[14:15], v[18:19], v[34:35], v[12:13] neg_lo:[0,0,1] neg_hi:[0,0,1]
	v_pk_fma_f32 v[12:13], v[18:19], v[34:35], v[12:13] op_sel_hi:[1,0,1]
	s_nop 0
	v_mov_b32_e32 v15, v13
	s_waitcnt vmcnt(1) lgkmcnt(1)
	v_pk_mul_f32 v[12:13], v[4:5], v[36:37] op_sel:[1,1] op_sel_hi:[0,1]
	v_pk_add_f32 v[10:11], v[10:11], v[14:15]
	v_pk_fma_f32 v[14:15], v[4:5], v[36:37], v[12:13] neg_lo:[0,0,1] neg_hi:[0,0,1]
	v_pk_fma_f32 v[4:5], v[4:5], v[36:37], v[12:13] op_sel_hi:[1,0,1]
	s_nop 0
	v_mov_b32_e32 v15, v5
	v_pk_add_f32 v[4:5], v[10:11], v[14:15]
	v_mov_b32_e32 v10, v39
	v_pk_mul_f32 v[10:11], v[6:7], v[10:11] op_sel:[1,0] op_sel_hi:[0,0]
	v_pk_fma_f32 v[12:13], v[6:7], v[38:39], v[10:11] neg_lo:[0,0,1] neg_hi:[0,0,1]
	v_pk_fma_f32 v[6:7], v[6:7], v[38:39], v[10:11] op_sel_hi:[1,0,1]
	s_nop 0
	v_mov_b32_e32 v13, v7
	s_waitcnt vmcnt(0) lgkmcnt(0)
	v_pk_mul_f32 v[6:7], v[8:9], v[46:47] op_sel:[1,1] op_sel_hi:[0,1]
	v_pk_fma_f32 v[10:11], v[8:9], v[46:47], v[6:7] neg_lo:[0,0,1] neg_hi:[0,0,1]
	v_pk_fma_f32 v[6:7], v[8:9], v[46:47], v[6:7] op_sel_hi:[1,0,1]
	v_pk_add_f32 v[4:5], v[4:5], v[12:13]
	v_mov_b32_e32 v11, v7
	scratch_load_dwordx2 v[6:7], off, off offset:344
	v_pk_add_f32 v[4:5], v[4:5], v[10:11]
	s_waitcnt vmcnt(0)
	v_pk_add_f32 v[4:5], v[6:7], v[4:5] neg_lo:[0,1] neg_hi:[0,1]
	scratch_store_dwordx2 off, v[4:5], off offset:344
	s_and_saveexec_b64 s[0:1], vcc
	s_cbranch_execz .LBB118_259
; %bb.258:
	scratch_load_dwordx2 v[4:5], off, off offset:336
	v_mov_b32_e32 v3, v2
	scratch_store_dwordx2 off, v[2:3], off offset:336
	s_waitcnt vmcnt(1)
	ds_write_b64 v1, v[4:5]
.LBB118_259:
	s_or_b64 exec, exec, s[0:1]
	s_waitcnt lgkmcnt(0)
	; wave barrier
	scratch_load_dwordx4 v[8:11], off, off offset:344
	scratch_load_dwordx4 v[16:19], off, off offset:360
	ds_read2_b64 v[4:7], v2 offset0:99 offset1:100
	v_cmp_lt_u32_e32 vcc, 41, v0
	s_waitcnt vmcnt(1) lgkmcnt(0)
	v_mul_f32_e32 v3, v4, v9
	v_fmac_f32_e32 v3, v5, v8
	v_mul_f32_e32 v12, v6, v11
	v_add_f32_e32 v3, 0, v3
	v_fmac_f32_e32 v12, v7, v10
	v_add_f32_e32 v37, v3, v12
	ds_read2_b64 v[12:15], v2 offset0:101 offset1:102
	scratch_load_dwordx4 v[20:23], off, off offset:376
	scratch_load_dwordx4 v[24:27], off, off offset:392
	scratch_load_dwordx4 v[28:31], off, off offset:408
	scratch_load_dwordx4 v[32:35], off, off offset:424
	v_mul_f32_e32 v3, v5, v9
	v_fma_f32 v3, v4, v8, -v3
	v_mul_f32_e32 v4, v7, v11
	v_add_f32_e32 v3, 0, v3
	v_fma_f32 v4, v6, v10, -v4
	v_add_f32_e32 v36, v3, v4
	s_waitcnt vmcnt(4) lgkmcnt(0)
	v_mul_f32_e32 v3, v13, v17
	v_mul_f32_e32 v39, v12, v17
	v_mul_f32_e32 v41, v14, v19
	v_fma_f32 v38, v12, v16, -v3
	v_mul_f32_e32 v3, v15, v19
	v_fmac_f32_e32 v39, v13, v16
	v_fmac_f32_e32 v41, v15, v18
	v_fma_f32 v40, v14, v18, -v3
	ds_read2_b64 v[4:7], v2 offset0:103 offset1:104
	ds_read2_b64 v[8:11], v2 offset0:105 offset1:106
	;; [unrolled: 1-line block ×4, first 2 shown]
	v_pk_add_f32 v[2:3], v[36:37], v[38:39]
	s_waitcnt vmcnt(3) lgkmcnt(3)
	v_pk_mul_f32 v[36:37], v[4:5], v[20:21] op_sel:[1,1] op_sel_hi:[0,1]
	v_pk_fma_f32 v[38:39], v[4:5], v[20:21], v[36:37] neg_lo:[0,0,1] neg_hi:[0,0,1]
	v_pk_fma_f32 v[4:5], v[4:5], v[20:21], v[36:37] op_sel_hi:[1,0,1]
	v_pk_add_f32 v[2:3], v[2:3], v[40:41]
	v_mov_b32_e32 v4, v23
	v_mov_b32_e32 v39, v5
	v_pk_mul_f32 v[4:5], v[6:7], v[4:5] op_sel:[1,0] op_sel_hi:[0,0]
	v_pk_fma_f32 v[20:21], v[6:7], v[22:23], v[4:5] neg_lo:[0,0,1] neg_hi:[0,0,1]
	v_pk_fma_f32 v[4:5], v[6:7], v[22:23], v[4:5] op_sel_hi:[1,0,1]
	v_pk_add_f32 v[2:3], v[2:3], v[38:39]
	v_mov_b32_e32 v21, v5
	s_waitcnt vmcnt(2) lgkmcnt(2)
	v_pk_mul_f32 v[4:5], v[8:9], v[24:25] op_sel:[1,1] op_sel_hi:[0,1]
	v_pk_fma_f32 v[6:7], v[8:9], v[24:25], v[4:5] neg_lo:[0,0,1] neg_hi:[0,0,1]
	v_pk_fma_f32 v[4:5], v[8:9], v[24:25], v[4:5] op_sel_hi:[1,0,1]
	v_pk_add_f32 v[2:3], v[2:3], v[20:21]
	v_mov_b32_e32 v4, v27
	v_mov_b32_e32 v7, v5
	v_pk_mul_f32 v[4:5], v[10:11], v[4:5] op_sel:[1,0] op_sel_hi:[0,0]
	v_pk_add_f32 v[2:3], v[2:3], v[6:7]
	v_pk_fma_f32 v[6:7], v[10:11], v[26:27], v[4:5] neg_lo:[0,0,1] neg_hi:[0,0,1]
	v_pk_fma_f32 v[4:5], v[10:11], v[26:27], v[4:5] op_sel_hi:[1,0,1]
	s_nop 0
	v_mov_b32_e32 v7, v5
	s_waitcnt vmcnt(1) lgkmcnt(1)
	v_pk_mul_f32 v[4:5], v[12:13], v[28:29] op_sel:[1,1] op_sel_hi:[0,1]
	v_pk_add_f32 v[2:3], v[2:3], v[6:7]
	v_pk_fma_f32 v[6:7], v[12:13], v[28:29], v[4:5] neg_lo:[0,0,1] neg_hi:[0,0,1]
	v_pk_fma_f32 v[4:5], v[12:13], v[28:29], v[4:5] op_sel_hi:[1,0,1]
	s_nop 0
	v_mov_b32_e32 v4, v31
	v_mov_b32_e32 v7, v5
	v_pk_mul_f32 v[4:5], v[14:15], v[4:5] op_sel:[1,0] op_sel_hi:[0,0]
	v_pk_add_f32 v[2:3], v[2:3], v[6:7]
	v_pk_fma_f32 v[6:7], v[14:15], v[30:31], v[4:5] neg_lo:[0,0,1] neg_hi:[0,0,1]
	v_pk_fma_f32 v[4:5], v[14:15], v[30:31], v[4:5] op_sel_hi:[1,0,1]
	s_nop 0
	v_mov_b32_e32 v7, v5
	s_waitcnt vmcnt(0) lgkmcnt(0)
	v_pk_mul_f32 v[4:5], v[16:17], v[32:33] op_sel:[1,1] op_sel_hi:[0,1]
	v_pk_add_f32 v[2:3], v[2:3], v[6:7]
	v_pk_fma_f32 v[6:7], v[16:17], v[32:33], v[4:5] neg_lo:[0,0,1] neg_hi:[0,0,1]
	v_pk_fma_f32 v[4:5], v[16:17], v[32:33], v[4:5] op_sel_hi:[1,0,1]
	s_nop 0
	v_mov_b32_e32 v4, v35
	v_mov_b32_e32 v7, v5
	v_pk_mul_f32 v[4:5], v[18:19], v[4:5] op_sel:[1,0] op_sel_hi:[0,0]
	v_pk_add_f32 v[2:3], v[2:3], v[6:7]
	v_pk_fma_f32 v[6:7], v[18:19], v[34:35], v[4:5] neg_lo:[0,0,1] neg_hi:[0,0,1]
	v_pk_fma_f32 v[4:5], v[18:19], v[34:35], v[4:5] op_sel_hi:[1,0,1]
	s_nop 0
	v_mov_b32_e32 v7, v5
	scratch_load_dwordx2 v[4:5], off, off offset:336
	v_pk_add_f32 v[2:3], v[2:3], v[6:7]
	s_waitcnt vmcnt(0)
	v_pk_add_f32 v[2:3], v[4:5], v[2:3] neg_lo:[0,1] neg_hi:[0,1]
	scratch_store_dwordx2 off, v[2:3], off offset:336
	s_and_saveexec_b64 s[0:1], vcc
	s_cbranch_execz .LBB118_261
; %bb.260:
	scratch_load_dwordx2 v[2:3], off, off offset:328
	v_mov_b32_e32 v4, 0
	v_mov_b32_e32 v5, v4
	scratch_store_dwordx2 off, v[4:5], off offset:328
	s_waitcnt vmcnt(1)
	ds_write_b64 v1, v[2:3]
.LBB118_261:
	s_or_b64 exec, exec, s[0:1]
	v_mov_b32_e32 v2, 0
	s_waitcnt lgkmcnt(0)
	; wave barrier
	ds_read_b128 v[4:7], v2 offset:784
	ds_read_b128 v[8:11], v2 offset:800
	;; [unrolled: 1-line block ×4, first 2 shown]
	scratch_load_dwordx4 v[20:23], off, off offset:336
	v_cmp_lt_u32_e32 vcc, 40, v0
	s_waitcnt vmcnt(0) lgkmcnt(3)
	v_mul_f32_e32 v3, v4, v21
	v_fmac_f32_e32 v3, v5, v20
	v_mul_f32_e32 v24, v6, v23
	v_add_f32_e32 v3, 0, v3
	v_fmac_f32_e32 v24, v7, v22
	v_add_f32_e32 v3, v3, v24
	scratch_load_dwordx4 v[24:27], off, off offset:352
	s_waitcnt vmcnt(0) lgkmcnt(2)
	v_mul_f32_e32 v28, v8, v25
	v_fmac_f32_e32 v28, v9, v24
	v_add_f32_e32 v45, v3, v28
	scratch_load_dwordx4 v[28:31], off, off offset:368
	scratch_load_dwordx4 v[32:35], off, off offset:384
	;; [unrolled: 1-line block ×4, first 2 shown]
	scratch_load_dwordx2 v[50:51], off, off offset:432
	v_mul_f32_e32 v3, v5, v21
	v_fma_f32 v3, v4, v20, -v3
	v_mul_f32_e32 v4, v7, v23
	v_add_f32_e32 v3, 0, v3
	v_fma_f32 v4, v6, v22, -v4
	v_add_f32_e32 v3, v3, v4
	v_mul_f32_e32 v4, v9, v25
	v_fma_f32 v4, v8, v24, -v4
	v_mul_f32_e32 v47, v10, v27
	v_add_f32_e32 v44, v3, v4
	v_mul_f32_e32 v3, v11, v27
	v_fmac_f32_e32 v47, v11, v26
	v_fma_f32 v46, v10, v26, -v3
	v_pk_add_f32 v[20:21], v[44:45], v[46:47]
	s_waitcnt vmcnt(4)
	v_mov_b32_e32 v22, v31
	s_waitcnt lgkmcnt(1)
	v_mul_f32_e32 v49, v12, v29
	v_mul_f32_e32 v3, v13, v29
	v_pk_mul_f32 v[22:23], v[14:15], v[22:23] op_sel:[1,0] op_sel_hi:[0,0]
	v_fmac_f32_e32 v49, v13, v28
	v_fma_f32 v48, v12, v28, -v3
	v_pk_fma_f32 v[24:25], v[14:15], v[30:31], v[22:23] neg_lo:[0,0,1] neg_hi:[0,0,1]
	v_pk_fma_f32 v[14:15], v[14:15], v[30:31], v[22:23] op_sel_hi:[1,0,1]
	v_pk_add_f32 v[20:21], v[20:21], v[48:49]
	v_mov_b32_e32 v25, v15
	v_pk_add_f32 v[14:15], v[20:21], v[24:25]
	s_waitcnt vmcnt(3) lgkmcnt(0)
	v_pk_mul_f32 v[20:21], v[16:17], v[32:33] op_sel:[1,1] op_sel_hi:[0,1]
	v_pk_fma_f32 v[22:23], v[16:17], v[32:33], v[20:21] neg_lo:[0,0,1] neg_hi:[0,0,1]
	v_pk_fma_f32 v[16:17], v[16:17], v[32:33], v[20:21] op_sel_hi:[1,0,1]
	ds_read_b128 v[4:7], v2 offset:848
	ds_read_b128 v[8:11], v2 offset:864
	ds_read_b64 v[12:13], v2 offset:880
	v_mov_b32_e32 v16, v35
	v_mov_b32_e32 v23, v17
	v_pk_mul_f32 v[16:17], v[18:19], v[16:17] op_sel:[1,0] op_sel_hi:[0,0]
	v_pk_fma_f32 v[20:21], v[18:19], v[34:35], v[16:17] neg_lo:[0,0,1] neg_hi:[0,0,1]
	v_pk_fma_f32 v[16:17], v[18:19], v[34:35], v[16:17] op_sel_hi:[1,0,1]
	v_pk_add_f32 v[14:15], v[14:15], v[22:23]
	v_mov_b32_e32 v21, v17
	s_waitcnt vmcnt(2) lgkmcnt(2)
	v_pk_mul_f32 v[16:17], v[4:5], v[36:37] op_sel:[1,1] op_sel_hi:[0,1]
	v_pk_fma_f32 v[18:19], v[4:5], v[36:37], v[16:17] neg_lo:[0,0,1] neg_hi:[0,0,1]
	v_pk_fma_f32 v[4:5], v[4:5], v[36:37], v[16:17] op_sel_hi:[1,0,1]
	v_pk_add_f32 v[14:15], v[14:15], v[20:21]
	v_mov_b32_e32 v19, v5
	v_pk_add_f32 v[4:5], v[14:15], v[18:19]
	v_mov_b32_e32 v14, v39
	v_pk_mul_f32 v[14:15], v[6:7], v[14:15] op_sel:[1,0] op_sel_hi:[0,0]
	v_pk_fma_f32 v[16:17], v[6:7], v[38:39], v[14:15] neg_lo:[0,0,1] neg_hi:[0,0,1]
	v_pk_fma_f32 v[6:7], v[6:7], v[38:39], v[14:15] op_sel_hi:[1,0,1]
	s_nop 0
	v_mov_b32_e32 v17, v7
	s_waitcnt vmcnt(1) lgkmcnt(1)
	v_pk_mul_f32 v[6:7], v[8:9], v[40:41] op_sel:[1,1] op_sel_hi:[0,1]
	v_pk_fma_f32 v[14:15], v[8:9], v[40:41], v[6:7] neg_lo:[0,0,1] neg_hi:[0,0,1]
	v_pk_fma_f32 v[6:7], v[8:9], v[40:41], v[6:7] op_sel_hi:[1,0,1]
	v_pk_add_f32 v[4:5], v[4:5], v[16:17]
	v_mov_b32_e32 v6, v43
	v_mov_b32_e32 v15, v7
	v_pk_mul_f32 v[6:7], v[10:11], v[6:7] op_sel:[1,0] op_sel_hi:[0,0]
	v_pk_fma_f32 v[8:9], v[10:11], v[42:43], v[6:7] neg_lo:[0,0,1] neg_hi:[0,0,1]
	v_pk_fma_f32 v[6:7], v[10:11], v[42:43], v[6:7] op_sel_hi:[1,0,1]
	v_pk_add_f32 v[4:5], v[4:5], v[14:15]
	v_mov_b32_e32 v9, v7
	s_waitcnt vmcnt(0) lgkmcnt(0)
	v_pk_mul_f32 v[6:7], v[12:13], v[50:51] op_sel:[1,1] op_sel_hi:[0,1]
	v_pk_add_f32 v[4:5], v[4:5], v[8:9]
	v_pk_fma_f32 v[8:9], v[12:13], v[50:51], v[6:7] neg_lo:[0,0,1] neg_hi:[0,0,1]
	v_pk_fma_f32 v[6:7], v[12:13], v[50:51], v[6:7] op_sel_hi:[1,0,1]
	s_nop 0
	v_mov_b32_e32 v9, v7
	scratch_load_dwordx2 v[6:7], off, off offset:328
	v_pk_add_f32 v[4:5], v[4:5], v[8:9]
	s_waitcnt vmcnt(0)
	v_pk_add_f32 v[4:5], v[6:7], v[4:5] neg_lo:[0,1] neg_hi:[0,1]
	scratch_store_dwordx2 off, v[4:5], off offset:328
	s_and_saveexec_b64 s[0:1], vcc
	s_cbranch_execz .LBB118_263
; %bb.262:
	scratch_load_dwordx2 v[4:5], off, off offset:320
	v_mov_b32_e32 v3, v2
	scratch_store_dwordx2 off, v[2:3], off offset:320
	s_waitcnt vmcnt(1)
	ds_write_b64 v1, v[4:5]
.LBB118_263:
	s_or_b64 exec, exec, s[0:1]
	s_waitcnt lgkmcnt(0)
	; wave barrier
	scratch_load_dwordx4 v[8:11], off, off offset:328
	scratch_load_dwordx4 v[16:19], off, off offset:344
	ds_read2_b64 v[4:7], v2 offset0:97 offset1:98
	scratch_load_dwordx4 v[24:27], off, off offset:360
	v_cmp_lt_u32_e32 vcc, 39, v0
	s_waitcnt vmcnt(2) lgkmcnt(0)
	v_mul_f32_e32 v3, v4, v9
	v_fmac_f32_e32 v3, v5, v8
	v_mul_f32_e32 v12, v6, v11
	v_add_f32_e32 v3, 0, v3
	v_fmac_f32_e32 v12, v7, v10
	v_add_f32_e32 v3, v3, v12
	ds_read2_b64 v[12:15], v2 offset0:99 offset1:100
	s_waitcnt vmcnt(1) lgkmcnt(0)
	v_mul_f32_e32 v20, v12, v17
	v_fmac_f32_e32 v20, v13, v16
	v_add_f32_e32 v3, v3, v20
	v_mul_f32_e32 v20, v14, v19
	v_fmac_f32_e32 v20, v15, v18
	v_add_f32_e32 v45, v3, v20
	ds_read2_b64 v[20:23], v2 offset0:101 offset1:102
	scratch_load_dwordx4 v[28:31], off, off offset:376
	scratch_load_dwordx4 v[32:35], off, off offset:392
	;; [unrolled: 1-line block ×4, first 2 shown]
	v_mul_f32_e32 v3, v5, v9
	v_fma_f32 v3, v4, v8, -v3
	v_mul_f32_e32 v4, v7, v11
	v_add_f32_e32 v3, 0, v3
	v_fma_f32 v4, v6, v10, -v4
	v_add_f32_e32 v3, v3, v4
	v_mul_f32_e32 v4, v13, v17
	v_fma_f32 v4, v12, v16, -v4
	v_add_f32_e32 v3, v3, v4
	v_mul_f32_e32 v4, v15, v19
	v_fma_f32 v4, v14, v18, -v4
	v_add_f32_e32 v44, v3, v4
	ds_read2_b64 v[4:7], v2 offset0:103 offset1:104
	ds_read2_b64 v[8:11], v2 offset0:105 offset1:106
	;; [unrolled: 1-line block ×4, first 2 shown]
	s_waitcnt vmcnt(4) lgkmcnt(4)
	v_mul_f32_e32 v47, v20, v25
	v_mul_f32_e32 v3, v21, v25
	v_fmac_f32_e32 v47, v21, v24
	v_mul_f32_e32 v49, v22, v27
	v_fma_f32 v46, v20, v24, -v3
	v_mul_f32_e32 v3, v23, v27
	v_fmac_f32_e32 v49, v23, v26
	v_fma_f32 v48, v22, v26, -v3
	v_pk_add_f32 v[2:3], v[44:45], v[46:47]
	s_waitcnt vmcnt(3) lgkmcnt(3)
	v_pk_mul_f32 v[20:21], v[4:5], v[28:29] op_sel:[1,1] op_sel_hi:[0,1]
	v_pk_fma_f32 v[22:23], v[4:5], v[28:29], v[20:21] neg_lo:[0,0,1] neg_hi:[0,0,1]
	v_pk_fma_f32 v[4:5], v[4:5], v[28:29], v[20:21] op_sel_hi:[1,0,1]
	v_pk_add_f32 v[2:3], v[2:3], v[48:49]
	v_mov_b32_e32 v4, v31
	v_mov_b32_e32 v23, v5
	v_pk_mul_f32 v[4:5], v[6:7], v[4:5] op_sel:[1,0] op_sel_hi:[0,0]
	v_pk_fma_f32 v[20:21], v[6:7], v[30:31], v[4:5] neg_lo:[0,0,1] neg_hi:[0,0,1]
	v_pk_fma_f32 v[4:5], v[6:7], v[30:31], v[4:5] op_sel_hi:[1,0,1]
	v_pk_add_f32 v[2:3], v[2:3], v[22:23]
	v_mov_b32_e32 v21, v5
	s_waitcnt vmcnt(2) lgkmcnt(2)
	v_pk_mul_f32 v[4:5], v[8:9], v[32:33] op_sel:[1,1] op_sel_hi:[0,1]
	v_pk_fma_f32 v[6:7], v[8:9], v[32:33], v[4:5] neg_lo:[0,0,1] neg_hi:[0,0,1]
	v_pk_fma_f32 v[4:5], v[8:9], v[32:33], v[4:5] op_sel_hi:[1,0,1]
	v_pk_add_f32 v[2:3], v[2:3], v[20:21]
	v_mov_b32_e32 v4, v35
	v_mov_b32_e32 v7, v5
	v_pk_mul_f32 v[4:5], v[10:11], v[4:5] op_sel:[1,0] op_sel_hi:[0,0]
	v_pk_add_f32 v[2:3], v[2:3], v[6:7]
	v_pk_fma_f32 v[6:7], v[10:11], v[34:35], v[4:5] neg_lo:[0,0,1] neg_hi:[0,0,1]
	v_pk_fma_f32 v[4:5], v[10:11], v[34:35], v[4:5] op_sel_hi:[1,0,1]
	s_nop 0
	v_mov_b32_e32 v7, v5
	s_waitcnt vmcnt(1) lgkmcnt(1)
	v_pk_mul_f32 v[4:5], v[12:13], v[36:37] op_sel:[1,1] op_sel_hi:[0,1]
	v_pk_add_f32 v[2:3], v[2:3], v[6:7]
	v_pk_fma_f32 v[6:7], v[12:13], v[36:37], v[4:5] neg_lo:[0,0,1] neg_hi:[0,0,1]
	v_pk_fma_f32 v[4:5], v[12:13], v[36:37], v[4:5] op_sel_hi:[1,0,1]
	s_nop 0
	v_mov_b32_e32 v4, v39
	v_mov_b32_e32 v7, v5
	v_pk_mul_f32 v[4:5], v[14:15], v[4:5] op_sel:[1,0] op_sel_hi:[0,0]
	v_pk_add_f32 v[2:3], v[2:3], v[6:7]
	v_pk_fma_f32 v[6:7], v[14:15], v[38:39], v[4:5] neg_lo:[0,0,1] neg_hi:[0,0,1]
	v_pk_fma_f32 v[4:5], v[14:15], v[38:39], v[4:5] op_sel_hi:[1,0,1]
	s_nop 0
	v_mov_b32_e32 v7, v5
	s_waitcnt vmcnt(0) lgkmcnt(0)
	v_pk_mul_f32 v[4:5], v[16:17], v[40:41] op_sel:[1,1] op_sel_hi:[0,1]
	v_pk_add_f32 v[2:3], v[2:3], v[6:7]
	v_pk_fma_f32 v[6:7], v[16:17], v[40:41], v[4:5] neg_lo:[0,0,1] neg_hi:[0,0,1]
	v_pk_fma_f32 v[4:5], v[16:17], v[40:41], v[4:5] op_sel_hi:[1,0,1]
	s_nop 0
	v_mov_b32_e32 v4, v43
	v_mov_b32_e32 v7, v5
	v_pk_mul_f32 v[4:5], v[18:19], v[4:5] op_sel:[1,0] op_sel_hi:[0,0]
	v_pk_add_f32 v[2:3], v[2:3], v[6:7]
	v_pk_fma_f32 v[6:7], v[18:19], v[42:43], v[4:5] neg_lo:[0,0,1] neg_hi:[0,0,1]
	v_pk_fma_f32 v[4:5], v[18:19], v[42:43], v[4:5] op_sel_hi:[1,0,1]
	s_nop 0
	v_mov_b32_e32 v7, v5
	scratch_load_dwordx2 v[4:5], off, off offset:320
	v_pk_add_f32 v[2:3], v[2:3], v[6:7]
	s_waitcnt vmcnt(0)
	v_pk_add_f32 v[2:3], v[4:5], v[2:3] neg_lo:[0,1] neg_hi:[0,1]
	scratch_store_dwordx2 off, v[2:3], off offset:320
	s_and_saveexec_b64 s[0:1], vcc
	s_cbranch_execz .LBB118_265
; %bb.264:
	scratch_load_dwordx2 v[2:3], off, off offset:312
	v_mov_b32_e32 v4, 0
	v_mov_b32_e32 v5, v4
	scratch_store_dwordx2 off, v[4:5], off offset:312
	s_waitcnt vmcnt(1)
	ds_write_b64 v1, v[2:3]
.LBB118_265:
	s_or_b64 exec, exec, s[0:1]
	v_mov_b32_e32 v2, 0
	s_waitcnt lgkmcnt(0)
	; wave barrier
	ds_read_b128 v[4:7], v2 offset:768
	ds_read_b128 v[8:11], v2 offset:784
	;; [unrolled: 1-line block ×4, first 2 shown]
	scratch_load_dwordx4 v[20:23], off, off offset:320
	v_cmp_lt_u32_e32 vcc, 38, v0
	s_waitcnt vmcnt(0) lgkmcnt(3)
	v_mul_f32_e32 v3, v4, v21
	v_fmac_f32_e32 v3, v5, v20
	v_mul_f32_e32 v24, v6, v23
	v_add_f32_e32 v3, 0, v3
	v_fmac_f32_e32 v24, v7, v22
	v_add_f32_e32 v3, v3, v24
	scratch_load_dwordx4 v[24:27], off, off offset:336
	s_waitcnt vmcnt(0) lgkmcnt(2)
	v_mul_f32_e32 v28, v8, v25
	v_fmac_f32_e32 v28, v9, v24
	v_add_f32_e32 v3, v3, v28
	v_mul_f32_e32 v28, v10, v27
	v_fmac_f32_e32 v28, v11, v26
	v_add_f32_e32 v3, v3, v28
	scratch_load_dwordx4 v[28:31], off, off offset:352
	s_waitcnt vmcnt(0) lgkmcnt(1)
	v_mul_f32_e32 v32, v12, v29
	v_fmac_f32_e32 v32, v13, v28
	v_add_f32_e32 v49, v3, v32
	scratch_load_dwordx4 v[32:35], off, off offset:368
	scratch_load_dwordx4 v[36:39], off, off offset:384
	;; [unrolled: 1-line block ×4, first 2 shown]
	scratch_load_dwordx2 v[54:55], off, off offset:432
	v_mul_f32_e32 v3, v5, v21
	v_fma_f32 v3, v4, v20, -v3
	v_mul_f32_e32 v4, v7, v23
	v_add_f32_e32 v3, 0, v3
	v_fma_f32 v4, v6, v22, -v4
	v_add_f32_e32 v3, v3, v4
	v_mul_f32_e32 v4, v9, v25
	v_fma_f32 v4, v8, v24, -v4
	v_add_f32_e32 v3, v3, v4
	v_mul_f32_e32 v4, v11, v27
	;; [unrolled: 3-line block ×3, first 2 shown]
	v_fma_f32 v4, v12, v28, -v4
	v_mul_f32_e32 v51, v14, v31
	v_add_f32_e32 v48, v3, v4
	v_mul_f32_e32 v3, v15, v31
	v_fmac_f32_e32 v51, v15, v30
	v_fma_f32 v50, v14, v30, -v3
	v_pk_add_f32 v[20:21], v[48:49], v[50:51]
	s_waitcnt vmcnt(4)
	v_mov_b32_e32 v22, v35
	s_waitcnt lgkmcnt(0)
	v_mul_f32_e32 v53, v16, v33
	v_mul_f32_e32 v3, v17, v33
	v_pk_mul_f32 v[22:23], v[18:19], v[22:23] op_sel:[1,0] op_sel_hi:[0,0]
	v_fmac_f32_e32 v53, v17, v32
	v_fma_f32 v52, v16, v32, -v3
	ds_read_b128 v[4:7], v2 offset:832
	ds_read_b128 v[8:11], v2 offset:848
	;; [unrolled: 1-line block ×3, first 2 shown]
	ds_read_b64 v[16:17], v2 offset:880
	v_pk_fma_f32 v[24:25], v[18:19], v[34:35], v[22:23] neg_lo:[0,0,1] neg_hi:[0,0,1]
	v_pk_fma_f32 v[18:19], v[18:19], v[34:35], v[22:23] op_sel_hi:[1,0,1]
	v_pk_add_f32 v[20:21], v[20:21], v[52:53]
	v_mov_b32_e32 v25, v19
	v_pk_add_f32 v[18:19], v[20:21], v[24:25]
	s_waitcnt vmcnt(3) lgkmcnt(3)
	v_pk_mul_f32 v[20:21], v[4:5], v[36:37] op_sel:[1,1] op_sel_hi:[0,1]
	v_pk_fma_f32 v[22:23], v[4:5], v[36:37], v[20:21] neg_lo:[0,0,1] neg_hi:[0,0,1]
	v_pk_fma_f32 v[4:5], v[4:5], v[36:37], v[20:21] op_sel_hi:[1,0,1]
	s_nop 0
	v_mov_b32_e32 v23, v5
	v_pk_add_f32 v[4:5], v[18:19], v[22:23]
	v_mov_b32_e32 v18, v39
	v_pk_mul_f32 v[18:19], v[6:7], v[18:19] op_sel:[1,0] op_sel_hi:[0,0]
	v_pk_fma_f32 v[20:21], v[6:7], v[38:39], v[18:19] neg_lo:[0,0,1] neg_hi:[0,0,1]
	v_pk_fma_f32 v[6:7], v[6:7], v[38:39], v[18:19] op_sel_hi:[1,0,1]
	s_nop 0
	v_mov_b32_e32 v21, v7
	s_waitcnt vmcnt(2) lgkmcnt(2)
	v_pk_mul_f32 v[6:7], v[8:9], v[40:41] op_sel:[1,1] op_sel_hi:[0,1]
	v_pk_fma_f32 v[18:19], v[8:9], v[40:41], v[6:7] neg_lo:[0,0,1] neg_hi:[0,0,1]
	v_pk_fma_f32 v[6:7], v[8:9], v[40:41], v[6:7] op_sel_hi:[1,0,1]
	v_pk_add_f32 v[4:5], v[4:5], v[20:21]
	v_mov_b32_e32 v6, v43
	v_mov_b32_e32 v19, v7
	v_pk_mul_f32 v[6:7], v[10:11], v[6:7] op_sel:[1,0] op_sel_hi:[0,0]
	v_pk_fma_f32 v[8:9], v[10:11], v[42:43], v[6:7] neg_lo:[0,0,1] neg_hi:[0,0,1]
	v_pk_fma_f32 v[6:7], v[10:11], v[42:43], v[6:7] op_sel_hi:[1,0,1]
	v_pk_add_f32 v[4:5], v[4:5], v[18:19]
	v_mov_b32_e32 v9, v7
	s_waitcnt vmcnt(1) lgkmcnt(1)
	v_pk_mul_f32 v[6:7], v[12:13], v[44:45] op_sel:[1,1] op_sel_hi:[0,1]
	v_pk_add_f32 v[4:5], v[4:5], v[8:9]
	v_pk_fma_f32 v[8:9], v[12:13], v[44:45], v[6:7] neg_lo:[0,0,1] neg_hi:[0,0,1]
	v_pk_fma_f32 v[6:7], v[12:13], v[44:45], v[6:7] op_sel_hi:[1,0,1]
	s_nop 0
	v_mov_b32_e32 v6, v47
	v_mov_b32_e32 v9, v7
	v_pk_mul_f32 v[6:7], v[14:15], v[6:7] op_sel:[1,0] op_sel_hi:[0,0]
	v_pk_add_f32 v[4:5], v[4:5], v[8:9]
	v_pk_fma_f32 v[8:9], v[14:15], v[46:47], v[6:7] neg_lo:[0,0,1] neg_hi:[0,0,1]
	v_pk_fma_f32 v[6:7], v[14:15], v[46:47], v[6:7] op_sel_hi:[1,0,1]
	s_nop 0
	v_mov_b32_e32 v9, v7
	s_waitcnt vmcnt(0) lgkmcnt(0)
	v_pk_mul_f32 v[6:7], v[16:17], v[54:55] op_sel:[1,1] op_sel_hi:[0,1]
	v_pk_add_f32 v[4:5], v[4:5], v[8:9]
	v_pk_fma_f32 v[8:9], v[16:17], v[54:55], v[6:7] neg_lo:[0,0,1] neg_hi:[0,0,1]
	v_pk_fma_f32 v[6:7], v[16:17], v[54:55], v[6:7] op_sel_hi:[1,0,1]
	s_nop 0
	v_mov_b32_e32 v9, v7
	scratch_load_dwordx2 v[6:7], off, off offset:312
	v_pk_add_f32 v[4:5], v[4:5], v[8:9]
	s_waitcnt vmcnt(0)
	v_pk_add_f32 v[4:5], v[6:7], v[4:5] neg_lo:[0,1] neg_hi:[0,1]
	scratch_store_dwordx2 off, v[4:5], off offset:312
	s_and_saveexec_b64 s[0:1], vcc
	s_cbranch_execz .LBB118_267
; %bb.266:
	scratch_load_dwordx2 v[4:5], off, off offset:304
	v_mov_b32_e32 v3, v2
	scratch_store_dwordx2 off, v[2:3], off offset:304
	s_waitcnt vmcnt(1)
	ds_write_b64 v1, v[4:5]
.LBB118_267:
	s_or_b64 exec, exec, s[0:1]
	s_waitcnt lgkmcnt(0)
	; wave barrier
	scratch_load_dwordx4 v[8:11], off, off offset:312
	scratch_load_dwordx4 v[16:19], off, off offset:328
	;; [unrolled: 1-line block ×4, first 2 shown]
	ds_read2_b64 v[4:7], v2 offset0:95 offset1:96
	v_cmp_lt_u32_e32 vcc, 37, v0
	s_waitcnt vmcnt(3) lgkmcnt(0)
	v_mul_f32_e32 v3, v4, v9
	v_fmac_f32_e32 v3, v5, v8
	v_mul_f32_e32 v12, v6, v11
	v_add_f32_e32 v3, 0, v3
	v_fmac_f32_e32 v12, v7, v10
	v_add_f32_e32 v3, v3, v12
	ds_read2_b64 v[12:15], v2 offset0:97 offset1:98
	s_waitcnt vmcnt(2) lgkmcnt(0)
	v_mul_f32_e32 v20, v12, v17
	v_fmac_f32_e32 v20, v13, v16
	v_add_f32_e32 v3, v3, v20
	v_mul_f32_e32 v20, v14, v19
	v_fmac_f32_e32 v20, v15, v18
	v_add_f32_e32 v3, v3, v20
	ds_read2_b64 v[20:23], v2 offset0:99 offset1:100
	s_waitcnt vmcnt(1) lgkmcnt(0)
	v_mul_f32_e32 v28, v20, v25
	v_fmac_f32_e32 v28, v21, v24
	v_add_f32_e32 v3, v3, v28
	v_mul_f32_e32 v28, v22, v27
	v_fmac_f32_e32 v28, v23, v26
	v_add_f32_e32 v53, v3, v28
	ds_read2_b64 v[28:31], v2 offset0:101 offset1:102
	scratch_load_dwordx4 v[36:39], off, off offset:376
	scratch_load_dwordx4 v[40:43], off, off offset:392
	;; [unrolled: 1-line block ×4, first 2 shown]
	v_mul_f32_e32 v3, v5, v9
	v_fma_f32 v3, v4, v8, -v3
	v_mul_f32_e32 v4, v7, v11
	v_add_f32_e32 v3, 0, v3
	v_fma_f32 v4, v6, v10, -v4
	v_add_f32_e32 v3, v3, v4
	v_mul_f32_e32 v4, v13, v17
	v_fma_f32 v4, v12, v16, -v4
	v_add_f32_e32 v3, v3, v4
	v_mul_f32_e32 v4, v15, v19
	v_fma_f32 v4, v14, v18, -v4
	v_add_f32_e32 v3, v3, v4
	v_mul_f32_e32 v4, v21, v25
	v_fma_f32 v4, v20, v24, -v4
	v_add_f32_e32 v3, v3, v4
	v_mul_f32_e32 v4, v23, v27
	v_fma_f32 v4, v22, v26, -v4
	v_add_f32_e32 v52, v3, v4
	ds_read2_b64 v[4:7], v2 offset0:103 offset1:104
	ds_read2_b64 v[8:11], v2 offset0:105 offset1:106
	;; [unrolled: 1-line block ×4, first 2 shown]
	s_waitcnt vmcnt(4) lgkmcnt(4)
	v_mul_f32_e32 v55, v28, v33
	v_mul_f32_e32 v3, v29, v33
	v_fmac_f32_e32 v55, v29, v32
	v_mul_f32_e32 v57, v30, v35
	v_fma_f32 v54, v28, v32, -v3
	v_mul_f32_e32 v3, v31, v35
	v_fmac_f32_e32 v57, v31, v34
	v_fma_f32 v56, v30, v34, -v3
	v_pk_add_f32 v[2:3], v[52:53], v[54:55]
	s_waitcnt vmcnt(3) lgkmcnt(3)
	v_pk_mul_f32 v[20:21], v[4:5], v[36:37] op_sel:[1,1] op_sel_hi:[0,1]
	v_pk_fma_f32 v[22:23], v[4:5], v[36:37], v[20:21] neg_lo:[0,0,1] neg_hi:[0,0,1]
	v_pk_fma_f32 v[4:5], v[4:5], v[36:37], v[20:21] op_sel_hi:[1,0,1]
	v_pk_add_f32 v[2:3], v[2:3], v[56:57]
	v_mov_b32_e32 v4, v39
	v_mov_b32_e32 v23, v5
	v_pk_mul_f32 v[4:5], v[6:7], v[4:5] op_sel:[1,0] op_sel_hi:[0,0]
	v_pk_fma_f32 v[20:21], v[6:7], v[38:39], v[4:5] neg_lo:[0,0,1] neg_hi:[0,0,1]
	v_pk_fma_f32 v[4:5], v[6:7], v[38:39], v[4:5] op_sel_hi:[1,0,1]
	v_pk_add_f32 v[2:3], v[2:3], v[22:23]
	v_mov_b32_e32 v21, v5
	s_waitcnt vmcnt(2) lgkmcnt(2)
	v_pk_mul_f32 v[4:5], v[8:9], v[40:41] op_sel:[1,1] op_sel_hi:[0,1]
	v_pk_fma_f32 v[6:7], v[8:9], v[40:41], v[4:5] neg_lo:[0,0,1] neg_hi:[0,0,1]
	v_pk_fma_f32 v[4:5], v[8:9], v[40:41], v[4:5] op_sel_hi:[1,0,1]
	v_pk_add_f32 v[2:3], v[2:3], v[20:21]
	v_mov_b32_e32 v4, v43
	v_mov_b32_e32 v7, v5
	v_pk_mul_f32 v[4:5], v[10:11], v[4:5] op_sel:[1,0] op_sel_hi:[0,0]
	v_pk_add_f32 v[2:3], v[2:3], v[6:7]
	v_pk_fma_f32 v[6:7], v[10:11], v[42:43], v[4:5] neg_lo:[0,0,1] neg_hi:[0,0,1]
	v_pk_fma_f32 v[4:5], v[10:11], v[42:43], v[4:5] op_sel_hi:[1,0,1]
	s_nop 0
	v_mov_b32_e32 v7, v5
	s_waitcnt vmcnt(1) lgkmcnt(1)
	v_pk_mul_f32 v[4:5], v[12:13], v[44:45] op_sel:[1,1] op_sel_hi:[0,1]
	v_pk_add_f32 v[2:3], v[2:3], v[6:7]
	v_pk_fma_f32 v[6:7], v[12:13], v[44:45], v[4:5] neg_lo:[0,0,1] neg_hi:[0,0,1]
	v_pk_fma_f32 v[4:5], v[12:13], v[44:45], v[4:5] op_sel_hi:[1,0,1]
	s_nop 0
	v_mov_b32_e32 v4, v47
	v_mov_b32_e32 v7, v5
	v_pk_mul_f32 v[4:5], v[14:15], v[4:5] op_sel:[1,0] op_sel_hi:[0,0]
	v_pk_add_f32 v[2:3], v[2:3], v[6:7]
	v_pk_fma_f32 v[6:7], v[14:15], v[46:47], v[4:5] neg_lo:[0,0,1] neg_hi:[0,0,1]
	v_pk_fma_f32 v[4:5], v[14:15], v[46:47], v[4:5] op_sel_hi:[1,0,1]
	s_nop 0
	v_mov_b32_e32 v7, v5
	s_waitcnt vmcnt(0) lgkmcnt(0)
	v_pk_mul_f32 v[4:5], v[16:17], v[48:49] op_sel:[1,1] op_sel_hi:[0,1]
	v_pk_add_f32 v[2:3], v[2:3], v[6:7]
	v_pk_fma_f32 v[6:7], v[16:17], v[48:49], v[4:5] neg_lo:[0,0,1] neg_hi:[0,0,1]
	v_pk_fma_f32 v[4:5], v[16:17], v[48:49], v[4:5] op_sel_hi:[1,0,1]
	s_nop 0
	v_mov_b32_e32 v4, v51
	v_mov_b32_e32 v7, v5
	v_pk_mul_f32 v[4:5], v[18:19], v[4:5] op_sel:[1,0] op_sel_hi:[0,0]
	v_pk_add_f32 v[2:3], v[2:3], v[6:7]
	v_pk_fma_f32 v[6:7], v[18:19], v[50:51], v[4:5] neg_lo:[0,0,1] neg_hi:[0,0,1]
	v_pk_fma_f32 v[4:5], v[18:19], v[50:51], v[4:5] op_sel_hi:[1,0,1]
	s_nop 0
	v_mov_b32_e32 v7, v5
	scratch_load_dwordx2 v[4:5], off, off offset:304
	v_pk_add_f32 v[2:3], v[2:3], v[6:7]
	s_waitcnt vmcnt(0)
	v_pk_add_f32 v[2:3], v[4:5], v[2:3] neg_lo:[0,1] neg_hi:[0,1]
	scratch_store_dwordx2 off, v[2:3], off offset:304
	s_and_saveexec_b64 s[0:1], vcc
	s_cbranch_execz .LBB118_269
; %bb.268:
	scratch_load_dwordx2 v[2:3], off, off offset:296
	v_mov_b32_e32 v4, 0
	v_mov_b32_e32 v5, v4
	scratch_store_dwordx2 off, v[4:5], off offset:296
	s_waitcnt vmcnt(1)
	ds_write_b64 v1, v[2:3]
.LBB118_269:
	s_or_b64 exec, exec, s[0:1]
	s_waitcnt lgkmcnt(0)
	; wave barrier
	scratch_load_dwordx4 v[4:7], off, off offset:304
	scratch_load_dwordx4 v[8:11], off, off offset:320
	;; [unrolled: 1-line block ×8, first 2 shown]
	scratch_load_dwordx2 v[68:69], off, off offset:432
	scratch_load_dwordx2 v[70:71], off, off offset:296
	v_mov_b32_e32 v2, 0
	ds_read_b128 v[36:39], v2 offset:752
	ds_read_b128 v[40:43], v2 offset:768
	;; [unrolled: 1-line block ×8, first 2 shown]
	ds_read_b64 v[72:73], v2 offset:880
	v_cmp_lt_u32_e32 vcc, 36, v0
	s_waitcnt vmcnt(9) lgkmcnt(8)
	v_mul_f32_e32 v79, v38, v7
	v_mul_f32_e32 v3, v36, v5
	s_waitcnt vmcnt(8) lgkmcnt(7)
	v_mul_f32_e32 v83, v40, v9
	s_waitcnt vmcnt(7) lgkmcnt(6)
	v_mul_f32_e32 v87, v44, v13
	v_mul_f32_e32 v5, v37, v5
	;; [unrolled: 1-line block ×5, first 2 shown]
	s_waitcnt vmcnt(5)
	v_mov_b32_e32 v78, v23
	s_waitcnt vmcnt(3) lgkmcnt(2)
	v_pk_mul_f32 v[84:85], v[60:61], v[28:29] op_sel:[1,1] op_sel_hi:[0,1]
	v_fmac_f32_e32 v79, v39, v6
	v_mul_f32_e32 v86, v42, v11
	v_mul_f32_e32 v89, v48, v17
	;; [unrolled: 1-line block ×4, first 2 shown]
	v_fmac_f32_e32 v3, v37, v4
	v_fmac_f32_e32 v87, v45, v12
	v_fma_f32 v36, v36, v4, -v5
	v_fma_f32 v37, v38, v6, -v7
	;; [unrolled: 1-line block ×4, first 2 shown]
	v_pk_mul_f32 v[4:5], v[54:55], v[78:79] op_sel:[1,0] op_sel_hi:[0,0]
	v_pk_fma_f32 v[12:13], v[60:61], v[28:29], v[84:85] neg_lo:[0,0,1] neg_hi:[0,0,1]
	v_fmac_f32_e32 v89, v49, v16
	v_fma_f32 v39, v42, v10, -v11
	v_fma_f32 v42, v48, v16, -v17
	v_add_f32_e32 v3, 0, v3
	v_add_f32_e32 v13, 0, v36
	v_pk_fma_f32 v[16:17], v[54:55], v[22:23], v[4:5] neg_lo:[0,0,1] neg_hi:[0,0,1]
	v_pk_fma_f32 v[4:5], v[54:55], v[22:23], v[4:5] op_sel_hi:[1,0,1]
	v_fmac_f32_e32 v83, v41, v8
	v_add_f32_e32 v3, v3, v79
	v_add_f32_e32 v4, v13, v37
	v_fmac_f32_e32 v86, v43, v10
	v_add_f32_e32 v3, v3, v83
	v_add_f32_e32 v4, v4, v38
	v_mul_f32_e32 v88, v46, v15
	v_mul_f32_e32 v15, v47, v15
	v_add_f32_e32 v3, v3, v86
	v_add_f32_e32 v4, v4, v39
	v_fmac_f32_e32 v88, v47, v14
	v_fma_f32 v41, v46, v14, -v15
	v_add_f32_e32 v3, v3, v87
	v_add_f32_e32 v4, v4, v40
	v_mul_f32_e32 v75, v50, v19
	v_mul_f32_e32 v19, v51, v19
	v_add_f32_e32 v3, v3, v88
	v_add_f32_e32 v4, v4, v41
	v_mul_f32_e32 v77, v52, v21
	v_mul_f32_e32 v21, v53, v21
	v_fmac_f32_e32 v75, v51, v18
	v_fma_f32 v74, v50, v18, -v19
	v_mov_b32_e32 v17, v5
	v_add_f32_e32 v5, v3, v89
	v_add_f32_e32 v4, v4, v42
	v_pk_mul_f32 v[80:81], v[56:57], v[24:25] op_sel:[1,1] op_sel_hi:[0,1]
	v_fmac_f32_e32 v77, v53, v20
	v_fma_f32 v76, v52, v20, -v21
	v_pk_add_f32 v[4:5], v[4:5], v[74:75]
	v_mov_b32_e32 v82, v27
	v_pk_fma_f32 v[6:7], v[56:57], v[24:25], v[80:81] neg_lo:[0,0,1] neg_hi:[0,0,1]
	v_pk_fma_f32 v[8:9], v[56:57], v[24:25], v[80:81] op_sel_hi:[1,0,1]
	v_pk_add_f32 v[4:5], v[4:5], v[76:77]
	v_pk_mul_f32 v[10:11], v[58:59], v[82:83] op_sel:[1,0] op_sel_hi:[0,0]
	v_mov_b32_e32 v7, v9
	v_pk_add_f32 v[4:5], v[4:5], v[16:17]
	v_pk_fma_f32 v[8:9], v[58:59], v[26:27], v[10:11] neg_lo:[0,0,1] neg_hi:[0,0,1]
	v_pk_fma_f32 v[10:11], v[58:59], v[26:27], v[10:11] op_sel_hi:[1,0,1]
	v_pk_add_f32 v[4:5], v[4:5], v[6:7]
	v_mov_b32_e32 v6, v31
	v_pk_fma_f32 v[14:15], v[60:61], v[28:29], v[84:85] op_sel_hi:[1,0,1]
	v_mov_b32_e32 v9, v11
	v_pk_mul_f32 v[6:7], v[62:63], v[6:7] op_sel:[1,0] op_sel_hi:[0,0]
	v_pk_add_f32 v[4:5], v[4:5], v[8:9]
	v_mov_b32_e32 v13, v15
	v_pk_fma_f32 v[8:9], v[62:63], v[30:31], v[6:7] neg_lo:[0,0,1] neg_hi:[0,0,1]
	v_pk_fma_f32 v[6:7], v[62:63], v[30:31], v[6:7] op_sel_hi:[1,0,1]
	v_pk_add_f32 v[4:5], v[4:5], v[12:13]
	v_mov_b32_e32 v9, v7
	s_waitcnt vmcnt(2) lgkmcnt(1)
	v_pk_mul_f32 v[6:7], v[64:65], v[32:33] op_sel:[1,1] op_sel_hi:[0,1]
	v_pk_add_f32 v[4:5], v[4:5], v[8:9]
	v_pk_fma_f32 v[8:9], v[64:65], v[32:33], v[6:7] neg_lo:[0,0,1] neg_hi:[0,0,1]
	v_pk_fma_f32 v[6:7], v[64:65], v[32:33], v[6:7] op_sel_hi:[1,0,1]
	s_nop 0
	v_mov_b32_e32 v6, v35
	v_mov_b32_e32 v9, v7
	v_pk_mul_f32 v[6:7], v[66:67], v[6:7] op_sel:[1,0] op_sel_hi:[0,0]
	v_pk_add_f32 v[4:5], v[4:5], v[8:9]
	v_pk_fma_f32 v[8:9], v[66:67], v[34:35], v[6:7] neg_lo:[0,0,1] neg_hi:[0,0,1]
	v_pk_fma_f32 v[6:7], v[66:67], v[34:35], v[6:7] op_sel_hi:[1,0,1]
	s_nop 0
	v_mov_b32_e32 v9, v7
	s_waitcnt vmcnt(1) lgkmcnt(0)
	v_pk_mul_f32 v[6:7], v[72:73], v[68:69] op_sel:[1,1] op_sel_hi:[0,1]
	v_pk_add_f32 v[4:5], v[4:5], v[8:9]
	v_pk_fma_f32 v[8:9], v[72:73], v[68:69], v[6:7] neg_lo:[0,0,1] neg_hi:[0,0,1]
	v_pk_fma_f32 v[6:7], v[72:73], v[68:69], v[6:7] op_sel_hi:[1,0,1]
	s_nop 0
	v_mov_b32_e32 v9, v7
	v_pk_add_f32 v[4:5], v[4:5], v[8:9]
	s_waitcnt vmcnt(0)
	v_pk_add_f32 v[4:5], v[70:71], v[4:5] neg_lo:[0,1] neg_hi:[0,1]
	scratch_store_dwordx2 off, v[4:5], off offset:296
	s_and_saveexec_b64 s[0:1], vcc
	s_cbranch_execz .LBB118_271
; %bb.270:
	scratch_load_dwordx2 v[4:5], off, off offset:288
	v_mov_b32_e32 v3, v2
	scratch_store_dwordx2 off, v[2:3], off offset:288
	s_waitcnt vmcnt(1)
	ds_write_b64 v1, v[4:5]
.LBB118_271:
	s_or_b64 exec, exec, s[0:1]
	s_waitcnt lgkmcnt(0)
	; wave barrier
	scratch_load_dwordx4 v[4:7], off, off offset:296
	scratch_load_dwordx4 v[8:11], off, off offset:312
	;; [unrolled: 1-line block ×7, first 2 shown]
	ds_read2_b64 v[32:35], v2 offset0:93 offset1:94
	ds_read2_b64 v[36:39], v2 offset0:95 offset1:96
	;; [unrolled: 1-line block ×4, first 2 shown]
	scratch_load_dwordx4 v[48:51], off, off offset:408
	scratch_load_dwordx4 v[52:55], off, off offset:424
	ds_read2_b64 v[56:59], v2 offset0:101 offset1:102
	ds_read2_b64 v[60:63], v2 offset0:103 offset1:104
	;; [unrolled: 1-line block ×5, first 2 shown]
	scratch_load_dwordx2 v[2:3], off, off offset:288
	v_cmp_lt_u32_e32 vcc, 35, v0
	s_waitcnt vmcnt(9) lgkmcnt(8)
	v_mul_f32_e32 v83, v32, v5
	v_mul_f32_e32 v86, v34, v7
	s_waitcnt vmcnt(8) lgkmcnt(7)
	v_mul_f32_e32 v87, v36, v9
	s_waitcnt vmcnt(7) lgkmcnt(6)
	v_mul_f32_e32 v89, v40, v13
	v_mul_f32_e32 v5, v33, v5
	;; [unrolled: 1-line block ×5, first 2 shown]
	s_waitcnt vmcnt(4) lgkmcnt(3)
	v_pk_mul_f32 v[80:81], v[60:61], v[24:25] op_sel:[1,1] op_sel_hi:[0,1]
	v_mov_b32_e32 v82, v27
	s_waitcnt vmcnt(3) lgkmcnt(2)
	v_pk_mul_f32 v[84:85], v[64:65], v[28:29] op_sel:[1,1] op_sel_hi:[0,1]
	v_fmac_f32_e32 v83, v33, v4
	v_mul_f32_e32 v90, v42, v15
	v_mul_f32_e32 v91, v44, v17
	;; [unrolled: 1-line block ×4, first 2 shown]
	v_fmac_f32_e32 v86, v35, v6
	v_fmac_f32_e32 v87, v37, v8
	;; [unrolled: 1-line block ×3, first 2 shown]
	v_fma_f32 v32, v32, v4, -v5
	v_fma_f32 v33, v34, v6, -v7
	;; [unrolled: 1-line block ×4, first 2 shown]
	v_pk_fma_f32 v[4:5], v[60:61], v[24:25], v[80:81] neg_lo:[0,0,1] neg_hi:[0,0,1]
	v_pk_fma_f32 v[6:7], v[60:61], v[24:25], v[80:81] op_sel_hi:[1,0,1]
	v_pk_mul_f32 v[8:9], v[62:63], v[82:83] op_sel:[1,0] op_sel_hi:[0,0]
	v_pk_fma_f32 v[12:13], v[64:65], v[28:29], v[84:85] op_sel_hi:[1,0,1]
	v_fmac_f32_e32 v90, v43, v14
	v_fma_f32 v14, v42, v14, -v15
	v_fma_f32 v15, v44, v16, -v17
	v_add_f32_e32 v12, 0, v83
	v_add_f32_e32 v17, 0, v32
	v_mov_b32_e32 v5, v7
	v_pk_fma_f32 v[6:7], v[62:63], v[26:27], v[8:9] neg_lo:[0,0,1] neg_hi:[0,0,1]
	v_pk_fma_f32 v[8:9], v[62:63], v[26:27], v[8:9] op_sel_hi:[1,0,1]
	v_mul_f32_e32 v88, v38, v11
	v_mul_f32_e32 v11, v39, v11
	v_add_f32_e32 v8, v12, v86
	v_add_f32_e32 v12, v17, v33
	v_fmac_f32_e32 v88, v39, v10
	v_fma_f32 v35, v38, v10, -v11
	v_mov_b32_e32 v7, v9
	v_add_f32_e32 v8, v8, v87
	v_add_f32_e32 v9, v12, v34
	;; [unrolled: 1-line block ×6, first 2 shown]
	v_mul_f32_e32 v92, v46, v19
	v_mul_f32_e32 v19, v47, v19
	v_fmac_f32_e32 v91, v45, v16
	v_add_f32_e32 v8, v8, v90
	v_add_f32_e32 v9, v9, v14
	v_mul_f32_e32 v77, v56, v21
	v_mul_f32_e32 v21, v57, v21
	v_fmac_f32_e32 v92, v47, v18
	v_fma_f32 v16, v46, v18, -v19
	v_add_f32_e32 v8, v8, v91
	v_add_f32_e32 v12, v9, v15
	v_mul_f32_e32 v79, v58, v23
	v_mul_f32_e32 v23, v59, v23
	v_fmac_f32_e32 v77, v57, v20
	v_fma_f32 v76, v56, v20, -v21
	v_add_f32_e32 v9, v8, v92
	v_add_f32_e32 v8, v12, v16
	v_fmac_f32_e32 v79, v59, v22
	v_fma_f32 v78, v58, v22, -v23
	v_pk_add_f32 v[8:9], v[8:9], v[76:77]
	v_pk_fma_f32 v[10:11], v[64:65], v[28:29], v[84:85] neg_lo:[0,0,1] neg_hi:[0,0,1]
	v_pk_add_f32 v[8:9], v[8:9], v[78:79]
	v_mov_b32_e32 v11, v13
	v_pk_add_f32 v[4:5], v[8:9], v[4:5]
	s_nop 0
	v_pk_add_f32 v[4:5], v[4:5], v[6:7]
	v_mov_b32_e32 v6, v31
	v_pk_mul_f32 v[6:7], v[66:67], v[6:7] op_sel:[1,0] op_sel_hi:[0,0]
	v_pk_fma_f32 v[8:9], v[66:67], v[30:31], v[6:7] neg_lo:[0,0,1] neg_hi:[0,0,1]
	v_pk_fma_f32 v[6:7], v[66:67], v[30:31], v[6:7] op_sel_hi:[1,0,1]
	v_pk_add_f32 v[4:5], v[4:5], v[10:11]
	v_mov_b32_e32 v9, v7
	s_waitcnt vmcnt(2) lgkmcnt(1)
	v_pk_mul_f32 v[6:7], v[68:69], v[48:49] op_sel:[1,1] op_sel_hi:[0,1]
	v_pk_add_f32 v[4:5], v[4:5], v[8:9]
	v_pk_fma_f32 v[8:9], v[68:69], v[48:49], v[6:7] neg_lo:[0,0,1] neg_hi:[0,0,1]
	v_pk_fma_f32 v[6:7], v[68:69], v[48:49], v[6:7] op_sel_hi:[1,0,1]
	s_nop 0
	v_mov_b32_e32 v6, v51
	v_mov_b32_e32 v9, v7
	v_pk_mul_f32 v[6:7], v[70:71], v[6:7] op_sel:[1,0] op_sel_hi:[0,0]
	v_pk_add_f32 v[4:5], v[4:5], v[8:9]
	v_pk_fma_f32 v[8:9], v[70:71], v[50:51], v[6:7] neg_lo:[0,0,1] neg_hi:[0,0,1]
	v_pk_fma_f32 v[6:7], v[70:71], v[50:51], v[6:7] op_sel_hi:[1,0,1]
	s_nop 0
	v_mov_b32_e32 v9, v7
	s_waitcnt vmcnt(1) lgkmcnt(0)
	v_pk_mul_f32 v[6:7], v[72:73], v[52:53] op_sel:[1,1] op_sel_hi:[0,1]
	v_pk_add_f32 v[4:5], v[4:5], v[8:9]
	v_pk_fma_f32 v[8:9], v[72:73], v[52:53], v[6:7] neg_lo:[0,0,1] neg_hi:[0,0,1]
	v_pk_fma_f32 v[6:7], v[72:73], v[52:53], v[6:7] op_sel_hi:[1,0,1]
	s_nop 0
	v_mov_b32_e32 v6, v55
	v_mov_b32_e32 v9, v7
	v_pk_mul_f32 v[6:7], v[74:75], v[6:7] op_sel:[1,0] op_sel_hi:[0,0]
	v_pk_add_f32 v[4:5], v[4:5], v[8:9]
	v_pk_fma_f32 v[8:9], v[74:75], v[54:55], v[6:7] neg_lo:[0,0,1] neg_hi:[0,0,1]
	v_pk_fma_f32 v[6:7], v[74:75], v[54:55], v[6:7] op_sel_hi:[1,0,1]
	s_nop 0
	v_mov_b32_e32 v9, v7
	v_pk_add_f32 v[4:5], v[4:5], v[8:9]
	s_waitcnt vmcnt(0)
	v_pk_add_f32 v[2:3], v[2:3], v[4:5] neg_lo:[0,1] neg_hi:[0,1]
	scratch_store_dwordx2 off, v[2:3], off offset:288
	s_and_saveexec_b64 s[0:1], vcc
	s_cbranch_execz .LBB118_273
; %bb.272:
	scratch_load_dwordx2 v[2:3], off, off offset:280
	v_mov_b32_e32 v4, 0
	v_mov_b32_e32 v5, v4
	scratch_store_dwordx2 off, v[4:5], off offset:280
	s_waitcnt vmcnt(1)
	ds_write_b64 v1, v[2:3]
.LBB118_273:
	s_or_b64 exec, exec, s[0:1]
	s_waitcnt lgkmcnt(0)
	; wave barrier
	scratch_load_dwordx4 v[4:7], off, off offset:288
	scratch_load_dwordx4 v[8:11], off, off offset:304
	;; [unrolled: 1-line block ×9, first 2 shown]
	scratch_load_dwordx2 v[76:77], off, off offset:432
	scratch_load_dwordx2 v[78:79], off, off offset:280
	v_mov_b32_e32 v2, 0
	ds_read_b128 v[40:43], v2 offset:736
	ds_read_b128 v[44:47], v2 offset:752
	;; [unrolled: 1-line block ×9, first 2 shown]
	ds_read_b64 v[80:81], v2 offset:880
	v_cmp_lt_u32_e32 vcc, 34, v0
	s_waitcnt vmcnt(10) lgkmcnt(9)
	v_mul_f32_e32 v87, v42, v7
	v_mul_f32_e32 v3, v40, v5
	;; [unrolled: 1-line block ×3, first 2 shown]
	v_fmac_f32_e32 v87, v43, v6
	s_waitcnt vmcnt(9) lgkmcnt(8)
	v_mul_f32_e32 v88, v44, v9
	s_waitcnt vmcnt(5)
	v_mov_b32_e32 v86, v27
	v_mul_f32_e32 v89, v46, v11
	s_waitcnt lgkmcnt(7)
	v_mul_f32_e32 v91, v50, v15
	v_mul_f32_e32 v7, v43, v7
	;; [unrolled: 1-line block ×5, first 2 shown]
	v_fmac_f32_e32 v3, v41, v4
	v_fma_f32 v40, v40, v4, -v5
	s_waitcnt lgkmcnt(4)
	v_pk_mul_f32 v[4:5], v[62:63], v[86:87] op_sel:[1,0] op_sel_hi:[0,0]
	v_fmac_f32_e32 v88, v45, v8
	v_fma_f32 v41, v42, v6, -v7
	v_fma_f32 v8, v44, v8, -v9
	v_fma_f32 v9, v46, v10, -v11
	v_fma_f32 v11, v50, v14, -v15
	v_add_f32_e32 v3, 0, v3
	v_add_f32_e32 v15, 0, v40
	v_pk_fma_f32 v[6:7], v[62:63], v[26:27], v[4:5] neg_lo:[0,0,1] neg_hi:[0,0,1]
	v_pk_fma_f32 v[4:5], v[62:63], v[26:27], v[4:5] op_sel_hi:[1,0,1]
	v_add_f32_e32 v3, v3, v87
	v_add_f32_e32 v4, v15, v41
	v_mul_f32_e32 v90, v48, v13
	v_mul_f32_e32 v13, v49, v13
	v_fmac_f32_e32 v89, v47, v10
	v_add_f32_e32 v3, v3, v88
	v_add_f32_e32 v4, v4, v8
	v_fmac_f32_e32 v90, v49, v12
	v_fma_f32 v10, v48, v12, -v13
	v_add_f32_e32 v3, v3, v89
	v_add_f32_e32 v4, v4, v9
	v_mul_f32_e32 v92, v52, v17
	v_mul_f32_e32 v17, v53, v17
	v_fmac_f32_e32 v91, v51, v14
	v_add_f32_e32 v3, v3, v90
	v_add_f32_e32 v4, v4, v10
	v_mul_f32_e32 v93, v54, v19
	v_mul_f32_e32 v19, v55, v19
	v_fmac_f32_e32 v92, v53, v16
	v_fma_f32 v12, v52, v16, -v17
	v_add_f32_e32 v3, v3, v91
	v_add_f32_e32 v4, v4, v11
	v_mul_f32_e32 v94, v56, v21
	v_mul_f32_e32 v21, v57, v21
	v_fmac_f32_e32 v93, v55, v18
	v_fma_f32 v13, v54, v18, -v19
	;; [unrolled: 6-line block ×4, first 2 shown]
	v_mov_b32_e32 v7, v5
	v_add_f32_e32 v5, v3, v94
	v_add_f32_e32 v4, v4, v14
	v_fmac_f32_e32 v85, v61, v24
	v_fma_f32 v84, v60, v24, -v25
	v_pk_add_f32 v[4:5], v[4:5], v[82:83]
	s_nop 0
	v_pk_add_f32 v[4:5], v[4:5], v[84:85]
	s_nop 0
	v_pk_add_f32 v[4:5], v[4:5], v[6:7]
	s_waitcnt vmcnt(4) lgkmcnt(3)
	v_pk_mul_f32 v[6:7], v[64:65], v[28:29] op_sel:[1,1] op_sel_hi:[0,1]
	v_pk_fma_f32 v[8:9], v[64:65], v[28:29], v[6:7] neg_lo:[0,0,1] neg_hi:[0,0,1]
	v_pk_fma_f32 v[6:7], v[64:65], v[28:29], v[6:7] op_sel_hi:[1,0,1]
	s_nop 0
	v_mov_b32_e32 v6, v31
	v_mov_b32_e32 v9, v7
	v_pk_mul_f32 v[6:7], v[66:67], v[6:7] op_sel:[1,0] op_sel_hi:[0,0]
	v_pk_add_f32 v[4:5], v[4:5], v[8:9]
	v_pk_fma_f32 v[8:9], v[66:67], v[30:31], v[6:7] neg_lo:[0,0,1] neg_hi:[0,0,1]
	v_pk_fma_f32 v[6:7], v[66:67], v[30:31], v[6:7] op_sel_hi:[1,0,1]
	s_nop 0
	v_mov_b32_e32 v9, v7
	s_waitcnt vmcnt(3) lgkmcnt(2)
	v_pk_mul_f32 v[6:7], v[68:69], v[32:33] op_sel:[1,1] op_sel_hi:[0,1]
	v_pk_add_f32 v[4:5], v[4:5], v[8:9]
	v_pk_fma_f32 v[8:9], v[68:69], v[32:33], v[6:7] neg_lo:[0,0,1] neg_hi:[0,0,1]
	v_pk_fma_f32 v[6:7], v[68:69], v[32:33], v[6:7] op_sel_hi:[1,0,1]
	s_nop 0
	v_mov_b32_e32 v6, v35
	v_mov_b32_e32 v9, v7
	v_pk_mul_f32 v[6:7], v[70:71], v[6:7] op_sel:[1,0] op_sel_hi:[0,0]
	v_pk_add_f32 v[4:5], v[4:5], v[8:9]
	v_pk_fma_f32 v[8:9], v[70:71], v[34:35], v[6:7] neg_lo:[0,0,1] neg_hi:[0,0,1]
	v_pk_fma_f32 v[6:7], v[70:71], v[34:35], v[6:7] op_sel_hi:[1,0,1]
	s_nop 0
	v_mov_b32_e32 v9, v7
	s_waitcnt vmcnt(2) lgkmcnt(1)
	v_pk_mul_f32 v[6:7], v[72:73], v[36:37] op_sel:[1,1] op_sel_hi:[0,1]
	v_pk_add_f32 v[4:5], v[4:5], v[8:9]
	;; [unrolled: 14-line block ×3, first 2 shown]
	v_pk_fma_f32 v[8:9], v[80:81], v[76:77], v[6:7] neg_lo:[0,0,1] neg_hi:[0,0,1]
	v_pk_fma_f32 v[6:7], v[80:81], v[76:77], v[6:7] op_sel_hi:[1,0,1]
	s_nop 0
	v_mov_b32_e32 v9, v7
	v_pk_add_f32 v[4:5], v[4:5], v[8:9]
	s_waitcnt vmcnt(0)
	v_pk_add_f32 v[4:5], v[78:79], v[4:5] neg_lo:[0,1] neg_hi:[0,1]
	scratch_store_dwordx2 off, v[4:5], off offset:280
	s_and_saveexec_b64 s[0:1], vcc
	s_cbranch_execz .LBB118_275
; %bb.274:
	scratch_load_dwordx2 v[4:5], off, off offset:272
	v_mov_b32_e32 v3, v2
	scratch_store_dwordx2 off, v[2:3], off offset:272
	s_waitcnt vmcnt(1)
	ds_write_b64 v1, v[4:5]
.LBB118_275:
	s_or_b64 exec, exec, s[0:1]
	s_waitcnt lgkmcnt(0)
	; wave barrier
	scratch_load_dwordx4 v[4:7], off, off offset:280
	scratch_load_dwordx4 v[8:11], off, off offset:296
	;; [unrolled: 1-line block ×7, first 2 shown]
	ds_read2_b64 v[32:35], v2 offset0:91 offset1:92
	ds_read2_b64 v[36:39], v2 offset0:93 offset1:94
	ds_read2_b64 v[40:43], v2 offset0:95 offset1:96
	ds_read2_b64 v[44:47], v2 offset0:97 offset1:98
	ds_read2_b64 v[48:51], v2 offset0:99 offset1:100
	ds_read2_b64 v[52:55], v2 offset0:101 offset1:102
	scratch_load_dwordx4 v[56:59], off, off offset:392
	scratch_load_dwordx4 v[60:63], off, off offset:408
	scratch_load_dwordx4 v[64:67], off, off offset:424
	ds_read2_b64 v[68:71], v2 offset0:103 offset1:104
	ds_read2_b64 v[72:75], v2 offset0:105 offset1:106
	;; [unrolled: 1-line block ×4, first 2 shown]
	scratch_load_dwordx2 v[2:3], off, off offset:272
	v_cmp_lt_u32_e32 vcc, 33, v0
	s_waitcnt vmcnt(10) lgkmcnt(9)
	v_mul_f32_e32 v90, v32, v5
	v_mul_f32_e32 v5, v33, v5
	;; [unrolled: 1-line block ×3, first 2 shown]
	s_waitcnt vmcnt(9) lgkmcnt(8)
	v_mul_f32_e32 v92, v36, v9
	s_waitcnt vmcnt(8) lgkmcnt(7)
	v_mul_f32_e32 v95, v42, v15
	v_mul_f32_e32 v7, v35, v7
	;; [unrolled: 1-line block ×4, first 2 shown]
	v_fmac_f32_e32 v90, v33, v4
	v_fma_f32 v4, v32, v4, -v5
	v_fmac_f32_e32 v91, v35, v6
	v_fmac_f32_e32 v95, v43, v14
	v_fma_f32 v5, v34, v6, -v7
	v_fma_f32 v6, v36, v8, -v9
	;; [unrolled: 1-line block ×3, first 2 shown]
	v_add_f32_e32 v14, 0, v90
	v_add_f32_e32 v4, 0, v4
	v_mul_f32_e32 v93, v38, v11
	v_mul_f32_e32 v11, v39, v11
	v_fmac_f32_e32 v92, v37, v8
	v_add_f32_e32 v14, v14, v91
	v_add_f32_e32 v4, v4, v5
	v_mul_f32_e32 v94, v40, v13
	v_mul_f32_e32 v13, v41, v13
	v_fmac_f32_e32 v93, v39, v10
	v_fma_f32 v7, v38, v10, -v11
	v_add_f32_e32 v5, v14, v92
	v_add_f32_e32 v4, v4, v6
	v_fmac_f32_e32 v94, v41, v12
	v_fma_f32 v8, v40, v12, -v13
	v_add_f32_e32 v5, v5, v93
	v_add_f32_e32 v4, v4, v7
	s_waitcnt vmcnt(7) lgkmcnt(6)
	v_mul_f32_e32 v96, v44, v17
	v_mul_f32_e32 v17, v45, v17
	v_add_f32_e32 v5, v5, v94
	v_add_f32_e32 v4, v4, v8
	v_mul_f32_e32 v97, v46, v19
	v_mul_f32_e32 v19, v47, v19
	v_fmac_f32_e32 v96, v45, v16
	v_fma_f32 v10, v44, v16, -v17
	v_add_f32_e32 v5, v5, v95
	v_add_f32_e32 v4, v4, v9
	s_waitcnt vmcnt(6) lgkmcnt(5)
	v_mul_f32_e32 v98, v48, v21
	v_mul_f32_e32 v21, v49, v21
	v_fmac_f32_e32 v97, v47, v18
	v_fma_f32 v11, v46, v18, -v19
	v_add_f32_e32 v5, v5, v96
	v_add_f32_e32 v4, v4, v10
	v_mul_f32_e32 v99, v50, v23
	v_mul_f32_e32 v23, v51, v23
	v_fmac_f32_e32 v98, v49, v20
	v_fma_f32 v12, v48, v20, -v21
	v_add_f32_e32 v5, v5, v97
	v_add_f32_e32 v4, v4, v11
	s_waitcnt vmcnt(5) lgkmcnt(4)
	v_mul_f32_e32 v85, v52, v25
	v_mul_f32_e32 v25, v53, v25
	v_fmac_f32_e32 v99, v51, v22
	v_fma_f32 v13, v50, v22, -v23
	v_add_f32_e32 v5, v5, v98
	v_add_f32_e32 v4, v4, v12
	v_mul_f32_e32 v87, v54, v27
	v_mul_f32_e32 v27, v55, v27
	s_waitcnt vmcnt(4) lgkmcnt(3)
	v_pk_mul_f32 v[88:89], v[68:69], v[28:29] op_sel:[1,1] op_sel_hi:[0,1]
	v_fmac_f32_e32 v85, v53, v24
	v_fma_f32 v84, v52, v24, -v25
	v_add_f32_e32 v5, v5, v99
	v_add_f32_e32 v4, v4, v13
	v_fmac_f32_e32 v87, v55, v26
	v_fma_f32 v86, v54, v26, -v27
	v_pk_add_f32 v[4:5], v[4:5], v[84:85]
	v_pk_fma_f32 v[6:7], v[68:69], v[28:29], v[88:89] neg_lo:[0,0,1] neg_hi:[0,0,1]
	v_pk_fma_f32 v[8:9], v[68:69], v[28:29], v[88:89] op_sel_hi:[1,0,1]
	v_pk_add_f32 v[4:5], v[4:5], v[86:87]
	v_mov_b32_e32 v7, v9
	v_pk_add_f32 v[4:5], v[4:5], v[6:7]
	v_mov_b32_e32 v6, v31
	v_pk_mul_f32 v[6:7], v[70:71], v[6:7] op_sel:[1,0] op_sel_hi:[0,0]
	v_pk_fma_f32 v[8:9], v[70:71], v[30:31], v[6:7] neg_lo:[0,0,1] neg_hi:[0,0,1]
	v_pk_fma_f32 v[6:7], v[70:71], v[30:31], v[6:7] op_sel_hi:[1,0,1]
	s_nop 0
	v_mov_b32_e32 v9, v7
	s_waitcnt vmcnt(3) lgkmcnt(2)
	v_pk_mul_f32 v[6:7], v[72:73], v[56:57] op_sel:[1,1] op_sel_hi:[0,1]
	v_pk_add_f32 v[4:5], v[4:5], v[8:9]
	v_pk_fma_f32 v[8:9], v[72:73], v[56:57], v[6:7] neg_lo:[0,0,1] neg_hi:[0,0,1]
	v_pk_fma_f32 v[6:7], v[72:73], v[56:57], v[6:7] op_sel_hi:[1,0,1]
	s_nop 0
	v_mov_b32_e32 v6, v59
	v_mov_b32_e32 v9, v7
	v_pk_mul_f32 v[6:7], v[74:75], v[6:7] op_sel:[1,0] op_sel_hi:[0,0]
	v_pk_add_f32 v[4:5], v[4:5], v[8:9]
	v_pk_fma_f32 v[8:9], v[74:75], v[58:59], v[6:7] neg_lo:[0,0,1] neg_hi:[0,0,1]
	v_pk_fma_f32 v[6:7], v[74:75], v[58:59], v[6:7] op_sel_hi:[1,0,1]
	s_nop 0
	v_mov_b32_e32 v9, v7
	s_waitcnt vmcnt(2) lgkmcnt(1)
	v_pk_mul_f32 v[6:7], v[76:77], v[60:61] op_sel:[1,1] op_sel_hi:[0,1]
	v_pk_add_f32 v[4:5], v[4:5], v[8:9]
	v_pk_fma_f32 v[8:9], v[76:77], v[60:61], v[6:7] neg_lo:[0,0,1] neg_hi:[0,0,1]
	v_pk_fma_f32 v[6:7], v[76:77], v[60:61], v[6:7] op_sel_hi:[1,0,1]
	s_nop 0
	v_mov_b32_e32 v6, v63
	v_mov_b32_e32 v9, v7
	v_pk_mul_f32 v[6:7], v[78:79], v[6:7] op_sel:[1,0] op_sel_hi:[0,0]
	v_pk_add_f32 v[4:5], v[4:5], v[8:9]
	;; [unrolled: 14-line block ×3, first 2 shown]
	v_pk_fma_f32 v[8:9], v[82:83], v[66:67], v[6:7] neg_lo:[0,0,1] neg_hi:[0,0,1]
	v_pk_fma_f32 v[6:7], v[82:83], v[66:67], v[6:7] op_sel_hi:[1,0,1]
	s_nop 0
	v_mov_b32_e32 v9, v7
	v_pk_add_f32 v[4:5], v[4:5], v[8:9]
	s_waitcnt vmcnt(0)
	v_pk_add_f32 v[2:3], v[2:3], v[4:5] neg_lo:[0,1] neg_hi:[0,1]
	scratch_store_dwordx2 off, v[2:3], off offset:272
	s_and_saveexec_b64 s[0:1], vcc
	s_cbranch_execz .LBB118_277
; %bb.276:
	scratch_load_dwordx2 v[2:3], off, off offset:264
	v_mov_b32_e32 v4, 0
	v_mov_b32_e32 v5, v4
	scratch_store_dwordx2 off, v[4:5], off offset:264
	s_waitcnt vmcnt(1)
	ds_write_b64 v1, v[2:3]
.LBB118_277:
	s_or_b64 exec, exec, s[0:1]
	s_waitcnt lgkmcnt(0)
	; wave barrier
	scratch_load_dwordx4 v[2:5], off, off offset:272
	scratch_load_dwordx4 v[6:9], off, off offset:288
	;; [unrolled: 1-line block ×10, first 2 shown]
	scratch_load_dwordx2 v[76:77], off, off offset:432
	scratch_load_dwordx2 v[78:79], off, off offset:264
	v_mov_b32_e32 v10, 0
	ds_read_b128 v[44:47], v10 offset:720
	ds_read_b128 v[48:51], v10 offset:736
	;; [unrolled: 1-line block ×8, first 2 shown]
	v_cmp_lt_u32_e32 vcc, 32, v0
	s_waitcnt vmcnt(11) lgkmcnt(7)
	v_mul_f32_e32 v11, v44, v3
	v_mul_f32_e32 v3, v45, v3
	;; [unrolled: 1-line block ×4, first 2 shown]
	v_fmac_f32_e32 v11, v45, v2
	v_fma_f32 v2, v44, v2, -v3
	s_waitcnt vmcnt(10) lgkmcnt(6)
	v_mul_f32_e32 v82, v48, v7
	v_mul_f32_e32 v7, v49, v7
	v_fma_f32 v3, v46, v4, -v5
	v_add_f32_e32 v2, 0, v2
	v_mul_f32_e32 v84, v50, v9
	v_mul_f32_e32 v9, v51, v9
	v_fmac_f32_e32 v80, v47, v4
	v_fma_f32 v4, v48, v6, -v7
	v_add_f32_e32 v11, 0, v11
	v_add_f32_e32 v2, v2, v3
	s_waitcnt vmcnt(9) lgkmcnt(5)
	v_mul_f32_e32 v85, v52, v13
	v_mul_f32_e32 v13, v53, v13
	v_fmac_f32_e32 v82, v49, v6
	v_fma_f32 v5, v50, v8, -v9
	v_add_f32_e32 v11, v11, v80
	v_add_f32_e32 v2, v2, v4
	v_mul_f32_e32 v86, v54, v15
	v_mul_f32_e32 v15, v55, v15
	v_fmac_f32_e32 v84, v51, v8
	v_fma_f32 v6, v52, v12, -v13
	v_add_f32_e32 v3, v11, v82
	v_add_f32_e32 v2, v2, v5
	s_waitcnt vmcnt(8) lgkmcnt(4)
	v_mul_f32_e32 v87, v56, v17
	v_mul_f32_e32 v17, v57, v17
	v_fmac_f32_e32 v85, v53, v12
	v_fma_f32 v7, v54, v14, -v15
	v_add_f32_e32 v3, v3, v84
	;; [unrolled: 13-line block ×4, first 2 shown]
	v_add_f32_e32 v2, v2, v12
	v_fmac_f32_e32 v90, v63, v22
	v_fma_f32 v14, v64, v24, -v25
	v_add_f32_e32 v3, v3, v89
	v_add_f32_e32 v2, v2, v13
	v_mul_f32_e32 v81, v66, v27
	v_fmac_f32_e32 v91, v65, v24
	v_add_f32_e32 v3, v3, v90
	v_add_f32_e32 v12, v2, v14
	v_mul_f32_e32 v2, v67, v27
	s_waitcnt vmcnt(5)
	v_mov_b32_e32 v16, v31
	s_waitcnt lgkmcnt(1)
	v_mul_f32_e32 v83, v68, v29
	v_fmac_f32_e32 v81, v67, v26
	v_add_f32_e32 v13, v3, v91
	v_fma_f32 v80, v66, v26, -v2
	v_mul_f32_e32 v2, v69, v29
	v_pk_mul_f32 v[16:17], v[70:71], v[16:17] op_sel:[1,0] op_sel_hi:[0,0]
	v_fmac_f32_e32 v83, v69, v28
	v_fma_f32 v82, v68, v28, -v2
	v_pk_add_f32 v[12:13], v[12:13], v[80:81]
	v_pk_fma_f32 v[18:19], v[70:71], v[30:31], v[16:17] neg_lo:[0,0,1] neg_hi:[0,0,1]
	v_pk_fma_f32 v[16:17], v[70:71], v[30:31], v[16:17] op_sel_hi:[1,0,1]
	v_pk_add_f32 v[12:13], v[12:13], v[82:83]
	v_mov_b32_e32 v19, v17
	s_waitcnt vmcnt(4) lgkmcnt(0)
	v_pk_mul_f32 v[16:17], v[72:73], v[32:33] op_sel:[1,1] op_sel_hi:[0,1]
	v_pk_add_f32 v[12:13], v[12:13], v[18:19]
	v_pk_fma_f32 v[18:19], v[72:73], v[32:33], v[16:17] neg_lo:[0,0,1] neg_hi:[0,0,1]
	v_pk_fma_f32 v[16:17], v[72:73], v[32:33], v[16:17] op_sel_hi:[1,0,1]
	ds_read_b128 v[2:5], v10 offset:848
	ds_read_b128 v[6:9], v10 offset:864
	ds_read_b64 v[14:15], v10 offset:880
	v_mov_b32_e32 v16, v35
	v_mov_b32_e32 v19, v17
	v_pk_mul_f32 v[16:17], v[74:75], v[16:17] op_sel:[1,0] op_sel_hi:[0,0]
	v_pk_add_f32 v[12:13], v[12:13], v[18:19]
	v_pk_fma_f32 v[18:19], v[74:75], v[34:35], v[16:17] neg_lo:[0,0,1] neg_hi:[0,0,1]
	v_pk_fma_f32 v[16:17], v[74:75], v[34:35], v[16:17] op_sel_hi:[1,0,1]
	s_nop 0
	v_mov_b32_e32 v19, v17
	s_waitcnt vmcnt(3) lgkmcnt(2)
	v_pk_mul_f32 v[16:17], v[2:3], v[36:37] op_sel:[1,1] op_sel_hi:[0,1]
	v_pk_add_f32 v[12:13], v[12:13], v[18:19]
	v_pk_fma_f32 v[18:19], v[2:3], v[36:37], v[16:17] neg_lo:[0,0,1] neg_hi:[0,0,1]
	v_pk_fma_f32 v[2:3], v[2:3], v[36:37], v[16:17] op_sel_hi:[1,0,1]
	s_nop 0
	v_mov_b32_e32 v19, v3
	v_pk_add_f32 v[2:3], v[12:13], v[18:19]
	v_mov_b32_e32 v12, v39
	v_pk_mul_f32 v[12:13], v[4:5], v[12:13] op_sel:[1,0] op_sel_hi:[0,0]
	v_pk_fma_f32 v[16:17], v[4:5], v[38:39], v[12:13] neg_lo:[0,0,1] neg_hi:[0,0,1]
	v_pk_fma_f32 v[4:5], v[4:5], v[38:39], v[12:13] op_sel_hi:[1,0,1]
	s_nop 0
	v_mov_b32_e32 v17, v5
	s_waitcnt vmcnt(2) lgkmcnt(1)
	v_pk_mul_f32 v[4:5], v[6:7], v[40:41] op_sel:[1,1] op_sel_hi:[0,1]
	v_pk_fma_f32 v[12:13], v[6:7], v[40:41], v[4:5] neg_lo:[0,0,1] neg_hi:[0,0,1]
	v_pk_fma_f32 v[4:5], v[6:7], v[40:41], v[4:5] op_sel_hi:[1,0,1]
	v_pk_add_f32 v[2:3], v[2:3], v[16:17]
	v_mov_b32_e32 v4, v43
	v_mov_b32_e32 v13, v5
	v_pk_mul_f32 v[4:5], v[8:9], v[4:5] op_sel:[1,0] op_sel_hi:[0,0]
	v_pk_fma_f32 v[6:7], v[8:9], v[42:43], v[4:5] neg_lo:[0,0,1] neg_hi:[0,0,1]
	v_pk_fma_f32 v[4:5], v[8:9], v[42:43], v[4:5] op_sel_hi:[1,0,1]
	v_pk_add_f32 v[2:3], v[2:3], v[12:13]
	v_mov_b32_e32 v7, v5
	s_waitcnt vmcnt(1) lgkmcnt(0)
	v_pk_mul_f32 v[4:5], v[14:15], v[76:77] op_sel:[1,1] op_sel_hi:[0,1]
	v_pk_add_f32 v[2:3], v[2:3], v[6:7]
	v_pk_fma_f32 v[6:7], v[14:15], v[76:77], v[4:5] neg_lo:[0,0,1] neg_hi:[0,0,1]
	v_pk_fma_f32 v[4:5], v[14:15], v[76:77], v[4:5] op_sel_hi:[1,0,1]
	s_nop 0
	v_mov_b32_e32 v7, v5
	v_pk_add_f32 v[2:3], v[2:3], v[6:7]
	s_waitcnt vmcnt(0)
	v_pk_add_f32 v[2:3], v[78:79], v[2:3] neg_lo:[0,1] neg_hi:[0,1]
	scratch_store_dwordx2 off, v[2:3], off offset:264
	s_and_saveexec_b64 s[0:1], vcc
	s_cbranch_execz .LBB118_279
; %bb.278:
	scratch_load_dwordx2 v[2:3], off, off offset:256
	v_mov_b32_e32 v11, v10
	scratch_store_dwordx2 off, v[10:11], off offset:256
	s_waitcnt vmcnt(1)
	ds_write_b64 v1, v[2:3]
.LBB118_279:
	s_or_b64 exec, exec, s[0:1]
	s_waitcnt lgkmcnt(0)
	; wave barrier
	scratch_load_dwordx4 v[6:9], off, off offset:264
	scratch_load_dwordx4 v[12:15], off, off offset:280
	;; [unrolled: 1-line block ×7, first 2 shown]
	ds_read2_b64 v[36:39], v10 offset0:89 offset1:90
	ds_read2_b64 v[40:43], v10 offset0:91 offset1:92
	;; [unrolled: 1-line block ×6, first 2 shown]
	scratch_load_dwordx4 v[60:63], off, off offset:376
	scratch_load_dwordx4 v[64:67], off, off offset:392
	;; [unrolled: 1-line block ×4, first 2 shown]
	ds_read2_b64 v[72:75], v10 offset0:101 offset1:102
	ds_read2_b64 v[76:79], v10 offset0:103 offset1:104
	scratch_load_dwordx2 v[80:81], off, off offset:256
	v_cmp_lt_u32_e32 vcc, 31, v0
	s_waitcnt vmcnt(11) lgkmcnt(7)
	v_mul_f32_e32 v11, v36, v7
	v_mul_f32_e32 v82, v38, v9
	v_mul_f32_e32 v7, v37, v7
	v_fmac_f32_e32 v11, v37, v6
	s_waitcnt vmcnt(10) lgkmcnt(6)
	v_mul_f32_e32 v84, v40, v13
	v_mul_f32_e32 v9, v39, v9
	v_fmac_f32_e32 v82, v39, v8
	v_fma_f32 v6, v36, v6, -v7
	v_add_f32_e32 v11, 0, v11
	v_mul_f32_e32 v86, v42, v15
	v_fmac_f32_e32 v84, v41, v12
	v_fma_f32 v7, v38, v8, -v9
	v_add_f32_e32 v6, 0, v6
	v_add_f32_e32 v11, v11, v82
	s_waitcnt vmcnt(9) lgkmcnt(5)
	v_mul_f32_e32 v87, v44, v17
	v_mul_f32_e32 v13, v41, v13
	v_fmac_f32_e32 v86, v43, v14
	v_add_f32_e32 v6, v6, v7
	v_add_f32_e32 v7, v11, v84
	v_mul_f32_e32 v88, v46, v19
	v_mul_f32_e32 v15, v43, v15
	v_fmac_f32_e32 v87, v45, v16
	v_fma_f32 v8, v40, v12, -v13
	v_add_f32_e32 v7, v7, v86
	s_waitcnt vmcnt(8) lgkmcnt(4)
	v_mul_f32_e32 v89, v48, v21
	v_mul_f32_e32 v17, v45, v17
	v_fmac_f32_e32 v88, v47, v18
	v_fma_f32 v9, v42, v14, -v15
	v_add_f32_e32 v6, v6, v8
	v_add_f32_e32 v7, v7, v87
	v_mul_f32_e32 v90, v50, v23
	v_mul_f32_e32 v19, v47, v19
	v_fmac_f32_e32 v89, v49, v20
	v_fma_f32 v12, v44, v16, -v17
	v_add_f32_e32 v6, v6, v9
	v_add_f32_e32 v7, v7, v88
	s_waitcnt vmcnt(7) lgkmcnt(3)
	v_mul_f32_e32 v91, v52, v25
	v_mul_f32_e32 v21, v49, v21
	v_fmac_f32_e32 v90, v51, v22
	v_fma_f32 v13, v46, v18, -v19
	v_add_f32_e32 v6, v6, v12
	v_add_f32_e32 v7, v7, v89
	v_mul_f32_e32 v92, v54, v27
	v_mul_f32_e32 v23, v51, v23
	v_fmac_f32_e32 v91, v53, v24
	v_fma_f32 v14, v48, v20, -v21
	v_add_f32_e32 v6, v6, v13
	v_add_f32_e32 v7, v7, v90
	s_waitcnt vmcnt(6) lgkmcnt(2)
	v_mul_f32_e32 v93, v56, v29
	v_mul_f32_e32 v25, v53, v25
	v_fmac_f32_e32 v92, v55, v26
	v_fma_f32 v15, v50, v22, -v23
	v_add_f32_e32 v6, v6, v14
	v_add_f32_e32 v7, v7, v91
	v_mul_f32_e32 v94, v58, v31
	v_mul_f32_e32 v27, v55, v27
	v_fmac_f32_e32 v93, v57, v28
	v_fma_f32 v16, v52, v24, -v25
	v_add_f32_e32 v6, v6, v15
	v_add_f32_e32 v7, v7, v92
	v_mul_f32_e32 v29, v57, v29
	v_fmac_f32_e32 v94, v59, v30
	v_fma_f32 v17, v54, v26, -v27
	v_add_f32_e32 v6, v6, v16
	v_add_f32_e32 v7, v7, v93
	v_fma_f32 v18, v56, v28, -v29
	v_add_f32_e32 v6, v6, v17
	v_add_f32_e32 v21, v7, v94
	v_mul_f32_e32 v7, v59, v31
	v_add_f32_e32 v6, v6, v18
	v_fma_f32 v7, v58, v30, -v7
	s_waitcnt vmcnt(5) lgkmcnt(1)
	v_mul_f32_e32 v83, v72, v33
	v_add_f32_e32 v20, v6, v7
	v_mul_f32_e32 v6, v73, v33
	v_fmac_f32_e32 v83, v73, v32
	v_fma_f32 v82, v72, v32, -v6
	v_mul_f32_e32 v6, v75, v35
	v_fma_f32 v84, v74, v34, -v6
	ds_read2_b64 v[6:9], v10 offset0:105 offset1:106
	ds_read2_b64 v[12:15], v10 offset0:107 offset1:108
	;; [unrolled: 1-line block ×3, first 2 shown]
	v_pk_add_f32 v[10:11], v[20:21], v[82:83]
	s_waitcnt vmcnt(4) lgkmcnt(3)
	v_pk_mul_f32 v[20:21], v[76:77], v[60:61] op_sel:[1,1] op_sel_hi:[0,1]
	v_mul_f32_e32 v85, v74, v35
	v_pk_fma_f32 v[22:23], v[76:77], v[60:61], v[20:21] neg_lo:[0,0,1] neg_hi:[0,0,1]
	v_pk_fma_f32 v[20:21], v[76:77], v[60:61], v[20:21] op_sel_hi:[1,0,1]
	v_fmac_f32_e32 v85, v75, v34
	v_mov_b32_e32 v20, v63
	v_pk_add_f32 v[10:11], v[10:11], v[84:85]
	v_mov_b32_e32 v23, v21
	v_pk_mul_f32 v[20:21], v[78:79], v[20:21] op_sel:[1,0] op_sel_hi:[0,0]
	v_pk_add_f32 v[10:11], v[10:11], v[22:23]
	v_pk_fma_f32 v[22:23], v[78:79], v[62:63], v[20:21] neg_lo:[0,0,1] neg_hi:[0,0,1]
	v_pk_fma_f32 v[20:21], v[78:79], v[62:63], v[20:21] op_sel_hi:[1,0,1]
	s_nop 0
	v_mov_b32_e32 v23, v21
	s_waitcnt vmcnt(3) lgkmcnt(2)
	v_pk_mul_f32 v[20:21], v[6:7], v[64:65] op_sel:[1,1] op_sel_hi:[0,1]
	v_pk_add_f32 v[10:11], v[10:11], v[22:23]
	v_pk_fma_f32 v[22:23], v[6:7], v[64:65], v[20:21] neg_lo:[0,0,1] neg_hi:[0,0,1]
	v_pk_fma_f32 v[6:7], v[6:7], v[64:65], v[20:21] op_sel_hi:[1,0,1]
	s_nop 0
	v_mov_b32_e32 v23, v7
	v_pk_add_f32 v[6:7], v[10:11], v[22:23]
	v_mov_b32_e32 v10, v67
	v_pk_mul_f32 v[10:11], v[8:9], v[10:11] op_sel:[1,0] op_sel_hi:[0,0]
	v_pk_fma_f32 v[20:21], v[8:9], v[66:67], v[10:11] neg_lo:[0,0,1] neg_hi:[0,0,1]
	v_pk_fma_f32 v[8:9], v[8:9], v[66:67], v[10:11] op_sel_hi:[1,0,1]
	s_nop 0
	v_mov_b32_e32 v21, v9
	s_waitcnt vmcnt(2) lgkmcnt(1)
	v_pk_mul_f32 v[8:9], v[12:13], v[68:69] op_sel:[1,1] op_sel_hi:[0,1]
	v_pk_fma_f32 v[10:11], v[12:13], v[68:69], v[8:9] neg_lo:[0,0,1] neg_hi:[0,0,1]
	v_pk_fma_f32 v[8:9], v[12:13], v[68:69], v[8:9] op_sel_hi:[1,0,1]
	v_pk_add_f32 v[6:7], v[6:7], v[20:21]
	v_mov_b32_e32 v8, v71
	v_mov_b32_e32 v11, v9
	v_pk_mul_f32 v[8:9], v[14:15], v[8:9] op_sel:[1,0] op_sel_hi:[0,0]
	v_pk_add_f32 v[6:7], v[6:7], v[10:11]
	v_pk_fma_f32 v[10:11], v[14:15], v[70:71], v[8:9] neg_lo:[0,0,1] neg_hi:[0,0,1]
	v_pk_fma_f32 v[8:9], v[14:15], v[70:71], v[8:9] op_sel_hi:[1,0,1]
	s_nop 0
	v_mov_b32_e32 v11, v9
	s_waitcnt vmcnt(1) lgkmcnt(0)
	v_pk_mul_f32 v[8:9], v[16:17], v[2:3] op_sel:[1,1] op_sel_hi:[0,1]
	v_pk_add_f32 v[6:7], v[6:7], v[10:11]
	v_pk_fma_f32 v[10:11], v[16:17], v[2:3], v[8:9] neg_lo:[0,0,1] neg_hi:[0,0,1]
	v_pk_fma_f32 v[2:3], v[16:17], v[2:3], v[8:9] op_sel_hi:[1,0,1]
	s_nop 0
	v_mov_b32_e32 v11, v3
	v_pk_add_f32 v[2:3], v[6:7], v[10:11]
	v_mov_b32_e32 v6, v5
	v_pk_mul_f32 v[6:7], v[18:19], v[6:7] op_sel:[1,0] op_sel_hi:[0,0]
	v_pk_fma_f32 v[8:9], v[18:19], v[4:5], v[6:7] neg_lo:[0,0,1] neg_hi:[0,0,1]
	v_pk_fma_f32 v[4:5], v[18:19], v[4:5], v[6:7] op_sel_hi:[1,0,1]
	s_nop 0
	v_mov_b32_e32 v9, v5
	v_pk_add_f32 v[2:3], v[2:3], v[8:9]
	s_waitcnt vmcnt(0)
	v_pk_add_f32 v[2:3], v[80:81], v[2:3] neg_lo:[0,1] neg_hi:[0,1]
	scratch_store_dwordx2 off, v[2:3], off offset:256
	s_and_saveexec_b64 s[0:1], vcc
	s_cbranch_execz .LBB118_281
; %bb.280:
	scratch_load_dwordx2 v[2:3], off, off offset:248
	v_mov_b32_e32 v4, 0
	v_mov_b32_e32 v5, v4
	scratch_store_dwordx2 off, v[4:5], off offset:248
	s_waitcnt vmcnt(1)
	ds_write_b64 v1, v[2:3]
.LBB118_281:
	s_or_b64 exec, exec, s[0:1]
	s_waitcnt lgkmcnt(0)
	; wave barrier
	scratch_load_dwordx4 v[6:9], off, off offset:256
	scratch_load_dwordx4 v[14:17], off, off offset:272
	;; [unrolled: 1-line block ×11, first 2 shown]
	scratch_load_dwordx2 v[22:23], off, off offset:432
	scratch_load_dwordx2 v[36:37], off, off offset:248
	v_mov_b32_e32 v38, 0
	ds_read_b128 v[52:55], v38 offset:704
	ds_read_b128 v[56:59], v38 offset:720
	;; [unrolled: 1-line block ×8, first 2 shown]
	v_cmp_lt_u32_e32 vcc, 30, v0
	s_waitcnt vmcnt(12) lgkmcnt(7)
	v_mul_f32_e32 v39, v52, v7
	v_mul_f32_e32 v84, v54, v9
	;; [unrolled: 1-line block ×3, first 2 shown]
	v_fmac_f32_e32 v39, v53, v6
	s_waitcnt vmcnt(8) lgkmcnt(3)
	v_mul_f32_e32 v93, v68, v19
	v_mul_f32_e32 v19, v69, v19
	;; [unrolled: 1-line block ×4, first 2 shown]
	v_fmac_f32_e32 v84, v55, v8
	v_fmac_f32_e32 v93, v69, v18
	v_fma_f32 v6, v52, v6, -v7
	v_fma_f32 v18, v68, v18, -v19
	v_add_f32_e32 v19, 0, v39
	v_mul_f32_e32 v88, v58, v17
	v_fmac_f32_e32 v86, v57, v14
	v_fma_f32 v7, v54, v8, -v9
	v_add_f32_e32 v6, 0, v6
	v_add_f32_e32 v19, v19, v84
	v_mul_f32_e32 v89, v60, v25
	v_fmac_f32_e32 v88, v59, v16
	v_add_f32_e32 v6, v6, v7
	v_add_f32_e32 v7, v19, v86
	v_mul_f32_e32 v90, v62, v27
	v_fmac_f32_e32 v89, v61, v24
	v_add_f32_e32 v7, v7, v88
	v_mul_f32_e32 v91, v64, v29
	v_mul_f32_e32 v15, v57, v15
	v_fmac_f32_e32 v90, v63, v26
	v_add_f32_e32 v7, v7, v89
	v_mul_f32_e32 v92, v66, v31
	v_mul_f32_e32 v17, v59, v17
	v_fmac_f32_e32 v91, v65, v28
	v_fma_f32 v8, v56, v14, -v15
	v_add_f32_e32 v7, v7, v90
	v_mul_f32_e32 v25, v61, v25
	v_fmac_f32_e32 v92, v67, v30
	v_fma_f32 v9, v58, v16, -v17
	v_add_f32_e32 v6, v6, v8
	v_add_f32_e32 v7, v7, v91
	v_mul_f32_e32 v94, v70, v21
	v_mul_f32_e32 v27, v63, v27
	v_fma_f32 v14, v60, v24, -v25
	v_add_f32_e32 v6, v6, v9
	v_add_f32_e32 v7, v7, v92
	s_waitcnt vmcnt(7) lgkmcnt(2)
	v_mul_f32_e32 v95, v72, v33
	v_mul_f32_e32 v29, v65, v29
	v_fmac_f32_e32 v94, v71, v20
	v_fma_f32 v15, v62, v26, -v27
	v_add_f32_e32 v6, v6, v14
	v_add_f32_e32 v7, v7, v93
	v_mul_f32_e32 v96, v74, v35
	v_mul_f32_e32 v31, v67, v31
	v_fmac_f32_e32 v95, v73, v32
	v_fma_f32 v16, v64, v28, -v29
	v_add_f32_e32 v6, v6, v15
	v_add_f32_e32 v7, v7, v94
	s_waitcnt vmcnt(6) lgkmcnt(1)
	v_mul_f32_e32 v97, v76, v41
	v_fmac_f32_e32 v96, v75, v34
	v_fma_f32 v17, v66, v30, -v31
	v_add_f32_e32 v6, v6, v16
	v_add_f32_e32 v7, v7, v95
	v_mul_f32_e32 v21, v71, v21
	v_fmac_f32_e32 v97, v77, v40
	v_add_f32_e32 v6, v6, v17
	v_add_f32_e32 v7, v7, v96
	;; [unrolled: 1-line block ×4, first 2 shown]
	v_fma_f32 v7, v70, v20, -v21
	v_add_f32_e32 v6, v6, v7
	v_mul_f32_e32 v7, v73, v33
	v_fma_f32 v7, v72, v32, -v7
	v_add_f32_e32 v6, v6, v7
	v_mul_f32_e32 v7, v75, v35
	;; [unrolled: 3-line block ×4, first 2 shown]
	v_mul_f32_e32 v85, v78, v43
	v_fma_f32 v84, v78, v42, -v6
	s_waitcnt vmcnt(5) lgkmcnt(0)
	v_mul_f32_e32 v6, v81, v45
	v_mov_b32_e32 v28, v47
	v_mul_f32_e32 v87, v80, v45
	v_fmac_f32_e32 v85, v79, v42
	v_fma_f32 v86, v80, v44, -v6
	ds_read_b128 v[6:9], v38 offset:832
	ds_read_b128 v[14:17], v38 offset:848
	;; [unrolled: 1-line block ×3, first 2 shown]
	ds_read_b64 v[26:27], v38 offset:880
	v_pk_mul_f32 v[28:29], v[82:83], v[28:29] op_sel:[1,0] op_sel_hi:[0,0]
	v_fmac_f32_e32 v87, v81, v44
	v_pk_add_f32 v[24:25], v[24:25], v[84:85]
	v_pk_fma_f32 v[30:31], v[82:83], v[46:47], v[28:29] neg_lo:[0,0,1] neg_hi:[0,0,1]
	v_pk_fma_f32 v[28:29], v[82:83], v[46:47], v[28:29] op_sel_hi:[1,0,1]
	v_pk_add_f32 v[24:25], v[24:25], v[86:87]
	v_mov_b32_e32 v31, v29
	s_waitcnt vmcnt(4) lgkmcnt(3)
	v_pk_mul_f32 v[28:29], v[6:7], v[48:49] op_sel:[1,1] op_sel_hi:[0,1]
	v_pk_add_f32 v[24:25], v[24:25], v[30:31]
	v_pk_fma_f32 v[30:31], v[6:7], v[48:49], v[28:29] neg_lo:[0,0,1] neg_hi:[0,0,1]
	v_pk_fma_f32 v[6:7], v[6:7], v[48:49], v[28:29] op_sel_hi:[1,0,1]
	s_nop 0
	v_mov_b32_e32 v31, v7
	v_pk_add_f32 v[6:7], v[24:25], v[30:31]
	v_mov_b32_e32 v24, v51
	v_pk_mul_f32 v[24:25], v[8:9], v[24:25] op_sel:[1,0] op_sel_hi:[0,0]
	v_pk_fma_f32 v[28:29], v[8:9], v[50:51], v[24:25] neg_lo:[0,0,1] neg_hi:[0,0,1]
	v_pk_fma_f32 v[8:9], v[8:9], v[50:51], v[24:25] op_sel_hi:[1,0,1]
	s_nop 0
	v_mov_b32_e32 v29, v9
	s_waitcnt vmcnt(3) lgkmcnt(2)
	v_pk_mul_f32 v[8:9], v[14:15], v[10:11] op_sel:[1,1] op_sel_hi:[0,1]
	v_pk_fma_f32 v[24:25], v[14:15], v[10:11], v[8:9] neg_lo:[0,0,1] neg_hi:[0,0,1]
	v_pk_fma_f32 v[8:9], v[14:15], v[10:11], v[8:9] op_sel_hi:[1,0,1]
	v_pk_add_f32 v[6:7], v[6:7], v[28:29]
	v_mov_b32_e32 v8, v13
	v_mov_b32_e32 v25, v9
	v_pk_mul_f32 v[8:9], v[16:17], v[8:9] op_sel:[1,0] op_sel_hi:[0,0]
	v_pk_fma_f32 v[10:11], v[16:17], v[12:13], v[8:9] neg_lo:[0,0,1] neg_hi:[0,0,1]
	v_pk_fma_f32 v[8:9], v[16:17], v[12:13], v[8:9] op_sel_hi:[1,0,1]
	v_pk_add_f32 v[6:7], v[6:7], v[24:25]
	v_mov_b32_e32 v11, v9
	s_waitcnt vmcnt(2) lgkmcnt(1)
	v_pk_mul_f32 v[8:9], v[18:19], v[2:3] op_sel:[1,1] op_sel_hi:[0,1]
	v_pk_add_f32 v[6:7], v[6:7], v[10:11]
	v_pk_fma_f32 v[10:11], v[18:19], v[2:3], v[8:9] neg_lo:[0,0,1] neg_hi:[0,0,1]
	v_pk_fma_f32 v[2:3], v[18:19], v[2:3], v[8:9] op_sel_hi:[1,0,1]
	s_nop 0
	v_mov_b32_e32 v11, v3
	v_pk_add_f32 v[2:3], v[6:7], v[10:11]
	v_mov_b32_e32 v6, v5
	v_pk_mul_f32 v[6:7], v[20:21], v[6:7] op_sel:[1,0] op_sel_hi:[0,0]
	v_pk_fma_f32 v[8:9], v[20:21], v[4:5], v[6:7] neg_lo:[0,0,1] neg_hi:[0,0,1]
	v_pk_fma_f32 v[4:5], v[20:21], v[4:5], v[6:7] op_sel_hi:[1,0,1]
	s_nop 0
	v_mov_b32_e32 v9, v5
	s_waitcnt vmcnt(1) lgkmcnt(0)
	v_pk_mul_f32 v[4:5], v[26:27], v[22:23] op_sel:[1,1] op_sel_hi:[0,1]
	v_pk_fma_f32 v[6:7], v[26:27], v[22:23], v[4:5] neg_lo:[0,0,1] neg_hi:[0,0,1]
	v_pk_fma_f32 v[4:5], v[26:27], v[22:23], v[4:5] op_sel_hi:[1,0,1]
	v_pk_add_f32 v[2:3], v[2:3], v[8:9]
	v_mov_b32_e32 v7, v5
	v_pk_add_f32 v[2:3], v[2:3], v[6:7]
	s_waitcnt vmcnt(0)
	v_pk_add_f32 v[2:3], v[36:37], v[2:3] neg_lo:[0,1] neg_hi:[0,1]
	scratch_store_dwordx2 off, v[2:3], off offset:248
	s_and_saveexec_b64 s[0:1], vcc
	s_cbranch_execz .LBB118_283
; %bb.282:
	scratch_load_dwordx2 v[2:3], off, off offset:240
	v_mov_b32_e32 v39, v38
	scratch_store_dwordx2 off, v[38:39], off offset:240
	s_waitcnt vmcnt(1)
	ds_write_b64 v1, v[2:3]
.LBB118_283:
	s_or_b64 exec, exec, s[0:1]
	s_waitcnt lgkmcnt(0)
	; wave barrier
	scratch_load_dwordx4 v[2:5], off, off offset:248
	scratch_load_dwordx4 v[14:17], off, off offset:264
	scratch_load_dwordx4 v[30:33], off, off offset:280
	scratch_load_dwordx4 v[40:43], off, off offset:296
	scratch_load_dwordx4 v[18:21], off, off offset:312
	scratch_load_dwordx4 v[22:25], off, off offset:328
	scratch_load_dwordx4 v[34:37], off, off offset:344
	scratch_load_dwordx4 v[44:47], off, off offset:360
	ds_read2_b64 v[48:51], v38 offset0:87 offset1:88
	ds_read2_b64 v[52:55], v38 offset0:89 offset1:90
	;; [unrolled: 1-line block ×8, first 2 shown]
	scratch_load_dwordx4 v[80:83], off, off offset:376
	scratch_load_dwordx4 v[26:29], off, off offset:392
	;; [unrolled: 1-line block ×4, first 2 shown]
	scratch_load_dwordx2 v[84:85], off, off offset:240
	v_cmp_lt_u32_e32 vcc, 29, v0
	s_waitcnt vmcnt(12) lgkmcnt(7)
	v_mul_f32_e32 v39, v48, v3
	v_mul_f32_e32 v86, v50, v5
	;; [unrolled: 1-line block ×3, first 2 shown]
	v_fmac_f32_e32 v39, v49, v2
	s_waitcnt vmcnt(8) lgkmcnt(3)
	v_mul_f32_e32 v95, v64, v19
	v_mul_f32_e32 v19, v65, v19
	;; [unrolled: 1-line block ×4, first 2 shown]
	v_fmac_f32_e32 v86, v51, v4
	v_fmac_f32_e32 v95, v65, v18
	v_fma_f32 v2, v48, v2, -v3
	v_fma_f32 v18, v64, v18, -v19
	v_add_f32_e32 v19, 0, v39
	v_mul_f32_e32 v90, v54, v17
	v_fmac_f32_e32 v88, v53, v14
	v_fma_f32 v3, v50, v4, -v5
	v_add_f32_e32 v2, 0, v2
	v_add_f32_e32 v19, v19, v86
	v_mul_f32_e32 v91, v56, v31
	v_fmac_f32_e32 v90, v55, v16
	v_add_f32_e32 v2, v2, v3
	v_add_f32_e32 v3, v19, v88
	v_mul_f32_e32 v92, v58, v33
	v_fmac_f32_e32 v91, v57, v30
	v_add_f32_e32 v3, v3, v90
	v_mul_f32_e32 v93, v60, v41
	v_fmac_f32_e32 v92, v59, v32
	;; [unrolled: 3-line block ×4, first 2 shown]
	v_add_f32_e32 v3, v3, v93
	v_mul_f32_e32 v96, v66, v21
	v_mul_f32_e32 v17, v55, v17
	v_fma_f32 v4, v52, v14, -v15
	v_add_f32_e32 v3, v3, v94
	s_waitcnt vmcnt(7) lgkmcnt(2)
	v_mul_f32_e32 v97, v68, v23
	v_mul_f32_e32 v31, v57, v31
	v_fmac_f32_e32 v96, v67, v20
	v_fma_f32 v5, v54, v16, -v17
	v_add_f32_e32 v2, v2, v4
	v_add_f32_e32 v3, v3, v95
	v_mul_f32_e32 v98, v70, v25
	v_mul_f32_e32 v33, v59, v33
	v_fmac_f32_e32 v97, v69, v22
	v_fma_f32 v14, v56, v30, -v31
	v_add_f32_e32 v2, v2, v5
	v_add_f32_e32 v3, v3, v96
	s_waitcnt vmcnt(6) lgkmcnt(1)
	v_mul_f32_e32 v99, v72, v35
	v_mul_f32_e32 v41, v61, v41
	v_fmac_f32_e32 v98, v71, v24
	v_fma_f32 v15, v58, v32, -v33
	v_add_f32_e32 v2, v2, v14
	v_add_f32_e32 v3, v3, v97
	v_mul_f32_e32 v100, v74, v37
	v_mul_f32_e32 v43, v63, v43
	v_fmac_f32_e32 v99, v73, v34
	v_fma_f32 v16, v60, v40, -v41
	v_add_f32_e32 v2, v2, v15
	v_add_f32_e32 v3, v3, v98
	v_fmac_f32_e32 v100, v75, v36
	v_fma_f32 v17, v62, v42, -v43
	v_add_f32_e32 v2, v2, v16
	v_add_f32_e32 v3, v3, v99
	;; [unrolled: 1-line block ×4, first 2 shown]
	v_mul_f32_e32 v3, v67, v21
	v_add_f32_e32 v2, v2, v18
	v_fma_f32 v3, v66, v20, -v3
	v_add_f32_e32 v2, v2, v3
	v_mul_f32_e32 v3, v69, v23
	v_fma_f32 v3, v68, v22, -v3
	v_add_f32_e32 v2, v2, v3
	v_mul_f32_e32 v3, v71, v25
	;; [unrolled: 3-line block ×4, first 2 shown]
	v_fma_f32 v3, v74, v36, -v3
	v_add_f32_e32 v30, v2, v3
	s_waitcnt vmcnt(5) lgkmcnt(0)
	v_mul_f32_e32 v2, v77, v45
	v_fma_f32 v86, v76, v44, -v2
	v_mul_f32_e32 v2, v79, v47
	v_fma_f32 v88, v78, v46, -v2
	ds_read2_b64 v[2:5], v38 offset0:103 offset1:104
	ds_read2_b64 v[14:17], v38 offset0:105 offset1:106
	;; [unrolled: 1-line block ×4, first 2 shown]
	v_mul_f32_e32 v87, v76, v45
	v_mul_f32_e32 v89, v78, v47
	v_fmac_f32_e32 v87, v77, v44
	s_waitcnt vmcnt(4) lgkmcnt(3)
	v_pk_mul_f32 v[32:33], v[2:3], v[80:81] op_sel:[1,1] op_sel_hi:[0,1]
	v_fmac_f32_e32 v89, v79, v46
	v_pk_add_f32 v[30:31], v[30:31], v[86:87]
	v_pk_fma_f32 v[34:35], v[2:3], v[80:81], v[32:33] neg_lo:[0,0,1] neg_hi:[0,0,1]
	v_pk_fma_f32 v[2:3], v[2:3], v[80:81], v[32:33] op_sel_hi:[1,0,1]
	v_pk_add_f32 v[30:31], v[30:31], v[88:89]
	v_mov_b32_e32 v35, v3
	v_pk_add_f32 v[2:3], v[30:31], v[34:35]
	v_mov_b32_e32 v30, v83
	v_pk_mul_f32 v[30:31], v[4:5], v[30:31] op_sel:[1,0] op_sel_hi:[0,0]
	v_pk_fma_f32 v[32:33], v[4:5], v[82:83], v[30:31] neg_lo:[0,0,1] neg_hi:[0,0,1]
	v_pk_fma_f32 v[4:5], v[4:5], v[82:83], v[30:31] op_sel_hi:[1,0,1]
	s_nop 0
	v_mov_b32_e32 v33, v5
	s_waitcnt vmcnt(3) lgkmcnt(2)
	v_pk_mul_f32 v[4:5], v[14:15], v[26:27] op_sel:[1,1] op_sel_hi:[0,1]
	v_pk_fma_f32 v[30:31], v[14:15], v[26:27], v[4:5] neg_lo:[0,0,1] neg_hi:[0,0,1]
	v_pk_fma_f32 v[4:5], v[14:15], v[26:27], v[4:5] op_sel_hi:[1,0,1]
	v_pk_add_f32 v[2:3], v[2:3], v[32:33]
	v_mov_b32_e32 v4, v29
	v_mov_b32_e32 v31, v5
	v_pk_mul_f32 v[4:5], v[16:17], v[4:5] op_sel:[1,0] op_sel_hi:[0,0]
	v_pk_fma_f32 v[14:15], v[16:17], v[28:29], v[4:5] neg_lo:[0,0,1] neg_hi:[0,0,1]
	v_pk_fma_f32 v[4:5], v[16:17], v[28:29], v[4:5] op_sel_hi:[1,0,1]
	v_pk_add_f32 v[2:3], v[2:3], v[30:31]
	v_mov_b32_e32 v15, v5
	s_waitcnt vmcnt(2) lgkmcnt(1)
	v_pk_mul_f32 v[4:5], v[18:19], v[10:11] op_sel:[1,1] op_sel_hi:[0,1]
	v_pk_add_f32 v[2:3], v[2:3], v[14:15]
	v_pk_fma_f32 v[14:15], v[18:19], v[10:11], v[4:5] neg_lo:[0,0,1] neg_hi:[0,0,1]
	v_pk_fma_f32 v[4:5], v[18:19], v[10:11], v[4:5] op_sel_hi:[1,0,1]
	s_nop 0
	v_mov_b32_e32 v4, v13
	v_mov_b32_e32 v15, v5
	v_pk_mul_f32 v[4:5], v[20:21], v[4:5] op_sel:[1,0] op_sel_hi:[0,0]
	v_pk_fma_f32 v[10:11], v[20:21], v[12:13], v[4:5] neg_lo:[0,0,1] neg_hi:[0,0,1]
	v_pk_fma_f32 v[4:5], v[20:21], v[12:13], v[4:5] op_sel_hi:[1,0,1]
	v_pk_add_f32 v[2:3], v[2:3], v[14:15]
	v_mov_b32_e32 v11, v5
	s_waitcnt vmcnt(1) lgkmcnt(0)
	v_pk_mul_f32 v[4:5], v[22:23], v[6:7] op_sel:[1,1] op_sel_hi:[0,1]
	v_pk_add_f32 v[2:3], v[2:3], v[10:11]
	v_pk_fma_f32 v[10:11], v[22:23], v[6:7], v[4:5] neg_lo:[0,0,1] neg_hi:[0,0,1]
	v_pk_fma_f32 v[4:5], v[22:23], v[6:7], v[4:5] op_sel_hi:[1,0,1]
	s_nop 0
	v_mov_b32_e32 v4, v9
	v_mov_b32_e32 v11, v5
	v_pk_mul_f32 v[4:5], v[24:25], v[4:5] op_sel:[1,0] op_sel_hi:[0,0]
	v_pk_fma_f32 v[6:7], v[24:25], v[8:9], v[4:5] neg_lo:[0,0,1] neg_hi:[0,0,1]
	v_pk_fma_f32 v[4:5], v[24:25], v[8:9], v[4:5] op_sel_hi:[1,0,1]
	v_pk_add_f32 v[2:3], v[2:3], v[10:11]
	v_mov_b32_e32 v7, v5
	v_pk_add_f32 v[2:3], v[2:3], v[6:7]
	s_waitcnt vmcnt(0)
	v_pk_add_f32 v[2:3], v[84:85], v[2:3] neg_lo:[0,1] neg_hi:[0,1]
	scratch_store_dwordx2 off, v[2:3], off offset:240
	s_and_saveexec_b64 s[0:1], vcc
	s_cbranch_execz .LBB118_285
; %bb.284:
	scratch_load_dwordx2 v[2:3], off, off offset:232
	v_mov_b32_e32 v4, 0
	v_mov_b32_e32 v5, v4
	scratch_store_dwordx2 off, v[4:5], off offset:232
	s_waitcnt vmcnt(1)
	ds_write_b64 v1, v[2:3]
.LBB118_285:
	s_or_b64 exec, exec, s[0:1]
	s_waitcnt lgkmcnt(0)
	; wave barrier
	scratch_load_dwordx4 v[10:13], off, off offset:240
	scratch_load_dwordx4 v[26:29], off, off offset:256
	scratch_load_dwordx4 v[38:41], off, off offset:272
	scratch_load_dwordx4 v[6:9], off, off offset:288
	scratch_load_dwordx4 v[14:17], off, off offset:304
	scratch_load_dwordx4 v[22:25], off, off offset:320
	scratch_load_dwordx4 v[30:33], off, off offset:336
	scratch_load_dwordx4 v[42:45], off, off offset:352
	scratch_load_dwordx4 v[46:49], off, off offset:368
	scratch_load_dwordx4 v[34:37], off, off offset:384
	scratch_load_dwordx4 v[18:21], off, off offset:400
	scratch_load_dwordx4 v[2:5], off, off offset:416
	scratch_load_dwordx2 v[50:51], off, off offset:432
	scratch_load_dwordx2 v[56:57], off, off offset:232
	v_mov_b32_e32 v58, 0
	ds_read_b128 v[52:55], v58 offset:688
	ds_read_b128 v[60:63], v58 offset:704
	;; [unrolled: 1-line block ×10, first 2 shown]
	v_cmp_lt_u32_e32 vcc, 28, v0
	s_waitcnt vmcnt(13) lgkmcnt(9)
	v_mul_f32_e32 v59, v52, v11
	v_mul_f32_e32 v96, v54, v13
	v_fmac_f32_e32 v59, v53, v10
	s_waitcnt vmcnt(10) lgkmcnt(6)
	v_mul_f32_e32 v103, v68, v7
	v_mul_f32_e32 v7, v69, v7
	v_mul_f32_e32 v98, v60, v27
	v_fmac_f32_e32 v96, v55, v12
	v_fmac_f32_e32 v103, v69, v6
	v_fma_f32 v6, v68, v6, -v7
	v_add_f32_e32 v7, 0, v59
	v_mul_f32_e32 v100, v62, v29
	v_fmac_f32_e32 v98, v61, v26
	v_add_f32_e32 v7, v7, v96
	v_mul_f32_e32 v101, v64, v39
	v_fmac_f32_e32 v100, v63, v28
	;; [unrolled: 3-line block ×3, first 2 shown]
	v_add_f32_e32 v7, v7, v100
	v_fmac_f32_e32 v102, v67, v40
	v_add_f32_e32 v7, v7, v101
	v_mul_f32_e32 v104, v70, v9
	v_add_f32_e32 v7, v7, v102
	s_waitcnt vmcnt(9) lgkmcnt(5)
	v_mul_f32_e32 v105, v72, v15
	v_fmac_f32_e32 v104, v71, v8
	v_add_f32_e32 v7, v7, v103
	v_mul_f32_e32 v106, v74, v17
	v_mul_f32_e32 v11, v53, v11
	v_fmac_f32_e32 v105, v73, v14
	v_add_f32_e32 v7, v7, v104
	s_waitcnt vmcnt(8) lgkmcnt(4)
	v_mul_f32_e32 v107, v76, v23
	v_mul_f32_e32 v13, v55, v13
	v_fmac_f32_e32 v106, v75, v16
	v_fma_f32 v10, v52, v10, -v11
	v_add_f32_e32 v7, v7, v105
	v_mul_f32_e32 v108, v78, v25
	v_mul_f32_e32 v27, v61, v27
	v_fmac_f32_e32 v107, v77, v22
	v_fma_f32 v11, v54, v12, -v13
	v_add_f32_e32 v10, 0, v10
	v_add_f32_e32 v7, v7, v106
	s_waitcnt vmcnt(7) lgkmcnt(3)
	v_mul_f32_e32 v109, v80, v31
	v_mul_f32_e32 v29, v63, v29
	v_fmac_f32_e32 v108, v79, v24
	v_fma_f32 v12, v60, v26, -v27
	v_add_f32_e32 v10, v10, v11
	v_add_f32_e32 v7, v7, v107
	v_mul_f32_e32 v110, v82, v33
	v_mul_f32_e32 v39, v65, v39
	v_fmac_f32_e32 v109, v81, v30
	v_fma_f32 v13, v62, v28, -v29
	v_add_f32_e32 v10, v10, v12
	v_add_f32_e32 v7, v7, v108
	s_waitcnt vmcnt(6) lgkmcnt(2)
	v_mul_f32_e32 v111, v84, v43
	v_mul_f32_e32 v41, v67, v41
	v_fmac_f32_e32 v110, v83, v32
	v_fma_f32 v26, v64, v38, -v39
	v_add_f32_e32 v10, v10, v13
	v_add_f32_e32 v7, v7, v109
	v_fmac_f32_e32 v111, v85, v42
	v_fma_f32 v27, v66, v40, -v41
	v_add_f32_e32 v10, v10, v26
	v_add_f32_e32 v7, v7, v110
	v_add_f32_e32 v10, v10, v27
	v_add_f32_e32 v27, v7, v111
	v_mul_f32_e32 v7, v71, v9
	v_add_f32_e32 v6, v10, v6
	v_fma_f32 v7, v70, v8, -v7
	v_add_f32_e32 v6, v6, v7
	v_mul_f32_e32 v7, v73, v15
	v_fma_f32 v7, v72, v14, -v7
	v_add_f32_e32 v6, v6, v7
	v_mul_f32_e32 v7, v75, v17
	v_fma_f32 v7, v74, v16, -v7
	v_add_f32_e32 v6, v6, v7
	v_mul_f32_e32 v7, v77, v23
	v_fma_f32 v7, v76, v22, -v7
	v_add_f32_e32 v6, v6, v7
	v_mul_f32_e32 v7, v79, v25
	v_fma_f32 v7, v78, v24, -v7
	v_add_f32_e32 v6, v6, v7
	v_mul_f32_e32 v7, v81, v31
	v_fma_f32 v7, v80, v30, -v7
	v_add_f32_e32 v6, v6, v7
	v_mul_f32_e32 v7, v83, v33
	v_fma_f32 v7, v82, v32, -v7
	v_add_f32_e32 v6, v6, v7
	v_mul_f32_e32 v7, v85, v43
	v_fma_f32 v7, v84, v42, -v7
	v_mul_f32_e32 v97, v86, v45
	v_add_f32_e32 v26, v6, v7
	v_mul_f32_e32 v6, v87, v45
	s_waitcnt vmcnt(5)
	v_mov_b32_e32 v22, v49
	s_waitcnt lgkmcnt(1)
	v_mul_f32_e32 v99, v88, v47
	v_fmac_f32_e32 v97, v87, v44
	v_fma_f32 v96, v86, v44, -v6
	v_mul_f32_e32 v6, v89, v47
	v_pk_mul_f32 v[22:23], v[90:91], v[22:23] op_sel:[1,0] op_sel_hi:[0,0]
	v_fmac_f32_e32 v99, v89, v46
	v_fma_f32 v98, v88, v46, -v6
	v_pk_add_f32 v[16:17], v[26:27], v[96:97]
	v_pk_fma_f32 v[24:25], v[90:91], v[48:49], v[22:23] neg_lo:[0,0,1] neg_hi:[0,0,1]
	v_pk_fma_f32 v[22:23], v[90:91], v[48:49], v[22:23] op_sel_hi:[1,0,1]
	v_pk_add_f32 v[16:17], v[16:17], v[98:99]
	v_mov_b32_e32 v25, v23
	s_waitcnt vmcnt(4) lgkmcnt(0)
	v_pk_mul_f32 v[22:23], v[92:93], v[34:35] op_sel:[1,1] op_sel_hi:[0,1]
	v_pk_add_f32 v[16:17], v[16:17], v[24:25]
	v_pk_fma_f32 v[24:25], v[92:93], v[34:35], v[22:23] neg_lo:[0,0,1] neg_hi:[0,0,1]
	v_pk_fma_f32 v[22:23], v[92:93], v[34:35], v[22:23] op_sel_hi:[1,0,1]
	ds_read_b128 v[6:9], v58 offset:848
	ds_read_b128 v[10:13], v58 offset:864
	ds_read_b64 v[14:15], v58 offset:880
	v_mov_b32_e32 v22, v37
	v_mov_b32_e32 v25, v23
	v_pk_mul_f32 v[22:23], v[94:95], v[22:23] op_sel:[1,0] op_sel_hi:[0,0]
	v_pk_add_f32 v[16:17], v[16:17], v[24:25]
	v_pk_fma_f32 v[24:25], v[94:95], v[36:37], v[22:23] neg_lo:[0,0,1] neg_hi:[0,0,1]
	v_pk_fma_f32 v[22:23], v[94:95], v[36:37], v[22:23] op_sel_hi:[1,0,1]
	s_nop 0
	v_mov_b32_e32 v25, v23
	s_waitcnt vmcnt(3) lgkmcnt(2)
	v_pk_mul_f32 v[22:23], v[6:7], v[18:19] op_sel:[1,1] op_sel_hi:[0,1]
	v_pk_add_f32 v[16:17], v[16:17], v[24:25]
	v_pk_fma_f32 v[24:25], v[6:7], v[18:19], v[22:23] neg_lo:[0,0,1] neg_hi:[0,0,1]
	v_pk_fma_f32 v[6:7], v[6:7], v[18:19], v[22:23] op_sel_hi:[1,0,1]
	s_nop 0
	v_mov_b32_e32 v25, v7
	v_pk_add_f32 v[6:7], v[16:17], v[24:25]
	v_mov_b32_e32 v16, v21
	v_pk_mul_f32 v[16:17], v[8:9], v[16:17] op_sel:[1,0] op_sel_hi:[0,0]
	v_pk_fma_f32 v[18:19], v[8:9], v[20:21], v[16:17] neg_lo:[0,0,1] neg_hi:[0,0,1]
	v_pk_fma_f32 v[8:9], v[8:9], v[20:21], v[16:17] op_sel_hi:[1,0,1]
	s_nop 0
	v_mov_b32_e32 v19, v9
	s_waitcnt vmcnt(2) lgkmcnt(1)
	v_pk_mul_f32 v[8:9], v[10:11], v[2:3] op_sel:[1,1] op_sel_hi:[0,1]
	v_pk_fma_f32 v[16:17], v[10:11], v[2:3], v[8:9] neg_lo:[0,0,1] neg_hi:[0,0,1]
	v_pk_fma_f32 v[2:3], v[10:11], v[2:3], v[8:9] op_sel_hi:[1,0,1]
	v_pk_add_f32 v[6:7], v[6:7], v[18:19]
	v_mov_b32_e32 v17, v3
	v_pk_add_f32 v[2:3], v[6:7], v[16:17]
	v_mov_b32_e32 v6, v5
	v_pk_mul_f32 v[6:7], v[12:13], v[6:7] op_sel:[1,0] op_sel_hi:[0,0]
	v_pk_fma_f32 v[8:9], v[12:13], v[4:5], v[6:7] neg_lo:[0,0,1] neg_hi:[0,0,1]
	v_pk_fma_f32 v[4:5], v[12:13], v[4:5], v[6:7] op_sel_hi:[1,0,1]
	s_nop 0
	v_mov_b32_e32 v9, v5
	s_waitcnt vmcnt(1) lgkmcnt(0)
	v_pk_mul_f32 v[4:5], v[14:15], v[50:51] op_sel:[1,1] op_sel_hi:[0,1]
	v_pk_fma_f32 v[6:7], v[14:15], v[50:51], v[4:5] neg_lo:[0,0,1] neg_hi:[0,0,1]
	v_pk_fma_f32 v[4:5], v[14:15], v[50:51], v[4:5] op_sel_hi:[1,0,1]
	v_pk_add_f32 v[2:3], v[2:3], v[8:9]
	v_mov_b32_e32 v7, v5
	v_pk_add_f32 v[2:3], v[2:3], v[6:7]
	s_waitcnt vmcnt(0)
	v_pk_add_f32 v[2:3], v[56:57], v[2:3] neg_lo:[0,1] neg_hi:[0,1]
	scratch_store_dwordx2 off, v[2:3], off offset:232
	s_and_saveexec_b64 s[0:1], vcc
	s_cbranch_execz .LBB118_287
; %bb.286:
	scratch_load_dwordx2 v[2:3], off, off offset:224
	v_mov_b32_e32 v59, v58
	scratch_store_dwordx2 off, v[58:59], off offset:224
	s_waitcnt vmcnt(1)
	ds_write_b64 v1, v[2:3]
.LBB118_287:
	s_or_b64 exec, exec, s[0:1]
	s_waitcnt lgkmcnt(0)
	; wave barrier
	scratch_load_dwordx4 v[2:5], off, off offset:232
	scratch_load_dwordx4 v[18:21], off, off offset:248
	;; [unrolled: 1-line block ×9, first 2 shown]
	ds_read2_b64 v[60:63], v58 offset0:85 offset1:86
	ds_read2_b64 v[64:67], v58 offset0:87 offset1:88
	;; [unrolled: 1-line block ×8, first 2 shown]
	scratch_load_dwordx4 v[50:53], off, off offset:376
	scratch_load_dwordx4 v[34:37], off, off offset:392
	;; [unrolled: 1-line block ×4, first 2 shown]
	ds_read2_b64 v[88:91], v58 offset0:101 offset1:102
	ds_read2_b64 v[92:95], v58 offset0:103 offset1:104
	scratch_load_dwordx2 v[96:97], off, off offset:224
	v_cmp_lt_u32_e32 vcc, 27, v0
	s_waitcnt vmcnt(13) lgkmcnt(9)
	v_mul_f32_e32 v59, v60, v3
	v_mul_f32_e32 v98, v62, v5
	;; [unrolled: 1-line block ×3, first 2 shown]
	s_waitcnt vmcnt(10) lgkmcnt(6)
	v_mul_f32_e32 v105, v72, v7
	v_mul_f32_e32 v7, v73, v7
	v_fmac_f32_e32 v59, v61, v2
	v_mul_f32_e32 v100, v64, v19
	v_mul_f32_e32 v5, v63, v5
	v_fmac_f32_e32 v98, v63, v4
	v_fmac_f32_e32 v105, v73, v6
	v_fma_f32 v2, v60, v2, -v3
	v_fma_f32 v6, v72, v6, -v7
	v_add_f32_e32 v7, 0, v59
	v_mul_f32_e32 v102, v66, v21
	v_fmac_f32_e32 v100, v65, v18
	v_fma_f32 v3, v62, v4, -v5
	v_add_f32_e32 v2, 0, v2
	v_add_f32_e32 v7, v7, v98
	v_mul_f32_e32 v103, v68, v39
	v_fmac_f32_e32 v102, v67, v20
	v_add_f32_e32 v2, v2, v3
	v_add_f32_e32 v3, v7, v100
	v_mul_f32_e32 v104, v70, v41
	v_fmac_f32_e32 v103, v69, v38
	v_add_f32_e32 v3, v3, v102
	v_fmac_f32_e32 v104, v71, v40
	v_add_f32_e32 v3, v3, v103
	v_mul_f32_e32 v106, v74, v9
	v_add_f32_e32 v3, v3, v104
	s_waitcnt vmcnt(9) lgkmcnt(5)
	v_mul_f32_e32 v107, v76, v15
	v_fmac_f32_e32 v106, v75, v8
	v_add_f32_e32 v3, v3, v105
	v_mul_f32_e32 v108, v78, v17
	v_fmac_f32_e32 v107, v77, v14
	v_add_f32_e32 v3, v3, v106
	s_waitcnt vmcnt(8) lgkmcnt(4)
	v_mul_f32_e32 v109, v80, v23
	v_fmac_f32_e32 v108, v79, v16
	v_add_f32_e32 v3, v3, v107
	v_mul_f32_e32 v110, v82, v25
	v_fmac_f32_e32 v109, v81, v22
	v_add_f32_e32 v3, v3, v108
	s_waitcnt vmcnt(7) lgkmcnt(3)
	v_mul_f32_e32 v111, v84, v31
	v_mul_f32_e32 v19, v65, v19
	v_fmac_f32_e32 v110, v83, v24
	v_add_f32_e32 v3, v3, v109
	v_mul_f32_e32 v112, v86, v33
	v_mul_f32_e32 v21, v67, v21
	v_fmac_f32_e32 v111, v85, v30
	v_fma_f32 v4, v64, v18, -v19
	v_add_f32_e32 v3, v3, v110
	s_waitcnt vmcnt(6) lgkmcnt(2)
	v_mul_f32_e32 v113, v54, v43
	v_mul_f32_e32 v39, v69, v39
	v_fmac_f32_e32 v112, v87, v32
	v_fma_f32 v5, v66, v20, -v21
	v_add_f32_e32 v2, v2, v4
	v_add_f32_e32 v3, v3, v111
	v_mul_f32_e32 v114, v56, v45
	v_mul_f32_e32 v41, v71, v41
	v_fmac_f32_e32 v113, v55, v42
	v_fma_f32 v18, v68, v38, -v39
	v_add_f32_e32 v2, v2, v5
	v_add_f32_e32 v3, v3, v112
	v_fmac_f32_e32 v114, v57, v44
	v_fma_f32 v19, v70, v40, -v41
	v_add_f32_e32 v2, v2, v18
	v_add_f32_e32 v3, v3, v113
	;; [unrolled: 1-line block ×4, first 2 shown]
	v_mul_f32_e32 v3, v75, v9
	v_add_f32_e32 v2, v2, v6
	v_fma_f32 v3, v74, v8, -v3
	v_add_f32_e32 v2, v2, v3
	v_mul_f32_e32 v3, v77, v15
	v_fma_f32 v3, v76, v14, -v3
	v_add_f32_e32 v2, v2, v3
	v_mul_f32_e32 v3, v79, v17
	;; [unrolled: 3-line block ×8, first 2 shown]
	v_fma_f32 v3, v56, v44, -v3
	s_waitcnt vmcnt(5) lgkmcnt(1)
	v_mul_f32_e32 v99, v88, v47
	v_add_f32_e32 v18, v2, v3
	v_mul_f32_e32 v2, v89, v47
	s_waitcnt vmcnt(4) lgkmcnt(0)
	v_pk_mul_f32 v[20:21], v[92:93], v[50:51] op_sel:[1,1] op_sel_hi:[0,1]
	v_mul_f32_e32 v101, v90, v49
	v_fmac_f32_e32 v99, v89, v46
	v_fma_f32 v98, v88, v46, -v2
	v_mul_f32_e32 v2, v91, v49
	v_pk_fma_f32 v[22:23], v[92:93], v[50:51], v[20:21] neg_lo:[0,0,1] neg_hi:[0,0,1]
	v_pk_fma_f32 v[20:21], v[92:93], v[50:51], v[20:21] op_sel_hi:[1,0,1]
	v_fmac_f32_e32 v101, v91, v48
	v_fma_f32 v100, v90, v48, -v2
	ds_read2_b64 v[2:5], v58 offset0:105 offset1:106
	ds_read2_b64 v[6:9], v58 offset0:107 offset1:108
	;; [unrolled: 1-line block ×3, first 2 shown]
	v_pk_add_f32 v[18:19], v[18:19], v[98:99]
	v_mov_b32_e32 v20, v53
	v_pk_add_f32 v[18:19], v[18:19], v[100:101]
	v_mov_b32_e32 v23, v21
	v_pk_mul_f32 v[20:21], v[94:95], v[20:21] op_sel:[1,0] op_sel_hi:[0,0]
	v_pk_add_f32 v[18:19], v[18:19], v[22:23]
	v_pk_fma_f32 v[22:23], v[94:95], v[52:53], v[20:21] neg_lo:[0,0,1] neg_hi:[0,0,1]
	v_pk_fma_f32 v[20:21], v[94:95], v[52:53], v[20:21] op_sel_hi:[1,0,1]
	s_nop 0
	v_mov_b32_e32 v23, v21
	s_waitcnt vmcnt(3) lgkmcnt(2)
	v_pk_mul_f32 v[20:21], v[2:3], v[34:35] op_sel:[1,1] op_sel_hi:[0,1]
	v_pk_add_f32 v[18:19], v[18:19], v[22:23]
	v_pk_fma_f32 v[22:23], v[2:3], v[34:35], v[20:21] neg_lo:[0,0,1] neg_hi:[0,0,1]
	v_pk_fma_f32 v[2:3], v[2:3], v[34:35], v[20:21] op_sel_hi:[1,0,1]
	s_nop 0
	v_mov_b32_e32 v23, v3
	v_pk_add_f32 v[2:3], v[18:19], v[22:23]
	v_mov_b32_e32 v18, v37
	v_pk_mul_f32 v[18:19], v[4:5], v[18:19] op_sel:[1,0] op_sel_hi:[0,0]
	v_pk_fma_f32 v[20:21], v[4:5], v[36:37], v[18:19] neg_lo:[0,0,1] neg_hi:[0,0,1]
	v_pk_fma_f32 v[4:5], v[4:5], v[36:37], v[18:19] op_sel_hi:[1,0,1]
	s_nop 0
	v_mov_b32_e32 v21, v5
	s_waitcnt vmcnt(2) lgkmcnt(1)
	v_pk_mul_f32 v[4:5], v[6:7], v[26:27] op_sel:[1,1] op_sel_hi:[0,1]
	v_pk_fma_f32 v[18:19], v[6:7], v[26:27], v[4:5] neg_lo:[0,0,1] neg_hi:[0,0,1]
	v_pk_fma_f32 v[4:5], v[6:7], v[26:27], v[4:5] op_sel_hi:[1,0,1]
	v_pk_add_f32 v[2:3], v[2:3], v[20:21]
	v_mov_b32_e32 v4, v29
	v_mov_b32_e32 v19, v5
	v_pk_mul_f32 v[4:5], v[8:9], v[4:5] op_sel:[1,0] op_sel_hi:[0,0]
	v_pk_fma_f32 v[6:7], v[8:9], v[28:29], v[4:5] neg_lo:[0,0,1] neg_hi:[0,0,1]
	v_pk_fma_f32 v[4:5], v[8:9], v[28:29], v[4:5] op_sel_hi:[1,0,1]
	v_pk_add_f32 v[2:3], v[2:3], v[18:19]
	v_mov_b32_e32 v7, v5
	s_waitcnt vmcnt(1) lgkmcnt(0)
	v_pk_mul_f32 v[4:5], v[14:15], v[10:11] op_sel:[1,1] op_sel_hi:[0,1]
	v_pk_add_f32 v[2:3], v[2:3], v[6:7]
	v_pk_fma_f32 v[6:7], v[14:15], v[10:11], v[4:5] neg_lo:[0,0,1] neg_hi:[0,0,1]
	v_pk_fma_f32 v[4:5], v[14:15], v[10:11], v[4:5] op_sel_hi:[1,0,1]
	s_nop 0
	v_mov_b32_e32 v4, v13
	v_mov_b32_e32 v7, v5
	v_pk_mul_f32 v[4:5], v[16:17], v[4:5] op_sel:[1,0] op_sel_hi:[0,0]
	v_pk_add_f32 v[2:3], v[2:3], v[6:7]
	v_pk_fma_f32 v[6:7], v[16:17], v[12:13], v[4:5] neg_lo:[0,0,1] neg_hi:[0,0,1]
	v_pk_fma_f32 v[4:5], v[16:17], v[12:13], v[4:5] op_sel_hi:[1,0,1]
	s_nop 0
	v_mov_b32_e32 v7, v5
	v_pk_add_f32 v[2:3], v[2:3], v[6:7]
	s_waitcnt vmcnt(0)
	v_pk_add_f32 v[2:3], v[96:97], v[2:3] neg_lo:[0,1] neg_hi:[0,1]
	scratch_store_dwordx2 off, v[2:3], off offset:224
	s_and_saveexec_b64 s[0:1], vcc
	s_cbranch_execz .LBB118_289
; %bb.288:
	scratch_load_dwordx2 v[2:3], off, off offset:216
	v_mov_b32_e32 v4, 0
	v_mov_b32_e32 v5, v4
	scratch_store_dwordx2 off, v[4:5], off offset:216
	s_waitcnt vmcnt(1)
	ds_write_b64 v1, v[2:3]
.LBB118_289:
	s_or_b64 exec, exec, s[0:1]
	s_waitcnt lgkmcnt(0)
	; wave barrier
	scratch_load_dwordx4 v[18:21], off, off offset:224
	scratch_load_dwordx4 v[30:33], off, off offset:240
	;; [unrolled: 1-line block ×13, first 2 shown]
	scratch_load_dwordx2 v[54:55], off, off offset:432
	scratch_load_dwordx2 v[80:81], off, off offset:216
	v_mov_b32_e32 v82, 0
	ds_read_b128 v[56:59], v82 offset:672
	ds_read_b128 v[60:63], v82 offset:688
	;; [unrolled: 1-line block ×10, first 2 shown]
	v_cmp_lt_u32_e32 vcc, 26, v0
	s_waitcnt vmcnt(14) lgkmcnt(9)
	v_mul_f32_e32 v83, v56, v19
	v_mul_f32_e32 v100, v58, v21
	s_waitcnt vmcnt(12) lgkmcnt(7)
	v_mul_f32_e32 v105, v64, v3
	v_mul_f32_e32 v3, v65, v3
	v_fmac_f32_e32 v83, v57, v18
	v_mul_f32_e32 v102, v60, v31
	v_fmac_f32_e32 v100, v59, v20
	v_fmac_f32_e32 v105, v65, v2
	v_fma_f32 v2, v64, v2, -v3
	v_add_f32_e32 v3, 0, v83
	v_mul_f32_e32 v104, v62, v33
	v_fmac_f32_e32 v102, v61, v30
	v_add_f32_e32 v3, v3, v100
	v_fmac_f32_e32 v104, v63, v32
	v_add_f32_e32 v3, v3, v102
	v_mul_f32_e32 v106, v66, v5
	v_add_f32_e32 v3, v3, v104
	s_waitcnt vmcnt(11) lgkmcnt(6)
	v_mul_f32_e32 v107, v68, v7
	v_fmac_f32_e32 v106, v67, v4
	v_add_f32_e32 v3, v3, v105
	v_mul_f32_e32 v108, v70, v9
	v_fmac_f32_e32 v107, v69, v6
	v_add_f32_e32 v3, v3, v106
	s_waitcnt vmcnt(10) lgkmcnt(5)
	v_mul_f32_e32 v109, v72, v15
	v_fmac_f32_e32 v108, v71, v8
	v_add_f32_e32 v3, v3, v107
	v_mul_f32_e32 v110, v74, v17
	v_fmac_f32_e32 v109, v73, v14
	;; [unrolled: 7-line block ×3, first 2 shown]
	v_add_f32_e32 v3, v3, v110
	s_waitcnt vmcnt(8) lgkmcnt(3)
	v_mul_f32_e32 v113, v84, v35
	v_mul_f32_e32 v19, v57, v19
	v_fmac_f32_e32 v112, v79, v24
	v_add_f32_e32 v3, v3, v111
	v_mul_f32_e32 v114, v86, v37
	v_mul_f32_e32 v21, v59, v21
	v_fmac_f32_e32 v113, v85, v34
	v_fma_f32 v18, v56, v18, -v19
	v_add_f32_e32 v3, v3, v112
	s_waitcnt vmcnt(7) lgkmcnt(2)
	v_mul_f32_e32 v115, v88, v39
	v_mul_f32_e32 v31, v61, v31
	v_fmac_f32_e32 v114, v87, v36
	v_fma_f32 v19, v58, v20, -v21
	v_add_f32_e32 v18, 0, v18
	v_add_f32_e32 v3, v3, v113
	v_mul_f32_e32 v116, v90, v41
	v_mul_f32_e32 v33, v63, v33
	v_fmac_f32_e32 v115, v89, v38
	v_fma_f32 v20, v60, v30, -v31
	v_add_f32_e32 v18, v18, v19
	v_add_f32_e32 v3, v3, v114
	s_waitcnt vmcnt(6) lgkmcnt(1)
	v_mul_f32_e32 v117, v92, v51
	v_fmac_f32_e32 v116, v91, v40
	v_fma_f32 v21, v62, v32, -v33
	v_add_f32_e32 v18, v18, v20
	v_add_f32_e32 v3, v3, v115
	v_mul_f32_e32 v5, v67, v5
	v_fmac_f32_e32 v117, v93, v50
	v_add_f32_e32 v18, v18, v21
	v_add_f32_e32 v3, v3, v116
	;; [unrolled: 1-line block ×4, first 2 shown]
	v_fma_f32 v3, v66, v4, -v5
	v_add_f32_e32 v2, v2, v3
	v_mul_f32_e32 v3, v69, v7
	v_fma_f32 v3, v68, v6, -v3
	v_add_f32_e32 v2, v2, v3
	v_mul_f32_e32 v3, v71, v9
	;; [unrolled: 3-line block ×12, first 2 shown]
	v_mul_f32_e32 v101, v94, v53
	v_fma_f32 v100, v94, v52, -v2
	s_waitcnt vmcnt(5) lgkmcnt(0)
	v_mul_f32_e32 v2, v97, v47
	v_mov_b32_e32 v22, v49
	v_mul_f32_e32 v103, v96, v47
	v_fmac_f32_e32 v101, v95, v52
	v_fma_f32 v102, v96, v46, -v2
	ds_read_b128 v[2:5], v82 offset:832
	ds_read_b128 v[6:9], v82 offset:848
	;; [unrolled: 1-line block ×3, first 2 shown]
	ds_read_b64 v[20:21], v82 offset:880
	v_pk_mul_f32 v[22:23], v[98:99], v[22:23] op_sel:[1,0] op_sel_hi:[0,0]
	v_fmac_f32_e32 v103, v97, v46
	v_pk_add_f32 v[18:19], v[18:19], v[100:101]
	v_pk_fma_f32 v[24:25], v[98:99], v[48:49], v[22:23] neg_lo:[0,0,1] neg_hi:[0,0,1]
	v_pk_fma_f32 v[22:23], v[98:99], v[48:49], v[22:23] op_sel_hi:[1,0,1]
	v_pk_add_f32 v[18:19], v[18:19], v[102:103]
	v_mov_b32_e32 v25, v23
	s_waitcnt vmcnt(4) lgkmcnt(3)
	v_pk_mul_f32 v[22:23], v[2:3], v[42:43] op_sel:[1,1] op_sel_hi:[0,1]
	v_pk_add_f32 v[18:19], v[18:19], v[24:25]
	v_pk_fma_f32 v[24:25], v[2:3], v[42:43], v[22:23] neg_lo:[0,0,1] neg_hi:[0,0,1]
	v_pk_fma_f32 v[2:3], v[2:3], v[42:43], v[22:23] op_sel_hi:[1,0,1]
	s_nop 0
	v_mov_b32_e32 v25, v3
	v_pk_add_f32 v[2:3], v[18:19], v[24:25]
	v_mov_b32_e32 v18, v45
	v_pk_mul_f32 v[18:19], v[4:5], v[18:19] op_sel:[1,0] op_sel_hi:[0,0]
	v_pk_fma_f32 v[22:23], v[4:5], v[44:45], v[18:19] neg_lo:[0,0,1] neg_hi:[0,0,1]
	v_pk_fma_f32 v[4:5], v[4:5], v[44:45], v[18:19] op_sel_hi:[1,0,1]
	s_nop 0
	v_mov_b32_e32 v23, v5
	s_waitcnt vmcnt(3) lgkmcnt(2)
	v_pk_mul_f32 v[4:5], v[6:7], v[26:27] op_sel:[1,1] op_sel_hi:[0,1]
	v_pk_fma_f32 v[18:19], v[6:7], v[26:27], v[4:5] neg_lo:[0,0,1] neg_hi:[0,0,1]
	v_pk_fma_f32 v[4:5], v[6:7], v[26:27], v[4:5] op_sel_hi:[1,0,1]
	v_pk_add_f32 v[2:3], v[2:3], v[22:23]
	v_mov_b32_e32 v4, v29
	v_mov_b32_e32 v19, v5
	v_pk_mul_f32 v[4:5], v[8:9], v[4:5] op_sel:[1,0] op_sel_hi:[0,0]
	v_pk_fma_f32 v[6:7], v[8:9], v[28:29], v[4:5] neg_lo:[0,0,1] neg_hi:[0,0,1]
	v_pk_fma_f32 v[4:5], v[8:9], v[28:29], v[4:5] op_sel_hi:[1,0,1]
	v_pk_add_f32 v[2:3], v[2:3], v[18:19]
	v_mov_b32_e32 v7, v5
	s_waitcnt vmcnt(2) lgkmcnt(1)
	v_pk_mul_f32 v[4:5], v[14:15], v[10:11] op_sel:[1,1] op_sel_hi:[0,1]
	v_pk_add_f32 v[2:3], v[2:3], v[6:7]
	v_pk_fma_f32 v[6:7], v[14:15], v[10:11], v[4:5] neg_lo:[0,0,1] neg_hi:[0,0,1]
	v_pk_fma_f32 v[4:5], v[14:15], v[10:11], v[4:5] op_sel_hi:[1,0,1]
	s_nop 0
	v_mov_b32_e32 v4, v13
	v_mov_b32_e32 v7, v5
	v_pk_mul_f32 v[4:5], v[16:17], v[4:5] op_sel:[1,0] op_sel_hi:[0,0]
	v_pk_add_f32 v[2:3], v[2:3], v[6:7]
	v_pk_fma_f32 v[6:7], v[16:17], v[12:13], v[4:5] neg_lo:[0,0,1] neg_hi:[0,0,1]
	v_pk_fma_f32 v[4:5], v[16:17], v[12:13], v[4:5] op_sel_hi:[1,0,1]
	s_nop 0
	v_mov_b32_e32 v7, v5
	s_waitcnt vmcnt(1) lgkmcnt(0)
	v_pk_mul_f32 v[4:5], v[20:21], v[54:55] op_sel:[1,1] op_sel_hi:[0,1]
	v_pk_add_f32 v[2:3], v[2:3], v[6:7]
	v_pk_fma_f32 v[6:7], v[20:21], v[54:55], v[4:5] neg_lo:[0,0,1] neg_hi:[0,0,1]
	v_pk_fma_f32 v[4:5], v[20:21], v[54:55], v[4:5] op_sel_hi:[1,0,1]
	s_nop 0
	v_mov_b32_e32 v7, v5
	v_pk_add_f32 v[2:3], v[2:3], v[6:7]
	s_waitcnt vmcnt(0)
	v_pk_add_f32 v[2:3], v[80:81], v[2:3] neg_lo:[0,1] neg_hi:[0,1]
	scratch_store_dwordx2 off, v[2:3], off offset:216
	s_and_saveexec_b64 s[0:1], vcc
	s_cbranch_execz .LBB118_291
; %bb.290:
	scratch_load_dwordx2 v[2:3], off, off offset:208
	v_mov_b32_e32 v83, v82
	scratch_store_dwordx2 off, v[82:83], off offset:208
	s_waitcnt vmcnt(1)
	ds_write_b64 v1, v[2:3]
.LBB118_291:
	s_or_b64 exec, exec, s[0:1]
	s_waitcnt lgkmcnt(0)
	; wave barrier
	scratch_load_dwordx4 v[10:13], off, off offset:216
	scratch_load_dwordx4 v[26:29], off, off offset:232
	scratch_load_dwordx4 v[2:5], off, off offset:248
	scratch_load_dwordx4 v[6:9], off, off offset:264
	scratch_load_dwordx4 v[14:17], off, off offset:280
	scratch_load_dwordx4 v[22:25], off, off offset:296
	scratch_load_dwordx4 v[30:33], off, off offset:312
	scratch_load_dwordx4 v[38:41], off, off offset:328
	scratch_load_dwordx4 v[42:45], off, off offset:344
	scratch_load_dwordx4 v[50:53], off, off offset:360
	ds_read2_b64 v[84:87], v82 offset0:83 offset1:84
	ds_read2_b64 v[88:91], v82 offset0:85 offset1:86
	;; [unrolled: 1-line block ×10, first 2 shown]
	scratch_load_dwordx4 v[54:57], off, off offset:376
	scratch_load_dwordx4 v[46:49], off, off offset:392
	scratch_load_dwordx4 v[34:37], off, off offset:408
	scratch_load_dwordx4 v[18:21], off, off offset:424
	scratch_load_dwordx2 v[100:101], off, off offset:208
	v_cmp_lt_u32_e32 vcc, 25, v0
	s_waitcnt vmcnt(14) lgkmcnt(9)
	v_mul_f32_e32 v83, v84, v11
	v_mul_f32_e32 v102, v86, v13
	s_waitcnt vmcnt(12) lgkmcnt(7)
	v_mul_f32_e32 v107, v92, v3
	v_mul_f32_e32 v3, v93, v3
	v_fmac_f32_e32 v83, v85, v10
	v_mul_f32_e32 v104, v88, v27
	v_fmac_f32_e32 v102, v87, v12
	v_fmac_f32_e32 v107, v93, v2
	v_fma_f32 v2, v92, v2, -v3
	v_add_f32_e32 v3, 0, v83
	v_mul_f32_e32 v106, v90, v29
	v_fmac_f32_e32 v104, v89, v26
	v_add_f32_e32 v3, v3, v102
	v_fmac_f32_e32 v106, v91, v28
	v_add_f32_e32 v3, v3, v104
	v_mul_f32_e32 v108, v94, v5
	v_add_f32_e32 v3, v3, v106
	s_waitcnt vmcnt(11) lgkmcnt(6)
	v_mul_f32_e32 v109, v96, v7
	v_fmac_f32_e32 v108, v95, v4
	v_add_f32_e32 v3, v3, v107
	v_mul_f32_e32 v110, v98, v9
	v_fmac_f32_e32 v109, v97, v6
	v_add_f32_e32 v3, v3, v108
	s_waitcnt vmcnt(10) lgkmcnt(5)
	v_mul_f32_e32 v111, v78, v15
	v_fmac_f32_e32 v110, v99, v8
	v_add_f32_e32 v3, v3, v109
	v_mul_f32_e32 v112, v80, v17
	v_fmac_f32_e32 v111, v79, v14
	;; [unrolled: 7-line block ×4, first 2 shown]
	v_add_f32_e32 v3, v3, v114
	s_waitcnt vmcnt(7) lgkmcnt(2)
	v_mul_f32_e32 v117, v66, v39
	v_mul_f32_e32 v11, v85, v11
	v_fmac_f32_e32 v116, v73, v32
	v_add_f32_e32 v3, v3, v115
	v_mul_f32_e32 v118, v68, v41
	v_mul_f32_e32 v13, v87, v13
	v_fmac_f32_e32 v117, v67, v38
	v_fma_f32 v10, v84, v10, -v11
	v_add_f32_e32 v3, v3, v116
	s_waitcnt vmcnt(6) lgkmcnt(1)
	v_mul_f32_e32 v119, v62, v43
	v_mul_f32_e32 v27, v89, v27
	v_fmac_f32_e32 v118, v69, v40
	v_fma_f32 v11, v86, v12, -v13
	v_add_f32_e32 v10, 0, v10
	v_add_f32_e32 v3, v3, v117
	v_mul_f32_e32 v120, v64, v45
	v_mul_f32_e32 v29, v91, v29
	v_fmac_f32_e32 v119, v63, v42
	v_fma_f32 v12, v88, v26, -v27
	v_add_f32_e32 v10, v10, v11
	v_add_f32_e32 v3, v3, v118
	v_fmac_f32_e32 v120, v65, v44
	v_fma_f32 v13, v90, v28, -v29
	v_add_f32_e32 v10, v10, v12
	v_add_f32_e32 v3, v3, v119
	;; [unrolled: 1-line block ×4, first 2 shown]
	v_mul_f32_e32 v3, v95, v5
	v_add_f32_e32 v2, v10, v2
	v_fma_f32 v3, v94, v4, -v3
	v_add_f32_e32 v2, v2, v3
	v_mul_f32_e32 v3, v97, v7
	v_fma_f32 v3, v96, v6, -v3
	v_add_f32_e32 v2, v2, v3
	v_mul_f32_e32 v3, v99, v9
	;; [unrolled: 3-line block ×12, first 2 shown]
	v_fma_f32 v3, v64, v44, -v3
	v_add_f32_e32 v26, v2, v3
	s_waitcnt vmcnt(5) lgkmcnt(0)
	v_mul_f32_e32 v2, v59, v51
	v_fma_f32 v102, v58, v50, -v2
	v_mul_f32_e32 v2, v61, v53
	v_fma_f32 v104, v60, v52, -v2
	ds_read2_b64 v[2:5], v82 offset0:103 offset1:104
	ds_read2_b64 v[6:9], v82 offset0:105 offset1:106
	;; [unrolled: 1-line block ×4, first 2 shown]
	v_mul_f32_e32 v103, v58, v51
	v_mul_f32_e32 v105, v60, v53
	v_fmac_f32_e32 v103, v59, v50
	s_waitcnt vmcnt(4) lgkmcnt(3)
	v_pk_mul_f32 v[24:25], v[2:3], v[54:55] op_sel:[1,1] op_sel_hi:[0,1]
	v_fmac_f32_e32 v105, v61, v52
	v_pk_add_f32 v[22:23], v[26:27], v[102:103]
	v_pk_fma_f32 v[26:27], v[2:3], v[54:55], v[24:25] neg_lo:[0,0,1] neg_hi:[0,0,1]
	v_pk_fma_f32 v[2:3], v[2:3], v[54:55], v[24:25] op_sel_hi:[1,0,1]
	v_pk_add_f32 v[22:23], v[22:23], v[104:105]
	v_mov_b32_e32 v27, v3
	v_pk_add_f32 v[2:3], v[22:23], v[26:27]
	v_mov_b32_e32 v22, v57
	v_pk_mul_f32 v[22:23], v[4:5], v[22:23] op_sel:[1,0] op_sel_hi:[0,0]
	v_pk_fma_f32 v[24:25], v[4:5], v[56:57], v[22:23] neg_lo:[0,0,1] neg_hi:[0,0,1]
	v_pk_fma_f32 v[4:5], v[4:5], v[56:57], v[22:23] op_sel_hi:[1,0,1]
	s_nop 0
	v_mov_b32_e32 v25, v5
	s_waitcnt vmcnt(3) lgkmcnt(2)
	v_pk_mul_f32 v[4:5], v[6:7], v[46:47] op_sel:[1,1] op_sel_hi:[0,1]
	v_pk_fma_f32 v[22:23], v[6:7], v[46:47], v[4:5] neg_lo:[0,0,1] neg_hi:[0,0,1]
	v_pk_fma_f32 v[4:5], v[6:7], v[46:47], v[4:5] op_sel_hi:[1,0,1]
	v_pk_add_f32 v[2:3], v[2:3], v[24:25]
	v_mov_b32_e32 v4, v49
	v_mov_b32_e32 v23, v5
	v_pk_mul_f32 v[4:5], v[8:9], v[4:5] op_sel:[1,0] op_sel_hi:[0,0]
	v_pk_fma_f32 v[6:7], v[8:9], v[48:49], v[4:5] neg_lo:[0,0,1] neg_hi:[0,0,1]
	v_pk_fma_f32 v[4:5], v[8:9], v[48:49], v[4:5] op_sel_hi:[1,0,1]
	v_pk_add_f32 v[2:3], v[2:3], v[22:23]
	v_mov_b32_e32 v7, v5
	s_waitcnt vmcnt(2) lgkmcnt(1)
	v_pk_mul_f32 v[4:5], v[10:11], v[34:35] op_sel:[1,1] op_sel_hi:[0,1]
	v_pk_add_f32 v[2:3], v[2:3], v[6:7]
	v_pk_fma_f32 v[6:7], v[10:11], v[34:35], v[4:5] neg_lo:[0,0,1] neg_hi:[0,0,1]
	v_pk_fma_f32 v[4:5], v[10:11], v[34:35], v[4:5] op_sel_hi:[1,0,1]
	s_nop 0
	v_mov_b32_e32 v4, v37
	v_mov_b32_e32 v7, v5
	v_pk_mul_f32 v[4:5], v[12:13], v[4:5] op_sel:[1,0] op_sel_hi:[0,0]
	v_pk_add_f32 v[2:3], v[2:3], v[6:7]
	v_pk_fma_f32 v[6:7], v[12:13], v[36:37], v[4:5] neg_lo:[0,0,1] neg_hi:[0,0,1]
	v_pk_fma_f32 v[4:5], v[12:13], v[36:37], v[4:5] op_sel_hi:[1,0,1]
	s_nop 0
	v_mov_b32_e32 v7, v5
	s_waitcnt vmcnt(1) lgkmcnt(0)
	v_pk_mul_f32 v[4:5], v[14:15], v[18:19] op_sel:[1,1] op_sel_hi:[0,1]
	v_pk_add_f32 v[2:3], v[2:3], v[6:7]
	v_pk_fma_f32 v[6:7], v[14:15], v[18:19], v[4:5] neg_lo:[0,0,1] neg_hi:[0,0,1]
	v_pk_fma_f32 v[4:5], v[14:15], v[18:19], v[4:5] op_sel_hi:[1,0,1]
	s_nop 0
	v_mov_b32_e32 v4, v21
	v_mov_b32_e32 v7, v5
	v_pk_mul_f32 v[4:5], v[16:17], v[4:5] op_sel:[1,0] op_sel_hi:[0,0]
	v_pk_add_f32 v[2:3], v[2:3], v[6:7]
	v_pk_fma_f32 v[6:7], v[16:17], v[20:21], v[4:5] neg_lo:[0,0,1] neg_hi:[0,0,1]
	v_pk_fma_f32 v[4:5], v[16:17], v[20:21], v[4:5] op_sel_hi:[1,0,1]
	s_nop 0
	v_mov_b32_e32 v7, v5
	v_pk_add_f32 v[2:3], v[2:3], v[6:7]
	s_waitcnt vmcnt(0)
	v_pk_add_f32 v[2:3], v[100:101], v[2:3] neg_lo:[0,1] neg_hi:[0,1]
	scratch_store_dwordx2 off, v[2:3], off offset:208
	s_and_saveexec_b64 s[0:1], vcc
	s_cbranch_execz .LBB118_293
; %bb.292:
	scratch_load_dwordx2 v[2:3], off, off offset:200
	v_mov_b32_e32 v4, 0
	v_mov_b32_e32 v5, v4
	scratch_store_dwordx2 off, v[4:5], off offset:200
	s_waitcnt vmcnt(1)
	ds_write_b64 v1, v[2:3]
.LBB118_293:
	s_or_b64 exec, exec, s[0:1]
	s_waitcnt lgkmcnt(0)
	; wave barrier
	scratch_load_dwordx4 v[26:29], off, off offset:208
	scratch_load_dwordx4 v[2:5], off, off offset:224
	;; [unrolled: 1-line block ×14, first 2 shown]
	scratch_load_dwordx2 v[58:59], off, off offset:432
	scratch_load_dwordx2 v[100:101], off, off offset:200
	v_mov_b32_e32 v102, 0
	ds_read_b128 v[60:63], v102 offset:656
	ds_read_b128 v[64:67], v102 offset:672
	;; [unrolled: 1-line block ×12, first 2 shown]
	v_cmp_lt_u32_e32 vcc, 24, v0
	s_waitcnt vmcnt(15) lgkmcnt(11)
	v_mul_f32_e32 v103, v60, v27
	v_mul_f32_e32 v112, v62, v29
	s_waitcnt vmcnt(14) lgkmcnt(10)
	v_mul_f32_e32 v114, v64, v3
	v_mul_f32_e32 v3, v65, v3
	v_fmac_f32_e32 v103, v61, v26
	v_fmac_f32_e32 v112, v63, v28
	;; [unrolled: 1-line block ×3, first 2 shown]
	v_fma_f32 v2, v64, v2, -v3
	v_add_f32_e32 v3, 0, v103
	v_mul_f32_e32 v116, v66, v5
	v_add_f32_e32 v3, v3, v112
	s_waitcnt vmcnt(13) lgkmcnt(9)
	v_mul_f32_e32 v117, v68, v7
	v_fmac_f32_e32 v116, v67, v4
	v_add_f32_e32 v3, v3, v114
	v_mul_f32_e32 v118, v70, v9
	v_fmac_f32_e32 v117, v69, v6
	v_add_f32_e32 v3, v3, v116
	s_waitcnt vmcnt(12) lgkmcnt(8)
	v_mul_f32_e32 v119, v72, v11
	v_fmac_f32_e32 v118, v71, v8
	v_add_f32_e32 v3, v3, v117
	v_mul_f32_e32 v120, v74, v13
	v_fmac_f32_e32 v119, v73, v10
	;; [unrolled: 7-line block ×6, first 2 shown]
	v_add_f32_e32 v3, v3, v126
	s_waitcnt vmcnt(7) lgkmcnt(3)
	v_mul_f32_e32 v129, v92, v43
	v_fmac_f32_e32 v128, v91, v40
	v_add_f32_e32 v3, v3, v127
	v_mul_f32_e32 v130, v94, v45
	v_mul_f32_e32 v27, v61, v27
	v_fmac_f32_e32 v129, v93, v42
	v_add_f32_e32 v3, v3, v128
	s_waitcnt vmcnt(6) lgkmcnt(2)
	v_mul_f32_e32 v131, v96, v51
	v_mul_f32_e32 v29, v63, v29
	v_fmac_f32_e32 v130, v95, v44
	v_fma_f32 v26, v60, v26, -v27
	v_add_f32_e32 v3, v3, v129
	v_fmac_f32_e32 v131, v97, v50
	v_fma_f32 v27, v62, v28, -v29
	v_add_f32_e32 v26, 0, v26
	v_add_f32_e32 v3, v3, v130
	;; [unrolled: 1-line block ×4, first 2 shown]
	v_mul_f32_e32 v3, v67, v5
	v_add_f32_e32 v2, v26, v2
	v_fma_f32 v3, v66, v4, -v3
	v_add_f32_e32 v2, v2, v3
	v_mul_f32_e32 v3, v69, v7
	v_fma_f32 v3, v68, v6, -v3
	v_add_f32_e32 v2, v2, v3
	v_mul_f32_e32 v3, v71, v9
	;; [unrolled: 3-line block ×15, first 2 shown]
	v_fma_f32 v3, v96, v50, -v3
	v_mul_f32_e32 v113, v98, v53
	v_add_f32_e32 v26, v2, v3
	v_mul_f32_e32 v2, v99, v53
	s_waitcnt vmcnt(5)
	v_mov_b32_e32 v14, v57
	s_waitcnt lgkmcnt(1)
	v_mul_f32_e32 v115, v104, v55
	v_fmac_f32_e32 v113, v99, v52
	v_fma_f32 v112, v98, v52, -v2
	v_mul_f32_e32 v2, v105, v55
	v_pk_mul_f32 v[14:15], v[106:107], v[14:15] op_sel:[1,0] op_sel_hi:[0,0]
	v_fmac_f32_e32 v115, v105, v54
	v_fma_f32 v114, v104, v54, -v2
	v_pk_add_f32 v[12:13], v[26:27], v[112:113]
	v_pk_fma_f32 v[16:17], v[106:107], v[56:57], v[14:15] neg_lo:[0,0,1] neg_hi:[0,0,1]
	v_pk_fma_f32 v[14:15], v[106:107], v[56:57], v[14:15] op_sel_hi:[1,0,1]
	v_pk_add_f32 v[12:13], v[12:13], v[114:115]
	v_mov_b32_e32 v17, v15
	s_waitcnt vmcnt(4) lgkmcnt(0)
	v_pk_mul_f32 v[14:15], v[108:109], v[46:47] op_sel:[1,1] op_sel_hi:[0,1]
	v_pk_add_f32 v[12:13], v[12:13], v[16:17]
	v_pk_fma_f32 v[16:17], v[108:109], v[46:47], v[14:15] neg_lo:[0,0,1] neg_hi:[0,0,1]
	v_pk_fma_f32 v[14:15], v[108:109], v[46:47], v[14:15] op_sel_hi:[1,0,1]
	ds_read_b128 v[2:5], v102 offset:848
	ds_read_b128 v[6:9], v102 offset:864
	ds_read_b64 v[10:11], v102 offset:880
	v_mov_b32_e32 v14, v49
	v_mov_b32_e32 v17, v15
	v_pk_mul_f32 v[14:15], v[110:111], v[14:15] op_sel:[1,0] op_sel_hi:[0,0]
	v_pk_add_f32 v[12:13], v[12:13], v[16:17]
	v_pk_fma_f32 v[16:17], v[110:111], v[48:49], v[14:15] neg_lo:[0,0,1] neg_hi:[0,0,1]
	v_pk_fma_f32 v[14:15], v[110:111], v[48:49], v[14:15] op_sel_hi:[1,0,1]
	s_nop 0
	v_mov_b32_e32 v17, v15
	s_waitcnt vmcnt(3) lgkmcnt(2)
	v_pk_mul_f32 v[14:15], v[2:3], v[34:35] op_sel:[1,1] op_sel_hi:[0,1]
	v_pk_add_f32 v[12:13], v[12:13], v[16:17]
	v_pk_fma_f32 v[16:17], v[2:3], v[34:35], v[14:15] neg_lo:[0,0,1] neg_hi:[0,0,1]
	v_pk_fma_f32 v[2:3], v[2:3], v[34:35], v[14:15] op_sel_hi:[1,0,1]
	s_nop 0
	v_mov_b32_e32 v17, v3
	v_pk_add_f32 v[2:3], v[12:13], v[16:17]
	v_mov_b32_e32 v12, v37
	v_pk_mul_f32 v[12:13], v[4:5], v[12:13] op_sel:[1,0] op_sel_hi:[0,0]
	v_pk_fma_f32 v[14:15], v[4:5], v[36:37], v[12:13] neg_lo:[0,0,1] neg_hi:[0,0,1]
	v_pk_fma_f32 v[4:5], v[4:5], v[36:37], v[12:13] op_sel_hi:[1,0,1]
	s_nop 0
	v_mov_b32_e32 v15, v5
	s_waitcnt vmcnt(2) lgkmcnt(1)
	v_pk_mul_f32 v[4:5], v[6:7], v[18:19] op_sel:[1,1] op_sel_hi:[0,1]
	v_pk_fma_f32 v[12:13], v[6:7], v[18:19], v[4:5] neg_lo:[0,0,1] neg_hi:[0,0,1]
	v_pk_fma_f32 v[4:5], v[6:7], v[18:19], v[4:5] op_sel_hi:[1,0,1]
	v_pk_add_f32 v[2:3], v[2:3], v[14:15]
	v_mov_b32_e32 v4, v21
	v_mov_b32_e32 v13, v5
	v_pk_mul_f32 v[4:5], v[8:9], v[4:5] op_sel:[1,0] op_sel_hi:[0,0]
	v_pk_fma_f32 v[6:7], v[8:9], v[20:21], v[4:5] neg_lo:[0,0,1] neg_hi:[0,0,1]
	v_pk_fma_f32 v[4:5], v[8:9], v[20:21], v[4:5] op_sel_hi:[1,0,1]
	v_pk_add_f32 v[2:3], v[2:3], v[12:13]
	v_mov_b32_e32 v7, v5
	s_waitcnt vmcnt(1) lgkmcnt(0)
	v_pk_mul_f32 v[4:5], v[10:11], v[58:59] op_sel:[1,1] op_sel_hi:[0,1]
	v_pk_add_f32 v[2:3], v[2:3], v[6:7]
	v_pk_fma_f32 v[6:7], v[10:11], v[58:59], v[4:5] neg_lo:[0,0,1] neg_hi:[0,0,1]
	v_pk_fma_f32 v[4:5], v[10:11], v[58:59], v[4:5] op_sel_hi:[1,0,1]
	s_nop 0
	v_mov_b32_e32 v7, v5
	v_pk_add_f32 v[2:3], v[2:3], v[6:7]
	s_waitcnt vmcnt(0)
	v_pk_add_f32 v[2:3], v[100:101], v[2:3] neg_lo:[0,1] neg_hi:[0,1]
	scratch_store_dwordx2 off, v[2:3], off offset:200
	s_and_saveexec_b64 s[0:1], vcc
	s_cbranch_execz .LBB118_295
; %bb.294:
	scratch_load_dwordx2 v[2:3], off, off offset:192
	v_mov_b32_e32 v103, v102
	scratch_store_dwordx2 off, v[102:103], off offset:192
	s_waitcnt vmcnt(1)
	ds_write_b64 v1, v[2:3]
.LBB118_295:
	s_or_b64 exec, exec, s[0:1]
	s_waitcnt lgkmcnt(0)
	; wave barrier
	scratch_load_dwordx4 v[18:21], off, off offset:200
	scratch_load_dwordx4 v[2:5], off, off offset:216
	;; [unrolled: 1-line block ×11, first 2 shown]
	ds_read2_b64 v[104:107], v102 offset0:81 offset1:82
	ds_read2_b64 v[98:101], v102 offset0:83 offset1:84
	ds_read2_b64 v[94:97], v102 offset0:85 offset1:86
	ds_read2_b64 v[90:93], v102 offset0:87 offset1:88
	ds_read2_b64 v[86:89], v102 offset0:89 offset1:90
	ds_read2_b64 v[82:85], v102 offset0:91 offset1:92
	ds_read2_b64 v[74:77], v102 offset0:93 offset1:94
	ds_read2_b64 v[70:73], v102 offset0:95 offset1:96
	ds_read2_b64 v[66:69], v102 offset0:97 offset1:98
	ds_read2_b64 v[62:65], v102 offset0:99 offset1:100
	scratch_load_dwordx4 v[58:61], off, off offset:376
	scratch_load_dwordx4 v[50:53], off, off offset:392
	scratch_load_dwordx4 v[38:41], off, off offset:408
	scratch_load_dwordx4 v[26:29], off, off offset:424
	ds_read2_b64 v[78:81], v102 offset0:101 offset1:102
	ds_read2_b64 v[108:111], v102 offset0:103 offset1:104
	scratch_load_dwordx2 v[112:113], off, off offset:192
	v_cmp_lt_u32_e32 vcc, 23, v0
	s_waitcnt vmcnt(15) lgkmcnt(11)
	v_mul_f32_e32 v103, v104, v19
	v_mul_f32_e32 v114, v106, v21
	s_waitcnt vmcnt(14) lgkmcnt(10)
	v_mul_f32_e32 v116, v98, v3
	v_mul_f32_e32 v3, v99, v3
	v_fmac_f32_e32 v103, v105, v18
	v_fmac_f32_e32 v114, v107, v20
	;; [unrolled: 1-line block ×3, first 2 shown]
	v_fma_f32 v2, v98, v2, -v3
	v_add_f32_e32 v3, 0, v103
	v_mul_f32_e32 v118, v100, v5
	v_add_f32_e32 v3, v3, v114
	s_waitcnt vmcnt(13) lgkmcnt(9)
	v_mul_f32_e32 v119, v94, v7
	v_fmac_f32_e32 v118, v101, v4
	v_add_f32_e32 v3, v3, v116
	v_mul_f32_e32 v120, v96, v9
	v_fmac_f32_e32 v119, v95, v6
	v_add_f32_e32 v3, v3, v118
	s_waitcnt vmcnt(12) lgkmcnt(8)
	v_mul_f32_e32 v121, v90, v11
	v_fmac_f32_e32 v120, v97, v8
	v_add_f32_e32 v3, v3, v119
	v_mul_f32_e32 v122, v92, v13
	v_fmac_f32_e32 v121, v91, v10
	;; [unrolled: 7-line block ×7, first 2 shown]
	v_add_f32_e32 v3, v3, v130
	s_waitcnt vmcnt(6) lgkmcnt(2)
	v_mul_f32_e32 v133, v62, v47
	v_mul_f32_e32 v19, v105, v19
	v_fmac_f32_e32 v132, v69, v44
	v_add_f32_e32 v3, v3, v131
	v_mul_f32_e32 v134, v64, v49
	v_mul_f32_e32 v21, v107, v21
	v_fmac_f32_e32 v133, v63, v46
	v_fma_f32 v18, v104, v18, -v19
	v_add_f32_e32 v3, v3, v132
	v_fmac_f32_e32 v134, v65, v48
	v_fma_f32 v19, v106, v20, -v21
	v_add_f32_e32 v18, 0, v18
	v_add_f32_e32 v3, v3, v133
	;; [unrolled: 1-line block ×4, first 2 shown]
	v_mul_f32_e32 v3, v101, v5
	v_add_f32_e32 v2, v18, v2
	v_fma_f32 v3, v100, v4, -v3
	v_add_f32_e32 v2, v2, v3
	v_mul_f32_e32 v3, v95, v7
	v_fma_f32 v3, v94, v6, -v3
	v_add_f32_e32 v2, v2, v3
	v_mul_f32_e32 v3, v97, v9
	;; [unrolled: 3-line block ×16, first 2 shown]
	v_fma_f32 v3, v64, v48, -v3
	s_waitcnt vmcnt(5) lgkmcnt(1)
	v_mul_f32_e32 v115, v78, v55
	v_add_f32_e32 v18, v2, v3
	v_mul_f32_e32 v2, v79, v55
	v_fmac_f32_e32 v115, v79, v54
	v_fma_f32 v114, v78, v54, -v2
	s_waitcnt vmcnt(4) lgkmcnt(0)
	v_pk_mul_f32 v[16:17], v[108:109], v[58:59] op_sel:[1,1] op_sel_hi:[0,1]
	v_mul_f32_e32 v117, v80, v57
	v_mul_f32_e32 v2, v81, v57
	v_pk_add_f32 v[14:15], v[18:19], v[114:115]
	v_pk_fma_f32 v[18:19], v[108:109], v[58:59], v[16:17] neg_lo:[0,0,1] neg_hi:[0,0,1]
	v_pk_fma_f32 v[16:17], v[108:109], v[58:59], v[16:17] op_sel_hi:[1,0,1]
	v_fmac_f32_e32 v117, v81, v56
	v_fma_f32 v116, v80, v56, -v2
	ds_read2_b64 v[2:5], v102 offset0:105 offset1:106
	ds_read2_b64 v[6:9], v102 offset0:107 offset1:108
	;; [unrolled: 1-line block ×3, first 2 shown]
	v_mov_b32_e32 v16, v61
	v_pk_add_f32 v[14:15], v[14:15], v[116:117]
	v_mov_b32_e32 v19, v17
	v_pk_mul_f32 v[16:17], v[110:111], v[16:17] op_sel:[1,0] op_sel_hi:[0,0]
	v_pk_add_f32 v[14:15], v[14:15], v[18:19]
	v_pk_fma_f32 v[18:19], v[110:111], v[60:61], v[16:17] neg_lo:[0,0,1] neg_hi:[0,0,1]
	v_pk_fma_f32 v[16:17], v[110:111], v[60:61], v[16:17] op_sel_hi:[1,0,1]
	s_nop 0
	v_mov_b32_e32 v19, v17
	s_waitcnt vmcnt(3) lgkmcnt(2)
	v_pk_mul_f32 v[16:17], v[2:3], v[50:51] op_sel:[1,1] op_sel_hi:[0,1]
	v_pk_add_f32 v[14:15], v[14:15], v[18:19]
	v_pk_fma_f32 v[18:19], v[2:3], v[50:51], v[16:17] neg_lo:[0,0,1] neg_hi:[0,0,1]
	v_pk_fma_f32 v[2:3], v[2:3], v[50:51], v[16:17] op_sel_hi:[1,0,1]
	s_nop 0
	v_mov_b32_e32 v19, v3
	v_pk_add_f32 v[2:3], v[14:15], v[18:19]
	v_mov_b32_e32 v14, v53
	v_pk_mul_f32 v[14:15], v[4:5], v[14:15] op_sel:[1,0] op_sel_hi:[0,0]
	v_pk_fma_f32 v[16:17], v[4:5], v[52:53], v[14:15] neg_lo:[0,0,1] neg_hi:[0,0,1]
	v_pk_fma_f32 v[4:5], v[4:5], v[52:53], v[14:15] op_sel_hi:[1,0,1]
	s_nop 0
	v_mov_b32_e32 v17, v5
	s_waitcnt vmcnt(2) lgkmcnt(1)
	v_pk_mul_f32 v[4:5], v[6:7], v[38:39] op_sel:[1,1] op_sel_hi:[0,1]
	v_pk_fma_f32 v[14:15], v[6:7], v[38:39], v[4:5] neg_lo:[0,0,1] neg_hi:[0,0,1]
	v_pk_fma_f32 v[4:5], v[6:7], v[38:39], v[4:5] op_sel_hi:[1,0,1]
	v_pk_add_f32 v[2:3], v[2:3], v[16:17]
	v_mov_b32_e32 v4, v41
	v_mov_b32_e32 v15, v5
	v_pk_mul_f32 v[4:5], v[8:9], v[4:5] op_sel:[1,0] op_sel_hi:[0,0]
	v_pk_fma_f32 v[6:7], v[8:9], v[40:41], v[4:5] neg_lo:[0,0,1] neg_hi:[0,0,1]
	v_pk_fma_f32 v[4:5], v[8:9], v[40:41], v[4:5] op_sel_hi:[1,0,1]
	v_pk_add_f32 v[2:3], v[2:3], v[14:15]
	v_mov_b32_e32 v7, v5
	s_waitcnt vmcnt(1) lgkmcnt(0)
	v_pk_mul_f32 v[4:5], v[10:11], v[26:27] op_sel:[1,1] op_sel_hi:[0,1]
	v_pk_add_f32 v[2:3], v[2:3], v[6:7]
	v_pk_fma_f32 v[6:7], v[10:11], v[26:27], v[4:5] neg_lo:[0,0,1] neg_hi:[0,0,1]
	v_pk_fma_f32 v[4:5], v[10:11], v[26:27], v[4:5] op_sel_hi:[1,0,1]
	s_nop 0
	v_mov_b32_e32 v4, v29
	v_mov_b32_e32 v7, v5
	v_pk_mul_f32 v[4:5], v[12:13], v[4:5] op_sel:[1,0] op_sel_hi:[0,0]
	v_pk_add_f32 v[2:3], v[2:3], v[6:7]
	v_pk_fma_f32 v[6:7], v[12:13], v[28:29], v[4:5] neg_lo:[0,0,1] neg_hi:[0,0,1]
	v_pk_fma_f32 v[4:5], v[12:13], v[28:29], v[4:5] op_sel_hi:[1,0,1]
	s_nop 0
	v_mov_b32_e32 v7, v5
	v_pk_add_f32 v[2:3], v[2:3], v[6:7]
	s_waitcnt vmcnt(0)
	v_pk_add_f32 v[2:3], v[112:113], v[2:3] neg_lo:[0,1] neg_hi:[0,1]
	scratch_store_dwordx2 off, v[2:3], off offset:192
	s_and_saveexec_b64 s[0:1], vcc
	s_cbranch_execz .LBB118_297
; %bb.296:
	scratch_load_dwordx2 v[2:3], off, off offset:184
	v_mov_b32_e32 v4, 0
	v_mov_b32_e32 v5, v4
	scratch_store_dwordx2 off, v[4:5], off offset:184
	s_waitcnt vmcnt(1)
	ds_write_b64 v1, v[2:3]
.LBB118_297:
	s_or_b64 exec, exec, s[0:1]
	s_waitcnt lgkmcnt(0)
	; wave barrier
	scratch_load_dwordx4 v[2:5], off, off offset:192
	scratch_load_dwordx4 v[6:9], off, off offset:208
	;; [unrolled: 1-line block ×15, first 2 shown]
	scratch_load_dwordx2 v[62:63], off, off offset:432
	scratch_load_dwordx2 v[112:113], off, off offset:184
	v_mov_b32_e32 v114, 0
	ds_read_b128 v[64:67], v114 offset:640
	ds_read_b128 v[68:71], v114 offset:656
	;; [unrolled: 1-line block ×12, first 2 shown]
	v_cmp_lt_u32_e32 vcc, 22, v0
	s_waitcnt vmcnt(16) lgkmcnt(11)
	v_mul_f32_e32 v115, v64, v3
	v_mul_f32_e32 v116, v66, v5
	;; [unrolled: 1-line block ×3, first 2 shown]
	v_fmac_f32_e32 v115, v65, v2
	s_waitcnt vmcnt(15) lgkmcnt(10)
	v_mul_f32_e32 v118, v68, v7
	v_fmac_f32_e32 v116, v67, v4
	v_fma_f32 v2, v64, v2, -v3
	v_add_f32_e32 v3, 0, v115
	v_mul_f32_e32 v120, v70, v9
	v_fmac_f32_e32 v118, v69, v6
	v_add_f32_e32 v3, v3, v116
	s_waitcnt vmcnt(14) lgkmcnt(9)
	v_mul_f32_e32 v121, v72, v11
	v_fmac_f32_e32 v120, v71, v8
	v_add_f32_e32 v3, v3, v118
	v_mul_f32_e32 v122, v74, v13
	v_fmac_f32_e32 v121, v73, v10
	v_add_f32_e32 v3, v3, v120
	s_waitcnt vmcnt(13) lgkmcnt(8)
	v_mul_f32_e32 v123, v76, v15
	v_fmac_f32_e32 v122, v75, v12
	v_add_f32_e32 v3, v3, v121
	v_mul_f32_e32 v124, v78, v17
	v_fmac_f32_e32 v123, v77, v14
	v_add_f32_e32 v3, v3, v122
	s_waitcnt vmcnt(12) lgkmcnt(7)
	v_mul_f32_e32 v125, v80, v19
	v_fmac_f32_e32 v124, v79, v16
	v_add_f32_e32 v3, v3, v123
	v_mul_f32_e32 v126, v82, v21
	v_fmac_f32_e32 v125, v81, v18
	v_add_f32_e32 v3, v3, v124
	s_waitcnt vmcnt(11) lgkmcnt(6)
	v_mul_f32_e32 v127, v84, v23
	v_fmac_f32_e32 v126, v83, v20
	v_add_f32_e32 v3, v3, v125
	v_mul_f32_e32 v128, v86, v25
	v_fmac_f32_e32 v127, v85, v22
	v_add_f32_e32 v3, v3, v126
	s_waitcnt vmcnt(10) lgkmcnt(5)
	v_mul_f32_e32 v129, v88, v31
	v_fmac_f32_e32 v128, v87, v24
	v_add_f32_e32 v3, v3, v127
	v_mul_f32_e32 v130, v90, v33
	v_fmac_f32_e32 v129, v89, v30
	v_add_f32_e32 v3, v3, v128
	s_waitcnt vmcnt(9) lgkmcnt(4)
	v_mul_f32_e32 v131, v92, v35
	v_fmac_f32_e32 v130, v91, v32
	v_add_f32_e32 v3, v3, v129
	v_mul_f32_e32 v132, v94, v37
	v_fmac_f32_e32 v131, v93, v34
	v_add_f32_e32 v3, v3, v130
	s_waitcnt vmcnt(8) lgkmcnt(3)
	v_mul_f32_e32 v133, v96, v43
	v_fmac_f32_e32 v132, v95, v36
	v_add_f32_e32 v3, v3, v131
	v_mul_f32_e32 v134, v98, v45
	v_fmac_f32_e32 v133, v97, v42
	v_add_f32_e32 v3, v3, v132
	s_waitcnt vmcnt(7) lgkmcnt(2)
	v_mul_f32_e32 v135, v100, v47
	v_fmac_f32_e32 v134, v99, v44
	v_add_f32_e32 v3, v3, v133
	v_mul_f32_e32 v136, v102, v49
	v_fmac_f32_e32 v135, v101, v46
	v_add_f32_e32 v3, v3, v134
	s_waitcnt vmcnt(6) lgkmcnt(1)
	v_mul_f32_e32 v137, v104, v59
	v_fmac_f32_e32 v136, v103, v48
	v_add_f32_e32 v3, v3, v135
	v_mul_f32_e32 v5, v67, v5
	v_fmac_f32_e32 v137, v105, v58
	v_add_f32_e32 v3, v3, v136
	v_add_f32_e32 v2, 0, v2
	;; [unrolled: 1-line block ×3, first 2 shown]
	v_fma_f32 v3, v66, v4, -v5
	v_add_f32_e32 v2, v2, v3
	v_mul_f32_e32 v3, v69, v7
	v_fma_f32 v3, v68, v6, -v3
	v_add_f32_e32 v2, v2, v3
	v_mul_f32_e32 v3, v71, v9
	;; [unrolled: 3-line block ×20, first 2 shown]
	v_mul_f32_e32 v117, v106, v61
	v_fma_f32 v116, v106, v60, -v2
	s_waitcnt vmcnt(5) lgkmcnt(0)
	v_mul_f32_e32 v2, v109, v55
	v_mov_b32_e32 v18, v57
	v_mul_f32_e32 v119, v108, v55
	v_fmac_f32_e32 v117, v107, v60
	v_fma_f32 v118, v108, v54, -v2
	ds_read_b128 v[2:5], v114 offset:832
	ds_read_b128 v[6:9], v114 offset:848
	;; [unrolled: 1-line block ×3, first 2 shown]
	ds_read_b64 v[14:15], v114 offset:880
	v_pk_mul_f32 v[18:19], v[110:111], v[18:19] op_sel:[1,0] op_sel_hi:[0,0]
	v_fmac_f32_e32 v119, v109, v54
	v_pk_add_f32 v[16:17], v[64:65], v[116:117]
	v_pk_fma_f32 v[20:21], v[110:111], v[56:57], v[18:19] neg_lo:[0,0,1] neg_hi:[0,0,1]
	v_pk_fma_f32 v[18:19], v[110:111], v[56:57], v[18:19] op_sel_hi:[1,0,1]
	v_pk_add_f32 v[16:17], v[16:17], v[118:119]
	v_mov_b32_e32 v21, v19
	s_waitcnt vmcnt(4) lgkmcnt(3)
	v_pk_mul_f32 v[18:19], v[2:3], v[50:51] op_sel:[1,1] op_sel_hi:[0,1]
	v_pk_add_f32 v[16:17], v[16:17], v[20:21]
	v_pk_fma_f32 v[20:21], v[2:3], v[50:51], v[18:19] neg_lo:[0,0,1] neg_hi:[0,0,1]
	v_pk_fma_f32 v[2:3], v[2:3], v[50:51], v[18:19] op_sel_hi:[1,0,1]
	s_nop 0
	v_mov_b32_e32 v21, v3
	v_pk_add_f32 v[2:3], v[16:17], v[20:21]
	v_mov_b32_e32 v16, v53
	v_pk_mul_f32 v[16:17], v[4:5], v[16:17] op_sel:[1,0] op_sel_hi:[0,0]
	v_pk_fma_f32 v[18:19], v[4:5], v[52:53], v[16:17] neg_lo:[0,0,1] neg_hi:[0,0,1]
	v_pk_fma_f32 v[4:5], v[4:5], v[52:53], v[16:17] op_sel_hi:[1,0,1]
	s_nop 0
	v_mov_b32_e32 v19, v5
	s_waitcnt vmcnt(3) lgkmcnt(2)
	v_pk_mul_f32 v[4:5], v[6:7], v[38:39] op_sel:[1,1] op_sel_hi:[0,1]
	v_pk_fma_f32 v[16:17], v[6:7], v[38:39], v[4:5] neg_lo:[0,0,1] neg_hi:[0,0,1]
	v_pk_fma_f32 v[4:5], v[6:7], v[38:39], v[4:5] op_sel_hi:[1,0,1]
	v_pk_add_f32 v[2:3], v[2:3], v[18:19]
	v_mov_b32_e32 v4, v41
	v_mov_b32_e32 v17, v5
	v_pk_mul_f32 v[4:5], v[8:9], v[4:5] op_sel:[1,0] op_sel_hi:[0,0]
	v_pk_fma_f32 v[6:7], v[8:9], v[40:41], v[4:5] neg_lo:[0,0,1] neg_hi:[0,0,1]
	v_pk_fma_f32 v[4:5], v[8:9], v[40:41], v[4:5] op_sel_hi:[1,0,1]
	v_pk_add_f32 v[2:3], v[2:3], v[16:17]
	v_mov_b32_e32 v7, v5
	s_waitcnt vmcnt(2) lgkmcnt(1)
	v_pk_mul_f32 v[4:5], v[10:11], v[26:27] op_sel:[1,1] op_sel_hi:[0,1]
	v_pk_add_f32 v[2:3], v[2:3], v[6:7]
	v_pk_fma_f32 v[6:7], v[10:11], v[26:27], v[4:5] neg_lo:[0,0,1] neg_hi:[0,0,1]
	v_pk_fma_f32 v[4:5], v[10:11], v[26:27], v[4:5] op_sel_hi:[1,0,1]
	s_nop 0
	v_mov_b32_e32 v4, v29
	v_mov_b32_e32 v7, v5
	v_pk_mul_f32 v[4:5], v[12:13], v[4:5] op_sel:[1,0] op_sel_hi:[0,0]
	v_pk_add_f32 v[2:3], v[2:3], v[6:7]
	v_pk_fma_f32 v[6:7], v[12:13], v[28:29], v[4:5] neg_lo:[0,0,1] neg_hi:[0,0,1]
	v_pk_fma_f32 v[4:5], v[12:13], v[28:29], v[4:5] op_sel_hi:[1,0,1]
	s_nop 0
	v_mov_b32_e32 v7, v5
	s_waitcnt vmcnt(1) lgkmcnt(0)
	v_pk_mul_f32 v[4:5], v[14:15], v[62:63] op_sel:[1,1] op_sel_hi:[0,1]
	v_pk_add_f32 v[2:3], v[2:3], v[6:7]
	v_pk_fma_f32 v[6:7], v[14:15], v[62:63], v[4:5] neg_lo:[0,0,1] neg_hi:[0,0,1]
	v_pk_fma_f32 v[4:5], v[14:15], v[62:63], v[4:5] op_sel_hi:[1,0,1]
	s_nop 0
	v_mov_b32_e32 v7, v5
	v_pk_add_f32 v[2:3], v[2:3], v[6:7]
	s_waitcnt vmcnt(0)
	v_pk_add_f32 v[2:3], v[112:113], v[2:3] neg_lo:[0,1] neg_hi:[0,1]
	scratch_store_dwordx2 off, v[2:3], off offset:184
	s_and_saveexec_b64 s[0:1], vcc
	s_cbranch_execz .LBB118_299
; %bb.298:
	scratch_load_dwordx2 v[2:3], off, off offset:176
	v_mov_b32_e32 v115, v114
	scratch_store_dwordx2 off, v[114:115], off offset:176
	s_waitcnt vmcnt(1)
	ds_write_b64 v1, v[2:3]
.LBB118_299:
	s_or_b64 exec, exec, s[0:1]
	s_waitcnt lgkmcnt(0)
	; wave barrier
	scratch_load_dwordx4 v[2:5], off, off offset:184
	scratch_load_dwordx4 v[6:9], off, off offset:200
	;; [unrolled: 1-line block ×12, first 2 shown]
	ds_read2_b64 v[110:113], v114 offset0:79 offset1:80
	ds_read2_b64 v[106:109], v114 offset0:81 offset1:82
	;; [unrolled: 1-line block ×12, first 2 shown]
	scratch_load_dwordx4 v[62:65], off, off offset:376
	scratch_load_dwordx4 v[54:57], off, off offset:392
	;; [unrolled: 1-line block ×4, first 2 shown]
	scratch_load_dwordx2 v[116:117], off, off offset:176
	v_cmp_lt_u32_e32 vcc, 21, v0
	s_waitcnt vmcnt(16) lgkmcnt(11)
	v_mul_f32_e32 v115, v110, v3
	v_mul_f32_e32 v118, v112, v5
	;; [unrolled: 1-line block ×3, first 2 shown]
	v_fmac_f32_e32 v115, v111, v2
	s_waitcnt vmcnt(15) lgkmcnt(10)
	v_mul_f32_e32 v120, v106, v7
	v_fmac_f32_e32 v118, v113, v4
	v_fma_f32 v2, v110, v2, -v3
	v_add_f32_e32 v3, 0, v115
	v_mul_f32_e32 v122, v108, v9
	v_fmac_f32_e32 v120, v107, v6
	v_add_f32_e32 v3, v3, v118
	s_waitcnt vmcnt(14) lgkmcnt(9)
	v_mul_f32_e32 v123, v102, v11
	v_fmac_f32_e32 v122, v109, v8
	v_add_f32_e32 v3, v3, v120
	v_mul_f32_e32 v124, v104, v13
	v_fmac_f32_e32 v123, v103, v10
	v_add_f32_e32 v3, v3, v122
	s_waitcnt vmcnt(13) lgkmcnt(8)
	v_mul_f32_e32 v125, v98, v15
	v_fmac_f32_e32 v124, v105, v12
	;; [unrolled: 7-line block ×9, first 2 shown]
	v_add_f32_e32 v3, v3, v137
	v_mul_f32_e32 v140, v72, v53
	v_fmac_f32_e32 v139, v71, v50
	v_add_f32_e32 v3, v3, v138
	v_fmac_f32_e32 v140, v73, v52
	v_add_f32_e32 v3, v3, v139
	v_add_f32_e32 v111, v3, v140
	v_mul_f32_e32 v3, v113, v5
	v_add_f32_e32 v2, 0, v2
	v_fma_f32 v3, v112, v4, -v3
	v_add_f32_e32 v2, v2, v3
	v_mul_f32_e32 v3, v107, v7
	v_fma_f32 v3, v106, v6, -v3
	v_add_f32_e32 v2, v2, v3
	v_mul_f32_e32 v3, v109, v9
	;; [unrolled: 3-line block ×20, first 2 shown]
	v_fma_f32 v3, v72, v52, -v3
	v_add_f32_e32 v110, v2, v3
	s_waitcnt vmcnt(5) lgkmcnt(0)
	v_mul_f32_e32 v2, v67, v59
	v_fma_f32 v118, v66, v58, -v2
	v_mul_f32_e32 v2, v69, v61
	v_fma_f32 v120, v68, v60, -v2
	ds_read2_b64 v[2:5], v114 offset0:103 offset1:104
	ds_read2_b64 v[6:9], v114 offset0:105 offset1:106
	;; [unrolled: 1-line block ×4, first 2 shown]
	v_mul_f32_e32 v119, v66, v59
	v_mul_f32_e32 v121, v68, v61
	v_fmac_f32_e32 v119, v67, v58
	s_waitcnt vmcnt(4) lgkmcnt(3)
	v_pk_mul_f32 v[20:21], v[2:3], v[62:63] op_sel:[1,1] op_sel_hi:[0,1]
	v_fmac_f32_e32 v121, v69, v60
	v_pk_add_f32 v[18:19], v[110:111], v[118:119]
	v_pk_fma_f32 v[22:23], v[2:3], v[62:63], v[20:21] neg_lo:[0,0,1] neg_hi:[0,0,1]
	v_pk_fma_f32 v[2:3], v[2:3], v[62:63], v[20:21] op_sel_hi:[1,0,1]
	v_pk_add_f32 v[18:19], v[18:19], v[120:121]
	v_mov_b32_e32 v23, v3
	v_pk_add_f32 v[2:3], v[18:19], v[22:23]
	v_mov_b32_e32 v18, v65
	v_pk_mul_f32 v[18:19], v[4:5], v[18:19] op_sel:[1,0] op_sel_hi:[0,0]
	v_pk_fma_f32 v[20:21], v[4:5], v[64:65], v[18:19] neg_lo:[0,0,1] neg_hi:[0,0,1]
	v_pk_fma_f32 v[4:5], v[4:5], v[64:65], v[18:19] op_sel_hi:[1,0,1]
	s_nop 0
	v_mov_b32_e32 v21, v5
	s_waitcnt vmcnt(3) lgkmcnt(2)
	v_pk_mul_f32 v[4:5], v[6:7], v[54:55] op_sel:[1,1] op_sel_hi:[0,1]
	v_pk_fma_f32 v[18:19], v[6:7], v[54:55], v[4:5] neg_lo:[0,0,1] neg_hi:[0,0,1]
	v_pk_fma_f32 v[4:5], v[6:7], v[54:55], v[4:5] op_sel_hi:[1,0,1]
	v_pk_add_f32 v[2:3], v[2:3], v[20:21]
	v_mov_b32_e32 v4, v57
	v_mov_b32_e32 v19, v5
	v_pk_mul_f32 v[4:5], v[8:9], v[4:5] op_sel:[1,0] op_sel_hi:[0,0]
	v_pk_fma_f32 v[6:7], v[8:9], v[56:57], v[4:5] neg_lo:[0,0,1] neg_hi:[0,0,1]
	v_pk_fma_f32 v[4:5], v[8:9], v[56:57], v[4:5] op_sel_hi:[1,0,1]
	v_pk_add_f32 v[2:3], v[2:3], v[18:19]
	v_mov_b32_e32 v7, v5
	s_waitcnt vmcnt(2) lgkmcnt(1)
	v_pk_mul_f32 v[4:5], v[10:11], v[42:43] op_sel:[1,1] op_sel_hi:[0,1]
	v_pk_add_f32 v[2:3], v[2:3], v[6:7]
	v_pk_fma_f32 v[6:7], v[10:11], v[42:43], v[4:5] neg_lo:[0,0,1] neg_hi:[0,0,1]
	v_pk_fma_f32 v[4:5], v[10:11], v[42:43], v[4:5] op_sel_hi:[1,0,1]
	s_nop 0
	v_mov_b32_e32 v4, v45
	v_mov_b32_e32 v7, v5
	v_pk_mul_f32 v[4:5], v[12:13], v[4:5] op_sel:[1,0] op_sel_hi:[0,0]
	v_pk_add_f32 v[2:3], v[2:3], v[6:7]
	v_pk_fma_f32 v[6:7], v[12:13], v[44:45], v[4:5] neg_lo:[0,0,1] neg_hi:[0,0,1]
	v_pk_fma_f32 v[4:5], v[12:13], v[44:45], v[4:5] op_sel_hi:[1,0,1]
	s_nop 0
	v_mov_b32_e32 v7, v5
	s_waitcnt vmcnt(1) lgkmcnt(0)
	v_pk_mul_f32 v[4:5], v[14:15], v[34:35] op_sel:[1,1] op_sel_hi:[0,1]
	v_pk_add_f32 v[2:3], v[2:3], v[6:7]
	v_pk_fma_f32 v[6:7], v[14:15], v[34:35], v[4:5] neg_lo:[0,0,1] neg_hi:[0,0,1]
	v_pk_fma_f32 v[4:5], v[14:15], v[34:35], v[4:5] op_sel_hi:[1,0,1]
	s_nop 0
	v_mov_b32_e32 v4, v37
	v_mov_b32_e32 v7, v5
	v_pk_mul_f32 v[4:5], v[16:17], v[4:5] op_sel:[1,0] op_sel_hi:[0,0]
	v_pk_add_f32 v[2:3], v[2:3], v[6:7]
	v_pk_fma_f32 v[6:7], v[16:17], v[36:37], v[4:5] neg_lo:[0,0,1] neg_hi:[0,0,1]
	v_pk_fma_f32 v[4:5], v[16:17], v[36:37], v[4:5] op_sel_hi:[1,0,1]
	s_nop 0
	v_mov_b32_e32 v7, v5
	v_pk_add_f32 v[2:3], v[2:3], v[6:7]
	s_waitcnt vmcnt(0)
	v_pk_add_f32 v[2:3], v[116:117], v[2:3] neg_lo:[0,1] neg_hi:[0,1]
	scratch_store_dwordx2 off, v[2:3], off offset:176
	s_and_saveexec_b64 s[0:1], vcc
	s_cbranch_execz .LBB118_301
; %bb.300:
	scratch_load_dwordx2 v[2:3], off, off offset:168
	v_mov_b32_e32 v4, 0
	v_mov_b32_e32 v5, v4
	scratch_store_dwordx2 off, v[4:5], off offset:168
	s_waitcnt vmcnt(1)
	ds_write_b64 v1, v[2:3]
.LBB118_301:
	s_or_b64 exec, exec, s[0:1]
	s_waitcnt lgkmcnt(0)
	; wave barrier
	scratch_load_dwordx4 v[2:5], off, off offset:176
	scratch_load_dwordx4 v[6:9], off, off offset:192
	;; [unrolled: 1-line block ×13, first 2 shown]
	v_mov_b32_e32 v106, 0
	scratch_load_dwordx2 v[124:125], off, off offset:168
	ds_read_b128 v[54:57], v106 offset:624
	ds_read_b128 v[58:61], v106 offset:640
	;; [unrolled: 1-line block ×14, first 2 shown]
	v_cmp_lt_u32_e32 vcc, 20, v0
	s_waitcnt vmcnt(13) lgkmcnt(13)
	v_mul_f32_e32 v107, v54, v3
	v_mul_f32_e32 v112, v56, v5
	v_fmac_f32_e32 v107, v55, v2
	s_waitcnt vmcnt(12) lgkmcnt(12)
	v_mul_f32_e32 v113, v58, v7
	v_fmac_f32_e32 v112, v57, v4
	v_add_f32_e32 v107, 0, v107
	v_mul_f32_e32 v114, v60, v9
	v_fmac_f32_e32 v113, v59, v6
	v_add_f32_e32 v107, v107, v112
	s_waitcnt vmcnt(11) lgkmcnt(11)
	v_mul_f32_e32 v115, v62, v11
	v_fmac_f32_e32 v114, v61, v8
	v_add_f32_e32 v107, v107, v113
	v_mul_f32_e32 v116, v64, v13
	v_fmac_f32_e32 v115, v63, v10
	v_add_f32_e32 v107, v107, v114
	;; [unrolled: 7-line block ×8, first 2 shown]
	s_waitcnt vmcnt(4) lgkmcnt(4)
	v_mul_f32_e32 v133, v90, v39
	v_fmac_f32_e32 v132, v89, v36
	v_add_f32_e32 v107, v107, v131
	v_fmac_f32_e32 v133, v91, v38
	v_add_f32_e32 v107, v107, v132
	v_add_f32_e32 v107, v107, v133
	scratch_load_dwordx4 v[112:115], off, off offset:384
	scratch_load_dwordx4 v[116:119], off, off offset:400
	;; [unrolled: 1-line block ×3, first 2 shown]
	scratch_load_dwordx2 v[132:133], off, off offset:432
	v_mul_f32_e32 v3, v55, v3
	v_fma_f32 v2, v54, v2, -v3
	v_mul_f32_e32 v3, v57, v5
	v_add_f32_e32 v2, 0, v2
	v_fma_f32 v3, v56, v4, -v3
	v_add_f32_e32 v2, v2, v3
	v_mul_f32_e32 v3, v59, v7
	v_fma_f32 v3, v58, v6, -v3
	v_add_f32_e32 v2, v2, v3
	v_mul_f32_e32 v3, v61, v9
	;; [unrolled: 3-line block ×18, first 2 shown]
	v_fma_f32 v3, v92, v40, -v3
	v_add_f32_e32 v2, v2, v3
	s_waitcnt vmcnt(7) lgkmcnt(3)
	v_mul_f32_e32 v3, v95, v43
	v_fma_f32 v3, v94, v42, -v3
	v_mul_f32_e32 v134, v92, v41
	v_add_f32_e32 v2, v2, v3
	v_mul_f32_e32 v3, v97, v45
	v_mul_f32_e32 v135, v94, v43
	v_fmac_f32_e32 v134, v93, v40
	v_fma_f32 v3, v96, v44, -v3
	v_mul_f32_e32 v136, v96, v45
	v_fmac_f32_e32 v135, v95, v42
	v_add_f32_e32 v107, v107, v134
	v_add_f32_e32 v2, v2, v3
	s_waitcnt vmcnt(6) lgkmcnt(2)
	v_mul_f32_e32 v3, v99, v47
	v_mul_f32_e32 v137, v98, v47
	v_fmac_f32_e32 v136, v97, v44
	v_add_f32_e32 v107, v107, v135
	v_fma_f32 v3, v98, v46, -v3
	v_mul_f32_e32 v127, v100, v49
	v_fmac_f32_e32 v137, v99, v46
	v_add_f32_e32 v107, v107, v136
	v_add_f32_e32 v130, v2, v3
	v_mul_f32_e32 v2, v101, v49
	s_waitcnt vmcnt(5)
	v_mov_b32_e32 v14, v53
	s_waitcnt lgkmcnt(1)
	v_mul_f32_e32 v129, v102, v51
	v_fmac_f32_e32 v127, v101, v48
	v_add_f32_e32 v131, v107, v137
	v_fma_f32 v126, v100, v48, -v2
	v_mul_f32_e32 v2, v103, v51
	v_pk_mul_f32 v[14:15], v[104:105], v[14:15] op_sel:[1,0] op_sel_hi:[0,0]
	v_fmac_f32_e32 v129, v103, v50
	v_fma_f32 v128, v102, v50, -v2
	v_pk_add_f32 v[12:13], v[130:131], v[126:127]
	v_pk_fma_f32 v[16:17], v[104:105], v[52:53], v[14:15] neg_lo:[0,0,1] neg_hi:[0,0,1]
	v_pk_fma_f32 v[14:15], v[104:105], v[52:53], v[14:15] op_sel_hi:[1,0,1]
	v_pk_add_f32 v[12:13], v[12:13], v[128:129]
	v_mov_b32_e32 v17, v15
	s_waitcnt vmcnt(3) lgkmcnt(0)
	v_pk_mul_f32 v[14:15], v[108:109], v[112:113] op_sel:[1,1] op_sel_hi:[0,1]
	v_pk_add_f32 v[12:13], v[12:13], v[16:17]
	v_pk_fma_f32 v[16:17], v[108:109], v[112:113], v[14:15] neg_lo:[0,0,1] neg_hi:[0,0,1]
	v_pk_fma_f32 v[14:15], v[108:109], v[112:113], v[14:15] op_sel_hi:[1,0,1]
	ds_read_b128 v[2:5], v106 offset:848
	ds_read_b128 v[6:9], v106 offset:864
	ds_read_b64 v[10:11], v106 offset:880
	v_mov_b32_e32 v14, v115
	v_mov_b32_e32 v17, v15
	v_pk_mul_f32 v[14:15], v[110:111], v[14:15] op_sel:[1,0] op_sel_hi:[0,0]
	v_pk_add_f32 v[12:13], v[12:13], v[16:17]
	v_pk_fma_f32 v[16:17], v[110:111], v[114:115], v[14:15] neg_lo:[0,0,1] neg_hi:[0,0,1]
	v_pk_fma_f32 v[14:15], v[110:111], v[114:115], v[14:15] op_sel_hi:[1,0,1]
	s_nop 0
	v_mov_b32_e32 v17, v15
	s_waitcnt vmcnt(2) lgkmcnt(2)
	v_pk_mul_f32 v[14:15], v[2:3], v[116:117] op_sel:[1,1] op_sel_hi:[0,1]
	v_pk_add_f32 v[12:13], v[12:13], v[16:17]
	v_pk_fma_f32 v[16:17], v[2:3], v[116:117], v[14:15] neg_lo:[0,0,1] neg_hi:[0,0,1]
	v_pk_fma_f32 v[2:3], v[2:3], v[116:117], v[14:15] op_sel_hi:[1,0,1]
	s_nop 0
	v_mov_b32_e32 v17, v3
	v_pk_add_f32 v[2:3], v[12:13], v[16:17]
	v_mov_b32_e32 v12, v119
	v_pk_mul_f32 v[12:13], v[4:5], v[12:13] op_sel:[1,0] op_sel_hi:[0,0]
	v_pk_fma_f32 v[14:15], v[4:5], v[118:119], v[12:13] neg_lo:[0,0,1] neg_hi:[0,0,1]
	v_pk_fma_f32 v[4:5], v[4:5], v[118:119], v[12:13] op_sel_hi:[1,0,1]
	s_nop 0
	v_mov_b32_e32 v15, v5
	s_waitcnt vmcnt(1) lgkmcnt(1)
	v_pk_mul_f32 v[4:5], v[6:7], v[120:121] op_sel:[1,1] op_sel_hi:[0,1]
	v_pk_fma_f32 v[12:13], v[6:7], v[120:121], v[4:5] neg_lo:[0,0,1] neg_hi:[0,0,1]
	v_pk_fma_f32 v[4:5], v[6:7], v[120:121], v[4:5] op_sel_hi:[1,0,1]
	v_pk_add_f32 v[2:3], v[2:3], v[14:15]
	v_mov_b32_e32 v4, v123
	v_mov_b32_e32 v13, v5
	v_pk_mul_f32 v[4:5], v[8:9], v[4:5] op_sel:[1,0] op_sel_hi:[0,0]
	v_pk_fma_f32 v[6:7], v[8:9], v[122:123], v[4:5] neg_lo:[0,0,1] neg_hi:[0,0,1]
	v_pk_fma_f32 v[4:5], v[8:9], v[122:123], v[4:5] op_sel_hi:[1,0,1]
	v_pk_add_f32 v[2:3], v[2:3], v[12:13]
	v_mov_b32_e32 v7, v5
	s_waitcnt vmcnt(0) lgkmcnt(0)
	v_pk_mul_f32 v[4:5], v[10:11], v[132:133] op_sel:[1,1] op_sel_hi:[0,1]
	v_pk_add_f32 v[2:3], v[2:3], v[6:7]
	v_pk_fma_f32 v[6:7], v[10:11], v[132:133], v[4:5] neg_lo:[0,0,1] neg_hi:[0,0,1]
	v_pk_fma_f32 v[4:5], v[10:11], v[132:133], v[4:5] op_sel_hi:[1,0,1]
	s_nop 0
	v_mov_b32_e32 v7, v5
	v_pk_add_f32 v[2:3], v[2:3], v[6:7]
	s_nop 0
	v_pk_add_f32 v[2:3], v[124:125], v[2:3] neg_lo:[0,1] neg_hi:[0,1]
	scratch_store_dwordx2 off, v[2:3], off offset:168
	s_and_saveexec_b64 s[0:1], vcc
	s_cbranch_execz .LBB118_303
; %bb.302:
	scratch_load_dwordx2 v[2:3], off, off offset:160
	v_mov_b32_e32 v107, v106
	scratch_store_dwordx2 off, v[106:107], off offset:160
	s_waitcnt vmcnt(1)
	ds_write_b64 v1, v[2:3]
.LBB118_303:
	s_or_b64 exec, exec, s[0:1]
	s_waitcnt lgkmcnt(0)
	; wave barrier
	scratch_load_dwordx4 v[2:5], off, off offset:168
	scratch_load_dwordx4 v[6:9], off, off offset:184
	;; [unrolled: 1-line block ×13, first 2 shown]
	ds_read2_b64 v[102:105], v106 offset0:77 offset1:78
	ds_read2_b64 v[98:101], v106 offset0:79 offset1:80
	;; [unrolled: 1-line block ×14, first 2 shown]
	scratch_load_dwordx2 v[128:129], off, off offset:160
	v_cmp_lt_u32_e32 vcc, 19, v0
	s_waitcnt vmcnt(13) lgkmcnt(13)
	v_mul_f32_e32 v107, v102, v3
	v_mul_f32_e32 v112, v104, v5
	v_fmac_f32_e32 v107, v103, v2
	s_waitcnt vmcnt(12) lgkmcnt(12)
	v_mul_f32_e32 v113, v98, v7
	v_fmac_f32_e32 v112, v105, v4
	v_add_f32_e32 v107, 0, v107
	v_mul_f32_e32 v114, v100, v9
	v_fmac_f32_e32 v113, v99, v6
	v_add_f32_e32 v107, v107, v112
	s_waitcnt vmcnt(11) lgkmcnt(11)
	v_mul_f32_e32 v115, v94, v11
	v_fmac_f32_e32 v114, v101, v8
	v_add_f32_e32 v107, v107, v113
	v_mul_f32_e32 v116, v96, v13
	v_fmac_f32_e32 v115, v95, v10
	v_add_f32_e32 v107, v107, v114
	;; [unrolled: 7-line block ×7, first 2 shown]
	s_waitcnt vmcnt(5) lgkmcnt(5)
	v_mul_f32_e32 v127, v70, v35
	v_fmac_f32_e32 v126, v77, v32
	v_add_f32_e32 v107, v107, v125
	v_fmac_f32_e32 v127, v71, v34
	v_add_f32_e32 v107, v107, v126
	v_add_f32_e32 v107, v107, v127
	scratch_load_dwordx4 v[112:115], off, off offset:376
	scratch_load_dwordx4 v[116:119], off, off offset:392
	;; [unrolled: 1-line block ×4, first 2 shown]
	v_mul_f32_e32 v3, v103, v3
	v_fma_f32 v2, v102, v2, -v3
	v_mul_f32_e32 v3, v105, v5
	v_add_f32_e32 v2, 0, v2
	v_fma_f32 v3, v104, v4, -v3
	v_add_f32_e32 v2, v2, v3
	v_mul_f32_e32 v3, v99, v7
	v_fma_f32 v3, v98, v6, -v3
	v_add_f32_e32 v2, v2, v3
	v_mul_f32_e32 v3, v101, v9
	;; [unrolled: 3-line block ×16, first 2 shown]
	v_fma_f32 v3, v72, v36, -v3
	v_add_f32_e32 v2, v2, v3
	s_waitcnt vmcnt(8) lgkmcnt(4)
	v_mul_f32_e32 v3, v67, v39
	v_fma_f32 v3, v66, v38, -v3
	v_add_f32_e32 v2, v2, v3
	v_mul_f32_e32 v3, v69, v41
	v_fma_f32 v3, v68, v40, -v3
	v_add_f32_e32 v2, v2, v3
	s_waitcnt vmcnt(7) lgkmcnt(3)
	v_mul_f32_e32 v3, v63, v43
	v_mul_f32_e32 v130, v72, v37
	v_fma_f32 v3, v62, v42, -v3
	v_mul_f32_e32 v132, v66, v39
	v_fmac_f32_e32 v130, v73, v36
	v_add_f32_e32 v2, v2, v3
	v_mul_f32_e32 v3, v65, v45
	v_mul_f32_e32 v134, v68, v41
	v_fmac_f32_e32 v132, v67, v38
	v_add_f32_e32 v107, v107, v130
	v_fma_f32 v3, v64, v44, -v3
	v_mul_f32_e32 v135, v62, v43
	v_fmac_f32_e32 v134, v69, v40
	v_add_f32_e32 v107, v107, v132
	v_add_f32_e32 v2, v2, v3
	s_waitcnt vmcnt(6) lgkmcnt(2)
	v_mul_f32_e32 v3, v59, v47
	v_mul_f32_e32 v136, v64, v45
	v_fmac_f32_e32 v135, v63, v42
	v_add_f32_e32 v107, v107, v134
	v_fma_f32 v3, v58, v46, -v3
	v_mul_f32_e32 v137, v58, v47
	v_fmac_f32_e32 v136, v65, v44
	v_add_f32_e32 v107, v107, v135
	v_add_f32_e32 v2, v2, v3
	v_mul_f32_e32 v3, v61, v49
	v_mul_f32_e32 v138, v60, v49
	v_fmac_f32_e32 v137, v59, v46
	v_add_f32_e32 v107, v107, v136
	v_fma_f32 v3, v60, v48, -v3
	s_waitcnt vmcnt(5) lgkmcnt(1)
	v_mul_f32_e32 v131, v54, v51
	v_fmac_f32_e32 v138, v61, v48
	v_add_f32_e32 v107, v107, v137
	v_add_f32_e32 v134, v2, v3
	v_mul_f32_e32 v2, v55, v51
	s_waitcnt vmcnt(3) lgkmcnt(0)
	v_pk_mul_f32 v[16:17], v[108:109], v[112:113] op_sel:[1,1] op_sel_hi:[0,1]
	v_mul_f32_e32 v133, v56, v53
	v_fmac_f32_e32 v131, v55, v50
	v_add_f32_e32 v135, v107, v138
	v_fma_f32 v130, v54, v50, -v2
	v_mul_f32_e32 v2, v57, v53
	v_pk_fma_f32 v[18:19], v[108:109], v[112:113], v[16:17] neg_lo:[0,0,1] neg_hi:[0,0,1]
	v_pk_fma_f32 v[16:17], v[108:109], v[112:113], v[16:17] op_sel_hi:[1,0,1]
	v_fmac_f32_e32 v133, v57, v52
	v_fma_f32 v132, v56, v52, -v2
	ds_read2_b64 v[2:5], v106 offset0:105 offset1:106
	ds_read2_b64 v[6:9], v106 offset0:107 offset1:108
	;; [unrolled: 1-line block ×3, first 2 shown]
	v_pk_add_f32 v[14:15], v[134:135], v[130:131]
	v_mov_b32_e32 v16, v115
	v_pk_add_f32 v[14:15], v[14:15], v[132:133]
	v_mov_b32_e32 v19, v17
	v_pk_mul_f32 v[16:17], v[110:111], v[16:17] op_sel:[1,0] op_sel_hi:[0,0]
	v_pk_add_f32 v[14:15], v[14:15], v[18:19]
	v_pk_fma_f32 v[18:19], v[110:111], v[114:115], v[16:17] neg_lo:[0,0,1] neg_hi:[0,0,1]
	v_pk_fma_f32 v[16:17], v[110:111], v[114:115], v[16:17] op_sel_hi:[1,0,1]
	s_nop 0
	v_mov_b32_e32 v19, v17
	s_waitcnt vmcnt(2) lgkmcnt(2)
	v_pk_mul_f32 v[16:17], v[2:3], v[116:117] op_sel:[1,1] op_sel_hi:[0,1]
	v_pk_add_f32 v[14:15], v[14:15], v[18:19]
	v_pk_fma_f32 v[18:19], v[2:3], v[116:117], v[16:17] neg_lo:[0,0,1] neg_hi:[0,0,1]
	v_pk_fma_f32 v[2:3], v[2:3], v[116:117], v[16:17] op_sel_hi:[1,0,1]
	s_nop 0
	v_mov_b32_e32 v19, v3
	v_pk_add_f32 v[2:3], v[14:15], v[18:19]
	v_mov_b32_e32 v14, v119
	v_pk_mul_f32 v[14:15], v[4:5], v[14:15] op_sel:[1,0] op_sel_hi:[0,0]
	v_pk_fma_f32 v[16:17], v[4:5], v[118:119], v[14:15] neg_lo:[0,0,1] neg_hi:[0,0,1]
	v_pk_fma_f32 v[4:5], v[4:5], v[118:119], v[14:15] op_sel_hi:[1,0,1]
	s_nop 0
	v_mov_b32_e32 v17, v5
	s_waitcnt vmcnt(1) lgkmcnt(1)
	v_pk_mul_f32 v[4:5], v[6:7], v[120:121] op_sel:[1,1] op_sel_hi:[0,1]
	v_pk_fma_f32 v[14:15], v[6:7], v[120:121], v[4:5] neg_lo:[0,0,1] neg_hi:[0,0,1]
	v_pk_fma_f32 v[4:5], v[6:7], v[120:121], v[4:5] op_sel_hi:[1,0,1]
	v_pk_add_f32 v[2:3], v[2:3], v[16:17]
	v_mov_b32_e32 v4, v123
	v_mov_b32_e32 v15, v5
	v_pk_mul_f32 v[4:5], v[8:9], v[4:5] op_sel:[1,0] op_sel_hi:[0,0]
	v_pk_fma_f32 v[6:7], v[8:9], v[122:123], v[4:5] neg_lo:[0,0,1] neg_hi:[0,0,1]
	v_pk_fma_f32 v[4:5], v[8:9], v[122:123], v[4:5] op_sel_hi:[1,0,1]
	v_pk_add_f32 v[2:3], v[2:3], v[14:15]
	v_mov_b32_e32 v7, v5
	s_waitcnt vmcnt(0) lgkmcnt(0)
	v_pk_mul_f32 v[4:5], v[10:11], v[124:125] op_sel:[1,1] op_sel_hi:[0,1]
	v_pk_add_f32 v[2:3], v[2:3], v[6:7]
	v_pk_fma_f32 v[6:7], v[10:11], v[124:125], v[4:5] neg_lo:[0,0,1] neg_hi:[0,0,1]
	v_pk_fma_f32 v[4:5], v[10:11], v[124:125], v[4:5] op_sel_hi:[1,0,1]
	s_nop 0
	v_mov_b32_e32 v4, v127
	v_mov_b32_e32 v7, v5
	v_pk_mul_f32 v[4:5], v[12:13], v[4:5] op_sel:[1,0] op_sel_hi:[0,0]
	v_pk_add_f32 v[2:3], v[2:3], v[6:7]
	v_pk_fma_f32 v[6:7], v[12:13], v[126:127], v[4:5] neg_lo:[0,0,1] neg_hi:[0,0,1]
	v_pk_fma_f32 v[4:5], v[12:13], v[126:127], v[4:5] op_sel_hi:[1,0,1]
	s_nop 0
	v_mov_b32_e32 v7, v5
	v_pk_add_f32 v[2:3], v[2:3], v[6:7]
	s_nop 0
	v_pk_add_f32 v[2:3], v[128:129], v[2:3] neg_lo:[0,1] neg_hi:[0,1]
	scratch_store_dwordx2 off, v[2:3], off offset:160
	s_and_saveexec_b64 s[0:1], vcc
	s_cbranch_execz .LBB118_305
; %bb.304:
	scratch_load_dwordx2 v[2:3], off, off offset:152
	v_mov_b32_e32 v4, 0
	v_mov_b32_e32 v5, v4
	scratch_store_dwordx2 off, v[4:5], off offset:152
	s_waitcnt vmcnt(1)
	ds_write_b64 v1, v[2:3]
.LBB118_305:
	s_or_b64 exec, exec, s[0:1]
	s_waitcnt lgkmcnt(0)
	; wave barrier
	scratch_load_dwordx4 v[2:5], off, off offset:160
	scratch_load_dwordx4 v[6:9], off, off offset:176
	;; [unrolled: 1-line block ×13, first 2 shown]
	v_mov_b32_e32 v114, 0
	scratch_load_dwordx4 v[54:57], off, off offset:368
	scratch_load_dwordx2 v[128:129], off, off offset:152
	ds_read_b128 v[58:61], v114 offset:608
	ds_read_b128 v[62:65], v114 offset:624
	;; [unrolled: 1-line block ×14, first 2 shown]
	v_cmp_lt_u32_e32 vcc, 18, v0
	s_waitcnt vmcnt(14) lgkmcnt(13)
	v_mul_f32_e32 v115, v58, v3
	v_mul_f32_e32 v116, v60, v5
	v_fmac_f32_e32 v115, v59, v2
	s_waitcnt vmcnt(13) lgkmcnt(12)
	v_mul_f32_e32 v117, v62, v7
	v_fmac_f32_e32 v116, v61, v4
	v_add_f32_e32 v115, 0, v115
	v_mul_f32_e32 v118, v64, v9
	v_fmac_f32_e32 v117, v63, v6
	v_add_f32_e32 v115, v115, v116
	s_waitcnt vmcnt(12) lgkmcnt(11)
	v_mul_f32_e32 v119, v66, v11
	v_fmac_f32_e32 v118, v65, v8
	v_add_f32_e32 v115, v115, v117
	v_mul_f32_e32 v120, v68, v13
	v_fmac_f32_e32 v119, v67, v10
	v_add_f32_e32 v115, v115, v118
	;; [unrolled: 7-line block ×6, first 2 shown]
	s_waitcnt vmcnt(7) lgkmcnt(6)
	v_mul_f32_e32 v131, v86, v31
	v_fmac_f32_e32 v130, v85, v28
	v_add_f32_e32 v115, v115, v127
	scratch_load_dwordx4 v[116:119], off, off offset:384
	v_mul_f32_e32 v132, v88, v33
	v_fmac_f32_e32 v131, v87, v30
	v_add_f32_e32 v115, v115, v130
	s_waitcnt vmcnt(7) lgkmcnt(5)
	v_mul_f32_e32 v133, v90, v35
	v_fmac_f32_e32 v132, v89, v32
	v_add_f32_e32 v115, v115, v131
	v_mul_f32_e32 v134, v92, v37
	v_fmac_f32_e32 v133, v91, v34
	v_add_f32_e32 v115, v115, v132
	s_waitcnt vmcnt(6) lgkmcnt(4)
	v_mul_f32_e32 v135, v94, v39
	v_fmac_f32_e32 v134, v93, v36
	v_add_f32_e32 v115, v115, v133
	;; [unrolled: 7-line block ×3, first 2 shown]
	v_fmac_f32_e32 v137, v99, v42
	v_add_f32_e32 v115, v115, v136
	v_add_f32_e32 v115, v115, v137
	scratch_load_dwordx4 v[120:123], off, off offset:400
	scratch_load_dwordx4 v[124:127], off, off offset:416
	scratch_load_dwordx2 v[136:137], off, off offset:432
	v_mul_f32_e32 v3, v59, v3
	v_fma_f32 v2, v58, v2, -v3
	v_mul_f32_e32 v3, v61, v5
	v_add_f32_e32 v2, 0, v2
	v_fma_f32 v3, v60, v4, -v3
	v_add_f32_e32 v2, v2, v3
	v_mul_f32_e32 v3, v63, v7
	v_fma_f32 v3, v62, v6, -v3
	v_add_f32_e32 v2, v2, v3
	v_mul_f32_e32 v3, v65, v9
	;; [unrolled: 3-line block ×20, first 2 shown]
	v_fma_f32 v3, v100, v44, -v3
	v_add_f32_e32 v2, v2, v3
	s_waitcnt vmcnt(7) lgkmcnt(2)
	v_mul_f32_e32 v3, v103, v47
	v_fma_f32 v3, v102, v46, -v3
	v_add_f32_e32 v2, v2, v3
	v_mul_f32_e32 v3, v105, v49
	v_mul_f32_e32 v138, v100, v45
	v_fma_f32 v3, v104, v48, -v3
	v_mul_f32_e32 v139, v102, v47
	v_fmac_f32_e32 v138, v101, v44
	v_add_f32_e32 v2, v2, v3
	s_waitcnt vmcnt(6) lgkmcnt(1)
	v_mul_f32_e32 v3, v107, v51
	v_mul_f32_e32 v140, v104, v49
	v_fmac_f32_e32 v139, v103, v46
	v_add_f32_e32 v115, v115, v138
	v_fma_f32 v3, v106, v50, -v3
	v_mul_f32_e32 v141, v106, v51
	v_fmac_f32_e32 v140, v105, v48
	v_add_f32_e32 v115, v115, v139
	v_add_f32_e32 v130, v2, v3
	v_mul_f32_e32 v2, v109, v53
	v_fmac_f32_e32 v141, v107, v50
	v_add_f32_e32 v115, v115, v140
	v_mul_f32_e32 v133, v108, v53
	v_fma_f32 v132, v108, v52, -v2
	s_waitcnt vmcnt(5) lgkmcnt(0)
	v_mul_f32_e32 v2, v111, v55
	v_mov_b32_e32 v18, v57
	v_add_f32_e32 v131, v115, v141
	v_fmac_f32_e32 v133, v109, v52
	v_mul_f32_e32 v135, v110, v55
	v_fma_f32 v134, v110, v54, -v2
	ds_read_b128 v[2:5], v114 offset:832
	ds_read_b128 v[6:9], v114 offset:848
	;; [unrolled: 1-line block ×3, first 2 shown]
	ds_read_b64 v[14:15], v114 offset:880
	v_pk_mul_f32 v[18:19], v[112:113], v[18:19] op_sel:[1,0] op_sel_hi:[0,0]
	v_fmac_f32_e32 v135, v111, v54
	v_pk_add_f32 v[16:17], v[130:131], v[132:133]
	v_pk_fma_f32 v[20:21], v[112:113], v[56:57], v[18:19] neg_lo:[0,0,1] neg_hi:[0,0,1]
	v_pk_fma_f32 v[18:19], v[112:113], v[56:57], v[18:19] op_sel_hi:[1,0,1]
	v_pk_add_f32 v[16:17], v[16:17], v[134:135]
	v_mov_b32_e32 v21, v19
	s_waitcnt vmcnt(3) lgkmcnt(3)
	v_pk_mul_f32 v[18:19], v[2:3], v[116:117] op_sel:[1,1] op_sel_hi:[0,1]
	v_pk_add_f32 v[16:17], v[16:17], v[20:21]
	v_pk_fma_f32 v[20:21], v[2:3], v[116:117], v[18:19] neg_lo:[0,0,1] neg_hi:[0,0,1]
	v_pk_fma_f32 v[2:3], v[2:3], v[116:117], v[18:19] op_sel_hi:[1,0,1]
	s_nop 0
	v_mov_b32_e32 v21, v3
	v_pk_add_f32 v[2:3], v[16:17], v[20:21]
	v_mov_b32_e32 v16, v119
	v_pk_mul_f32 v[16:17], v[4:5], v[16:17] op_sel:[1,0] op_sel_hi:[0,0]
	v_pk_fma_f32 v[18:19], v[4:5], v[118:119], v[16:17] neg_lo:[0,0,1] neg_hi:[0,0,1]
	v_pk_fma_f32 v[4:5], v[4:5], v[118:119], v[16:17] op_sel_hi:[1,0,1]
	s_nop 0
	v_mov_b32_e32 v19, v5
	s_waitcnt vmcnt(2) lgkmcnt(2)
	v_pk_mul_f32 v[4:5], v[6:7], v[120:121] op_sel:[1,1] op_sel_hi:[0,1]
	v_pk_fma_f32 v[16:17], v[6:7], v[120:121], v[4:5] neg_lo:[0,0,1] neg_hi:[0,0,1]
	v_pk_fma_f32 v[4:5], v[6:7], v[120:121], v[4:5] op_sel_hi:[1,0,1]
	v_pk_add_f32 v[2:3], v[2:3], v[18:19]
	v_mov_b32_e32 v4, v123
	v_mov_b32_e32 v17, v5
	v_pk_mul_f32 v[4:5], v[8:9], v[4:5] op_sel:[1,0] op_sel_hi:[0,0]
	v_pk_fma_f32 v[6:7], v[8:9], v[122:123], v[4:5] neg_lo:[0,0,1] neg_hi:[0,0,1]
	v_pk_fma_f32 v[4:5], v[8:9], v[122:123], v[4:5] op_sel_hi:[1,0,1]
	v_pk_add_f32 v[2:3], v[2:3], v[16:17]
	v_mov_b32_e32 v7, v5
	s_waitcnt vmcnt(1) lgkmcnt(1)
	v_pk_mul_f32 v[4:5], v[10:11], v[124:125] op_sel:[1,1] op_sel_hi:[0,1]
	v_pk_add_f32 v[2:3], v[2:3], v[6:7]
	v_pk_fma_f32 v[6:7], v[10:11], v[124:125], v[4:5] neg_lo:[0,0,1] neg_hi:[0,0,1]
	v_pk_fma_f32 v[4:5], v[10:11], v[124:125], v[4:5] op_sel_hi:[1,0,1]
	s_nop 0
	v_mov_b32_e32 v4, v127
	v_mov_b32_e32 v7, v5
	v_pk_mul_f32 v[4:5], v[12:13], v[4:5] op_sel:[1,0] op_sel_hi:[0,0]
	v_pk_add_f32 v[2:3], v[2:3], v[6:7]
	v_pk_fma_f32 v[6:7], v[12:13], v[126:127], v[4:5] neg_lo:[0,0,1] neg_hi:[0,0,1]
	v_pk_fma_f32 v[4:5], v[12:13], v[126:127], v[4:5] op_sel_hi:[1,0,1]
	s_nop 0
	v_mov_b32_e32 v7, v5
	s_waitcnt vmcnt(0) lgkmcnt(0)
	v_pk_mul_f32 v[4:5], v[14:15], v[136:137] op_sel:[1,1] op_sel_hi:[0,1]
	v_pk_add_f32 v[2:3], v[2:3], v[6:7]
	v_pk_fma_f32 v[6:7], v[14:15], v[136:137], v[4:5] neg_lo:[0,0,1] neg_hi:[0,0,1]
	v_pk_fma_f32 v[4:5], v[14:15], v[136:137], v[4:5] op_sel_hi:[1,0,1]
	s_nop 0
	v_mov_b32_e32 v7, v5
	v_pk_add_f32 v[2:3], v[2:3], v[6:7]
	s_nop 0
	v_pk_add_f32 v[2:3], v[128:129], v[2:3] neg_lo:[0,1] neg_hi:[0,1]
	scratch_store_dwordx2 off, v[2:3], off offset:152
	s_and_saveexec_b64 s[0:1], vcc
	s_cbranch_execz .LBB118_307
; %bb.306:
	scratch_load_dwordx2 v[2:3], off, off offset:144
	v_mov_b32_e32 v115, v114
	scratch_store_dwordx2 off, v[114:115], off offset:144
	s_waitcnt vmcnt(1)
	ds_write_b64 v1, v[2:3]
.LBB118_307:
	s_or_b64 exec, exec, s[0:1]
	s_waitcnt lgkmcnt(0)
	; wave barrier
	scratch_load_dwordx4 v[2:5], off, off offset:152
	scratch_load_dwordx4 v[6:9], off, off offset:168
	;; [unrolled: 1-line block ×13, first 2 shown]
	ds_read2_b64 v[110:113], v114 offset0:75 offset1:76
	ds_read2_b64 v[106:109], v114 offset0:77 offset1:78
	;; [unrolled: 1-line block ×14, first 2 shown]
	scratch_load_dwordx4 v[66:69], off, off offset:360
	scratch_load_dwordx2 v[132:133], off, off offset:144
	v_cmp_lt_u32_e32 vcc, 17, v0
	s_waitcnt vmcnt(14) lgkmcnt(13)
	v_mul_f32_e32 v115, v110, v3
	v_mul_f32_e32 v116, v112, v5
	v_fmac_f32_e32 v115, v111, v2
	s_waitcnt vmcnt(13) lgkmcnt(12)
	v_mul_f32_e32 v117, v106, v7
	v_fmac_f32_e32 v116, v113, v4
	v_add_f32_e32 v115, 0, v115
	v_mul_f32_e32 v118, v108, v9
	v_fmac_f32_e32 v117, v107, v6
	v_add_f32_e32 v115, v115, v116
	s_waitcnt vmcnt(12) lgkmcnt(11)
	v_mul_f32_e32 v119, v102, v11
	v_fmac_f32_e32 v118, v109, v8
	v_add_f32_e32 v115, v115, v117
	v_mul_f32_e32 v120, v104, v13
	v_fmac_f32_e32 v119, v103, v10
	v_add_f32_e32 v115, v115, v118
	;; [unrolled: 7-line block ×4, first 2 shown]
	s_waitcnt vmcnt(9) lgkmcnt(8)
	v_mul_f32_e32 v125, v90, v23
	v_fmac_f32_e32 v124, v97, v20
	v_add_f32_e32 v115, v115, v123
	scratch_load_dwordx4 v[116:119], off, off offset:376
	v_mul_f32_e32 v126, v92, v25
	v_fmac_f32_e32 v125, v91, v22
	v_add_f32_e32 v115, v115, v124
	s_waitcnt vmcnt(9) lgkmcnt(7)
	v_mul_f32_e32 v127, v86, v27
	v_fmac_f32_e32 v126, v93, v24
	v_add_f32_e32 v115, v115, v125
	v_mul_f32_e32 v128, v88, v29
	v_fmac_f32_e32 v127, v87, v26
	v_add_f32_e32 v115, v115, v126
	s_waitcnt vmcnt(8) lgkmcnt(6)
	v_mul_f32_e32 v129, v82, v31
	v_fmac_f32_e32 v128, v89, v28
	v_add_f32_e32 v115, v115, v127
	v_mul_f32_e32 v130, v84, v33
	v_fmac_f32_e32 v129, v83, v30
	v_add_f32_e32 v115, v115, v128
	s_waitcnt vmcnt(7) lgkmcnt(5)
	v_mul_f32_e32 v131, v78, v35
	v_fmac_f32_e32 v130, v85, v32
	v_add_f32_e32 v115, v115, v129
	v_fmac_f32_e32 v131, v79, v34
	v_add_f32_e32 v115, v115, v130
	v_add_f32_e32 v115, v115, v131
	scratch_load_dwordx4 v[120:123], off, off offset:392
	scratch_load_dwordx4 v[124:127], off, off offset:408
	;; [unrolled: 1-line block ×3, first 2 shown]
	v_mul_f32_e32 v3, v111, v3
	v_fma_f32 v2, v110, v2, -v3
	v_mul_f32_e32 v3, v113, v5
	v_add_f32_e32 v2, 0, v2
	v_fma_f32 v3, v112, v4, -v3
	v_add_f32_e32 v2, v2, v3
	v_mul_f32_e32 v3, v107, v7
	v_fma_f32 v3, v106, v6, -v3
	v_add_f32_e32 v2, v2, v3
	v_mul_f32_e32 v3, v109, v9
	;; [unrolled: 3-line block ×16, first 2 shown]
	v_fma_f32 v3, v80, v36, -v3
	v_add_f32_e32 v2, v2, v3
	s_waitcnt vmcnt(9) lgkmcnt(4)
	v_mul_f32_e32 v3, v75, v39
	v_fma_f32 v3, v74, v38, -v3
	v_add_f32_e32 v2, v2, v3
	v_mul_f32_e32 v3, v77, v41
	v_fma_f32 v3, v76, v40, -v3
	v_add_f32_e32 v2, v2, v3
	s_waitcnt vmcnt(8) lgkmcnt(3)
	v_mul_f32_e32 v3, v71, v43
	v_fma_f32 v3, v70, v42, -v3
	v_add_f32_e32 v2, v2, v3
	v_mul_f32_e32 v3, v73, v45
	v_fma_f32 v3, v72, v44, -v3
	v_add_f32_e32 v2, v2, v3
	s_waitcnt vmcnt(7) lgkmcnt(2)
	v_mul_f32_e32 v3, v63, v47
	v_fma_f32 v3, v62, v46, -v3
	v_mul_f32_e32 v134, v80, v37
	v_add_f32_e32 v2, v2, v3
	v_mul_f32_e32 v3, v65, v49
	v_mul_f32_e32 v135, v74, v39
	v_fmac_f32_e32 v134, v81, v36
	v_fma_f32 v3, v64, v48, -v3
	v_mul_f32_e32 v136, v76, v41
	v_fmac_f32_e32 v135, v75, v38
	v_add_f32_e32 v115, v115, v134
	v_add_f32_e32 v2, v2, v3
	s_waitcnt vmcnt(6) lgkmcnt(1)
	v_mul_f32_e32 v3, v55, v51
	v_mul_f32_e32 v137, v70, v43
	v_fmac_f32_e32 v136, v77, v40
	v_add_f32_e32 v115, v115, v135
	v_fma_f32 v3, v54, v50, -v3
	v_mul_f32_e32 v138, v72, v45
	v_fmac_f32_e32 v137, v71, v42
	v_add_f32_e32 v115, v115, v136
	v_add_f32_e32 v2, v2, v3
	v_mul_f32_e32 v3, v57, v53
	v_mul_f32_e32 v139, v62, v47
	v_fmac_f32_e32 v138, v73, v44
	v_add_f32_e32 v115, v115, v137
	v_fma_f32 v3, v56, v52, -v3
	v_mul_f32_e32 v140, v64, v49
	v_fmac_f32_e32 v139, v63, v46
	v_add_f32_e32 v115, v115, v138
	v_add_f32_e32 v134, v2, v3
	s_waitcnt vmcnt(5) lgkmcnt(0)
	v_mul_f32_e32 v2, v59, v67
	v_mul_f32_e32 v141, v54, v51
	v_fmac_f32_e32 v140, v65, v48
	v_add_f32_e32 v115, v115, v139
	v_fma_f32 v136, v58, v66, -v2
	v_mul_f32_e32 v2, v61, v69
	v_mul_f32_e32 v142, v56, v53
	v_fmac_f32_e32 v141, v55, v50
	v_add_f32_e32 v115, v115, v140
	v_fma_f32 v138, v60, v68, -v2
	ds_read2_b64 v[2:5], v114 offset0:103 offset1:104
	ds_read2_b64 v[6:9], v114 offset0:105 offset1:106
	;; [unrolled: 1-line block ×4, first 2 shown]
	v_add_f32_e32 v115, v115, v141
	v_fmac_f32_e32 v142, v57, v52
	v_mul_f32_e32 v137, v58, v67
	v_add_f32_e32 v135, v115, v142
	v_fmac_f32_e32 v137, v59, v66
	v_mul_f32_e32 v139, v60, v69
	s_waitcnt vmcnt(3) lgkmcnt(3)
	v_pk_mul_f32 v[20:21], v[2:3], v[116:117] op_sel:[1,1] op_sel_hi:[0,1]
	v_fmac_f32_e32 v139, v61, v68
	v_pk_add_f32 v[18:19], v[134:135], v[136:137]
	v_pk_fma_f32 v[22:23], v[2:3], v[116:117], v[20:21] neg_lo:[0,0,1] neg_hi:[0,0,1]
	v_pk_fma_f32 v[2:3], v[2:3], v[116:117], v[20:21] op_sel_hi:[1,0,1]
	v_pk_add_f32 v[18:19], v[18:19], v[138:139]
	v_mov_b32_e32 v23, v3
	v_pk_add_f32 v[2:3], v[18:19], v[22:23]
	v_mov_b32_e32 v18, v119
	v_pk_mul_f32 v[18:19], v[4:5], v[18:19] op_sel:[1,0] op_sel_hi:[0,0]
	v_pk_fma_f32 v[20:21], v[4:5], v[118:119], v[18:19] neg_lo:[0,0,1] neg_hi:[0,0,1]
	v_pk_fma_f32 v[4:5], v[4:5], v[118:119], v[18:19] op_sel_hi:[1,0,1]
	s_nop 0
	v_mov_b32_e32 v21, v5
	s_waitcnt vmcnt(2) lgkmcnt(2)
	v_pk_mul_f32 v[4:5], v[6:7], v[120:121] op_sel:[1,1] op_sel_hi:[0,1]
	v_pk_fma_f32 v[18:19], v[6:7], v[120:121], v[4:5] neg_lo:[0,0,1] neg_hi:[0,0,1]
	v_pk_fma_f32 v[4:5], v[6:7], v[120:121], v[4:5] op_sel_hi:[1,0,1]
	v_pk_add_f32 v[2:3], v[2:3], v[20:21]
	v_mov_b32_e32 v4, v123
	v_mov_b32_e32 v19, v5
	v_pk_mul_f32 v[4:5], v[8:9], v[4:5] op_sel:[1,0] op_sel_hi:[0,0]
	v_pk_fma_f32 v[6:7], v[8:9], v[122:123], v[4:5] neg_lo:[0,0,1] neg_hi:[0,0,1]
	v_pk_fma_f32 v[4:5], v[8:9], v[122:123], v[4:5] op_sel_hi:[1,0,1]
	v_pk_add_f32 v[2:3], v[2:3], v[18:19]
	v_mov_b32_e32 v7, v5
	s_waitcnt vmcnt(1) lgkmcnt(1)
	v_pk_mul_f32 v[4:5], v[10:11], v[124:125] op_sel:[1,1] op_sel_hi:[0,1]
	v_pk_add_f32 v[2:3], v[2:3], v[6:7]
	v_pk_fma_f32 v[6:7], v[10:11], v[124:125], v[4:5] neg_lo:[0,0,1] neg_hi:[0,0,1]
	v_pk_fma_f32 v[4:5], v[10:11], v[124:125], v[4:5] op_sel_hi:[1,0,1]
	s_nop 0
	v_mov_b32_e32 v4, v127
	v_mov_b32_e32 v7, v5
	v_pk_mul_f32 v[4:5], v[12:13], v[4:5] op_sel:[1,0] op_sel_hi:[0,0]
	v_pk_add_f32 v[2:3], v[2:3], v[6:7]
	v_pk_fma_f32 v[6:7], v[12:13], v[126:127], v[4:5] neg_lo:[0,0,1] neg_hi:[0,0,1]
	v_pk_fma_f32 v[4:5], v[12:13], v[126:127], v[4:5] op_sel_hi:[1,0,1]
	s_nop 0
	v_mov_b32_e32 v7, v5
	s_waitcnt vmcnt(0) lgkmcnt(0)
	v_pk_mul_f32 v[4:5], v[14:15], v[128:129] op_sel:[1,1] op_sel_hi:[0,1]
	v_pk_add_f32 v[2:3], v[2:3], v[6:7]
	v_pk_fma_f32 v[6:7], v[14:15], v[128:129], v[4:5] neg_lo:[0,0,1] neg_hi:[0,0,1]
	v_pk_fma_f32 v[4:5], v[14:15], v[128:129], v[4:5] op_sel_hi:[1,0,1]
	s_nop 0
	v_mov_b32_e32 v4, v131
	v_mov_b32_e32 v7, v5
	v_pk_mul_f32 v[4:5], v[16:17], v[4:5] op_sel:[1,0] op_sel_hi:[0,0]
	v_pk_add_f32 v[2:3], v[2:3], v[6:7]
	v_pk_fma_f32 v[6:7], v[16:17], v[130:131], v[4:5] neg_lo:[0,0,1] neg_hi:[0,0,1]
	v_pk_fma_f32 v[4:5], v[16:17], v[130:131], v[4:5] op_sel_hi:[1,0,1]
	s_nop 0
	v_mov_b32_e32 v7, v5
	v_pk_add_f32 v[2:3], v[2:3], v[6:7]
	s_nop 0
	v_pk_add_f32 v[2:3], v[132:133], v[2:3] neg_lo:[0,1] neg_hi:[0,1]
	scratch_store_dwordx2 off, v[2:3], off offset:144
	s_and_saveexec_b64 s[0:1], vcc
	s_cbranch_execz .LBB118_309
; %bb.308:
	scratch_load_dwordx2 v[2:3], off, off offset:136
	v_mov_b32_e32 v4, 0
	v_mov_b32_e32 v5, v4
	scratch_store_dwordx2 off, v[4:5], off offset:136
	s_waitcnt vmcnt(1)
	ds_write_b64 v1, v[2:3]
.LBB118_309:
	s_or_b64 exec, exec, s[0:1]
	s_waitcnt lgkmcnt(0)
	; wave barrier
	scratch_load_dwordx4 v[62:65], off, off offset:144
	scratch_load_dwordx4 v[66:69], off, off offset:160
	;; [unrolled: 1-line block ×15, first 2 shown]
	v_mov_b32_e32 v98, 0
	ds_read_b128 v[108:111], v98 offset:592
	ds_read_b128 v[112:115], v98 offset:608
	;; [unrolled: 1-line block ×14, first 2 shown]
	v_cmp_lt_u32_e32 vcc, 16, v0
	s_waitcnt vmcnt(14) lgkmcnt(13)
	v_mul_f32_e32 v6, v108, v63
	v_mul_f32_e32 v7, v110, v65
	v_fmac_f32_e32 v6, v109, v62
	s_waitcnt vmcnt(13) lgkmcnt(12)
	v_mul_f32_e32 v8, v112, v67
	v_fmac_f32_e32 v7, v111, v64
	v_add_f32_e32 v6, 0, v6
	v_mul_f32_e32 v9, v114, v69
	v_fmac_f32_e32 v8, v113, v66
	v_add_f32_e32 v6, v6, v7
	s_waitcnt vmcnt(12) lgkmcnt(11)
	v_mul_f32_e32 v10, v116, v71
	v_fmac_f32_e32 v9, v115, v68
	v_add_f32_e32 v6, v6, v8
	v_mul_f32_e32 v11, v118, v73
	v_fmac_f32_e32 v10, v117, v70
	v_add_f32_e32 v6, v6, v9
	;; [unrolled: 7-line block ×11, first 2 shown]
	s_waitcnt vmcnt(2) lgkmcnt(1)
	v_mul_f32_e32 v107, v46, v35
	v_fmac_f32_e32 v106, v53, v32
	v_add_f32_e32 v6, v6, v105
	v_fmac_f32_e32 v107, v47, v34
	v_add_f32_e32 v6, v6, v106
	v_mul_f32_e32 v7, v48, v37
	v_add_f32_e32 v6, v6, v107
	v_fmac_f32_e32 v7, v49, v36
	v_add_f32_e32 v6, v6, v7
	s_waitcnt vmcnt(1) lgkmcnt(0)
	v_mul_f32_e32 v7, v42, v39
	v_fmac_f32_e32 v7, v43, v38
	ds_read_b128 v[18:21], v98 offset:816
	v_add_f32_e32 v103, v6, v7
	scratch_load_dwordx4 v[14:17], off, off offset:384
	scratch_load_dwordx4 v[10:13], off, off offset:400
	;; [unrolled: 1-line block ×3, first 2 shown]
	scratch_load_dwordx2 v[100:101], off, off offset:432
	v_mul_f32_e32 v23, v59, v23
	v_fma_f32 v58, v58, v22, -v23
	scratch_load_dwordx2 v[22:23], off, off offset:136
	v_mul_f32_e32 v63, v109, v63
	v_fma_f32 v62, v108, v62, -v63
	v_mul_f32_e32 v63, v111, v65
	v_add_f32_e32 v62, 0, v62
	v_fma_f32 v63, v110, v64, -v63
	v_add_f32_e32 v62, v62, v63
	v_mul_f32_e32 v63, v113, v67
	v_fma_f32 v63, v112, v66, -v63
	v_add_f32_e32 v62, v62, v63
	v_mul_f32_e32 v63, v115, v69
	v_fma_f32 v63, v114, v68, -v63
	v_add_f32_e32 v62, v62, v63
	v_mul_f32_e32 v63, v117, v71
	v_fma_f32 v63, v116, v70, -v63
	v_add_f32_e32 v62, v62, v63
	v_mul_f32_e32 v63, v119, v73
	v_fma_f32 v63, v118, v72, -v63
	v_add_f32_e32 v62, v62, v63
	v_mul_f32_e32 v63, v121, v75
	v_fma_f32 v63, v120, v74, -v63
	v_add_f32_e32 v62, v62, v63
	v_mul_f32_e32 v63, v123, v77
	v_fma_f32 v63, v122, v76, -v63
	v_add_f32_e32 v62, v62, v63
	v_mul_f32_e32 v63, v125, v79
	v_fma_f32 v63, v124, v78, -v63
	v_add_f32_e32 v62, v62, v63
	v_mul_f32_e32 v63, v127, v81
	v_fma_f32 v63, v126, v80, -v63
	v_add_f32_e32 v62, v62, v63
	v_mul_f32_e32 v63, v129, v83
	v_fma_f32 v63, v128, v82, -v63
	v_add_f32_e32 v62, v62, v63
	v_mul_f32_e32 v63, v131, v85
	v_fma_f32 v63, v130, v84, -v63
	v_add_f32_e32 v62, v62, v63
	v_mul_f32_e32 v63, v133, v87
	v_fma_f32 v63, v132, v86, -v63
	v_add_f32_e32 v62, v62, v63
	v_mul_f32_e32 v63, v135, v89
	v_fma_f32 v63, v134, v88, -v63
	v_add_f32_e32 v62, v62, v63
	v_mul_f32_e32 v63, v137, v91
	v_fma_f32 v63, v136, v90, -v63
	v_add_f32_e32 v62, v62, v63
	v_mul_f32_e32 v63, v139, v93
	v_fma_f32 v63, v138, v92, -v63
	v_add_f32_e32 v62, v62, v63
	v_mul_f32_e32 v63, v141, v95
	v_fma_f32 v63, v140, v94, -v63
	v_add_f32_e32 v62, v62, v63
	v_mul_f32_e32 v63, v143, v97
	v_fma_f32 v63, v142, v96, -v63
	v_add_f32_e32 v62, v62, v63
	v_mul_f32_e32 v25, v61, v25
	v_add_f32_e32 v58, v62, v58
	v_fma_f32 v24, v60, v24, -v25
	v_mul_f32_e32 v25, v55, v27
	v_add_f32_e32 v24, v58, v24
	v_fma_f32 v25, v54, v26, -v25
	v_add_f32_e32 v24, v24, v25
	v_mul_f32_e32 v25, v57, v29
	v_fma_f32 v25, v56, v28, -v25
	v_add_f32_e32 v24, v24, v25
	v_mul_f32_e32 v25, v51, v31
	;; [unrolled: 3-line block ×6, first 2 shown]
	v_fma_f32 v25, v42, v38, -v25
	v_mul_f32_e32 v105, v44, v41
	v_add_f32_e32 v102, v24, v25
	v_mul_f32_e32 v24, v45, v41
	s_waitcnt vmcnt(5)
	v_mov_b32_e32 v36, v5
	v_fmac_f32_e32 v105, v45, v40
	s_waitcnt lgkmcnt(0)
	v_mul_f32_e32 v107, v18, v3
	v_fma_f32 v104, v44, v40, -v24
	v_mul_f32_e32 v3, v19, v3
	v_pk_mul_f32 v[36:37], v[20:21], v[36:37] op_sel:[1,0] op_sel_hi:[0,0]
	v_fmac_f32_e32 v107, v19, v2
	v_fma_f32 v106, v18, v2, -v3
	ds_read_b128 v[24:27], v98 offset:832
	ds_read_b128 v[28:31], v98 offset:848
	;; [unrolled: 1-line block ×3, first 2 shown]
	ds_read_b64 v[2:3], v98 offset:880
	v_pk_add_f32 v[18:19], v[102:103], v[104:105]
	v_pk_fma_f32 v[38:39], v[20:21], v[4:5], v[36:37] neg_lo:[0,0,1] neg_hi:[0,0,1]
	v_pk_fma_f32 v[4:5], v[20:21], v[4:5], v[36:37] op_sel_hi:[1,0,1]
	v_pk_add_f32 v[18:19], v[18:19], v[106:107]
	v_mov_b32_e32 v39, v5
	v_pk_add_f32 v[4:5], v[18:19], v[38:39]
	s_waitcnt vmcnt(4) lgkmcnt(3)
	v_pk_mul_f32 v[18:19], v[24:25], v[14:15] op_sel:[1,1] op_sel_hi:[0,1]
	v_pk_fma_f32 v[20:21], v[24:25], v[14:15], v[18:19] neg_lo:[0,0,1] neg_hi:[0,0,1]
	v_pk_fma_f32 v[14:15], v[24:25], v[14:15], v[18:19] op_sel_hi:[1,0,1]
	s_nop 0
	v_mov_b32_e32 v14, v17
	v_mov_b32_e32 v21, v15
	v_pk_mul_f32 v[14:15], v[26:27], v[14:15] op_sel:[1,0] op_sel_hi:[0,0]
	v_pk_fma_f32 v[18:19], v[26:27], v[16:17], v[14:15] neg_lo:[0,0,1] neg_hi:[0,0,1]
	v_pk_fma_f32 v[14:15], v[26:27], v[16:17], v[14:15] op_sel_hi:[1,0,1]
	v_pk_add_f32 v[4:5], v[4:5], v[20:21]
	v_mov_b32_e32 v19, v15
	s_waitcnt vmcnt(3) lgkmcnt(2)
	v_pk_mul_f32 v[14:15], v[28:29], v[10:11] op_sel:[1,1] op_sel_hi:[0,1]
	v_pk_fma_f32 v[16:17], v[28:29], v[10:11], v[14:15] neg_lo:[0,0,1] neg_hi:[0,0,1]
	v_pk_fma_f32 v[10:11], v[28:29], v[10:11], v[14:15] op_sel_hi:[1,0,1]
	v_pk_add_f32 v[4:5], v[4:5], v[18:19]
	v_mov_b32_e32 v10, v13
	v_mov_b32_e32 v17, v11
	v_pk_mul_f32 v[10:11], v[30:31], v[10:11] op_sel:[1,0] op_sel_hi:[0,0]
	v_pk_fma_f32 v[14:15], v[30:31], v[12:13], v[10:11] neg_lo:[0,0,1] neg_hi:[0,0,1]
	v_pk_fma_f32 v[10:11], v[30:31], v[12:13], v[10:11] op_sel_hi:[1,0,1]
	v_pk_add_f32 v[4:5], v[4:5], v[16:17]
	v_mov_b32_e32 v15, v11
	s_waitcnt vmcnt(2) lgkmcnt(1)
	v_pk_mul_f32 v[10:11], v[32:33], v[6:7] op_sel:[1,1] op_sel_hi:[0,1]
	v_pk_fma_f32 v[12:13], v[32:33], v[6:7], v[10:11] neg_lo:[0,0,1] neg_hi:[0,0,1]
	v_pk_fma_f32 v[6:7], v[32:33], v[6:7], v[10:11] op_sel_hi:[1,0,1]
	v_pk_add_f32 v[4:5], v[4:5], v[14:15]
	;; [unrolled: 12-line block ×3, first 2 shown]
	v_mov_b32_e32 v9, v3
	v_pk_add_f32 v[2:3], v[4:5], v[8:9]
	s_waitcnt vmcnt(0)
	v_pk_add_f32 v[2:3], v[22:23], v[2:3] neg_lo:[0,1] neg_hi:[0,1]
	scratch_store_dwordx2 off, v[2:3], off offset:136
	s_and_saveexec_b64 s[0:1], vcc
	s_cbranch_execz .LBB118_311
; %bb.310:
	scratch_load_dwordx2 v[2:3], off, off offset:128
	v_mov_b32_e32 v99, v98
	scratch_store_dwordx2 off, v[98:99], off offset:128
	s_waitcnt vmcnt(1)
	ds_write_b64 v1, v[2:3]
.LBB118_311:
	s_or_b64 exec, exec, s[0:1]
	s_waitcnt lgkmcnt(0)
	; wave barrier
	scratch_load_dwordx4 v[58:61], off, off offset:136
	scratch_load_dwordx4 v[62:65], off, off offset:152
	;; [unrolled: 1-line block ×13, first 2 shown]
	ds_read2_b64 v[106:109], v98 offset0:73 offset1:74
	ds_read2_b64 v[110:113], v98 offset0:75 offset1:76
	;; [unrolled: 1-line block ×14, first 2 shown]
	scratch_load_dwordx4 v[46:49], off, off offset:344
	scratch_load_dwordx4 v[50:53], off, off offset:360
	v_cmp_lt_u32_e32 vcc, 15, v0
	s_waitcnt vmcnt(14) lgkmcnt(13)
	v_mul_f32_e32 v2, v106, v59
	v_mul_f32_e32 v3, v108, v61
	v_fmac_f32_e32 v2, v107, v58
	s_waitcnt vmcnt(13) lgkmcnt(12)
	v_mul_f32_e32 v4, v110, v63
	v_fmac_f32_e32 v3, v109, v60
	v_add_f32_e32 v2, 0, v2
	v_mul_f32_e32 v5, v112, v65
	v_fmac_f32_e32 v4, v111, v62
	v_add_f32_e32 v2, v2, v3
	s_waitcnt vmcnt(12) lgkmcnt(11)
	v_mul_f32_e32 v6, v114, v67
	v_fmac_f32_e32 v5, v113, v64
	v_add_f32_e32 v2, v2, v4
	v_mul_f32_e32 v7, v116, v69
	v_fmac_f32_e32 v6, v115, v66
	v_add_f32_e32 v2, v2, v5
	;; [unrolled: 7-line block ×6, first 2 shown]
	v_mul_f32_e32 v59, v107, v59
	s_waitcnt vmcnt(7) lgkmcnt(6)
	v_mul_f32_e32 v16, v134, v87
	v_fmac_f32_e32 v15, v133, v84
	v_add_f32_e32 v2, v2, v14
	v_fma_f32 v58, v106, v58, -v59
	v_mul_f32_e32 v59, v109, v61
	v_mul_f32_e32 v17, v136, v89
	v_fmac_f32_e32 v16, v135, v86
	v_add_f32_e32 v2, v2, v15
	v_add_f32_e32 v58, 0, v58
	v_fma_f32 v59, v108, v60, -v59
	s_waitcnt vmcnt(6) lgkmcnt(5)
	v_mul_f32_e32 v54, v138, v91
	v_fmac_f32_e32 v17, v137, v88
	v_add_f32_e32 v2, v2, v16
	v_add_f32_e32 v58, v58, v59
	v_mul_f32_e32 v59, v111, v63
	v_mul_f32_e32 v55, v140, v93
	v_fmac_f32_e32 v54, v139, v90
	v_add_f32_e32 v2, v2, v17
	v_fma_f32 v59, v110, v62, -v59
	s_waitcnt vmcnt(5) lgkmcnt(4)
	v_mul_f32_e32 v56, v142, v95
	v_fmac_f32_e32 v55, v141, v92
	v_add_f32_e32 v2, v2, v54
	v_add_f32_e32 v58, v58, v59
	v_mul_f32_e32 v59, v113, v65
	v_mul_f32_e32 v57, v144, v97
	v_fmac_f32_e32 v56, v143, v94
	;; [unrolled: 10-line block ×5, first 2 shown]
	v_add_f32_e32 v2, v2, v102
	v_fma_f32 v59, v118, v70, -v59
	v_add_f32_e32 v2, v2, v103
	v_fmac_f32_e32 v104, v33, v28
	s_waitcnt vmcnt(1) lgkmcnt(0)
	v_mul_f32_e32 v3, v42, v47
	v_add_f32_e32 v58, v58, v59
	v_mul_f32_e32 v59, v121, v73
	v_add_f32_e32 v2, v2, v104
	v_fmac_f32_e32 v3, v43, v46
	v_fma_f32 v59, v120, v72, -v59
	v_add_f32_e32 v2, v2, v3
	v_mul_f32_e32 v3, v44, v49
	v_add_f32_e32 v58, v58, v59
	v_mul_f32_e32 v59, v123, v75
	v_fmac_f32_e32 v3, v45, v48
	v_fma_f32 v59, v122, v74, -v59
	ds_read2_b64 v[54:57], v98 offset0:101 offset1:102
	v_add_f32_e32 v101, v2, v3
	scratch_load_dwordx4 v[14:17], off, off offset:376
	scratch_load_dwordx4 v[10:13], off, off offset:392
	;; [unrolled: 1-line block ×4, first 2 shown]
	v_add_f32_e32 v58, v58, v59
	v_mul_f32_e32 v59, v125, v77
	v_fma_f32 v59, v124, v76, -v59
	v_add_f32_e32 v58, v58, v59
	v_mul_f32_e32 v59, v127, v79
	v_fma_f32 v59, v126, v78, -v59
	;; [unrolled: 3-line block ×11, first 2 shown]
	scratch_load_dwordx2 v[58:59], off, off offset:128
	v_mul_f32_e32 v19, v39, v19
	v_add_f32_e32 v60, v60, v61
	v_fma_f32 v18, v38, v18, -v19
	v_mul_f32_e32 v19, v41, v21
	v_add_f32_e32 v18, v60, v18
	v_fma_f32 v19, v40, v20, -v19
	v_add_f32_e32 v18, v18, v19
	v_mul_f32_e32 v19, v35, v23
	v_fma_f32 v19, v34, v22, -v19
	v_add_f32_e32 v18, v18, v19
	v_mul_f32_e32 v19, v37, v25
	;; [unrolled: 3-line block ×6, first 2 shown]
	v_fma_f32 v19, v44, v48, -v19
	v_add_f32_e32 v100, v18, v19
	s_waitcnt vmcnt(5) lgkmcnt(0)
	v_mul_f32_e32 v18, v55, v51
	v_fma_f32 v102, v54, v50, -v18
	v_mul_f32_e32 v18, v57, v53
	v_fma_f32 v104, v56, v52, -v18
	ds_read2_b64 v[18:21], v98 offset0:103 offset1:104
	ds_read2_b64 v[22:25], v98 offset0:105 offset1:106
	;; [unrolled: 1-line block ×4, first 2 shown]
	v_mul_f32_e32 v103, v54, v51
	v_fmac_f32_e32 v103, v55, v50
	v_mul_f32_e32 v105, v56, v53
	v_fmac_f32_e32 v105, v57, v52
	v_pk_add_f32 v[34:35], v[100:101], v[102:103]
	s_waitcnt vmcnt(4) lgkmcnt(3)
	v_pk_mul_f32 v[36:37], v[18:19], v[14:15] op_sel:[1,1] op_sel_hi:[0,1]
	v_pk_fma_f32 v[38:39], v[18:19], v[14:15], v[36:37] neg_lo:[0,0,1] neg_hi:[0,0,1]
	v_pk_fma_f32 v[14:15], v[18:19], v[14:15], v[36:37] op_sel_hi:[1,0,1]
	v_mov_b32_e32 v18, v17
	v_pk_add_f32 v[34:35], v[34:35], v[104:105]
	v_mov_b32_e32 v39, v15
	v_pk_mul_f32 v[18:19], v[20:21], v[18:19] op_sel:[1,0] op_sel_hi:[0,0]
	v_pk_add_f32 v[14:15], v[34:35], v[38:39]
	v_pk_fma_f32 v[34:35], v[20:21], v[16:17], v[18:19] neg_lo:[0,0,1] neg_hi:[0,0,1]
	v_pk_fma_f32 v[16:17], v[20:21], v[16:17], v[18:19] op_sel_hi:[1,0,1]
	s_nop 0
	v_mov_b32_e32 v35, v17
	s_waitcnt vmcnt(3) lgkmcnt(2)
	v_pk_mul_f32 v[16:17], v[22:23], v[10:11] op_sel:[1,1] op_sel_hi:[0,1]
	v_pk_fma_f32 v[18:19], v[22:23], v[10:11], v[16:17] neg_lo:[0,0,1] neg_hi:[0,0,1]
	v_pk_fma_f32 v[10:11], v[22:23], v[10:11], v[16:17] op_sel_hi:[1,0,1]
	v_pk_add_f32 v[14:15], v[14:15], v[34:35]
	v_mov_b32_e32 v19, v11
	v_pk_add_f32 v[10:11], v[14:15], v[18:19]
	v_mov_b32_e32 v14, v13
	v_pk_mul_f32 v[14:15], v[24:25], v[14:15] op_sel:[1,0] op_sel_hi:[0,0]
	v_pk_fma_f32 v[16:17], v[24:25], v[12:13], v[14:15] neg_lo:[0,0,1] neg_hi:[0,0,1]
	v_pk_fma_f32 v[12:13], v[24:25], v[12:13], v[14:15] op_sel_hi:[1,0,1]
	s_nop 0
	v_mov_b32_e32 v17, v13
	s_waitcnt vmcnt(2) lgkmcnt(1)
	v_pk_mul_f32 v[12:13], v[26:27], v[6:7] op_sel:[1,1] op_sel_hi:[0,1]
	v_pk_fma_f32 v[14:15], v[26:27], v[6:7], v[12:13] neg_lo:[0,0,1] neg_hi:[0,0,1]
	v_pk_fma_f32 v[6:7], v[26:27], v[6:7], v[12:13] op_sel_hi:[1,0,1]
	v_pk_add_f32 v[10:11], v[10:11], v[16:17]
	v_mov_b32_e32 v15, v7
	v_pk_add_f32 v[6:7], v[10:11], v[14:15]
	v_mov_b32_e32 v10, v9
	v_pk_mul_f32 v[10:11], v[28:29], v[10:11] op_sel:[1,0] op_sel_hi:[0,0]
	;; [unrolled: 13-line block ×3, first 2 shown]
	v_pk_fma_f32 v[8:9], v[32:33], v[4:5], v[6:7] neg_lo:[0,0,1] neg_hi:[0,0,1]
	v_pk_fma_f32 v[4:5], v[32:33], v[4:5], v[6:7] op_sel_hi:[1,0,1]
	s_nop 0
	v_mov_b32_e32 v9, v5
	v_pk_add_f32 v[2:3], v[2:3], v[8:9]
	s_waitcnt vmcnt(0)
	v_pk_add_f32 v[2:3], v[58:59], v[2:3] neg_lo:[0,1] neg_hi:[0,1]
	scratch_store_dwordx2 off, v[2:3], off offset:128
	s_and_saveexec_b64 s[0:1], vcc
	s_cbranch_execz .LBB118_313
; %bb.312:
	scratch_load_dwordx2 v[2:3], off, off offset:120
	v_mov_b32_e32 v4, 0
	v_mov_b32_e32 v5, v4
	scratch_store_dwordx2 off, v[4:5], off offset:120
	s_waitcnt vmcnt(1)
	ds_write_b64 v1, v[2:3]
.LBB118_313:
	s_or_b64 exec, exec, s[0:1]
	v_mov_b32_e32 v94, 0
	s_waitcnt lgkmcnt(0)
	; wave barrier
	ds_read_b128 v[14:17], v94 offset:576
	ds_read_b128 v[10:13], v94 offset:592
	;; [unrolled: 1-line block ×4, first 2 shown]
	scratch_load_dwordx4 v[18:21], off, off offset:128
	scratch_load_dwordx4 v[38:41], off, off offset:192
	;; [unrolled: 1-line block ×10, first 2 shown]
	v_cmp_lt_u32_e32 vcc, 14, v0
	scratch_load_dwordx4 v[46:49], off, off offset:208
	scratch_load_dwordx4 v[54:57], off, off offset:224
	;; [unrolled: 1-line block ×3, first 2 shown]
	s_waitcnt vmcnt(12) lgkmcnt(3)
	v_mul_f32_e32 v22, v14, v19
	v_fmac_f32_e32 v22, v15, v18
	v_mul_f32_e32 v23, v16, v21
	v_add_f32_e32 v22, 0, v22
	v_fmac_f32_e32 v23, v17, v20
	v_add_f32_e32 v26, v22, v23
	scratch_load_dwordx4 v[22:25], off, off offset:144
	v_mul_f32_e32 v15, v15, v19
	v_fma_f32 v14, v14, v18, -v15
	v_mul_f32_e32 v15, v17, v21
	v_add_f32_e32 v14, 0, v14
	v_fma_f32 v15, v16, v20, -v15
	v_add_f32_e32 v14, v14, v15
	s_waitcnt vmcnt(4)
	v_mov_b32_e32 v18, v131
	s_waitcnt vmcnt(0) lgkmcnt(2)
	v_mul_f32_e32 v27, v10, v23
	v_fmac_f32_e32 v27, v11, v22
	v_add_f32_e32 v26, v26, v27
	v_mul_f32_e32 v27, v12, v25
	v_fmac_f32_e32 v27, v13, v24
	v_add_f32_e32 v30, v26, v27
	scratch_load_dwordx4 v[26:29], off, off offset:160
	v_mul_f32_e32 v11, v11, v23
	v_fma_f32 v10, v10, v22, -v11
	v_mul_f32_e32 v11, v13, v25
	v_add_f32_e32 v10, v14, v10
	v_fma_f32 v11, v12, v24, -v11
	v_add_f32_e32 v10, v10, v11
	s_waitcnt vmcnt(0) lgkmcnt(1)
	v_mul_f32_e32 v31, v6, v27
	v_fmac_f32_e32 v31, v7, v26
	v_add_f32_e32 v30, v30, v31
	v_mul_f32_e32 v31, v8, v29
	v_fmac_f32_e32 v31, v9, v28
	v_add_f32_e32 v34, v30, v31
	scratch_load_dwordx4 v[30:33], off, off offset:176
	v_mul_f32_e32 v7, v7, v27
	v_fma_f32 v6, v6, v26, -v7
	v_mul_f32_e32 v7, v9, v29
	v_add_f32_e32 v6, v10, v6
	v_fma_f32 v7, v8, v28, -v7
	v_add_f32_e32 v6, v6, v7
	s_waitcnt vmcnt(0) lgkmcnt(0)
	v_mul_f32_e32 v35, v2, v31
	v_fmac_f32_e32 v35, v3, v30
	v_add_f32_e32 v34, v34, v35
	v_mul_f32_e32 v35, v4, v33
	v_fmac_f32_e32 v35, v5, v32
	v_add_f32_e32 v42, v34, v35
	ds_read_b128 v[34:37], v94 offset:640
	v_mul_f32_e32 v3, v3, v31
	v_fma_f32 v2, v2, v30, -v3
	v_mul_f32_e32 v3, v5, v33
	v_add_f32_e32 v2, v6, v2
	s_waitcnt lgkmcnt(0)
	v_mul_f32_e32 v43, v34, v39
	v_fmac_f32_e32 v43, v35, v38
	v_add_f32_e32 v42, v42, v43
	v_mul_f32_e32 v43, v36, v41
	v_fmac_f32_e32 v43, v37, v40
	v_add_f32_e32 v50, v42, v43
	ds_read_b128 v[42:45], v94 offset:656
	v_fma_f32 v3, v4, v32, -v3
	v_add_f32_e32 v2, v2, v3
	v_mul_f32_e32 v3, v35, v39
	v_fma_f32 v3, v34, v38, -v3
	s_waitcnt lgkmcnt(0)
	v_mul_f32_e32 v51, v42, v47
	v_fmac_f32_e32 v51, v43, v46
	v_add_f32_e32 v50, v50, v51
	v_mul_f32_e32 v51, v44, v49
	v_fmac_f32_e32 v51, v45, v48
	v_add_f32_e32 v58, v50, v51
	ds_read_b128 v[50:53], v94 offset:672
	v_add_f32_e32 v2, v2, v3
	v_mul_f32_e32 v3, v37, v41
	v_fma_f32 v3, v36, v40, -v3
	v_add_f32_e32 v2, v2, v3
	s_waitcnt lgkmcnt(0)
	v_mul_f32_e32 v59, v50, v55
	v_fmac_f32_e32 v59, v51, v54
	v_add_f32_e32 v58, v58, v59
	v_mul_f32_e32 v59, v52, v57
	v_fmac_f32_e32 v59, v53, v56
	v_add_f32_e32 v66, v58, v59
	ds_read_b128 v[58:61], v94 offset:688
	v_mul_f32_e32 v3, v43, v47
	v_fma_f32 v3, v42, v46, -v3
	v_add_f32_e32 v2, v2, v3
	v_mul_f32_e32 v3, v45, v49
	s_waitcnt lgkmcnt(0)
	v_mul_f32_e32 v67, v58, v63
	v_fmac_f32_e32 v67, v59, v62
	v_add_f32_e32 v66, v66, v67
	v_mul_f32_e32 v67, v60, v65
	v_fmac_f32_e32 v67, v61, v64
	v_add_f32_e32 v74, v66, v67
	ds_read_b128 v[66:69], v94 offset:704
	v_fma_f32 v3, v44, v48, -v3
	v_add_f32_e32 v2, v2, v3
	v_mul_f32_e32 v3, v51, v55
	v_fma_f32 v3, v50, v54, -v3
	s_waitcnt lgkmcnt(0)
	v_mul_f32_e32 v75, v66, v71
	v_fmac_f32_e32 v75, v67, v70
	v_add_f32_e32 v74, v74, v75
	v_mul_f32_e32 v75, v68, v73
	v_fmac_f32_e32 v75, v69, v72
	v_add_f32_e32 v82, v74, v75
	ds_read_b128 v[74:77], v94 offset:720
	v_add_f32_e32 v2, v2, v3
	v_mul_f32_e32 v3, v53, v57
	v_fma_f32 v3, v52, v56, -v3
	v_add_f32_e32 v2, v2, v3
	s_waitcnt lgkmcnt(0)
	v_mul_f32_e32 v83, v74, v79
	v_fmac_f32_e32 v83, v75, v78
	v_add_f32_e32 v82, v82, v83
	v_mul_f32_e32 v83, v76, v81
	v_fmac_f32_e32 v83, v77, v80
	v_add_f32_e32 v90, v82, v83
	ds_read_b128 v[82:85], v94 offset:736
	v_mul_f32_e32 v3, v59, v63
	v_fma_f32 v3, v58, v62, -v3
	v_add_f32_e32 v2, v2, v3
	v_mul_f32_e32 v3, v61, v65
	;; [unrolled: 36-line block ×3, first 2 shown]
	s_waitcnt lgkmcnt(0)
	v_mul_f32_e32 v116, v108, v113
	v_fmac_f32_e32 v116, v109, v112
	v_add_f32_e32 v95, v95, v116
	v_mul_f32_e32 v116, v110, v115
	v_fmac_f32_e32 v116, v111, v114
	v_add_f32_e32 v95, v95, v116
	ds_read_b128 v[116:119], v94 offset:800
	v_fma_f32 v3, v76, v80, -v3
	v_add_f32_e32 v2, v2, v3
	v_mul_f32_e32 v3, v83, v87
	v_fma_f32 v3, v82, v86, -v3
	s_waitcnt lgkmcnt(0)
	v_mul_f32_e32 v124, v116, v121
	v_fmac_f32_e32 v124, v117, v120
	v_add_f32_e32 v145, v95, v124
	ds_read_b128 v[124:127], v94 offset:816
	scratch_load_dwordx4 v[132:135], off, off offset:384
	scratch_load_dwordx4 v[136:139], off, off offset:400
	;; [unrolled: 1-line block ×3, first 2 shown]
	scratch_load_dwordx2 v[156:157], off, off offset:432
	v_add_f32_e32 v2, v2, v3
	v_mul_f32_e32 v3, v85, v89
	v_fma_f32 v3, v84, v88, -v3
	v_add_f32_e32 v2, v2, v3
	v_mul_f32_e32 v3, v91, v97
	v_fma_f32 v3, v90, v96, -v3
	;; [unrolled: 3-line block ×8, first 2 shown]
	v_add_f32_e32 v144, v2, v3
	v_mul_f32_e32 v2, v119, v123
	v_mul_f32_e32 v147, v118, v123
	v_fma_f32 v146, v118, v122, -v2
	s_waitcnt lgkmcnt(0)
	v_mul_f32_e32 v2, v125, v129
	v_fmac_f32_e32 v147, v119, v122
	v_mul_f32_e32 v149, v124, v129
	v_fma_f32 v148, v124, v128, -v2
	ds_read_b128 v[2:5], v94 offset:832
	ds_read_b128 v[6:9], v94 offset:848
	;; [unrolled: 1-line block ×3, first 2 shown]
	ds_read_b64 v[14:15], v94 offset:880
	v_pk_mul_f32 v[18:19], v[126:127], v[18:19] op_sel:[1,0] op_sel_hi:[0,0]
	v_fmac_f32_e32 v149, v125, v128
	v_pk_add_f32 v[16:17], v[144:145], v[146:147]
	v_pk_fma_f32 v[20:21], v[126:127], v[130:131], v[18:19] neg_lo:[0,0,1] neg_hi:[0,0,1]
	v_pk_fma_f32 v[18:19], v[126:127], v[130:131], v[18:19] op_sel_hi:[1,0,1]
	v_pk_add_f32 v[16:17], v[16:17], v[148:149]
	v_mov_b32_e32 v21, v19
	v_pk_add_f32 v[16:17], v[16:17], v[20:21]
	s_waitcnt vmcnt(3) lgkmcnt(3)
	v_pk_mul_f32 v[18:19], v[2:3], v[132:133] op_sel:[1,1] op_sel_hi:[0,1]
	v_pk_fma_f32 v[20:21], v[2:3], v[132:133], v[18:19] neg_lo:[0,0,1] neg_hi:[0,0,1]
	v_pk_fma_f32 v[2:3], v[2:3], v[132:133], v[18:19] op_sel_hi:[1,0,1]
	s_nop 0
	v_mov_b32_e32 v21, v3
	v_pk_add_f32 v[2:3], v[16:17], v[20:21]
	v_mov_b32_e32 v16, v135
	v_pk_mul_f32 v[16:17], v[4:5], v[16:17] op_sel:[1,0] op_sel_hi:[0,0]
	v_pk_fma_f32 v[18:19], v[4:5], v[134:135], v[16:17] neg_lo:[0,0,1] neg_hi:[0,0,1]
	v_pk_fma_f32 v[4:5], v[4:5], v[134:135], v[16:17] op_sel_hi:[1,0,1]
	s_nop 0
	v_mov_b32_e32 v19, v5
	s_waitcnt vmcnt(2) lgkmcnt(2)
	v_pk_mul_f32 v[4:5], v[6:7], v[136:137] op_sel:[1,1] op_sel_hi:[0,1]
	v_pk_fma_f32 v[16:17], v[6:7], v[136:137], v[4:5] neg_lo:[0,0,1] neg_hi:[0,0,1]
	v_pk_fma_f32 v[4:5], v[6:7], v[136:137], v[4:5] op_sel_hi:[1,0,1]
	v_pk_add_f32 v[2:3], v[2:3], v[18:19]
	v_mov_b32_e32 v4, v139
	v_mov_b32_e32 v17, v5
	v_pk_mul_f32 v[4:5], v[8:9], v[4:5] op_sel:[1,0] op_sel_hi:[0,0]
	v_pk_fma_f32 v[6:7], v[8:9], v[138:139], v[4:5] neg_lo:[0,0,1] neg_hi:[0,0,1]
	v_pk_fma_f32 v[4:5], v[8:9], v[138:139], v[4:5] op_sel_hi:[1,0,1]
	v_pk_add_f32 v[2:3], v[2:3], v[16:17]
	v_mov_b32_e32 v7, v5
	s_waitcnt vmcnt(1) lgkmcnt(1)
	v_pk_mul_f32 v[4:5], v[10:11], v[140:141] op_sel:[1,1] op_sel_hi:[0,1]
	v_pk_add_f32 v[2:3], v[2:3], v[6:7]
	v_pk_fma_f32 v[6:7], v[10:11], v[140:141], v[4:5] neg_lo:[0,0,1] neg_hi:[0,0,1]
	v_pk_fma_f32 v[4:5], v[10:11], v[140:141], v[4:5] op_sel_hi:[1,0,1]
	s_nop 0
	v_mov_b32_e32 v4, v143
	v_mov_b32_e32 v7, v5
	v_pk_mul_f32 v[4:5], v[12:13], v[4:5] op_sel:[1,0] op_sel_hi:[0,0]
	v_pk_add_f32 v[2:3], v[2:3], v[6:7]
	v_pk_fma_f32 v[6:7], v[12:13], v[142:143], v[4:5] neg_lo:[0,0,1] neg_hi:[0,0,1]
	v_pk_fma_f32 v[4:5], v[12:13], v[142:143], v[4:5] op_sel_hi:[1,0,1]
	s_nop 0
	v_mov_b32_e32 v7, v5
	s_waitcnt vmcnt(0) lgkmcnt(0)
	v_pk_mul_f32 v[4:5], v[14:15], v[156:157] op_sel:[1,1] op_sel_hi:[0,1]
	v_pk_add_f32 v[2:3], v[2:3], v[6:7]
	v_pk_fma_f32 v[6:7], v[14:15], v[156:157], v[4:5] neg_lo:[0,0,1] neg_hi:[0,0,1]
	v_pk_fma_f32 v[4:5], v[14:15], v[156:157], v[4:5] op_sel_hi:[1,0,1]
	s_nop 0
	v_mov_b32_e32 v7, v5
	scratch_load_dwordx2 v[4:5], off, off offset:120
	v_pk_add_f32 v[2:3], v[2:3], v[6:7]
	s_waitcnt vmcnt(0)
	v_pk_add_f32 v[2:3], v[4:5], v[2:3] neg_lo:[0,1] neg_hi:[0,1]
	scratch_store_dwordx2 off, v[2:3], off offset:120
	s_and_saveexec_b64 s[0:1], vcc
	s_cbranch_execz .LBB118_315
; %bb.314:
	scratch_load_dwordx2 v[2:3], off, off offset:112
	v_mov_b32_e32 v95, v94
	scratch_store_dwordx2 off, v[94:95], off offset:112
	s_waitcnt vmcnt(1)
	ds_write_b64 v1, v[2:3]
.LBB118_315:
	s_or_b64 exec, exec, s[0:1]
	s_waitcnt lgkmcnt(0)
	; wave barrier
	scratch_load_dwordx4 v[6:9], off, off offset:120
	scratch_load_dwordx4 v[14:17], off, off offset:136
	;; [unrolled: 1-line block ×10, first 2 shown]
	ds_read2_b64 v[2:5], v94 offset0:71 offset1:72
	scratch_load_dwordx4 v[86:89], off, off offset:280
	scratch_load_dwordx4 v[96:99], off, off offset:296
	;; [unrolled: 1-line block ×6, first 2 shown]
	v_cmp_lt_u32_e32 vcc, 13, v0
	s_waitcnt vmcnt(15) lgkmcnt(0)
	v_mul_f32_e32 v10, v2, v7
	v_fmac_f32_e32 v10, v3, v6
	v_mul_f32_e32 v11, v4, v9
	v_add_f32_e32 v10, 0, v10
	v_fmac_f32_e32 v11, v5, v8
	v_add_f32_e32 v18, v10, v11
	ds_read2_b64 v[10:13], v94 offset0:73 offset1:74
	v_mul_f32_e32 v3, v3, v7
	v_fma_f32 v2, v2, v6, -v3
	v_mul_f32_e32 v3, v5, v9
	v_add_f32_e32 v2, 0, v2
	s_waitcnt vmcnt(14) lgkmcnt(0)
	v_mul_f32_e32 v19, v10, v15
	v_fmac_f32_e32 v19, v11, v14
	v_add_f32_e32 v18, v18, v19
	v_mul_f32_e32 v19, v12, v17
	v_fmac_f32_e32 v19, v13, v16
	v_add_f32_e32 v26, v18, v19
	ds_read2_b64 v[18:21], v94 offset0:75 offset1:76
	v_fma_f32 v3, v4, v8, -v3
	v_add_f32_e32 v2, v2, v3
	v_mul_f32_e32 v3, v11, v15
	v_fma_f32 v3, v10, v14, -v3
	s_waitcnt vmcnt(13) lgkmcnt(0)
	v_mul_f32_e32 v27, v18, v23
	v_fmac_f32_e32 v27, v19, v22
	v_add_f32_e32 v26, v26, v27
	v_mul_f32_e32 v27, v20, v25
	v_fmac_f32_e32 v27, v21, v24
	v_add_f32_e32 v34, v26, v27
	ds_read2_b64 v[26:29], v94 offset0:77 offset1:78
	v_add_f32_e32 v2, v2, v3
	v_mul_f32_e32 v3, v13, v17
	v_fma_f32 v3, v12, v16, -v3
	v_add_f32_e32 v2, v2, v3
	s_waitcnt vmcnt(12) lgkmcnt(0)
	v_mul_f32_e32 v35, v26, v31
	v_fmac_f32_e32 v35, v27, v30
	v_add_f32_e32 v34, v34, v35
	v_mul_f32_e32 v35, v28, v33
	v_fmac_f32_e32 v35, v29, v32
	v_add_f32_e32 v42, v34, v35
	ds_read2_b64 v[34:37], v94 offset0:79 offset1:80
	v_mul_f32_e32 v3, v19, v23
	v_fma_f32 v3, v18, v22, -v3
	v_add_f32_e32 v2, v2, v3
	v_mul_f32_e32 v3, v21, v25
	s_waitcnt vmcnt(11) lgkmcnt(0)
	v_mul_f32_e32 v43, v34, v39
	v_fmac_f32_e32 v43, v35, v38
	v_add_f32_e32 v42, v42, v43
	v_mul_f32_e32 v43, v36, v41
	v_fmac_f32_e32 v43, v37, v40
	v_add_f32_e32 v50, v42, v43
	ds_read2_b64 v[42:45], v94 offset0:81 offset1:82
	v_fma_f32 v3, v20, v24, -v3
	v_add_f32_e32 v2, v2, v3
	v_mul_f32_e32 v3, v27, v31
	v_fma_f32 v3, v26, v30, -v3
	s_waitcnt vmcnt(10) lgkmcnt(0)
	v_mul_f32_e32 v51, v42, v47
	v_fmac_f32_e32 v51, v43, v46
	v_add_f32_e32 v50, v50, v51
	v_mul_f32_e32 v51, v44, v49
	v_fmac_f32_e32 v51, v45, v48
	v_add_f32_e32 v58, v50, v51
	ds_read2_b64 v[50:53], v94 offset0:83 offset1:84
	v_add_f32_e32 v2, v2, v3
	v_mul_f32_e32 v3, v29, v33
	v_fma_f32 v3, v28, v32, -v3
	v_add_f32_e32 v2, v2, v3
	s_waitcnt vmcnt(9) lgkmcnt(0)
	v_mul_f32_e32 v59, v50, v55
	v_fmac_f32_e32 v59, v51, v54
	v_add_f32_e32 v58, v58, v59
	v_mul_f32_e32 v59, v52, v57
	v_fmac_f32_e32 v59, v53, v56
	v_add_f32_e32 v66, v58, v59
	ds_read2_b64 v[58:61], v94 offset0:85 offset1:86
	v_mul_f32_e32 v3, v35, v39
	v_fma_f32 v3, v34, v38, -v3
	v_add_f32_e32 v2, v2, v3
	v_mul_f32_e32 v3, v37, v41
	;; [unrolled: 36-line block ×4, first 2 shown]
	s_waitcnt vmcnt(2) lgkmcnt(0)
	v_mul_f32_e32 v116, v108, v113
	v_fmac_f32_e32 v116, v109, v112
	v_add_f32_e32 v95, v95, v116
	v_mul_f32_e32 v116, v110, v115
	v_fmac_f32_e32 v116, v111, v114
	v_add_f32_e32 v95, v95, v116
	ds_read2_b64 v[116:119], v94 offset0:99 offset1:100
	v_fma_f32 v3, v68, v72, -v3
	v_add_f32_e32 v2, v2, v3
	v_mul_f32_e32 v3, v75, v79
	v_fma_f32 v3, v74, v78, -v3
	s_waitcnt vmcnt(1) lgkmcnt(0)
	v_mul_f32_e32 v124, v116, v121
	v_fmac_f32_e32 v124, v117, v120
	v_add_f32_e32 v95, v95, v124
	v_mul_f32_e32 v124, v118, v123
	v_fmac_f32_e32 v124, v119, v122
	v_add_f32_e32 v149, v95, v124
	ds_read2_b64 v[124:127], v94 offset0:101 offset1:102
	scratch_load_dwordx4 v[132:135], off, off offset:376
	scratch_load_dwordx4 v[136:139], off, off offset:392
	;; [unrolled: 1-line block ×4, first 2 shown]
	v_add_f32_e32 v2, v2, v3
	v_mul_f32_e32 v3, v77, v81
	v_fma_f32 v3, v76, v80, -v3
	v_add_f32_e32 v2, v2, v3
	v_mul_f32_e32 v3, v83, v87
	v_fma_f32 v3, v82, v86, -v3
	;; [unrolled: 3-line block ×11, first 2 shown]
	v_add_f32_e32 v148, v2, v3
	s_waitcnt vmcnt(4) lgkmcnt(0)
	v_mul_f32_e32 v2, v125, v129
	v_fma_f32 v156, v124, v128, -v2
	v_mul_f32_e32 v2, v127, v131
	v_fma_f32 v158, v126, v130, -v2
	ds_read2_b64 v[2:5], v94 offset0:103 offset1:104
	ds_read2_b64 v[6:9], v94 offset0:105 offset1:106
	;; [unrolled: 1-line block ×4, first 2 shown]
	v_mul_f32_e32 v157, v124, v129
	v_fmac_f32_e32 v157, v125, v128
	v_mul_f32_e32 v159, v126, v131
	v_fmac_f32_e32 v159, v127, v130
	v_pk_add_f32 v[18:19], v[148:149], v[156:157]
	s_waitcnt vmcnt(3) lgkmcnt(3)
	v_pk_mul_f32 v[20:21], v[2:3], v[132:133] op_sel:[1,1] op_sel_hi:[0,1]
	v_pk_fma_f32 v[22:23], v[2:3], v[132:133], v[20:21] neg_lo:[0,0,1] neg_hi:[0,0,1]
	v_pk_fma_f32 v[2:3], v[2:3], v[132:133], v[20:21] op_sel_hi:[1,0,1]
	v_pk_add_f32 v[18:19], v[18:19], v[158:159]
	v_mov_b32_e32 v23, v3
	v_pk_add_f32 v[2:3], v[18:19], v[22:23]
	v_mov_b32_e32 v18, v135
	v_pk_mul_f32 v[18:19], v[4:5], v[18:19] op_sel:[1,0] op_sel_hi:[0,0]
	v_pk_fma_f32 v[20:21], v[4:5], v[134:135], v[18:19] neg_lo:[0,0,1] neg_hi:[0,0,1]
	v_pk_fma_f32 v[4:5], v[4:5], v[134:135], v[18:19] op_sel_hi:[1,0,1]
	s_nop 0
	v_mov_b32_e32 v21, v5
	s_waitcnt vmcnt(2) lgkmcnt(2)
	v_pk_mul_f32 v[4:5], v[6:7], v[136:137] op_sel:[1,1] op_sel_hi:[0,1]
	v_pk_fma_f32 v[18:19], v[6:7], v[136:137], v[4:5] neg_lo:[0,0,1] neg_hi:[0,0,1]
	v_pk_fma_f32 v[4:5], v[6:7], v[136:137], v[4:5] op_sel_hi:[1,0,1]
	v_pk_add_f32 v[2:3], v[2:3], v[20:21]
	v_mov_b32_e32 v4, v139
	v_mov_b32_e32 v19, v5
	v_pk_mul_f32 v[4:5], v[8:9], v[4:5] op_sel:[1,0] op_sel_hi:[0,0]
	v_pk_fma_f32 v[6:7], v[8:9], v[138:139], v[4:5] neg_lo:[0,0,1] neg_hi:[0,0,1]
	v_pk_fma_f32 v[4:5], v[8:9], v[138:139], v[4:5] op_sel_hi:[1,0,1]
	v_pk_add_f32 v[2:3], v[2:3], v[18:19]
	v_mov_b32_e32 v7, v5
	s_waitcnt vmcnt(1) lgkmcnt(1)
	v_pk_mul_f32 v[4:5], v[10:11], v[140:141] op_sel:[1,1] op_sel_hi:[0,1]
	v_pk_add_f32 v[2:3], v[2:3], v[6:7]
	v_pk_fma_f32 v[6:7], v[10:11], v[140:141], v[4:5] neg_lo:[0,0,1] neg_hi:[0,0,1]
	v_pk_fma_f32 v[4:5], v[10:11], v[140:141], v[4:5] op_sel_hi:[1,0,1]
	s_nop 0
	v_mov_b32_e32 v4, v143
	v_mov_b32_e32 v7, v5
	v_pk_mul_f32 v[4:5], v[12:13], v[4:5] op_sel:[1,0] op_sel_hi:[0,0]
	v_pk_add_f32 v[2:3], v[2:3], v[6:7]
	v_pk_fma_f32 v[6:7], v[12:13], v[142:143], v[4:5] neg_lo:[0,0,1] neg_hi:[0,0,1]
	v_pk_fma_f32 v[4:5], v[12:13], v[142:143], v[4:5] op_sel_hi:[1,0,1]
	s_nop 0
	v_mov_b32_e32 v7, v5
	s_waitcnt vmcnt(0) lgkmcnt(0)
	v_pk_mul_f32 v[4:5], v[14:15], v[144:145] op_sel:[1,1] op_sel_hi:[0,1]
	v_pk_add_f32 v[2:3], v[2:3], v[6:7]
	v_pk_fma_f32 v[6:7], v[14:15], v[144:145], v[4:5] neg_lo:[0,0,1] neg_hi:[0,0,1]
	v_pk_fma_f32 v[4:5], v[14:15], v[144:145], v[4:5] op_sel_hi:[1,0,1]
	s_nop 0
	v_mov_b32_e32 v4, v147
	v_mov_b32_e32 v7, v5
	v_pk_mul_f32 v[4:5], v[16:17], v[4:5] op_sel:[1,0] op_sel_hi:[0,0]
	v_pk_add_f32 v[2:3], v[2:3], v[6:7]
	v_pk_fma_f32 v[6:7], v[16:17], v[146:147], v[4:5] neg_lo:[0,0,1] neg_hi:[0,0,1]
	v_pk_fma_f32 v[4:5], v[16:17], v[146:147], v[4:5] op_sel_hi:[1,0,1]
	s_nop 0
	v_mov_b32_e32 v7, v5
	scratch_load_dwordx2 v[4:5], off, off offset:112
	v_pk_add_f32 v[2:3], v[2:3], v[6:7]
	s_waitcnt vmcnt(0)
	v_pk_add_f32 v[2:3], v[4:5], v[2:3] neg_lo:[0,1] neg_hi:[0,1]
	scratch_store_dwordx2 off, v[2:3], off offset:112
	s_and_saveexec_b64 s[0:1], vcc
	s_cbranch_execz .LBB118_317
; %bb.316:
	scratch_load_dwordx2 v[2:3], off, off offset:104
	v_mov_b32_e32 v4, 0
	v_mov_b32_e32 v5, v4
	scratch_store_dwordx2 off, v[4:5], off offset:104
	s_waitcnt vmcnt(1)
	ds_write_b64 v1, v[2:3]
.LBB118_317:
	s_or_b64 exec, exec, s[0:1]
	v_mov_b32_e32 v102, 0
	s_waitcnt lgkmcnt(0)
	; wave barrier
	ds_read_b128 v[14:17], v102 offset:560
	ds_read_b128 v[10:13], v102 offset:576
	;; [unrolled: 1-line block ×4, first 2 shown]
	scratch_load_dwordx4 v[18:21], off, off offset:112
	scratch_load_dwordx4 v[38:41], off, off offset:176
	;; [unrolled: 1-line block ×11, first 2 shown]
	v_cmp_lt_u32_e32 vcc, 12, v0
	scratch_load_dwordx4 v[46:49], off, off offset:192
	scratch_load_dwordx4 v[54:57], off, off offset:208
	;; [unrolled: 1-line block ×3, first 2 shown]
	s_waitcnt vmcnt(13) lgkmcnt(3)
	v_mul_f32_e32 v22, v14, v19
	v_fmac_f32_e32 v22, v15, v18
	v_mul_f32_e32 v23, v16, v21
	v_add_f32_e32 v22, 0, v22
	v_fmac_f32_e32 v23, v17, v20
	v_add_f32_e32 v26, v22, v23
	scratch_load_dwordx4 v[22:25], off, off offset:128
	v_mul_f32_e32 v15, v15, v19
	v_fma_f32 v14, v14, v18, -v15
	v_mul_f32_e32 v15, v17, v21
	v_add_f32_e32 v14, 0, v14
	v_fma_f32 v15, v16, v20, -v15
	v_add_f32_e32 v14, v14, v15
	s_waitcnt vmcnt(4)
	v_mov_b32_e32 v18, v139
	s_waitcnt vmcnt(0) lgkmcnt(2)
	v_mul_f32_e32 v27, v10, v23
	v_fmac_f32_e32 v27, v11, v22
	v_add_f32_e32 v26, v26, v27
	v_mul_f32_e32 v27, v12, v25
	v_fmac_f32_e32 v27, v13, v24
	v_add_f32_e32 v30, v26, v27
	scratch_load_dwordx4 v[26:29], off, off offset:144
	v_mul_f32_e32 v11, v11, v23
	v_fma_f32 v10, v10, v22, -v11
	v_mul_f32_e32 v11, v13, v25
	v_add_f32_e32 v10, v14, v10
	v_fma_f32 v11, v12, v24, -v11
	v_add_f32_e32 v10, v10, v11
	s_waitcnt vmcnt(0) lgkmcnt(1)
	v_mul_f32_e32 v31, v6, v27
	v_fmac_f32_e32 v31, v7, v26
	v_add_f32_e32 v30, v30, v31
	v_mul_f32_e32 v31, v8, v29
	v_fmac_f32_e32 v31, v9, v28
	v_add_f32_e32 v34, v30, v31
	scratch_load_dwordx4 v[30:33], off, off offset:160
	v_mul_f32_e32 v7, v7, v27
	v_fma_f32 v6, v6, v26, -v7
	v_mul_f32_e32 v7, v9, v29
	v_add_f32_e32 v6, v10, v6
	v_fma_f32 v7, v8, v28, -v7
	v_add_f32_e32 v6, v6, v7
	s_waitcnt vmcnt(0) lgkmcnt(0)
	v_mul_f32_e32 v35, v2, v31
	v_fmac_f32_e32 v35, v3, v30
	v_add_f32_e32 v34, v34, v35
	v_mul_f32_e32 v35, v4, v33
	v_fmac_f32_e32 v35, v5, v32
	v_add_f32_e32 v42, v34, v35
	ds_read_b128 v[34:37], v102 offset:624
	v_mul_f32_e32 v3, v3, v31
	v_fma_f32 v2, v2, v30, -v3
	v_mul_f32_e32 v3, v5, v33
	v_add_f32_e32 v2, v6, v2
	s_waitcnt lgkmcnt(0)
	v_mul_f32_e32 v43, v34, v39
	v_fmac_f32_e32 v43, v35, v38
	v_add_f32_e32 v42, v42, v43
	v_mul_f32_e32 v43, v36, v41
	v_fmac_f32_e32 v43, v37, v40
	v_add_f32_e32 v50, v42, v43
	ds_read_b128 v[42:45], v102 offset:640
	v_fma_f32 v3, v4, v32, -v3
	v_add_f32_e32 v2, v2, v3
	v_mul_f32_e32 v3, v35, v39
	v_fma_f32 v3, v34, v38, -v3
	s_waitcnt lgkmcnt(0)
	v_mul_f32_e32 v51, v42, v47
	v_fmac_f32_e32 v51, v43, v46
	v_add_f32_e32 v50, v50, v51
	v_mul_f32_e32 v51, v44, v49
	v_fmac_f32_e32 v51, v45, v48
	v_add_f32_e32 v58, v50, v51
	ds_read_b128 v[50:53], v102 offset:656
	v_add_f32_e32 v2, v2, v3
	v_mul_f32_e32 v3, v37, v41
	v_fma_f32 v3, v36, v40, -v3
	v_add_f32_e32 v2, v2, v3
	s_waitcnt lgkmcnt(0)
	v_mul_f32_e32 v59, v50, v55
	v_fmac_f32_e32 v59, v51, v54
	v_add_f32_e32 v58, v58, v59
	v_mul_f32_e32 v59, v52, v57
	v_fmac_f32_e32 v59, v53, v56
	v_add_f32_e32 v66, v58, v59
	ds_read_b128 v[58:61], v102 offset:672
	v_mul_f32_e32 v3, v43, v47
	v_fma_f32 v3, v42, v46, -v3
	v_add_f32_e32 v2, v2, v3
	v_mul_f32_e32 v3, v45, v49
	s_waitcnt lgkmcnt(0)
	v_mul_f32_e32 v67, v58, v63
	v_fmac_f32_e32 v67, v59, v62
	v_add_f32_e32 v66, v66, v67
	v_mul_f32_e32 v67, v60, v65
	v_fmac_f32_e32 v67, v61, v64
	v_add_f32_e32 v74, v66, v67
	ds_read_b128 v[66:69], v102 offset:688
	v_fma_f32 v3, v44, v48, -v3
	v_add_f32_e32 v2, v2, v3
	v_mul_f32_e32 v3, v51, v55
	v_fma_f32 v3, v50, v54, -v3
	s_waitcnt lgkmcnt(0)
	v_mul_f32_e32 v75, v66, v71
	v_fmac_f32_e32 v75, v67, v70
	v_add_f32_e32 v74, v74, v75
	v_mul_f32_e32 v75, v68, v73
	v_fmac_f32_e32 v75, v69, v72
	v_add_f32_e32 v82, v74, v75
	ds_read_b128 v[74:77], v102 offset:704
	v_add_f32_e32 v2, v2, v3
	v_mul_f32_e32 v3, v53, v57
	v_fma_f32 v3, v52, v56, -v3
	v_add_f32_e32 v2, v2, v3
	s_waitcnt lgkmcnt(0)
	v_mul_f32_e32 v83, v74, v79
	v_fmac_f32_e32 v83, v75, v78
	v_add_f32_e32 v82, v82, v83
	v_mul_f32_e32 v83, v76, v81
	v_fmac_f32_e32 v83, v77, v80
	v_add_f32_e32 v90, v82, v83
	ds_read_b128 v[82:85], v102 offset:720
	v_mul_f32_e32 v3, v59, v63
	v_fma_f32 v3, v58, v62, -v3
	v_add_f32_e32 v2, v2, v3
	v_mul_f32_e32 v3, v61, v65
	;; [unrolled: 36-line block ×3, first 2 shown]
	s_waitcnt lgkmcnt(0)
	v_mul_f32_e32 v116, v108, v113
	v_fmac_f32_e32 v116, v109, v112
	v_add_f32_e32 v103, v103, v116
	v_mul_f32_e32 v116, v110, v115
	v_fmac_f32_e32 v116, v111, v114
	v_add_f32_e32 v103, v103, v116
	ds_read_b128 v[116:119], v102 offset:784
	v_fma_f32 v3, v76, v80, -v3
	v_add_f32_e32 v2, v2, v3
	v_mul_f32_e32 v3, v83, v87
	v_fma_f32 v3, v82, v86, -v3
	s_waitcnt lgkmcnt(0)
	v_mul_f32_e32 v124, v116, v121
	v_fmac_f32_e32 v124, v117, v120
	v_add_f32_e32 v103, v103, v124
	v_mul_f32_e32 v124, v118, v123
	v_fmac_f32_e32 v124, v119, v122
	v_add_f32_e32 v103, v103, v124
	ds_read_b128 v[124:127], v102 offset:800
	v_add_f32_e32 v2, v2, v3
	v_mul_f32_e32 v3, v85, v89
	v_fma_f32 v3, v84, v88, -v3
	v_add_f32_e32 v2, v2, v3
	s_waitcnt lgkmcnt(0)
	v_mul_f32_e32 v132, v124, v129
	v_fmac_f32_e32 v132, v125, v128
	v_add_f32_e32 v149, v103, v132
	ds_read_b128 v[132:135], v102 offset:816
	scratch_load_dwordx4 v[140:143], off, off offset:384
	scratch_load_dwordx4 v[144:147], off, off offset:400
	;; [unrolled: 1-line block ×3, first 2 shown]
	scratch_load_dwordx2 v[164:165], off, off offset:432
	v_mul_f32_e32 v3, v91, v95
	v_fma_f32 v3, v90, v94, -v3
	v_add_f32_e32 v2, v2, v3
	v_mul_f32_e32 v3, v93, v97
	v_fma_f32 v3, v92, v96, -v3
	v_add_f32_e32 v2, v2, v3
	v_mul_f32_e32 v3, v99, v105
	v_fma_f32 v3, v98, v104, -v3
	v_add_f32_e32 v2, v2, v3
	v_mul_f32_e32 v3, v101, v107
	v_fma_f32 v3, v100, v106, -v3
	v_add_f32_e32 v2, v2, v3
	v_mul_f32_e32 v3, v109, v113
	v_fma_f32 v3, v108, v112, -v3
	v_add_f32_e32 v2, v2, v3
	v_mul_f32_e32 v3, v111, v115
	v_fma_f32 v3, v110, v114, -v3
	v_add_f32_e32 v2, v2, v3
	v_mul_f32_e32 v3, v117, v121
	v_fma_f32 v3, v116, v120, -v3
	v_add_f32_e32 v2, v2, v3
	v_mul_f32_e32 v3, v119, v123
	v_fma_f32 v3, v118, v122, -v3
	v_add_f32_e32 v2, v2, v3
	v_mul_f32_e32 v3, v125, v129
	v_fma_f32 v3, v124, v128, -v3
	v_add_f32_e32 v148, v2, v3
	v_mul_f32_e32 v2, v127, v131
	v_mul_f32_e32 v161, v126, v131
	v_fma_f32 v160, v126, v130, -v2
	s_waitcnt lgkmcnt(0)
	v_mul_f32_e32 v2, v133, v137
	v_fmac_f32_e32 v161, v127, v130
	v_mul_f32_e32 v163, v132, v137
	v_fma_f32 v162, v132, v136, -v2
	ds_read_b128 v[2:5], v102 offset:832
	ds_read_b128 v[6:9], v102 offset:848
	ds_read_b128 v[10:13], v102 offset:864
	ds_read_b64 v[14:15], v102 offset:880
	v_pk_mul_f32 v[18:19], v[134:135], v[18:19] op_sel:[1,0] op_sel_hi:[0,0]
	v_fmac_f32_e32 v163, v133, v136
	v_pk_add_f32 v[16:17], v[148:149], v[160:161]
	v_pk_fma_f32 v[20:21], v[134:135], v[138:139], v[18:19] neg_lo:[0,0,1] neg_hi:[0,0,1]
	v_pk_fma_f32 v[18:19], v[134:135], v[138:139], v[18:19] op_sel_hi:[1,0,1]
	v_pk_add_f32 v[16:17], v[16:17], v[162:163]
	v_mov_b32_e32 v21, v19
	v_pk_add_f32 v[16:17], v[16:17], v[20:21]
	s_waitcnt vmcnt(3) lgkmcnt(3)
	v_pk_mul_f32 v[18:19], v[2:3], v[140:141] op_sel:[1,1] op_sel_hi:[0,1]
	v_pk_fma_f32 v[20:21], v[2:3], v[140:141], v[18:19] neg_lo:[0,0,1] neg_hi:[0,0,1]
	v_pk_fma_f32 v[2:3], v[2:3], v[140:141], v[18:19] op_sel_hi:[1,0,1]
	s_nop 0
	v_mov_b32_e32 v21, v3
	v_pk_add_f32 v[2:3], v[16:17], v[20:21]
	v_mov_b32_e32 v16, v143
	v_pk_mul_f32 v[16:17], v[4:5], v[16:17] op_sel:[1,0] op_sel_hi:[0,0]
	v_pk_fma_f32 v[18:19], v[4:5], v[142:143], v[16:17] neg_lo:[0,0,1] neg_hi:[0,0,1]
	v_pk_fma_f32 v[4:5], v[4:5], v[142:143], v[16:17] op_sel_hi:[1,0,1]
	s_nop 0
	v_mov_b32_e32 v19, v5
	s_waitcnt vmcnt(2) lgkmcnt(2)
	v_pk_mul_f32 v[4:5], v[6:7], v[144:145] op_sel:[1,1] op_sel_hi:[0,1]
	v_pk_fma_f32 v[16:17], v[6:7], v[144:145], v[4:5] neg_lo:[0,0,1] neg_hi:[0,0,1]
	v_pk_fma_f32 v[4:5], v[6:7], v[144:145], v[4:5] op_sel_hi:[1,0,1]
	v_pk_add_f32 v[2:3], v[2:3], v[18:19]
	v_mov_b32_e32 v4, v147
	v_mov_b32_e32 v17, v5
	v_pk_mul_f32 v[4:5], v[8:9], v[4:5] op_sel:[1,0] op_sel_hi:[0,0]
	v_pk_fma_f32 v[6:7], v[8:9], v[146:147], v[4:5] neg_lo:[0,0,1] neg_hi:[0,0,1]
	v_pk_fma_f32 v[4:5], v[8:9], v[146:147], v[4:5] op_sel_hi:[1,0,1]
	v_pk_add_f32 v[2:3], v[2:3], v[16:17]
	v_mov_b32_e32 v7, v5
	s_waitcnt vmcnt(1) lgkmcnt(1)
	v_pk_mul_f32 v[4:5], v[10:11], v[156:157] op_sel:[1,1] op_sel_hi:[0,1]
	v_pk_add_f32 v[2:3], v[2:3], v[6:7]
	v_pk_fma_f32 v[6:7], v[10:11], v[156:157], v[4:5] neg_lo:[0,0,1] neg_hi:[0,0,1]
	v_pk_fma_f32 v[4:5], v[10:11], v[156:157], v[4:5] op_sel_hi:[1,0,1]
	s_nop 0
	v_mov_b32_e32 v4, v159
	v_mov_b32_e32 v7, v5
	v_pk_mul_f32 v[4:5], v[12:13], v[4:5] op_sel:[1,0] op_sel_hi:[0,0]
	v_pk_add_f32 v[2:3], v[2:3], v[6:7]
	v_pk_fma_f32 v[6:7], v[12:13], v[158:159], v[4:5] neg_lo:[0,0,1] neg_hi:[0,0,1]
	v_pk_fma_f32 v[4:5], v[12:13], v[158:159], v[4:5] op_sel_hi:[1,0,1]
	s_nop 0
	v_mov_b32_e32 v7, v5
	s_waitcnt vmcnt(0) lgkmcnt(0)
	v_pk_mul_f32 v[4:5], v[14:15], v[164:165] op_sel:[1,1] op_sel_hi:[0,1]
	v_pk_add_f32 v[2:3], v[2:3], v[6:7]
	v_pk_fma_f32 v[6:7], v[14:15], v[164:165], v[4:5] neg_lo:[0,0,1] neg_hi:[0,0,1]
	v_pk_fma_f32 v[4:5], v[14:15], v[164:165], v[4:5] op_sel_hi:[1,0,1]
	s_nop 0
	v_mov_b32_e32 v7, v5
	scratch_load_dwordx2 v[4:5], off, off offset:104
	v_pk_add_f32 v[2:3], v[2:3], v[6:7]
	s_waitcnt vmcnt(0)
	v_pk_add_f32 v[2:3], v[4:5], v[2:3] neg_lo:[0,1] neg_hi:[0,1]
	scratch_store_dwordx2 off, v[2:3], off offset:104
	s_and_saveexec_b64 s[0:1], vcc
	s_cbranch_execz .LBB118_319
; %bb.318:
	scratch_load_dwordx2 v[2:3], off, off offset:96
	v_mov_b32_e32 v103, v102
	scratch_store_dwordx2 off, v[102:103], off offset:96
	s_waitcnt vmcnt(1)
	ds_write_b64 v1, v[2:3]
.LBB118_319:
	s_or_b64 exec, exec, s[0:1]
	s_waitcnt lgkmcnt(0)
	; wave barrier
	scratch_load_dwordx4 v[6:9], off, off offset:104
	scratch_load_dwordx4 v[14:17], off, off offset:120
	;; [unrolled: 1-line block ×10, first 2 shown]
	ds_read2_b64 v[2:5], v102 offset0:69 offset1:70
	scratch_load_dwordx4 v[86:89], off, off offset:264
	scratch_load_dwordx4 v[94:97], off, off offset:280
	;; [unrolled: 1-line block ×7, first 2 shown]
	v_cmp_lt_u32_e32 vcc, 11, v0
	s_waitcnt vmcnt(16) lgkmcnt(0)
	v_mul_f32_e32 v10, v2, v7
	v_fmac_f32_e32 v10, v3, v6
	v_mul_f32_e32 v11, v4, v9
	v_add_f32_e32 v10, 0, v10
	v_fmac_f32_e32 v11, v5, v8
	v_add_f32_e32 v18, v10, v11
	ds_read2_b64 v[10:13], v102 offset0:71 offset1:72
	v_mul_f32_e32 v3, v3, v7
	v_fma_f32 v2, v2, v6, -v3
	v_mul_f32_e32 v3, v5, v9
	v_add_f32_e32 v2, 0, v2
	s_waitcnt vmcnt(15) lgkmcnt(0)
	v_mul_f32_e32 v19, v10, v15
	v_fmac_f32_e32 v19, v11, v14
	v_add_f32_e32 v18, v18, v19
	v_mul_f32_e32 v19, v12, v17
	v_fmac_f32_e32 v19, v13, v16
	v_add_f32_e32 v26, v18, v19
	ds_read2_b64 v[18:21], v102 offset0:73 offset1:74
	v_fma_f32 v3, v4, v8, -v3
	v_add_f32_e32 v2, v2, v3
	v_mul_f32_e32 v3, v11, v15
	v_fma_f32 v3, v10, v14, -v3
	s_waitcnt vmcnt(14) lgkmcnt(0)
	v_mul_f32_e32 v27, v18, v23
	v_fmac_f32_e32 v27, v19, v22
	v_add_f32_e32 v26, v26, v27
	v_mul_f32_e32 v27, v20, v25
	v_fmac_f32_e32 v27, v21, v24
	v_add_f32_e32 v34, v26, v27
	ds_read2_b64 v[26:29], v102 offset0:75 offset1:76
	v_add_f32_e32 v2, v2, v3
	v_mul_f32_e32 v3, v13, v17
	v_fma_f32 v3, v12, v16, -v3
	v_add_f32_e32 v2, v2, v3
	s_waitcnt vmcnt(13) lgkmcnt(0)
	v_mul_f32_e32 v35, v26, v31
	v_fmac_f32_e32 v35, v27, v30
	v_add_f32_e32 v34, v34, v35
	v_mul_f32_e32 v35, v28, v33
	v_fmac_f32_e32 v35, v29, v32
	v_add_f32_e32 v42, v34, v35
	ds_read2_b64 v[34:37], v102 offset0:77 offset1:78
	v_mul_f32_e32 v3, v19, v23
	v_fma_f32 v3, v18, v22, -v3
	v_add_f32_e32 v2, v2, v3
	v_mul_f32_e32 v3, v21, v25
	s_waitcnt vmcnt(12) lgkmcnt(0)
	v_mul_f32_e32 v43, v34, v39
	v_fmac_f32_e32 v43, v35, v38
	v_add_f32_e32 v42, v42, v43
	v_mul_f32_e32 v43, v36, v41
	v_fmac_f32_e32 v43, v37, v40
	v_add_f32_e32 v50, v42, v43
	ds_read2_b64 v[42:45], v102 offset0:79 offset1:80
	v_fma_f32 v3, v20, v24, -v3
	v_add_f32_e32 v2, v2, v3
	v_mul_f32_e32 v3, v27, v31
	v_fma_f32 v3, v26, v30, -v3
	s_waitcnt vmcnt(11) lgkmcnt(0)
	v_mul_f32_e32 v51, v42, v47
	v_fmac_f32_e32 v51, v43, v46
	v_add_f32_e32 v50, v50, v51
	v_mul_f32_e32 v51, v44, v49
	v_fmac_f32_e32 v51, v45, v48
	v_add_f32_e32 v58, v50, v51
	ds_read2_b64 v[50:53], v102 offset0:81 offset1:82
	v_add_f32_e32 v2, v2, v3
	v_mul_f32_e32 v3, v29, v33
	v_fma_f32 v3, v28, v32, -v3
	v_add_f32_e32 v2, v2, v3
	s_waitcnt vmcnt(10) lgkmcnt(0)
	v_mul_f32_e32 v59, v50, v55
	v_fmac_f32_e32 v59, v51, v54
	v_add_f32_e32 v58, v58, v59
	v_mul_f32_e32 v59, v52, v57
	v_fmac_f32_e32 v59, v53, v56
	v_add_f32_e32 v66, v58, v59
	ds_read2_b64 v[58:61], v102 offset0:83 offset1:84
	v_mul_f32_e32 v3, v35, v39
	v_fma_f32 v3, v34, v38, -v3
	v_add_f32_e32 v2, v2, v3
	v_mul_f32_e32 v3, v37, v41
	;; [unrolled: 36-line block ×4, first 2 shown]
	s_waitcnt vmcnt(3) lgkmcnt(0)
	v_mul_f32_e32 v116, v108, v113
	v_fmac_f32_e32 v116, v109, v112
	v_add_f32_e32 v103, v103, v116
	v_mul_f32_e32 v116, v110, v115
	v_fmac_f32_e32 v116, v111, v114
	v_add_f32_e32 v103, v103, v116
	ds_read2_b64 v[116:119], v102 offset0:97 offset1:98
	v_fma_f32 v3, v68, v72, -v3
	v_add_f32_e32 v2, v2, v3
	v_mul_f32_e32 v3, v75, v79
	v_fma_f32 v3, v74, v78, -v3
	s_waitcnt vmcnt(2) lgkmcnt(0)
	v_mul_f32_e32 v124, v116, v121
	v_fmac_f32_e32 v124, v117, v120
	v_add_f32_e32 v103, v103, v124
	v_mul_f32_e32 v124, v118, v123
	v_fmac_f32_e32 v124, v119, v122
	v_add_f32_e32 v103, v103, v124
	ds_read2_b64 v[124:127], v102 offset0:99 offset1:100
	v_add_f32_e32 v2, v2, v3
	v_mul_f32_e32 v3, v77, v81
	v_fma_f32 v3, v76, v80, -v3
	v_add_f32_e32 v2, v2, v3
	s_waitcnt vmcnt(1) lgkmcnt(0)
	v_mul_f32_e32 v132, v124, v129
	v_fmac_f32_e32 v132, v125, v128
	v_add_f32_e32 v103, v103, v132
	v_mul_f32_e32 v132, v126, v131
	v_fmac_f32_e32 v132, v127, v130
	v_add_f32_e32 v149, v103, v132
	ds_read2_b64 v[132:135], v102 offset0:101 offset1:102
	scratch_load_dwordx4 v[140:143], off, off offset:376
	scratch_load_dwordx4 v[144:147], off, off offset:392
	;; [unrolled: 1-line block ×4, first 2 shown]
	v_mul_f32_e32 v3, v83, v87
	v_fma_f32 v3, v82, v86, -v3
	v_add_f32_e32 v2, v2, v3
	v_mul_f32_e32 v3, v85, v89
	v_fma_f32 v3, v84, v88, -v3
	v_add_f32_e32 v2, v2, v3
	;; [unrolled: 3-line block ×12, first 2 shown]
	s_waitcnt vmcnt(4) lgkmcnt(0)
	v_mul_f32_e32 v2, v133, v137
	v_fma_f32 v164, v132, v136, -v2
	v_mul_f32_e32 v2, v135, v139
	v_fma_f32 v166, v134, v138, -v2
	ds_read2_b64 v[2:5], v102 offset0:103 offset1:104
	ds_read2_b64 v[6:9], v102 offset0:105 offset1:106
	;; [unrolled: 1-line block ×4, first 2 shown]
	v_mul_f32_e32 v165, v132, v137
	v_fmac_f32_e32 v165, v133, v136
	v_mul_f32_e32 v167, v134, v139
	v_fmac_f32_e32 v167, v135, v138
	v_pk_add_f32 v[18:19], v[148:149], v[164:165]
	s_waitcnt vmcnt(3) lgkmcnt(3)
	v_pk_mul_f32 v[20:21], v[2:3], v[140:141] op_sel:[1,1] op_sel_hi:[0,1]
	v_pk_fma_f32 v[22:23], v[2:3], v[140:141], v[20:21] neg_lo:[0,0,1] neg_hi:[0,0,1]
	v_pk_fma_f32 v[2:3], v[2:3], v[140:141], v[20:21] op_sel_hi:[1,0,1]
	v_pk_add_f32 v[18:19], v[18:19], v[166:167]
	v_mov_b32_e32 v23, v3
	v_pk_add_f32 v[2:3], v[18:19], v[22:23]
	v_mov_b32_e32 v18, v143
	v_pk_mul_f32 v[18:19], v[4:5], v[18:19] op_sel:[1,0] op_sel_hi:[0,0]
	v_pk_fma_f32 v[20:21], v[4:5], v[142:143], v[18:19] neg_lo:[0,0,1] neg_hi:[0,0,1]
	v_pk_fma_f32 v[4:5], v[4:5], v[142:143], v[18:19] op_sel_hi:[1,0,1]
	s_nop 0
	v_mov_b32_e32 v21, v5
	s_waitcnt vmcnt(2) lgkmcnt(2)
	v_pk_mul_f32 v[4:5], v[6:7], v[144:145] op_sel:[1,1] op_sel_hi:[0,1]
	v_pk_fma_f32 v[18:19], v[6:7], v[144:145], v[4:5] neg_lo:[0,0,1] neg_hi:[0,0,1]
	v_pk_fma_f32 v[4:5], v[6:7], v[144:145], v[4:5] op_sel_hi:[1,0,1]
	v_pk_add_f32 v[2:3], v[2:3], v[20:21]
	v_mov_b32_e32 v4, v147
	v_mov_b32_e32 v19, v5
	v_pk_mul_f32 v[4:5], v[8:9], v[4:5] op_sel:[1,0] op_sel_hi:[0,0]
	v_pk_fma_f32 v[6:7], v[8:9], v[146:147], v[4:5] neg_lo:[0,0,1] neg_hi:[0,0,1]
	v_pk_fma_f32 v[4:5], v[8:9], v[146:147], v[4:5] op_sel_hi:[1,0,1]
	v_pk_add_f32 v[2:3], v[2:3], v[18:19]
	v_mov_b32_e32 v7, v5
	s_waitcnt vmcnt(1) lgkmcnt(1)
	v_pk_mul_f32 v[4:5], v[10:11], v[156:157] op_sel:[1,1] op_sel_hi:[0,1]
	v_pk_add_f32 v[2:3], v[2:3], v[6:7]
	v_pk_fma_f32 v[6:7], v[10:11], v[156:157], v[4:5] neg_lo:[0,0,1] neg_hi:[0,0,1]
	v_pk_fma_f32 v[4:5], v[10:11], v[156:157], v[4:5] op_sel_hi:[1,0,1]
	s_nop 0
	v_mov_b32_e32 v4, v159
	v_mov_b32_e32 v7, v5
	v_pk_mul_f32 v[4:5], v[12:13], v[4:5] op_sel:[1,0] op_sel_hi:[0,0]
	v_pk_add_f32 v[2:3], v[2:3], v[6:7]
	v_pk_fma_f32 v[6:7], v[12:13], v[158:159], v[4:5] neg_lo:[0,0,1] neg_hi:[0,0,1]
	v_pk_fma_f32 v[4:5], v[12:13], v[158:159], v[4:5] op_sel_hi:[1,0,1]
	s_nop 0
	v_mov_b32_e32 v7, v5
	s_waitcnt vmcnt(0) lgkmcnt(0)
	v_pk_mul_f32 v[4:5], v[14:15], v[160:161] op_sel:[1,1] op_sel_hi:[0,1]
	v_pk_add_f32 v[2:3], v[2:3], v[6:7]
	v_pk_fma_f32 v[6:7], v[14:15], v[160:161], v[4:5] neg_lo:[0,0,1] neg_hi:[0,0,1]
	v_pk_fma_f32 v[4:5], v[14:15], v[160:161], v[4:5] op_sel_hi:[1,0,1]
	s_nop 0
	v_mov_b32_e32 v4, v163
	v_mov_b32_e32 v7, v5
	v_pk_mul_f32 v[4:5], v[16:17], v[4:5] op_sel:[1,0] op_sel_hi:[0,0]
	v_pk_add_f32 v[2:3], v[2:3], v[6:7]
	v_pk_fma_f32 v[6:7], v[16:17], v[162:163], v[4:5] neg_lo:[0,0,1] neg_hi:[0,0,1]
	v_pk_fma_f32 v[4:5], v[16:17], v[162:163], v[4:5] op_sel_hi:[1,0,1]
	s_nop 0
	v_mov_b32_e32 v7, v5
	scratch_load_dwordx2 v[4:5], off, off offset:96
	v_pk_add_f32 v[2:3], v[2:3], v[6:7]
	s_waitcnt vmcnt(0)
	v_pk_add_f32 v[2:3], v[4:5], v[2:3] neg_lo:[0,1] neg_hi:[0,1]
	scratch_store_dwordx2 off, v[2:3], off offset:96
	s_and_saveexec_b64 s[0:1], vcc
	s_cbranch_execz .LBB118_321
; %bb.320:
	scratch_load_dwordx2 v[2:3], off, off offset:88
	v_mov_b32_e32 v4, 0
	v_mov_b32_e32 v5, v4
	scratch_store_dwordx2 off, v[4:5], off offset:88
	s_waitcnt vmcnt(1)
	ds_write_b64 v1, v[2:3]
.LBB118_321:
	s_or_b64 exec, exec, s[0:1]
	v_mov_b32_e32 v102, 0
	s_waitcnt lgkmcnt(0)
	; wave barrier
	ds_read_b128 v[14:17], v102 offset:544
	ds_read_b128 v[10:13], v102 offset:560
	ds_read_b128 v[6:9], v102 offset:576
	ds_read_b128 v[2:5], v102 offset:592
	scratch_load_dwordx4 v[18:21], off, off offset:96
	scratch_load_dwordx4 v[38:41], off, off offset:160
	;; [unrolled: 1-line block ×12, first 2 shown]
	v_cmp_lt_u32_e32 vcc, 10, v0
	scratch_load_dwordx4 v[46:49], off, off offset:176
	scratch_load_dwordx4 v[54:57], off, off offset:192
	;; [unrolled: 1-line block ×3, first 2 shown]
	s_waitcnt vmcnt(14) lgkmcnt(3)
	v_mul_f32_e32 v22, v14, v19
	v_fmac_f32_e32 v22, v15, v18
	v_mul_f32_e32 v23, v16, v21
	v_add_f32_e32 v22, 0, v22
	v_fmac_f32_e32 v23, v17, v20
	v_add_f32_e32 v26, v22, v23
	scratch_load_dwordx4 v[22:25], off, off offset:112
	v_mul_f32_e32 v15, v15, v19
	v_fma_f32 v14, v14, v18, -v15
	v_mul_f32_e32 v15, v17, v21
	v_add_f32_e32 v14, 0, v14
	v_fma_f32 v15, v16, v20, -v15
	v_add_f32_e32 v14, v14, v15
	s_waitcnt vmcnt(4)
	v_mov_b32_e32 v18, v147
	s_waitcnt vmcnt(0) lgkmcnt(2)
	v_mul_f32_e32 v27, v10, v23
	v_fmac_f32_e32 v27, v11, v22
	v_add_f32_e32 v26, v26, v27
	v_mul_f32_e32 v27, v12, v25
	v_fmac_f32_e32 v27, v13, v24
	v_add_f32_e32 v30, v26, v27
	scratch_load_dwordx4 v[26:29], off, off offset:128
	v_mul_f32_e32 v11, v11, v23
	v_fma_f32 v10, v10, v22, -v11
	v_mul_f32_e32 v11, v13, v25
	v_add_f32_e32 v10, v14, v10
	v_fma_f32 v11, v12, v24, -v11
	v_add_f32_e32 v10, v10, v11
	s_waitcnt vmcnt(0) lgkmcnt(1)
	v_mul_f32_e32 v31, v6, v27
	v_fmac_f32_e32 v31, v7, v26
	v_add_f32_e32 v30, v30, v31
	v_mul_f32_e32 v31, v8, v29
	v_fmac_f32_e32 v31, v9, v28
	v_add_f32_e32 v34, v30, v31
	scratch_load_dwordx4 v[30:33], off, off offset:144
	v_mul_f32_e32 v7, v7, v27
	v_fma_f32 v6, v6, v26, -v7
	v_mul_f32_e32 v7, v9, v29
	v_add_f32_e32 v6, v10, v6
	v_fma_f32 v7, v8, v28, -v7
	v_add_f32_e32 v6, v6, v7
	s_waitcnt vmcnt(0) lgkmcnt(0)
	v_mul_f32_e32 v35, v2, v31
	v_fmac_f32_e32 v35, v3, v30
	v_add_f32_e32 v34, v34, v35
	v_mul_f32_e32 v35, v4, v33
	v_fmac_f32_e32 v35, v5, v32
	v_add_f32_e32 v42, v34, v35
	ds_read_b128 v[34:37], v102 offset:608
	v_mul_f32_e32 v3, v3, v31
	v_fma_f32 v2, v2, v30, -v3
	v_mul_f32_e32 v3, v5, v33
	v_add_f32_e32 v2, v6, v2
	s_waitcnt lgkmcnt(0)
	v_mul_f32_e32 v43, v34, v39
	v_fmac_f32_e32 v43, v35, v38
	v_add_f32_e32 v42, v42, v43
	v_mul_f32_e32 v43, v36, v41
	v_fmac_f32_e32 v43, v37, v40
	v_add_f32_e32 v50, v42, v43
	ds_read_b128 v[42:45], v102 offset:624
	v_fma_f32 v3, v4, v32, -v3
	v_add_f32_e32 v2, v2, v3
	v_mul_f32_e32 v3, v35, v39
	v_fma_f32 v3, v34, v38, -v3
	s_waitcnt lgkmcnt(0)
	v_mul_f32_e32 v51, v42, v47
	v_fmac_f32_e32 v51, v43, v46
	v_add_f32_e32 v50, v50, v51
	v_mul_f32_e32 v51, v44, v49
	v_fmac_f32_e32 v51, v45, v48
	v_add_f32_e32 v58, v50, v51
	ds_read_b128 v[50:53], v102 offset:640
	v_add_f32_e32 v2, v2, v3
	v_mul_f32_e32 v3, v37, v41
	v_fma_f32 v3, v36, v40, -v3
	v_add_f32_e32 v2, v2, v3
	s_waitcnt lgkmcnt(0)
	v_mul_f32_e32 v59, v50, v55
	v_fmac_f32_e32 v59, v51, v54
	v_add_f32_e32 v58, v58, v59
	v_mul_f32_e32 v59, v52, v57
	v_fmac_f32_e32 v59, v53, v56
	v_add_f32_e32 v66, v58, v59
	ds_read_b128 v[58:61], v102 offset:656
	v_mul_f32_e32 v3, v43, v47
	v_fma_f32 v3, v42, v46, -v3
	v_add_f32_e32 v2, v2, v3
	v_mul_f32_e32 v3, v45, v49
	s_waitcnt lgkmcnt(0)
	v_mul_f32_e32 v67, v58, v63
	v_fmac_f32_e32 v67, v59, v62
	v_add_f32_e32 v66, v66, v67
	v_mul_f32_e32 v67, v60, v65
	v_fmac_f32_e32 v67, v61, v64
	v_add_f32_e32 v74, v66, v67
	ds_read_b128 v[66:69], v102 offset:672
	v_fma_f32 v3, v44, v48, -v3
	v_add_f32_e32 v2, v2, v3
	v_mul_f32_e32 v3, v51, v55
	v_fma_f32 v3, v50, v54, -v3
	s_waitcnt lgkmcnt(0)
	v_mul_f32_e32 v75, v66, v71
	v_fmac_f32_e32 v75, v67, v70
	v_add_f32_e32 v74, v74, v75
	v_mul_f32_e32 v75, v68, v73
	v_fmac_f32_e32 v75, v69, v72
	v_add_f32_e32 v82, v74, v75
	ds_read_b128 v[74:77], v102 offset:688
	v_add_f32_e32 v2, v2, v3
	v_mul_f32_e32 v3, v53, v57
	v_fma_f32 v3, v52, v56, -v3
	v_add_f32_e32 v2, v2, v3
	s_waitcnt lgkmcnt(0)
	v_mul_f32_e32 v83, v74, v79
	v_fmac_f32_e32 v83, v75, v78
	v_add_f32_e32 v82, v82, v83
	v_mul_f32_e32 v83, v76, v81
	v_fmac_f32_e32 v83, v77, v80
	v_add_f32_e32 v90, v82, v83
	ds_read_b128 v[82:85], v102 offset:704
	v_mul_f32_e32 v3, v59, v63
	v_fma_f32 v3, v58, v62, -v3
	v_add_f32_e32 v2, v2, v3
	v_mul_f32_e32 v3, v61, v65
	;; [unrolled: 36-line block ×4, first 2 shown]
	s_waitcnt lgkmcnt(0)
	v_mul_f32_e32 v140, v132, v137
	v_fmac_f32_e32 v140, v133, v136
	v_add_f32_e32 v149, v103, v140
	ds_read_b128 v[140:143], v102 offset:816
	scratch_load_dwordx4 v[156:159], off, off offset:384
	scratch_load_dwordx4 v[160:163], off, off offset:400
	;; [unrolled: 1-line block ×3, first 2 shown]
	scratch_load_dwordx2 v[172:173], off, off offset:432
	v_fma_f32 v3, v92, v96, -v3
	v_add_f32_e32 v2, v2, v3
	v_mul_f32_e32 v3, v99, v105
	v_fma_f32 v3, v98, v104, -v3
	v_add_f32_e32 v2, v2, v3
	v_mul_f32_e32 v3, v101, v107
	;; [unrolled: 3-line block ×10, first 2 shown]
	v_mul_f32_e32 v169, v134, v139
	v_fma_f32 v168, v134, v138, -v2
	s_waitcnt lgkmcnt(0)
	v_mul_f32_e32 v2, v141, v145
	v_fmac_f32_e32 v169, v135, v138
	v_mul_f32_e32 v171, v140, v145
	v_fma_f32 v170, v140, v144, -v2
	ds_read_b128 v[2:5], v102 offset:832
	ds_read_b128 v[6:9], v102 offset:848
	ds_read_b128 v[10:13], v102 offset:864
	ds_read_b64 v[14:15], v102 offset:880
	v_pk_mul_f32 v[18:19], v[142:143], v[18:19] op_sel:[1,0] op_sel_hi:[0,0]
	v_fmac_f32_e32 v171, v141, v144
	v_pk_add_f32 v[16:17], v[148:149], v[168:169]
	v_pk_fma_f32 v[20:21], v[142:143], v[146:147], v[18:19] neg_lo:[0,0,1] neg_hi:[0,0,1]
	v_pk_fma_f32 v[18:19], v[142:143], v[146:147], v[18:19] op_sel_hi:[1,0,1]
	v_pk_add_f32 v[16:17], v[16:17], v[170:171]
	v_mov_b32_e32 v21, v19
	v_pk_add_f32 v[16:17], v[16:17], v[20:21]
	s_waitcnt vmcnt(3) lgkmcnt(3)
	v_pk_mul_f32 v[18:19], v[2:3], v[156:157] op_sel:[1,1] op_sel_hi:[0,1]
	v_pk_fma_f32 v[20:21], v[2:3], v[156:157], v[18:19] neg_lo:[0,0,1] neg_hi:[0,0,1]
	v_pk_fma_f32 v[2:3], v[2:3], v[156:157], v[18:19] op_sel_hi:[1,0,1]
	s_nop 0
	v_mov_b32_e32 v21, v3
	v_pk_add_f32 v[2:3], v[16:17], v[20:21]
	v_mov_b32_e32 v16, v159
	v_pk_mul_f32 v[16:17], v[4:5], v[16:17] op_sel:[1,0] op_sel_hi:[0,0]
	v_pk_fma_f32 v[18:19], v[4:5], v[158:159], v[16:17] neg_lo:[0,0,1] neg_hi:[0,0,1]
	v_pk_fma_f32 v[4:5], v[4:5], v[158:159], v[16:17] op_sel_hi:[1,0,1]
	s_nop 0
	v_mov_b32_e32 v19, v5
	s_waitcnt vmcnt(2) lgkmcnt(2)
	v_pk_mul_f32 v[4:5], v[6:7], v[160:161] op_sel:[1,1] op_sel_hi:[0,1]
	v_pk_fma_f32 v[16:17], v[6:7], v[160:161], v[4:5] neg_lo:[0,0,1] neg_hi:[0,0,1]
	v_pk_fma_f32 v[4:5], v[6:7], v[160:161], v[4:5] op_sel_hi:[1,0,1]
	v_pk_add_f32 v[2:3], v[2:3], v[18:19]
	v_mov_b32_e32 v4, v163
	v_mov_b32_e32 v17, v5
	v_pk_mul_f32 v[4:5], v[8:9], v[4:5] op_sel:[1,0] op_sel_hi:[0,0]
	v_pk_fma_f32 v[6:7], v[8:9], v[162:163], v[4:5] neg_lo:[0,0,1] neg_hi:[0,0,1]
	v_pk_fma_f32 v[4:5], v[8:9], v[162:163], v[4:5] op_sel_hi:[1,0,1]
	v_pk_add_f32 v[2:3], v[2:3], v[16:17]
	v_mov_b32_e32 v7, v5
	s_waitcnt vmcnt(1) lgkmcnt(1)
	v_pk_mul_f32 v[4:5], v[10:11], v[164:165] op_sel:[1,1] op_sel_hi:[0,1]
	v_pk_add_f32 v[2:3], v[2:3], v[6:7]
	v_pk_fma_f32 v[6:7], v[10:11], v[164:165], v[4:5] neg_lo:[0,0,1] neg_hi:[0,0,1]
	v_pk_fma_f32 v[4:5], v[10:11], v[164:165], v[4:5] op_sel_hi:[1,0,1]
	s_nop 0
	v_mov_b32_e32 v4, v167
	v_mov_b32_e32 v7, v5
	v_pk_mul_f32 v[4:5], v[12:13], v[4:5] op_sel:[1,0] op_sel_hi:[0,0]
	v_pk_add_f32 v[2:3], v[2:3], v[6:7]
	v_pk_fma_f32 v[6:7], v[12:13], v[166:167], v[4:5] neg_lo:[0,0,1] neg_hi:[0,0,1]
	v_pk_fma_f32 v[4:5], v[12:13], v[166:167], v[4:5] op_sel_hi:[1,0,1]
	s_nop 0
	v_mov_b32_e32 v7, v5
	s_waitcnt vmcnt(0) lgkmcnt(0)
	v_pk_mul_f32 v[4:5], v[14:15], v[172:173] op_sel:[1,1] op_sel_hi:[0,1]
	v_pk_add_f32 v[2:3], v[2:3], v[6:7]
	v_pk_fma_f32 v[6:7], v[14:15], v[172:173], v[4:5] neg_lo:[0,0,1] neg_hi:[0,0,1]
	v_pk_fma_f32 v[4:5], v[14:15], v[172:173], v[4:5] op_sel_hi:[1,0,1]
	s_nop 0
	v_mov_b32_e32 v7, v5
	scratch_load_dwordx2 v[4:5], off, off offset:88
	v_pk_add_f32 v[2:3], v[2:3], v[6:7]
	s_waitcnt vmcnt(0)
	v_pk_add_f32 v[2:3], v[4:5], v[2:3] neg_lo:[0,1] neg_hi:[0,1]
	scratch_store_dwordx2 off, v[2:3], off offset:88
	s_and_saveexec_b64 s[0:1], vcc
	s_cbranch_execz .LBB118_323
; %bb.322:
	scratch_load_dwordx2 v[2:3], off, off offset:80
	v_mov_b32_e32 v103, v102
	scratch_store_dwordx2 off, v[102:103], off offset:80
	s_waitcnt vmcnt(1)
	ds_write_b64 v1, v[2:3]
.LBB118_323:
	s_or_b64 exec, exec, s[0:1]
	s_waitcnt lgkmcnt(0)
	; wave barrier
	scratch_load_dwordx4 v[6:9], off, off offset:88
	scratch_load_dwordx4 v[14:17], off, off offset:104
	;; [unrolled: 1-line block ×10, first 2 shown]
	ds_read2_b64 v[2:5], v102 offset0:67 offset1:68
	scratch_load_dwordx4 v[86:89], off, off offset:248
	scratch_load_dwordx4 v[94:97], off, off offset:264
	;; [unrolled: 1-line block ×8, first 2 shown]
	v_cmp_lt_u32_e32 vcc, 9, v0
	s_waitcnt vmcnt(17) lgkmcnt(0)
	v_mul_f32_e32 v10, v2, v7
	v_fmac_f32_e32 v10, v3, v6
	v_mul_f32_e32 v11, v4, v9
	v_add_f32_e32 v10, 0, v10
	v_fmac_f32_e32 v11, v5, v8
	v_add_f32_e32 v18, v10, v11
	ds_read2_b64 v[10:13], v102 offset0:69 offset1:70
	v_mul_f32_e32 v3, v3, v7
	v_fma_f32 v2, v2, v6, -v3
	v_mul_f32_e32 v3, v5, v9
	v_add_f32_e32 v2, 0, v2
	s_waitcnt vmcnt(16) lgkmcnt(0)
	v_mul_f32_e32 v19, v10, v15
	v_fmac_f32_e32 v19, v11, v14
	v_add_f32_e32 v18, v18, v19
	v_mul_f32_e32 v19, v12, v17
	v_fmac_f32_e32 v19, v13, v16
	v_add_f32_e32 v26, v18, v19
	ds_read2_b64 v[18:21], v102 offset0:71 offset1:72
	v_fma_f32 v3, v4, v8, -v3
	v_add_f32_e32 v2, v2, v3
	v_mul_f32_e32 v3, v11, v15
	v_fma_f32 v3, v10, v14, -v3
	s_waitcnt vmcnt(15) lgkmcnt(0)
	v_mul_f32_e32 v27, v18, v23
	v_fmac_f32_e32 v27, v19, v22
	v_add_f32_e32 v26, v26, v27
	v_mul_f32_e32 v27, v20, v25
	v_fmac_f32_e32 v27, v21, v24
	v_add_f32_e32 v34, v26, v27
	ds_read2_b64 v[26:29], v102 offset0:73 offset1:74
	v_add_f32_e32 v2, v2, v3
	v_mul_f32_e32 v3, v13, v17
	v_fma_f32 v3, v12, v16, -v3
	v_add_f32_e32 v2, v2, v3
	s_waitcnt vmcnt(14) lgkmcnt(0)
	v_mul_f32_e32 v35, v26, v31
	v_fmac_f32_e32 v35, v27, v30
	v_add_f32_e32 v34, v34, v35
	v_mul_f32_e32 v35, v28, v33
	v_fmac_f32_e32 v35, v29, v32
	v_add_f32_e32 v42, v34, v35
	ds_read2_b64 v[34:37], v102 offset0:75 offset1:76
	v_mul_f32_e32 v3, v19, v23
	v_fma_f32 v3, v18, v22, -v3
	v_add_f32_e32 v2, v2, v3
	v_mul_f32_e32 v3, v21, v25
	s_waitcnt vmcnt(13) lgkmcnt(0)
	v_mul_f32_e32 v43, v34, v39
	v_fmac_f32_e32 v43, v35, v38
	v_add_f32_e32 v42, v42, v43
	v_mul_f32_e32 v43, v36, v41
	v_fmac_f32_e32 v43, v37, v40
	v_add_f32_e32 v50, v42, v43
	ds_read2_b64 v[42:45], v102 offset0:77 offset1:78
	v_fma_f32 v3, v20, v24, -v3
	v_add_f32_e32 v2, v2, v3
	v_mul_f32_e32 v3, v27, v31
	v_fma_f32 v3, v26, v30, -v3
	s_waitcnt vmcnt(12) lgkmcnt(0)
	v_mul_f32_e32 v51, v42, v47
	v_fmac_f32_e32 v51, v43, v46
	v_add_f32_e32 v50, v50, v51
	v_mul_f32_e32 v51, v44, v49
	v_fmac_f32_e32 v51, v45, v48
	v_add_f32_e32 v58, v50, v51
	ds_read2_b64 v[50:53], v102 offset0:79 offset1:80
	v_add_f32_e32 v2, v2, v3
	v_mul_f32_e32 v3, v29, v33
	v_fma_f32 v3, v28, v32, -v3
	v_add_f32_e32 v2, v2, v3
	s_waitcnt vmcnt(11) lgkmcnt(0)
	v_mul_f32_e32 v59, v50, v55
	v_fmac_f32_e32 v59, v51, v54
	v_add_f32_e32 v58, v58, v59
	v_mul_f32_e32 v59, v52, v57
	v_fmac_f32_e32 v59, v53, v56
	v_add_f32_e32 v66, v58, v59
	ds_read2_b64 v[58:61], v102 offset0:81 offset1:82
	v_mul_f32_e32 v3, v35, v39
	v_fma_f32 v3, v34, v38, -v3
	v_add_f32_e32 v2, v2, v3
	v_mul_f32_e32 v3, v37, v41
	;; [unrolled: 36-line block ×5, first 2 shown]
	s_waitcnt vmcnt(1) lgkmcnt(0)
	v_mul_f32_e32 v140, v132, v137
	v_fmac_f32_e32 v140, v133, v136
	v_add_f32_e32 v103, v103, v140
	v_mul_f32_e32 v140, v134, v139
	v_fmac_f32_e32 v140, v135, v138
	v_add_f32_e32 v149, v103, v140
	ds_read2_b64 v[140:143], v102 offset0:101 offset1:102
	scratch_load_dwordx4 v[156:159], off, off offset:376
	scratch_load_dwordx4 v[160:163], off, off offset:392
	;; [unrolled: 1-line block ×4, first 2 shown]
	v_fma_f32 v3, v84, v88, -v3
	v_add_f32_e32 v2, v2, v3
	v_mul_f32_e32 v3, v91, v95
	v_fma_f32 v3, v90, v94, -v3
	v_add_f32_e32 v2, v2, v3
	v_mul_f32_e32 v3, v93, v97
	;; [unrolled: 3-line block ×12, first 2 shown]
	v_fma_f32 v3, v134, v138, -v3
	v_add_f32_e32 v148, v2, v3
	s_waitcnt vmcnt(4) lgkmcnt(0)
	v_mul_f32_e32 v2, v141, v145
	v_fma_f32 v172, v140, v144, -v2
	v_mul_f32_e32 v2, v143, v147
	v_fma_f32 v174, v142, v146, -v2
	ds_read2_b64 v[2:5], v102 offset0:103 offset1:104
	ds_read2_b64 v[6:9], v102 offset0:105 offset1:106
	;; [unrolled: 1-line block ×4, first 2 shown]
	v_mul_f32_e32 v173, v140, v145
	v_fmac_f32_e32 v173, v141, v144
	v_mul_f32_e32 v175, v142, v147
	v_fmac_f32_e32 v175, v143, v146
	v_pk_add_f32 v[18:19], v[148:149], v[172:173]
	s_waitcnt vmcnt(3) lgkmcnt(3)
	v_pk_mul_f32 v[20:21], v[2:3], v[156:157] op_sel:[1,1] op_sel_hi:[0,1]
	v_pk_fma_f32 v[22:23], v[2:3], v[156:157], v[20:21] neg_lo:[0,0,1] neg_hi:[0,0,1]
	v_pk_fma_f32 v[2:3], v[2:3], v[156:157], v[20:21] op_sel_hi:[1,0,1]
	v_pk_add_f32 v[18:19], v[18:19], v[174:175]
	v_mov_b32_e32 v23, v3
	v_pk_add_f32 v[2:3], v[18:19], v[22:23]
	v_mov_b32_e32 v18, v159
	v_pk_mul_f32 v[18:19], v[4:5], v[18:19] op_sel:[1,0] op_sel_hi:[0,0]
	v_pk_fma_f32 v[20:21], v[4:5], v[158:159], v[18:19] neg_lo:[0,0,1] neg_hi:[0,0,1]
	v_pk_fma_f32 v[4:5], v[4:5], v[158:159], v[18:19] op_sel_hi:[1,0,1]
	s_nop 0
	v_mov_b32_e32 v21, v5
	s_waitcnt vmcnt(2) lgkmcnt(2)
	v_pk_mul_f32 v[4:5], v[6:7], v[160:161] op_sel:[1,1] op_sel_hi:[0,1]
	v_pk_fma_f32 v[18:19], v[6:7], v[160:161], v[4:5] neg_lo:[0,0,1] neg_hi:[0,0,1]
	v_pk_fma_f32 v[4:5], v[6:7], v[160:161], v[4:5] op_sel_hi:[1,0,1]
	v_pk_add_f32 v[2:3], v[2:3], v[20:21]
	v_mov_b32_e32 v4, v163
	v_mov_b32_e32 v19, v5
	v_pk_mul_f32 v[4:5], v[8:9], v[4:5] op_sel:[1,0] op_sel_hi:[0,0]
	v_pk_fma_f32 v[6:7], v[8:9], v[162:163], v[4:5] neg_lo:[0,0,1] neg_hi:[0,0,1]
	v_pk_fma_f32 v[4:5], v[8:9], v[162:163], v[4:5] op_sel_hi:[1,0,1]
	v_pk_add_f32 v[2:3], v[2:3], v[18:19]
	v_mov_b32_e32 v7, v5
	s_waitcnt vmcnt(1) lgkmcnt(1)
	v_pk_mul_f32 v[4:5], v[10:11], v[164:165] op_sel:[1,1] op_sel_hi:[0,1]
	v_pk_add_f32 v[2:3], v[2:3], v[6:7]
	v_pk_fma_f32 v[6:7], v[10:11], v[164:165], v[4:5] neg_lo:[0,0,1] neg_hi:[0,0,1]
	v_pk_fma_f32 v[4:5], v[10:11], v[164:165], v[4:5] op_sel_hi:[1,0,1]
	s_nop 0
	v_mov_b32_e32 v4, v167
	v_mov_b32_e32 v7, v5
	v_pk_mul_f32 v[4:5], v[12:13], v[4:5] op_sel:[1,0] op_sel_hi:[0,0]
	v_pk_add_f32 v[2:3], v[2:3], v[6:7]
	v_pk_fma_f32 v[6:7], v[12:13], v[166:167], v[4:5] neg_lo:[0,0,1] neg_hi:[0,0,1]
	v_pk_fma_f32 v[4:5], v[12:13], v[166:167], v[4:5] op_sel_hi:[1,0,1]
	s_nop 0
	v_mov_b32_e32 v7, v5
	s_waitcnt vmcnt(0) lgkmcnt(0)
	v_pk_mul_f32 v[4:5], v[14:15], v[168:169] op_sel:[1,1] op_sel_hi:[0,1]
	v_pk_add_f32 v[2:3], v[2:3], v[6:7]
	v_pk_fma_f32 v[6:7], v[14:15], v[168:169], v[4:5] neg_lo:[0,0,1] neg_hi:[0,0,1]
	v_pk_fma_f32 v[4:5], v[14:15], v[168:169], v[4:5] op_sel_hi:[1,0,1]
	s_nop 0
	v_mov_b32_e32 v4, v171
	v_mov_b32_e32 v7, v5
	v_pk_mul_f32 v[4:5], v[16:17], v[4:5] op_sel:[1,0] op_sel_hi:[0,0]
	v_pk_add_f32 v[2:3], v[2:3], v[6:7]
	v_pk_fma_f32 v[6:7], v[16:17], v[170:171], v[4:5] neg_lo:[0,0,1] neg_hi:[0,0,1]
	v_pk_fma_f32 v[4:5], v[16:17], v[170:171], v[4:5] op_sel_hi:[1,0,1]
	s_nop 0
	v_mov_b32_e32 v7, v5
	scratch_load_dwordx2 v[4:5], off, off offset:80
	v_pk_add_f32 v[2:3], v[2:3], v[6:7]
	s_waitcnt vmcnt(0)
	v_pk_add_f32 v[2:3], v[4:5], v[2:3] neg_lo:[0,1] neg_hi:[0,1]
	scratch_store_dwordx2 off, v[2:3], off offset:80
	s_and_saveexec_b64 s[0:1], vcc
	s_cbranch_execz .LBB118_325
; %bb.324:
	scratch_load_dwordx2 v[2:3], off, off offset:72
	v_mov_b32_e32 v4, 0
	v_mov_b32_e32 v5, v4
	scratch_store_dwordx2 off, v[4:5], off offset:72
	s_waitcnt vmcnt(1)
	ds_write_b64 v1, v[2:3]
.LBB118_325:
	s_or_b64 exec, exec, s[0:1]
	v_mov_b32_e32 v110, 0
	s_waitcnt lgkmcnt(0)
	; wave barrier
	ds_read_b128 v[14:17], v110 offset:528
	ds_read_b128 v[10:13], v110 offset:544
	;; [unrolled: 1-line block ×4, first 2 shown]
	scratch_load_dwordx4 v[18:21], off, off offset:80
	scratch_load_dwordx4 v[38:41], off, off offset:144
	;; [unrolled: 1-line block ×13, first 2 shown]
	v_cmp_lt_u32_e32 vcc, 8, v0
	scratch_load_dwordx4 v[46:49], off, off offset:160
	scratch_load_dwordx4 v[54:57], off, off offset:176
	;; [unrolled: 1-line block ×3, first 2 shown]
	ds_read_b128 v[156:159], v110 offset:816
	s_waitcnt vmcnt(15) lgkmcnt(4)
	v_mul_f32_e32 v22, v14, v19
	v_fmac_f32_e32 v22, v15, v18
	v_mul_f32_e32 v23, v16, v21
	v_add_f32_e32 v22, 0, v22
	v_fmac_f32_e32 v23, v17, v20
	v_add_f32_e32 v26, v22, v23
	scratch_load_dwordx4 v[22:25], off, off offset:96
	v_mul_f32_e32 v15, v15, v19
	v_fma_f32 v14, v14, v18, -v15
	v_mul_f32_e32 v15, v17, v21
	v_add_f32_e32 v14, 0, v14
	v_fma_f32 v15, v16, v20, -v15
	v_add_f32_e32 v14, v14, v15
	s_waitcnt vmcnt(4)
	v_mov_b32_e32 v18, v163
	s_waitcnt lgkmcnt(0)
	v_mul_f32_e32 v179, v156, v161
	v_pk_mul_f32 v[18:19], v[158:159], v[18:19] op_sel:[1,0] op_sel_hi:[0,0]
	v_fmac_f32_e32 v179, v157, v160
	v_pk_fma_f32 v[20:21], v[158:159], v[162:163], v[18:19] neg_lo:[0,0,1] neg_hi:[0,0,1]
	v_pk_fma_f32 v[18:19], v[158:159], v[162:163], v[18:19] op_sel_hi:[1,0,1]
	s_waitcnt vmcnt(0)
	v_mul_f32_e32 v27, v10, v23
	v_fmac_f32_e32 v27, v11, v22
	v_add_f32_e32 v26, v26, v27
	v_mul_f32_e32 v27, v12, v25
	v_fmac_f32_e32 v27, v13, v24
	v_add_f32_e32 v30, v26, v27
	scratch_load_dwordx4 v[26:29], off, off offset:112
	v_mul_f32_e32 v11, v11, v23
	v_fma_f32 v10, v10, v22, -v11
	v_mul_f32_e32 v11, v13, v25
	v_add_f32_e32 v10, v14, v10
	v_fma_f32 v11, v12, v24, -v11
	v_add_f32_e32 v10, v10, v11
	v_mov_b32_e32 v21, v19
	s_waitcnt vmcnt(0)
	v_mul_f32_e32 v31, v6, v27
	v_fmac_f32_e32 v31, v7, v26
	v_add_f32_e32 v30, v30, v31
	v_mul_f32_e32 v31, v8, v29
	v_fmac_f32_e32 v31, v9, v28
	v_add_f32_e32 v34, v30, v31
	scratch_load_dwordx4 v[30:33], off, off offset:128
	v_mul_f32_e32 v7, v7, v27
	v_fma_f32 v6, v6, v26, -v7
	v_mul_f32_e32 v7, v9, v29
	v_add_f32_e32 v6, v10, v6
	v_fma_f32 v7, v8, v28, -v7
	v_add_f32_e32 v6, v6, v7
	s_waitcnt vmcnt(0)
	v_mul_f32_e32 v35, v2, v31
	v_fmac_f32_e32 v35, v3, v30
	v_add_f32_e32 v34, v34, v35
	v_mul_f32_e32 v35, v4, v33
	v_fmac_f32_e32 v35, v5, v32
	v_add_f32_e32 v42, v34, v35
	ds_read_b128 v[34:37], v110 offset:592
	v_mul_f32_e32 v3, v3, v31
	v_fma_f32 v2, v2, v30, -v3
	v_mul_f32_e32 v3, v5, v33
	v_add_f32_e32 v2, v6, v2
	s_waitcnt lgkmcnt(0)
	v_mul_f32_e32 v43, v34, v39
	v_fmac_f32_e32 v43, v35, v38
	v_add_f32_e32 v42, v42, v43
	v_mul_f32_e32 v43, v36, v41
	v_fmac_f32_e32 v43, v37, v40
	v_add_f32_e32 v50, v42, v43
	ds_read_b128 v[42:45], v110 offset:608
	v_fma_f32 v3, v4, v32, -v3
	v_add_f32_e32 v2, v2, v3
	v_mul_f32_e32 v3, v35, v39
	v_fma_f32 v3, v34, v38, -v3
	s_waitcnt lgkmcnt(0)
	v_mul_f32_e32 v51, v42, v47
	v_fmac_f32_e32 v51, v43, v46
	v_add_f32_e32 v50, v50, v51
	v_mul_f32_e32 v51, v44, v49
	v_fmac_f32_e32 v51, v45, v48
	v_add_f32_e32 v58, v50, v51
	ds_read_b128 v[50:53], v110 offset:624
	v_add_f32_e32 v2, v2, v3
	v_mul_f32_e32 v3, v37, v41
	v_fma_f32 v3, v36, v40, -v3
	v_add_f32_e32 v2, v2, v3
	s_waitcnt lgkmcnt(0)
	v_mul_f32_e32 v59, v50, v55
	v_fmac_f32_e32 v59, v51, v54
	v_add_f32_e32 v58, v58, v59
	v_mul_f32_e32 v59, v52, v57
	v_fmac_f32_e32 v59, v53, v56
	v_add_f32_e32 v66, v58, v59
	ds_read_b128 v[58:61], v110 offset:640
	v_mul_f32_e32 v3, v43, v47
	v_fma_f32 v3, v42, v46, -v3
	v_add_f32_e32 v2, v2, v3
	v_mul_f32_e32 v3, v45, v49
	s_waitcnt lgkmcnt(0)
	v_mul_f32_e32 v67, v58, v63
	v_fmac_f32_e32 v67, v59, v62
	v_add_f32_e32 v66, v66, v67
	v_mul_f32_e32 v67, v60, v65
	v_fmac_f32_e32 v67, v61, v64
	v_add_f32_e32 v74, v66, v67
	ds_read_b128 v[66:69], v110 offset:656
	v_fma_f32 v3, v44, v48, -v3
	v_add_f32_e32 v2, v2, v3
	v_mul_f32_e32 v3, v51, v55
	v_fma_f32 v3, v50, v54, -v3
	s_waitcnt lgkmcnt(0)
	v_mul_f32_e32 v75, v66, v71
	v_fmac_f32_e32 v75, v67, v70
	v_add_f32_e32 v74, v74, v75
	v_mul_f32_e32 v75, v68, v73
	v_fmac_f32_e32 v75, v69, v72
	v_add_f32_e32 v82, v74, v75
	ds_read_b128 v[74:77], v110 offset:672
	v_add_f32_e32 v2, v2, v3
	v_mul_f32_e32 v3, v53, v57
	v_fma_f32 v3, v52, v56, -v3
	v_add_f32_e32 v2, v2, v3
	s_waitcnt lgkmcnt(0)
	v_mul_f32_e32 v83, v74, v79
	v_fmac_f32_e32 v83, v75, v78
	v_add_f32_e32 v82, v82, v83
	v_mul_f32_e32 v83, v76, v81
	v_fmac_f32_e32 v83, v77, v80
	v_add_f32_e32 v90, v82, v83
	ds_read_b128 v[82:85], v110 offset:688
	v_mul_f32_e32 v3, v59, v63
	v_fma_f32 v3, v58, v62, -v3
	v_add_f32_e32 v2, v2, v3
	v_mul_f32_e32 v3, v61, v65
	;; [unrolled: 36-line block ×4, first 2 shown]
	s_waitcnt lgkmcnt(0)
	v_mul_f32_e32 v140, v132, v137
	v_fmac_f32_e32 v140, v133, v136
	v_add_f32_e32 v111, v111, v140
	v_mul_f32_e32 v140, v134, v139
	v_fmac_f32_e32 v140, v135, v138
	v_add_f32_e32 v111, v111, v140
	ds_read_b128 v[140:143], v110 offset:800
	scratch_load_dwordx4 v[164:167], off, off offset:384
	scratch_load_dwordx4 v[168:171], off, off offset:400
	;; [unrolled: 1-line block ×3, first 2 shown]
	scratch_load_dwordx2 v[180:181], off, off offset:432
	v_fma_f32 v3, v92, v96, -v3
	v_add_f32_e32 v2, v2, v3
	v_mul_f32_e32 v3, v99, v103
	v_fma_f32 v3, v98, v102, -v3
	v_add_f32_e32 v2, v2, v3
	v_mul_f32_e32 v3, v101, v105
	;; [unrolled: 3-line block ×10, first 2 shown]
	v_fma_f32 v3, v134, v138, -v3
	s_waitcnt lgkmcnt(0)
	v_mul_f32_e32 v148, v140, v145
	v_add_f32_e32 v2, v2, v3
	v_mul_f32_e32 v3, v141, v145
	v_fmac_f32_e32 v148, v141, v144
	v_fma_f32 v3, v140, v144, -v3
	v_add_f32_e32 v149, v111, v148
	v_add_f32_e32 v148, v2, v3
	v_mul_f32_e32 v2, v143, v147
	v_mul_f32_e32 v177, v142, v147
	v_fma_f32 v176, v142, v146, -v2
	v_mul_f32_e32 v2, v157, v161
	v_fmac_f32_e32 v177, v143, v146
	v_fma_f32 v178, v156, v160, -v2
	ds_read_b128 v[2:5], v110 offset:832
	ds_read_b128 v[6:9], v110 offset:848
	;; [unrolled: 1-line block ×3, first 2 shown]
	ds_read_b64 v[14:15], v110 offset:880
	v_pk_add_f32 v[16:17], v[148:149], v[176:177]
	s_waitcnt vmcnt(3) lgkmcnt(3)
	v_pk_mul_f32 v[18:19], v[2:3], v[164:165] op_sel:[1,1] op_sel_hi:[0,1]
	v_pk_add_f32 v[16:17], v[16:17], v[178:179]
	s_nop 0
	v_pk_add_f32 v[16:17], v[16:17], v[20:21]
	v_pk_fma_f32 v[20:21], v[2:3], v[164:165], v[18:19] neg_lo:[0,0,1] neg_hi:[0,0,1]
	v_pk_fma_f32 v[2:3], v[2:3], v[164:165], v[18:19] op_sel_hi:[1,0,1]
	s_nop 0
	v_mov_b32_e32 v21, v3
	v_pk_add_f32 v[2:3], v[16:17], v[20:21]
	v_mov_b32_e32 v16, v167
	v_pk_mul_f32 v[16:17], v[4:5], v[16:17] op_sel:[1,0] op_sel_hi:[0,0]
	v_pk_fma_f32 v[18:19], v[4:5], v[166:167], v[16:17] neg_lo:[0,0,1] neg_hi:[0,0,1]
	v_pk_fma_f32 v[4:5], v[4:5], v[166:167], v[16:17] op_sel_hi:[1,0,1]
	s_nop 0
	v_mov_b32_e32 v19, v5
	s_waitcnt vmcnt(2) lgkmcnt(2)
	v_pk_mul_f32 v[4:5], v[6:7], v[168:169] op_sel:[1,1] op_sel_hi:[0,1]
	v_pk_fma_f32 v[16:17], v[6:7], v[168:169], v[4:5] neg_lo:[0,0,1] neg_hi:[0,0,1]
	v_pk_fma_f32 v[4:5], v[6:7], v[168:169], v[4:5] op_sel_hi:[1,0,1]
	v_pk_add_f32 v[2:3], v[2:3], v[18:19]
	v_mov_b32_e32 v4, v171
	v_mov_b32_e32 v17, v5
	v_pk_mul_f32 v[4:5], v[8:9], v[4:5] op_sel:[1,0] op_sel_hi:[0,0]
	v_pk_fma_f32 v[6:7], v[8:9], v[170:171], v[4:5] neg_lo:[0,0,1] neg_hi:[0,0,1]
	v_pk_fma_f32 v[4:5], v[8:9], v[170:171], v[4:5] op_sel_hi:[1,0,1]
	v_pk_add_f32 v[2:3], v[2:3], v[16:17]
	v_mov_b32_e32 v7, v5
	s_waitcnt vmcnt(1) lgkmcnt(1)
	v_pk_mul_f32 v[4:5], v[10:11], v[172:173] op_sel:[1,1] op_sel_hi:[0,1]
	v_pk_add_f32 v[2:3], v[2:3], v[6:7]
	v_pk_fma_f32 v[6:7], v[10:11], v[172:173], v[4:5] neg_lo:[0,0,1] neg_hi:[0,0,1]
	v_pk_fma_f32 v[4:5], v[10:11], v[172:173], v[4:5] op_sel_hi:[1,0,1]
	s_nop 0
	v_mov_b32_e32 v4, v175
	v_mov_b32_e32 v7, v5
	v_pk_mul_f32 v[4:5], v[12:13], v[4:5] op_sel:[1,0] op_sel_hi:[0,0]
	v_pk_add_f32 v[2:3], v[2:3], v[6:7]
	v_pk_fma_f32 v[6:7], v[12:13], v[174:175], v[4:5] neg_lo:[0,0,1] neg_hi:[0,0,1]
	v_pk_fma_f32 v[4:5], v[12:13], v[174:175], v[4:5] op_sel_hi:[1,0,1]
	s_nop 0
	v_mov_b32_e32 v7, v5
	s_waitcnt vmcnt(0) lgkmcnt(0)
	v_pk_mul_f32 v[4:5], v[14:15], v[180:181] op_sel:[1,1] op_sel_hi:[0,1]
	v_pk_add_f32 v[2:3], v[2:3], v[6:7]
	v_pk_fma_f32 v[6:7], v[14:15], v[180:181], v[4:5] neg_lo:[0,0,1] neg_hi:[0,0,1]
	v_pk_fma_f32 v[4:5], v[14:15], v[180:181], v[4:5] op_sel_hi:[1,0,1]
	s_nop 0
	v_mov_b32_e32 v7, v5
	scratch_load_dwordx2 v[4:5], off, off offset:72
	v_pk_add_f32 v[2:3], v[2:3], v[6:7]
	s_waitcnt vmcnt(0)
	v_pk_add_f32 v[2:3], v[4:5], v[2:3] neg_lo:[0,1] neg_hi:[0,1]
	scratch_store_dwordx2 off, v[2:3], off offset:72
	s_and_saveexec_b64 s[0:1], vcc
	s_cbranch_execz .LBB118_327
; %bb.326:
	scratch_load_dwordx2 v[2:3], off, off offset:64
	v_mov_b32_e32 v111, v110
	scratch_store_dwordx2 off, v[110:111], off offset:64
	s_waitcnt vmcnt(1)
	ds_write_b64 v1, v[2:3]
.LBB118_327:
	s_or_b64 exec, exec, s[0:1]
	s_waitcnt lgkmcnt(0)
	; wave barrier
	scratch_load_dwordx4 v[6:9], off, off offset:72
	scratch_load_dwordx4 v[14:17], off, off offset:88
	;; [unrolled: 1-line block ×10, first 2 shown]
	ds_read2_b64 v[2:5], v110 offset0:65 offset1:66
	ds_read2_b64 v[156:159], v110 offset0:101 offset1:102
	scratch_load_dwordx4 v[86:89], off, off offset:232
	scratch_load_dwordx4 v[94:97], off, off offset:248
	;; [unrolled: 1-line block ×9, first 2 shown]
	v_cmp_lt_u32_e32 vcc, 7, v0
	s_waitcnt vmcnt(18) lgkmcnt(1)
	v_mul_f32_e32 v10, v2, v7
	v_fmac_f32_e32 v10, v3, v6
	v_mul_f32_e32 v11, v4, v9
	v_add_f32_e32 v10, 0, v10
	v_fmac_f32_e32 v11, v5, v8
	v_add_f32_e32 v18, v10, v11
	ds_read2_b64 v[10:13], v110 offset0:67 offset1:68
	v_mul_f32_e32 v3, v3, v7
	v_fma_f32 v2, v2, v6, -v3
	v_mul_f32_e32 v3, v5, v9
	v_add_f32_e32 v2, 0, v2
	s_waitcnt vmcnt(17) lgkmcnt(0)
	v_mul_f32_e32 v19, v10, v15
	v_fmac_f32_e32 v19, v11, v14
	v_add_f32_e32 v18, v18, v19
	v_mul_f32_e32 v19, v12, v17
	v_fmac_f32_e32 v19, v13, v16
	v_add_f32_e32 v26, v18, v19
	ds_read2_b64 v[18:21], v110 offset0:69 offset1:70
	v_fma_f32 v3, v4, v8, -v3
	v_add_f32_e32 v2, v2, v3
	v_mul_f32_e32 v3, v11, v15
	v_fma_f32 v3, v10, v14, -v3
	s_waitcnt vmcnt(16) lgkmcnt(0)
	v_mul_f32_e32 v27, v18, v23
	v_fmac_f32_e32 v27, v19, v22
	v_add_f32_e32 v26, v26, v27
	v_mul_f32_e32 v27, v20, v25
	v_fmac_f32_e32 v27, v21, v24
	v_add_f32_e32 v34, v26, v27
	ds_read2_b64 v[26:29], v110 offset0:71 offset1:72
	v_add_f32_e32 v2, v2, v3
	v_mul_f32_e32 v3, v13, v17
	v_fma_f32 v3, v12, v16, -v3
	v_add_f32_e32 v2, v2, v3
	s_waitcnt vmcnt(15) lgkmcnt(0)
	v_mul_f32_e32 v35, v26, v31
	v_fmac_f32_e32 v35, v27, v30
	v_add_f32_e32 v34, v34, v35
	v_mul_f32_e32 v35, v28, v33
	v_fmac_f32_e32 v35, v29, v32
	v_add_f32_e32 v42, v34, v35
	ds_read2_b64 v[34:37], v110 offset0:73 offset1:74
	v_mul_f32_e32 v3, v19, v23
	v_fma_f32 v3, v18, v22, -v3
	v_add_f32_e32 v2, v2, v3
	v_mul_f32_e32 v3, v21, v25
	s_waitcnt vmcnt(14) lgkmcnt(0)
	v_mul_f32_e32 v43, v34, v39
	v_fmac_f32_e32 v43, v35, v38
	v_add_f32_e32 v42, v42, v43
	v_mul_f32_e32 v43, v36, v41
	v_fmac_f32_e32 v43, v37, v40
	v_add_f32_e32 v50, v42, v43
	ds_read2_b64 v[42:45], v110 offset0:75 offset1:76
	v_fma_f32 v3, v20, v24, -v3
	v_add_f32_e32 v2, v2, v3
	v_mul_f32_e32 v3, v27, v31
	v_fma_f32 v3, v26, v30, -v3
	s_waitcnt vmcnt(13) lgkmcnt(0)
	v_mul_f32_e32 v51, v42, v47
	v_fmac_f32_e32 v51, v43, v46
	v_add_f32_e32 v50, v50, v51
	v_mul_f32_e32 v51, v44, v49
	v_fmac_f32_e32 v51, v45, v48
	v_add_f32_e32 v58, v50, v51
	ds_read2_b64 v[50:53], v110 offset0:77 offset1:78
	v_add_f32_e32 v2, v2, v3
	v_mul_f32_e32 v3, v29, v33
	v_fma_f32 v3, v28, v32, -v3
	v_add_f32_e32 v2, v2, v3
	s_waitcnt vmcnt(12) lgkmcnt(0)
	v_mul_f32_e32 v59, v50, v55
	v_fmac_f32_e32 v59, v51, v54
	v_add_f32_e32 v58, v58, v59
	v_mul_f32_e32 v59, v52, v57
	v_fmac_f32_e32 v59, v53, v56
	v_add_f32_e32 v66, v58, v59
	ds_read2_b64 v[58:61], v110 offset0:79 offset1:80
	v_mul_f32_e32 v3, v35, v39
	v_fma_f32 v3, v34, v38, -v3
	v_add_f32_e32 v2, v2, v3
	v_mul_f32_e32 v3, v37, v41
	;; [unrolled: 36-line block ×5, first 2 shown]
	s_waitcnt vmcnt(2) lgkmcnt(0)
	v_mul_f32_e32 v140, v132, v137
	v_fmac_f32_e32 v140, v133, v136
	v_add_f32_e32 v111, v111, v140
	v_mul_f32_e32 v140, v134, v139
	v_fmac_f32_e32 v140, v135, v138
	v_add_f32_e32 v111, v111, v140
	ds_read2_b64 v[140:143], v110 offset0:99 offset1:100
	scratch_load_dwordx4 v[164:167], off, off offset:376
	scratch_load_dwordx4 v[168:171], off, off offset:392
	;; [unrolled: 1-line block ×4, first 2 shown]
	v_fma_f32 v3, v84, v88, -v3
	v_add_f32_e32 v2, v2, v3
	v_mul_f32_e32 v3, v91, v95
	v_fma_f32 v3, v90, v94, -v3
	v_add_f32_e32 v2, v2, v3
	v_mul_f32_e32 v3, v93, v97
	;; [unrolled: 3-line block ×12, first 2 shown]
	v_fma_f32 v3, v134, v138, -v3
	s_waitcnt vmcnt(5) lgkmcnt(0)
	v_mul_f32_e32 v148, v140, v145
	v_add_f32_e32 v2, v2, v3
	v_mul_f32_e32 v3, v141, v145
	v_fmac_f32_e32 v148, v141, v144
	v_fma_f32 v3, v140, v144, -v3
	v_add_f32_e32 v111, v111, v148
	v_mul_f32_e32 v148, v142, v147
	v_add_f32_e32 v2, v2, v3
	v_mul_f32_e32 v3, v143, v147
	v_fmac_f32_e32 v148, v143, v146
	v_fma_f32 v3, v142, v146, -v3
	v_add_f32_e32 v149, v111, v148
	v_add_f32_e32 v148, v2, v3
	s_waitcnt vmcnt(4)
	v_mul_f32_e32 v2, v157, v161
	v_fma_f32 v180, v156, v160, -v2
	v_mul_f32_e32 v2, v159, v163
	v_fma_f32 v182, v158, v162, -v2
	ds_read2_b64 v[2:5], v110 offset0:103 offset1:104
	ds_read2_b64 v[6:9], v110 offset0:105 offset1:106
	;; [unrolled: 1-line block ×4, first 2 shown]
	v_mul_f32_e32 v181, v156, v161
	v_fmac_f32_e32 v181, v157, v160
	v_mul_f32_e32 v183, v158, v163
	v_fmac_f32_e32 v183, v159, v162
	v_pk_add_f32 v[18:19], v[148:149], v[180:181]
	s_waitcnt vmcnt(3) lgkmcnt(3)
	v_pk_mul_f32 v[20:21], v[2:3], v[164:165] op_sel:[1,1] op_sel_hi:[0,1]
	v_pk_fma_f32 v[22:23], v[2:3], v[164:165], v[20:21] neg_lo:[0,0,1] neg_hi:[0,0,1]
	v_pk_fma_f32 v[2:3], v[2:3], v[164:165], v[20:21] op_sel_hi:[1,0,1]
	v_pk_add_f32 v[18:19], v[18:19], v[182:183]
	v_mov_b32_e32 v23, v3
	v_pk_add_f32 v[2:3], v[18:19], v[22:23]
	v_mov_b32_e32 v18, v167
	v_pk_mul_f32 v[18:19], v[4:5], v[18:19] op_sel:[1,0] op_sel_hi:[0,0]
	v_pk_fma_f32 v[20:21], v[4:5], v[166:167], v[18:19] neg_lo:[0,0,1] neg_hi:[0,0,1]
	v_pk_fma_f32 v[4:5], v[4:5], v[166:167], v[18:19] op_sel_hi:[1,0,1]
	s_nop 0
	v_mov_b32_e32 v21, v5
	s_waitcnt vmcnt(2) lgkmcnt(2)
	v_pk_mul_f32 v[4:5], v[6:7], v[168:169] op_sel:[1,1] op_sel_hi:[0,1]
	v_pk_fma_f32 v[18:19], v[6:7], v[168:169], v[4:5] neg_lo:[0,0,1] neg_hi:[0,0,1]
	v_pk_fma_f32 v[4:5], v[6:7], v[168:169], v[4:5] op_sel_hi:[1,0,1]
	v_pk_add_f32 v[2:3], v[2:3], v[20:21]
	v_mov_b32_e32 v4, v171
	v_mov_b32_e32 v19, v5
	v_pk_mul_f32 v[4:5], v[8:9], v[4:5] op_sel:[1,0] op_sel_hi:[0,0]
	v_pk_fma_f32 v[6:7], v[8:9], v[170:171], v[4:5] neg_lo:[0,0,1] neg_hi:[0,0,1]
	v_pk_fma_f32 v[4:5], v[8:9], v[170:171], v[4:5] op_sel_hi:[1,0,1]
	v_pk_add_f32 v[2:3], v[2:3], v[18:19]
	v_mov_b32_e32 v7, v5
	s_waitcnt vmcnt(1) lgkmcnt(1)
	v_pk_mul_f32 v[4:5], v[10:11], v[172:173] op_sel:[1,1] op_sel_hi:[0,1]
	v_pk_add_f32 v[2:3], v[2:3], v[6:7]
	v_pk_fma_f32 v[6:7], v[10:11], v[172:173], v[4:5] neg_lo:[0,0,1] neg_hi:[0,0,1]
	v_pk_fma_f32 v[4:5], v[10:11], v[172:173], v[4:5] op_sel_hi:[1,0,1]
	s_nop 0
	v_mov_b32_e32 v4, v175
	v_mov_b32_e32 v7, v5
	v_pk_mul_f32 v[4:5], v[12:13], v[4:5] op_sel:[1,0] op_sel_hi:[0,0]
	v_pk_add_f32 v[2:3], v[2:3], v[6:7]
	v_pk_fma_f32 v[6:7], v[12:13], v[174:175], v[4:5] neg_lo:[0,0,1] neg_hi:[0,0,1]
	v_pk_fma_f32 v[4:5], v[12:13], v[174:175], v[4:5] op_sel_hi:[1,0,1]
	s_nop 0
	v_mov_b32_e32 v7, v5
	s_waitcnt vmcnt(0) lgkmcnt(0)
	v_pk_mul_f32 v[4:5], v[14:15], v[176:177] op_sel:[1,1] op_sel_hi:[0,1]
	v_pk_add_f32 v[2:3], v[2:3], v[6:7]
	v_pk_fma_f32 v[6:7], v[14:15], v[176:177], v[4:5] neg_lo:[0,0,1] neg_hi:[0,0,1]
	v_pk_fma_f32 v[4:5], v[14:15], v[176:177], v[4:5] op_sel_hi:[1,0,1]
	s_nop 0
	v_mov_b32_e32 v4, v179
	v_mov_b32_e32 v7, v5
	v_pk_mul_f32 v[4:5], v[16:17], v[4:5] op_sel:[1,0] op_sel_hi:[0,0]
	v_pk_add_f32 v[2:3], v[2:3], v[6:7]
	v_pk_fma_f32 v[6:7], v[16:17], v[178:179], v[4:5] neg_lo:[0,0,1] neg_hi:[0,0,1]
	v_pk_fma_f32 v[4:5], v[16:17], v[178:179], v[4:5] op_sel_hi:[1,0,1]
	s_nop 0
	v_mov_b32_e32 v7, v5
	scratch_load_dwordx2 v[4:5], off, off offset:64
	v_pk_add_f32 v[2:3], v[2:3], v[6:7]
	s_waitcnt vmcnt(0)
	v_pk_add_f32 v[2:3], v[4:5], v[2:3] neg_lo:[0,1] neg_hi:[0,1]
	scratch_store_dwordx2 off, v[2:3], off offset:64
	s_and_saveexec_b64 s[0:1], vcc
	s_cbranch_execz .LBB118_329
; %bb.328:
	scratch_load_dwordx2 v[2:3], off, off offset:56
	v_mov_b32_e32 v4, 0
	v_mov_b32_e32 v5, v4
	scratch_store_dwordx2 off, v[4:5], off offset:56
	s_waitcnt vmcnt(1)
	ds_write_b64 v1, v[2:3]
.LBB118_329:
	s_or_b64 exec, exec, s[0:1]
	v_mov_b32_e32 v118, 0
	s_waitcnt lgkmcnt(0)
	; wave barrier
	ds_read_b128 v[14:17], v118 offset:512
	ds_read_b128 v[10:13], v118 offset:528
	ds_read_b128 v[6:9], v118 offset:544
	ds_read_b128 v[2:5], v118 offset:560
	scratch_load_dwordx4 v[18:21], off, off offset:64
	scratch_load_dwordx4 v[38:41], off, off offset:128
	;; [unrolled: 1-line block ×14, first 2 shown]
	v_cmp_lt_u32_e32 vcc, 6, v0
	scratch_load_dwordx4 v[46:49], off, off offset:144
	scratch_load_dwordx4 v[54:57], off, off offset:160
	;; [unrolled: 1-line block ×3, first 2 shown]
	ds_read_b128 v[156:159], v118 offset:800
	ds_read_b128 v[164:167], v118 offset:816
	s_waitcnt vmcnt(16) lgkmcnt(5)
	v_mul_f32_e32 v22, v14, v19
	v_fmac_f32_e32 v22, v15, v18
	v_mul_f32_e32 v23, v16, v21
	v_add_f32_e32 v22, 0, v22
	v_fmac_f32_e32 v23, v17, v20
	v_add_f32_e32 v26, v22, v23
	scratch_load_dwordx4 v[22:25], off, off offset:80
	v_mul_f32_e32 v15, v15, v19
	v_fma_f32 v14, v14, v18, -v15
	v_mul_f32_e32 v15, v17, v21
	v_add_f32_e32 v14, 0, v14
	v_fma_f32 v15, v16, v20, -v15
	v_add_f32_e32 v14, v14, v15
	s_waitcnt vmcnt(5) lgkmcnt(1)
	v_mul_f32_e32 v185, v158, v163
	s_waitcnt vmcnt(4)
	v_mov_b32_e32 v18, v171
	v_fmac_f32_e32 v185, v159, v162
	s_waitcnt lgkmcnt(0)
	v_mul_f32_e32 v187, v164, v169
	v_pk_mul_f32 v[18:19], v[166:167], v[18:19] op_sel:[1,0] op_sel_hi:[0,0]
	v_fmac_f32_e32 v187, v165, v168
	v_pk_fma_f32 v[20:21], v[166:167], v[170:171], v[18:19] neg_lo:[0,0,1] neg_hi:[0,0,1]
	v_pk_fma_f32 v[18:19], v[166:167], v[170:171], v[18:19] op_sel_hi:[1,0,1]
	s_waitcnt vmcnt(0)
	v_mul_f32_e32 v27, v10, v23
	v_fmac_f32_e32 v27, v11, v22
	v_add_f32_e32 v26, v26, v27
	v_mul_f32_e32 v27, v12, v25
	v_fmac_f32_e32 v27, v13, v24
	v_add_f32_e32 v30, v26, v27
	scratch_load_dwordx4 v[26:29], off, off offset:96
	v_mul_f32_e32 v11, v11, v23
	v_fma_f32 v10, v10, v22, -v11
	v_mul_f32_e32 v11, v13, v25
	v_add_f32_e32 v10, v14, v10
	v_fma_f32 v11, v12, v24, -v11
	v_add_f32_e32 v10, v10, v11
	v_mov_b32_e32 v21, v19
	s_waitcnt vmcnt(0)
	v_mul_f32_e32 v31, v6, v27
	v_fmac_f32_e32 v31, v7, v26
	v_add_f32_e32 v30, v30, v31
	v_mul_f32_e32 v31, v8, v29
	v_fmac_f32_e32 v31, v9, v28
	v_add_f32_e32 v34, v30, v31
	scratch_load_dwordx4 v[30:33], off, off offset:112
	v_mul_f32_e32 v7, v7, v27
	v_fma_f32 v6, v6, v26, -v7
	v_mul_f32_e32 v7, v9, v29
	v_add_f32_e32 v6, v10, v6
	v_fma_f32 v7, v8, v28, -v7
	v_add_f32_e32 v6, v6, v7
	s_waitcnt vmcnt(0)
	v_mul_f32_e32 v35, v2, v31
	v_fmac_f32_e32 v35, v3, v30
	v_add_f32_e32 v34, v34, v35
	v_mul_f32_e32 v35, v4, v33
	v_fmac_f32_e32 v35, v5, v32
	v_add_f32_e32 v42, v34, v35
	ds_read_b128 v[34:37], v118 offset:576
	v_mul_f32_e32 v3, v3, v31
	v_fma_f32 v2, v2, v30, -v3
	v_mul_f32_e32 v3, v5, v33
	v_add_f32_e32 v2, v6, v2
	s_waitcnt lgkmcnt(0)
	v_mul_f32_e32 v43, v34, v39
	v_fmac_f32_e32 v43, v35, v38
	v_add_f32_e32 v42, v42, v43
	v_mul_f32_e32 v43, v36, v41
	v_fmac_f32_e32 v43, v37, v40
	v_add_f32_e32 v50, v42, v43
	ds_read_b128 v[42:45], v118 offset:592
	v_fma_f32 v3, v4, v32, -v3
	v_add_f32_e32 v2, v2, v3
	v_mul_f32_e32 v3, v35, v39
	v_fma_f32 v3, v34, v38, -v3
	s_waitcnt lgkmcnt(0)
	v_mul_f32_e32 v51, v42, v47
	v_fmac_f32_e32 v51, v43, v46
	v_add_f32_e32 v50, v50, v51
	v_mul_f32_e32 v51, v44, v49
	v_fmac_f32_e32 v51, v45, v48
	v_add_f32_e32 v58, v50, v51
	ds_read_b128 v[50:53], v118 offset:608
	v_add_f32_e32 v2, v2, v3
	v_mul_f32_e32 v3, v37, v41
	v_fma_f32 v3, v36, v40, -v3
	v_add_f32_e32 v2, v2, v3
	s_waitcnt lgkmcnt(0)
	v_mul_f32_e32 v59, v50, v55
	v_fmac_f32_e32 v59, v51, v54
	v_add_f32_e32 v58, v58, v59
	v_mul_f32_e32 v59, v52, v57
	v_fmac_f32_e32 v59, v53, v56
	v_add_f32_e32 v66, v58, v59
	ds_read_b128 v[58:61], v118 offset:624
	v_mul_f32_e32 v3, v43, v47
	v_fma_f32 v3, v42, v46, -v3
	v_add_f32_e32 v2, v2, v3
	v_mul_f32_e32 v3, v45, v49
	s_waitcnt lgkmcnt(0)
	v_mul_f32_e32 v67, v58, v63
	v_fmac_f32_e32 v67, v59, v62
	v_add_f32_e32 v66, v66, v67
	v_mul_f32_e32 v67, v60, v65
	v_fmac_f32_e32 v67, v61, v64
	v_add_f32_e32 v74, v66, v67
	ds_read_b128 v[66:69], v118 offset:640
	v_fma_f32 v3, v44, v48, -v3
	v_add_f32_e32 v2, v2, v3
	v_mul_f32_e32 v3, v51, v55
	v_fma_f32 v3, v50, v54, -v3
	s_waitcnt lgkmcnt(0)
	v_mul_f32_e32 v75, v66, v71
	v_fmac_f32_e32 v75, v67, v70
	v_add_f32_e32 v74, v74, v75
	v_mul_f32_e32 v75, v68, v73
	v_fmac_f32_e32 v75, v69, v72
	v_add_f32_e32 v82, v74, v75
	ds_read_b128 v[74:77], v118 offset:656
	v_add_f32_e32 v2, v2, v3
	v_mul_f32_e32 v3, v53, v57
	v_fma_f32 v3, v52, v56, -v3
	v_add_f32_e32 v2, v2, v3
	s_waitcnt lgkmcnt(0)
	v_mul_f32_e32 v83, v74, v79
	v_fmac_f32_e32 v83, v75, v78
	v_add_f32_e32 v82, v82, v83
	v_mul_f32_e32 v83, v76, v81
	v_fmac_f32_e32 v83, v77, v80
	v_add_f32_e32 v90, v82, v83
	ds_read_b128 v[82:85], v118 offset:672
	v_mul_f32_e32 v3, v59, v63
	v_fma_f32 v3, v58, v62, -v3
	v_add_f32_e32 v2, v2, v3
	v_mul_f32_e32 v3, v61, v65
	;; [unrolled: 36-line block ×4, first 2 shown]
	s_waitcnt lgkmcnt(0)
	v_mul_f32_e32 v140, v132, v137
	v_fmac_f32_e32 v140, v133, v136
	v_add_f32_e32 v119, v119, v140
	v_mul_f32_e32 v140, v134, v139
	v_fmac_f32_e32 v140, v135, v138
	v_add_f32_e32 v119, v119, v140
	ds_read_b128 v[140:143], v118 offset:784
	scratch_load_dwordx4 v[172:175], off, off offset:384
	scratch_load_dwordx4 v[176:179], off, off offset:400
	;; [unrolled: 1-line block ×3, first 2 shown]
	scratch_load_dwordx2 v[188:189], off, off offset:432
	v_fma_f32 v3, v92, v96, -v3
	v_add_f32_e32 v2, v2, v3
	v_mul_f32_e32 v3, v99, v103
	v_fma_f32 v3, v98, v102, -v3
	v_add_f32_e32 v2, v2, v3
	v_mul_f32_e32 v3, v101, v105
	;; [unrolled: 3-line block ×10, first 2 shown]
	v_fma_f32 v3, v134, v138, -v3
	s_waitcnt lgkmcnt(0)
	v_mul_f32_e32 v148, v140, v145
	v_add_f32_e32 v2, v2, v3
	v_mul_f32_e32 v3, v141, v145
	v_fmac_f32_e32 v148, v141, v144
	v_fma_f32 v3, v140, v144, -v3
	v_add_f32_e32 v119, v119, v148
	v_mul_f32_e32 v148, v142, v147
	v_add_f32_e32 v2, v2, v3
	v_mul_f32_e32 v3, v143, v147
	v_fmac_f32_e32 v148, v143, v146
	v_fma_f32 v3, v142, v146, -v3
	v_add_f32_e32 v119, v119, v148
	;; [unrolled: 6-line block ×3, first 2 shown]
	v_add_f32_e32 v148, v2, v3
	v_mul_f32_e32 v2, v159, v163
	v_fma_f32 v184, v158, v162, -v2
	v_mul_f32_e32 v2, v165, v169
	v_fma_f32 v186, v164, v168, -v2
	ds_read_b128 v[2:5], v118 offset:832
	ds_read_b128 v[6:9], v118 offset:848
	;; [unrolled: 1-line block ×3, first 2 shown]
	ds_read_b64 v[14:15], v118 offset:880
	v_pk_add_f32 v[16:17], v[148:149], v[184:185]
	s_waitcnt vmcnt(3) lgkmcnt(3)
	v_pk_mul_f32 v[18:19], v[2:3], v[172:173] op_sel:[1,1] op_sel_hi:[0,1]
	v_pk_add_f32 v[16:17], v[16:17], v[186:187]
	s_nop 0
	v_pk_add_f32 v[16:17], v[16:17], v[20:21]
	v_pk_fma_f32 v[20:21], v[2:3], v[172:173], v[18:19] neg_lo:[0,0,1] neg_hi:[0,0,1]
	v_pk_fma_f32 v[2:3], v[2:3], v[172:173], v[18:19] op_sel_hi:[1,0,1]
	s_nop 0
	v_mov_b32_e32 v21, v3
	v_pk_add_f32 v[2:3], v[16:17], v[20:21]
	v_mov_b32_e32 v16, v175
	v_pk_mul_f32 v[16:17], v[4:5], v[16:17] op_sel:[1,0] op_sel_hi:[0,0]
	v_pk_fma_f32 v[18:19], v[4:5], v[174:175], v[16:17] neg_lo:[0,0,1] neg_hi:[0,0,1]
	v_pk_fma_f32 v[4:5], v[4:5], v[174:175], v[16:17] op_sel_hi:[1,0,1]
	s_nop 0
	v_mov_b32_e32 v19, v5
	s_waitcnt vmcnt(2) lgkmcnt(2)
	v_pk_mul_f32 v[4:5], v[6:7], v[176:177] op_sel:[1,1] op_sel_hi:[0,1]
	v_pk_fma_f32 v[16:17], v[6:7], v[176:177], v[4:5] neg_lo:[0,0,1] neg_hi:[0,0,1]
	v_pk_fma_f32 v[4:5], v[6:7], v[176:177], v[4:5] op_sel_hi:[1,0,1]
	v_pk_add_f32 v[2:3], v[2:3], v[18:19]
	v_mov_b32_e32 v4, v179
	v_mov_b32_e32 v17, v5
	v_pk_mul_f32 v[4:5], v[8:9], v[4:5] op_sel:[1,0] op_sel_hi:[0,0]
	v_pk_fma_f32 v[6:7], v[8:9], v[178:179], v[4:5] neg_lo:[0,0,1] neg_hi:[0,0,1]
	v_pk_fma_f32 v[4:5], v[8:9], v[178:179], v[4:5] op_sel_hi:[1,0,1]
	v_pk_add_f32 v[2:3], v[2:3], v[16:17]
	v_mov_b32_e32 v7, v5
	s_waitcnt vmcnt(1) lgkmcnt(1)
	v_pk_mul_f32 v[4:5], v[10:11], v[180:181] op_sel:[1,1] op_sel_hi:[0,1]
	v_pk_add_f32 v[2:3], v[2:3], v[6:7]
	v_pk_fma_f32 v[6:7], v[10:11], v[180:181], v[4:5] neg_lo:[0,0,1] neg_hi:[0,0,1]
	v_pk_fma_f32 v[4:5], v[10:11], v[180:181], v[4:5] op_sel_hi:[1,0,1]
	s_nop 0
	v_mov_b32_e32 v4, v183
	v_mov_b32_e32 v7, v5
	v_pk_mul_f32 v[4:5], v[12:13], v[4:5] op_sel:[1,0] op_sel_hi:[0,0]
	v_pk_add_f32 v[2:3], v[2:3], v[6:7]
	v_pk_fma_f32 v[6:7], v[12:13], v[182:183], v[4:5] neg_lo:[0,0,1] neg_hi:[0,0,1]
	v_pk_fma_f32 v[4:5], v[12:13], v[182:183], v[4:5] op_sel_hi:[1,0,1]
	s_nop 0
	v_mov_b32_e32 v7, v5
	s_waitcnt vmcnt(0) lgkmcnt(0)
	v_pk_mul_f32 v[4:5], v[14:15], v[188:189] op_sel:[1,1] op_sel_hi:[0,1]
	v_pk_add_f32 v[2:3], v[2:3], v[6:7]
	v_pk_fma_f32 v[6:7], v[14:15], v[188:189], v[4:5] neg_lo:[0,0,1] neg_hi:[0,0,1]
	v_pk_fma_f32 v[4:5], v[14:15], v[188:189], v[4:5] op_sel_hi:[1,0,1]
	s_nop 0
	v_mov_b32_e32 v7, v5
	scratch_load_dwordx2 v[4:5], off, off offset:56
	v_pk_add_f32 v[2:3], v[2:3], v[6:7]
	s_waitcnt vmcnt(0)
	v_pk_add_f32 v[2:3], v[4:5], v[2:3] neg_lo:[0,1] neg_hi:[0,1]
	scratch_store_dwordx2 off, v[2:3], off offset:56
	s_and_saveexec_b64 s[0:1], vcc
	s_cbranch_execz .LBB118_331
; %bb.330:
	scratch_load_dwordx2 v[2:3], off, off offset:48
	v_mov_b32_e32 v119, v118
	scratch_store_dwordx2 off, v[118:119], off offset:48
	s_waitcnt vmcnt(1)
	ds_write_b64 v1, v[2:3]
.LBB118_331:
	s_or_b64 exec, exec, s[0:1]
	s_waitcnt lgkmcnt(0)
	; wave barrier
	scratch_load_dwordx4 v[6:9], off, off offset:56
	scratch_load_dwordx4 v[14:17], off, off offset:72
	;; [unrolled: 1-line block ×10, first 2 shown]
	ds_read2_b64 v[2:5], v118 offset0:63 offset1:64
	ds_read2_b64 v[156:159], v118 offset0:99 offset1:100
	scratch_load_dwordx4 v[86:89], off, off offset:216
	scratch_load_dwordx4 v[94:97], off, off offset:232
	scratch_load_dwordx4 v[102:105], off, off offset:248
	scratch_load_dwordx4 v[110:113], off, off offset:264
	scratch_load_dwordx4 v[120:123], off, off offset:280
	scratch_load_dwordx4 v[128:131], off, off offset:296
	scratch_load_dwordx4 v[136:139], off, off offset:312
	scratch_load_dwordx4 v[144:147], off, off offset:328
	scratch_load_dwordx4 v[160:163], off, off offset:344
	scratch_load_dwordx4 v[168:171], off, off offset:360
	v_cmp_lt_u32_e32 vcc, 5, v0
	ds_read2_b64 v[164:167], v118 offset0:101 offset1:102
	s_waitcnt vmcnt(19) lgkmcnt(2)
	v_mul_f32_e32 v10, v2, v7
	v_fmac_f32_e32 v10, v3, v6
	v_mul_f32_e32 v11, v4, v9
	v_add_f32_e32 v10, 0, v10
	v_fmac_f32_e32 v11, v5, v8
	v_add_f32_e32 v18, v10, v11
	ds_read2_b64 v[10:13], v118 offset0:65 offset1:66
	v_mul_f32_e32 v3, v3, v7
	v_fma_f32 v2, v2, v6, -v3
	v_mul_f32_e32 v3, v5, v9
	v_add_f32_e32 v2, 0, v2
	s_waitcnt vmcnt(18) lgkmcnt(0)
	v_mul_f32_e32 v19, v10, v15
	v_fmac_f32_e32 v19, v11, v14
	v_add_f32_e32 v18, v18, v19
	v_mul_f32_e32 v19, v12, v17
	v_fmac_f32_e32 v19, v13, v16
	v_add_f32_e32 v26, v18, v19
	ds_read2_b64 v[18:21], v118 offset0:67 offset1:68
	v_fma_f32 v3, v4, v8, -v3
	v_add_f32_e32 v2, v2, v3
	v_mul_f32_e32 v3, v11, v15
	v_fma_f32 v3, v10, v14, -v3
	s_waitcnt vmcnt(17) lgkmcnt(0)
	v_mul_f32_e32 v27, v18, v23
	v_fmac_f32_e32 v27, v19, v22
	v_add_f32_e32 v26, v26, v27
	v_mul_f32_e32 v27, v20, v25
	v_fmac_f32_e32 v27, v21, v24
	v_add_f32_e32 v34, v26, v27
	ds_read2_b64 v[26:29], v118 offset0:69 offset1:70
	v_add_f32_e32 v2, v2, v3
	v_mul_f32_e32 v3, v13, v17
	v_fma_f32 v3, v12, v16, -v3
	v_add_f32_e32 v2, v2, v3
	s_waitcnt vmcnt(16) lgkmcnt(0)
	v_mul_f32_e32 v35, v26, v31
	v_fmac_f32_e32 v35, v27, v30
	v_add_f32_e32 v34, v34, v35
	v_mul_f32_e32 v35, v28, v33
	v_fmac_f32_e32 v35, v29, v32
	v_add_f32_e32 v42, v34, v35
	ds_read2_b64 v[34:37], v118 offset0:71 offset1:72
	v_mul_f32_e32 v3, v19, v23
	v_fma_f32 v3, v18, v22, -v3
	v_add_f32_e32 v2, v2, v3
	v_mul_f32_e32 v3, v21, v25
	s_waitcnt vmcnt(15) lgkmcnt(0)
	v_mul_f32_e32 v43, v34, v39
	v_fmac_f32_e32 v43, v35, v38
	v_add_f32_e32 v42, v42, v43
	v_mul_f32_e32 v43, v36, v41
	v_fmac_f32_e32 v43, v37, v40
	v_add_f32_e32 v50, v42, v43
	ds_read2_b64 v[42:45], v118 offset0:73 offset1:74
	v_fma_f32 v3, v20, v24, -v3
	v_add_f32_e32 v2, v2, v3
	v_mul_f32_e32 v3, v27, v31
	v_fma_f32 v3, v26, v30, -v3
	s_waitcnt vmcnt(14) lgkmcnt(0)
	v_mul_f32_e32 v51, v42, v47
	v_fmac_f32_e32 v51, v43, v46
	v_add_f32_e32 v50, v50, v51
	v_mul_f32_e32 v51, v44, v49
	v_fmac_f32_e32 v51, v45, v48
	v_add_f32_e32 v58, v50, v51
	ds_read2_b64 v[50:53], v118 offset0:75 offset1:76
	v_add_f32_e32 v2, v2, v3
	v_mul_f32_e32 v3, v29, v33
	v_fma_f32 v3, v28, v32, -v3
	v_add_f32_e32 v2, v2, v3
	s_waitcnt vmcnt(13) lgkmcnt(0)
	v_mul_f32_e32 v59, v50, v55
	v_fmac_f32_e32 v59, v51, v54
	v_add_f32_e32 v58, v58, v59
	v_mul_f32_e32 v59, v52, v57
	v_fmac_f32_e32 v59, v53, v56
	v_add_f32_e32 v66, v58, v59
	ds_read2_b64 v[58:61], v118 offset0:77 offset1:78
	v_mul_f32_e32 v3, v35, v39
	v_fma_f32 v3, v34, v38, -v3
	v_add_f32_e32 v2, v2, v3
	v_mul_f32_e32 v3, v37, v41
	s_waitcnt vmcnt(12) lgkmcnt(0)
	v_mul_f32_e32 v67, v58, v63
	v_fmac_f32_e32 v67, v59, v62
	v_add_f32_e32 v66, v66, v67
	v_mul_f32_e32 v67, v60, v65
	v_fmac_f32_e32 v67, v61, v64
	v_add_f32_e32 v74, v66, v67
	ds_read2_b64 v[66:69], v118 offset0:79 offset1:80
	v_fma_f32 v3, v36, v40, -v3
	v_add_f32_e32 v2, v2, v3
	v_mul_f32_e32 v3, v43, v47
	v_fma_f32 v3, v42, v46, -v3
	s_waitcnt vmcnt(11) lgkmcnt(0)
	v_mul_f32_e32 v75, v66, v71
	v_fmac_f32_e32 v75, v67, v70
	v_add_f32_e32 v74, v74, v75
	v_mul_f32_e32 v75, v68, v73
	v_fmac_f32_e32 v75, v69, v72
	v_add_f32_e32 v82, v74, v75
	ds_read2_b64 v[74:77], v118 offset0:81 offset1:82
	v_add_f32_e32 v2, v2, v3
	v_mul_f32_e32 v3, v45, v49
	v_fma_f32 v3, v44, v48, -v3
	v_add_f32_e32 v2, v2, v3
	s_waitcnt vmcnt(10) lgkmcnt(0)
	v_mul_f32_e32 v83, v74, v79
	v_fmac_f32_e32 v83, v75, v78
	v_add_f32_e32 v82, v82, v83
	v_mul_f32_e32 v83, v76, v81
	v_fmac_f32_e32 v83, v77, v80
	v_add_f32_e32 v90, v82, v83
	ds_read2_b64 v[82:85], v118 offset0:83 offset1:84
	v_mul_f32_e32 v3, v51, v55
	v_fma_f32 v3, v50, v54, -v3
	v_add_f32_e32 v2, v2, v3
	v_mul_f32_e32 v3, v53, v57
	s_waitcnt vmcnt(9) lgkmcnt(0)
	v_mul_f32_e32 v91, v82, v87
	v_fmac_f32_e32 v91, v83, v86
	v_add_f32_e32 v90, v90, v91
	v_mul_f32_e32 v91, v84, v89
	v_fmac_f32_e32 v91, v85, v88
	v_add_f32_e32 v98, v90, v91
	ds_read2_b64 v[90:93], v118 offset0:85 offset1:86
	v_fma_f32 v3, v52, v56, -v3
	v_add_f32_e32 v2, v2, v3
	v_mul_f32_e32 v3, v59, v63
	v_fma_f32 v3, v58, v62, -v3
	s_waitcnt vmcnt(8) lgkmcnt(0)
	v_mul_f32_e32 v99, v90, v95
	v_fmac_f32_e32 v99, v91, v94
	v_add_f32_e32 v98, v98, v99
	v_mul_f32_e32 v99, v92, v97
	v_fmac_f32_e32 v99, v93, v96
	v_add_f32_e32 v106, v98, v99
	ds_read2_b64 v[98:101], v118 offset0:87 offset1:88
	v_add_f32_e32 v2, v2, v3
	v_mul_f32_e32 v3, v61, v65
	v_fma_f32 v3, v60, v64, -v3
	v_add_f32_e32 v2, v2, v3
	s_waitcnt vmcnt(7) lgkmcnt(0)
	v_mul_f32_e32 v107, v98, v103
	v_fmac_f32_e32 v107, v99, v102
	v_add_f32_e32 v106, v106, v107
	v_mul_f32_e32 v107, v100, v105
	v_fmac_f32_e32 v107, v101, v104
	v_add_f32_e32 v114, v106, v107
	ds_read2_b64 v[106:109], v118 offset0:89 offset1:90
	v_mul_f32_e32 v3, v67, v71
	v_fma_f32 v3, v66, v70, -v3
	v_add_f32_e32 v2, v2, v3
	v_mul_f32_e32 v3, v69, v73
	s_waitcnt vmcnt(6) lgkmcnt(0)
	v_mul_f32_e32 v115, v106, v111
	v_fmac_f32_e32 v115, v107, v110
	v_add_f32_e32 v114, v114, v115
	v_mul_f32_e32 v115, v108, v113
	v_fmac_f32_e32 v115, v109, v112
	v_add_f32_e32 v119, v114, v115
	ds_read2_b64 v[114:117], v118 offset0:91 offset1:92
	v_fma_f32 v3, v68, v72, -v3
	v_add_f32_e32 v2, v2, v3
	v_mul_f32_e32 v3, v75, v79
	v_fma_f32 v3, v74, v78, -v3
	s_waitcnt vmcnt(5) lgkmcnt(0)
	v_mul_f32_e32 v124, v114, v121
	v_fmac_f32_e32 v124, v115, v120
	v_add_f32_e32 v119, v119, v124
	v_mul_f32_e32 v124, v116, v123
	v_fmac_f32_e32 v124, v117, v122
	v_add_f32_e32 v119, v119, v124
	ds_read2_b64 v[124:127], v118 offset0:93 offset1:94
	v_add_f32_e32 v2, v2, v3
	v_mul_f32_e32 v3, v77, v81
	v_fma_f32 v3, v76, v80, -v3
	v_add_f32_e32 v2, v2, v3
	s_waitcnt vmcnt(4) lgkmcnt(0)
	v_mul_f32_e32 v132, v124, v129
	v_fmac_f32_e32 v132, v125, v128
	v_add_f32_e32 v119, v119, v132
	v_mul_f32_e32 v132, v126, v131
	v_fmac_f32_e32 v132, v127, v130
	v_add_f32_e32 v119, v119, v132
	ds_read2_b64 v[132:135], v118 offset0:95 offset1:96
	v_mul_f32_e32 v3, v83, v87
	v_fma_f32 v3, v82, v86, -v3
	v_add_f32_e32 v2, v2, v3
	v_mul_f32_e32 v3, v85, v89
	s_waitcnt vmcnt(3) lgkmcnt(0)
	v_mul_f32_e32 v140, v132, v137
	v_fmac_f32_e32 v140, v133, v136
	v_add_f32_e32 v119, v119, v140
	v_mul_f32_e32 v140, v134, v139
	v_fmac_f32_e32 v140, v135, v138
	v_add_f32_e32 v119, v119, v140
	ds_read2_b64 v[140:143], v118 offset0:97 offset1:98
	scratch_load_dwordx4 v[172:175], off, off offset:376
	scratch_load_dwordx4 v[176:179], off, off offset:392
	;; [unrolled: 1-line block ×4, first 2 shown]
	v_fma_f32 v3, v84, v88, -v3
	v_add_f32_e32 v2, v2, v3
	v_mul_f32_e32 v3, v91, v95
	v_fma_f32 v3, v90, v94, -v3
	v_add_f32_e32 v2, v2, v3
	v_mul_f32_e32 v3, v93, v97
	;; [unrolled: 3-line block ×12, first 2 shown]
	v_fma_f32 v3, v134, v138, -v3
	s_waitcnt vmcnt(6) lgkmcnt(0)
	v_mul_f32_e32 v148, v140, v145
	v_add_f32_e32 v2, v2, v3
	v_mul_f32_e32 v3, v141, v145
	v_fmac_f32_e32 v148, v141, v144
	v_fma_f32 v3, v140, v144, -v3
	v_add_f32_e32 v119, v119, v148
	v_mul_f32_e32 v148, v142, v147
	v_add_f32_e32 v2, v2, v3
	v_mul_f32_e32 v3, v143, v147
	v_fmac_f32_e32 v148, v143, v146
	v_fma_f32 v3, v142, v146, -v3
	v_add_f32_e32 v119, v119, v148
	s_waitcnt vmcnt(5)
	v_mul_f32_e32 v148, v156, v161
	v_add_f32_e32 v2, v2, v3
	v_mul_f32_e32 v3, v157, v161
	v_fmac_f32_e32 v148, v157, v160
	v_fma_f32 v3, v156, v160, -v3
	v_add_f32_e32 v119, v119, v148
	v_mul_f32_e32 v148, v158, v163
	v_add_f32_e32 v2, v2, v3
	v_mul_f32_e32 v3, v159, v163
	v_fmac_f32_e32 v148, v159, v162
	v_fma_f32 v3, v158, v162, -v3
	v_add_f32_e32 v149, v119, v148
	v_add_f32_e32 v148, v2, v3
	s_waitcnt vmcnt(4)
	v_mul_f32_e32 v2, v165, v169
	v_fma_f32 v188, v164, v168, -v2
	v_mul_f32_e32 v2, v167, v171
	v_fma_f32 v190, v166, v170, -v2
	ds_read2_b64 v[2:5], v118 offset0:103 offset1:104
	ds_read2_b64 v[6:9], v118 offset0:105 offset1:106
	;; [unrolled: 1-line block ×4, first 2 shown]
	v_mul_f32_e32 v189, v164, v169
	v_fmac_f32_e32 v189, v165, v168
	v_mul_f32_e32 v191, v166, v171
	v_fmac_f32_e32 v191, v167, v170
	v_pk_add_f32 v[18:19], v[148:149], v[188:189]
	s_waitcnt vmcnt(3) lgkmcnt(3)
	v_pk_mul_f32 v[20:21], v[2:3], v[172:173] op_sel:[1,1] op_sel_hi:[0,1]
	v_pk_fma_f32 v[22:23], v[2:3], v[172:173], v[20:21] neg_lo:[0,0,1] neg_hi:[0,0,1]
	v_pk_fma_f32 v[2:3], v[2:3], v[172:173], v[20:21] op_sel_hi:[1,0,1]
	v_pk_add_f32 v[18:19], v[18:19], v[190:191]
	v_mov_b32_e32 v23, v3
	v_pk_add_f32 v[2:3], v[18:19], v[22:23]
	v_mov_b32_e32 v18, v175
	v_pk_mul_f32 v[18:19], v[4:5], v[18:19] op_sel:[1,0] op_sel_hi:[0,0]
	v_pk_fma_f32 v[20:21], v[4:5], v[174:175], v[18:19] neg_lo:[0,0,1] neg_hi:[0,0,1]
	v_pk_fma_f32 v[4:5], v[4:5], v[174:175], v[18:19] op_sel_hi:[1,0,1]
	s_nop 0
	v_mov_b32_e32 v21, v5
	s_waitcnt vmcnt(2) lgkmcnt(2)
	v_pk_mul_f32 v[4:5], v[6:7], v[176:177] op_sel:[1,1] op_sel_hi:[0,1]
	v_pk_fma_f32 v[18:19], v[6:7], v[176:177], v[4:5] neg_lo:[0,0,1] neg_hi:[0,0,1]
	v_pk_fma_f32 v[4:5], v[6:7], v[176:177], v[4:5] op_sel_hi:[1,0,1]
	v_pk_add_f32 v[2:3], v[2:3], v[20:21]
	v_mov_b32_e32 v4, v179
	v_mov_b32_e32 v19, v5
	v_pk_mul_f32 v[4:5], v[8:9], v[4:5] op_sel:[1,0] op_sel_hi:[0,0]
	v_pk_fma_f32 v[6:7], v[8:9], v[178:179], v[4:5] neg_lo:[0,0,1] neg_hi:[0,0,1]
	v_pk_fma_f32 v[4:5], v[8:9], v[178:179], v[4:5] op_sel_hi:[1,0,1]
	v_pk_add_f32 v[2:3], v[2:3], v[18:19]
	v_mov_b32_e32 v7, v5
	s_waitcnt vmcnt(1) lgkmcnt(1)
	v_pk_mul_f32 v[4:5], v[10:11], v[180:181] op_sel:[1,1] op_sel_hi:[0,1]
	v_pk_add_f32 v[2:3], v[2:3], v[6:7]
	v_pk_fma_f32 v[6:7], v[10:11], v[180:181], v[4:5] neg_lo:[0,0,1] neg_hi:[0,0,1]
	v_pk_fma_f32 v[4:5], v[10:11], v[180:181], v[4:5] op_sel_hi:[1,0,1]
	s_nop 0
	v_mov_b32_e32 v4, v183
	v_mov_b32_e32 v7, v5
	v_pk_mul_f32 v[4:5], v[12:13], v[4:5] op_sel:[1,0] op_sel_hi:[0,0]
	v_pk_add_f32 v[2:3], v[2:3], v[6:7]
	v_pk_fma_f32 v[6:7], v[12:13], v[182:183], v[4:5] neg_lo:[0,0,1] neg_hi:[0,0,1]
	v_pk_fma_f32 v[4:5], v[12:13], v[182:183], v[4:5] op_sel_hi:[1,0,1]
	s_nop 0
	v_mov_b32_e32 v7, v5
	s_waitcnt vmcnt(0) lgkmcnt(0)
	v_pk_mul_f32 v[4:5], v[14:15], v[184:185] op_sel:[1,1] op_sel_hi:[0,1]
	v_pk_add_f32 v[2:3], v[2:3], v[6:7]
	v_pk_fma_f32 v[6:7], v[14:15], v[184:185], v[4:5] neg_lo:[0,0,1] neg_hi:[0,0,1]
	v_pk_fma_f32 v[4:5], v[14:15], v[184:185], v[4:5] op_sel_hi:[1,0,1]
	s_nop 0
	v_mov_b32_e32 v4, v187
	v_mov_b32_e32 v7, v5
	v_pk_mul_f32 v[4:5], v[16:17], v[4:5] op_sel:[1,0] op_sel_hi:[0,0]
	v_pk_add_f32 v[2:3], v[2:3], v[6:7]
	v_pk_fma_f32 v[6:7], v[16:17], v[186:187], v[4:5] neg_lo:[0,0,1] neg_hi:[0,0,1]
	v_pk_fma_f32 v[4:5], v[16:17], v[186:187], v[4:5] op_sel_hi:[1,0,1]
	s_nop 0
	v_mov_b32_e32 v7, v5
	scratch_load_dwordx2 v[4:5], off, off offset:48
	v_pk_add_f32 v[2:3], v[2:3], v[6:7]
	s_waitcnt vmcnt(0)
	v_pk_add_f32 v[2:3], v[4:5], v[2:3] neg_lo:[0,1] neg_hi:[0,1]
	scratch_store_dwordx2 off, v[2:3], off offset:48
	s_and_saveexec_b64 s[0:1], vcc
	s_cbranch_execz .LBB118_333
; %bb.332:
	scratch_load_dwordx2 v[2:3], off, off offset:40
	v_mov_b32_e32 v4, 0
	v_mov_b32_e32 v5, v4
	scratch_store_dwordx2 off, v[4:5], off offset:40
	s_waitcnt vmcnt(1)
	ds_write_b64 v1, v[2:3]
.LBB118_333:
	s_or_b64 exec, exec, s[0:1]
	v_mov_b32_e32 v134, 0
	s_waitcnt lgkmcnt(0)
	; wave barrier
	ds_read_b128 v[14:17], v134 offset:496
	ds_read_b128 v[10:13], v134 offset:512
	ds_read_b128 v[6:9], v134 offset:528
	ds_read_b128 v[2:5], v134 offset:544
	scratch_load_dwordx4 v[18:21], off, off offset:48
	scratch_load_dwordx4 v[38:41], off, off offset:112
	;; [unrolled: 1-line block ×15, first 2 shown]
	v_cmp_lt_u32_e32 vcc, 4, v0
	scratch_load_dwordx4 v[46:49], off, off offset:128
	scratch_load_dwordx4 v[54:57], off, off offset:144
	;; [unrolled: 1-line block ×3, first 2 shown]
	ds_read_b128 v[156:159], v134 offset:784
	ds_read_b128 v[164:167], v134 offset:800
	;; [unrolled: 1-line block ×3, first 2 shown]
	s_waitcnt vmcnt(17) lgkmcnt(6)
	v_mul_f32_e32 v22, v14, v19
	v_fmac_f32_e32 v22, v15, v18
	v_mul_f32_e32 v23, v16, v21
	v_add_f32_e32 v22, 0, v22
	v_fmac_f32_e32 v23, v17, v20
	v_add_f32_e32 v26, v22, v23
	scratch_load_dwordx4 v[22:25], off, off offset:64
	v_mul_f32_e32 v15, v15, v19
	v_fma_f32 v14, v14, v18, -v15
	v_mul_f32_e32 v15, v17, v21
	v_add_f32_e32 v14, 0, v14
	v_fma_f32 v15, v16, v20, -v15
	v_add_f32_e32 v14, v14, v15
	s_waitcnt vmcnt(5) lgkmcnt(1)
	v_mul_f32_e32 v193, v166, v171
	s_waitcnt vmcnt(4)
	v_mov_b32_e32 v18, v179
	v_fmac_f32_e32 v193, v167, v170
	s_waitcnt lgkmcnt(0)
	v_mul_f32_e32 v195, v172, v177
	v_pk_mul_f32 v[18:19], v[174:175], v[18:19] op_sel:[1,0] op_sel_hi:[0,0]
	v_fmac_f32_e32 v195, v173, v176
	v_pk_fma_f32 v[20:21], v[174:175], v[178:179], v[18:19] neg_lo:[0,0,1] neg_hi:[0,0,1]
	v_pk_fma_f32 v[18:19], v[174:175], v[178:179], v[18:19] op_sel_hi:[1,0,1]
	s_waitcnt vmcnt(0)
	v_mul_f32_e32 v27, v10, v23
	v_fmac_f32_e32 v27, v11, v22
	v_add_f32_e32 v26, v26, v27
	v_mul_f32_e32 v27, v12, v25
	v_fmac_f32_e32 v27, v13, v24
	v_add_f32_e32 v30, v26, v27
	scratch_load_dwordx4 v[26:29], off, off offset:80
	v_mul_f32_e32 v11, v11, v23
	v_fma_f32 v10, v10, v22, -v11
	v_mul_f32_e32 v11, v13, v25
	v_add_f32_e32 v10, v14, v10
	v_fma_f32 v11, v12, v24, -v11
	v_add_f32_e32 v10, v10, v11
	v_mov_b32_e32 v21, v19
	s_waitcnt vmcnt(0)
	v_mul_f32_e32 v31, v6, v27
	v_fmac_f32_e32 v31, v7, v26
	v_add_f32_e32 v30, v30, v31
	v_mul_f32_e32 v31, v8, v29
	v_fmac_f32_e32 v31, v9, v28
	v_add_f32_e32 v34, v30, v31
	scratch_load_dwordx4 v[30:33], off, off offset:96
	v_mul_f32_e32 v7, v7, v27
	v_fma_f32 v6, v6, v26, -v7
	v_mul_f32_e32 v7, v9, v29
	v_add_f32_e32 v6, v10, v6
	v_fma_f32 v7, v8, v28, -v7
	v_add_f32_e32 v6, v6, v7
	s_waitcnt vmcnt(0)
	v_mul_f32_e32 v35, v2, v31
	v_fmac_f32_e32 v35, v3, v30
	v_add_f32_e32 v34, v34, v35
	v_mul_f32_e32 v35, v4, v33
	v_fmac_f32_e32 v35, v5, v32
	v_add_f32_e32 v42, v34, v35
	ds_read_b128 v[34:37], v134 offset:560
	v_mul_f32_e32 v3, v3, v31
	v_fma_f32 v2, v2, v30, -v3
	v_mul_f32_e32 v3, v5, v33
	v_add_f32_e32 v2, v6, v2
	s_waitcnt lgkmcnt(0)
	v_mul_f32_e32 v43, v34, v39
	v_fmac_f32_e32 v43, v35, v38
	v_add_f32_e32 v42, v42, v43
	v_mul_f32_e32 v43, v36, v41
	v_fmac_f32_e32 v43, v37, v40
	v_add_f32_e32 v50, v42, v43
	ds_read_b128 v[42:45], v134 offset:576
	v_fma_f32 v3, v4, v32, -v3
	v_add_f32_e32 v2, v2, v3
	v_mul_f32_e32 v3, v35, v39
	v_fma_f32 v3, v34, v38, -v3
	s_waitcnt lgkmcnt(0)
	v_mul_f32_e32 v51, v42, v47
	v_fmac_f32_e32 v51, v43, v46
	v_add_f32_e32 v50, v50, v51
	v_mul_f32_e32 v51, v44, v49
	v_fmac_f32_e32 v51, v45, v48
	v_add_f32_e32 v58, v50, v51
	ds_read_b128 v[50:53], v134 offset:592
	v_add_f32_e32 v2, v2, v3
	v_mul_f32_e32 v3, v37, v41
	v_fma_f32 v3, v36, v40, -v3
	v_add_f32_e32 v2, v2, v3
	s_waitcnt lgkmcnt(0)
	v_mul_f32_e32 v59, v50, v55
	v_fmac_f32_e32 v59, v51, v54
	v_add_f32_e32 v58, v58, v59
	v_mul_f32_e32 v59, v52, v57
	v_fmac_f32_e32 v59, v53, v56
	v_add_f32_e32 v66, v58, v59
	ds_read_b128 v[58:61], v134 offset:608
	v_mul_f32_e32 v3, v43, v47
	v_fma_f32 v3, v42, v46, -v3
	v_add_f32_e32 v2, v2, v3
	v_mul_f32_e32 v3, v45, v49
	s_waitcnt lgkmcnt(0)
	v_mul_f32_e32 v67, v58, v63
	v_fmac_f32_e32 v67, v59, v62
	v_add_f32_e32 v66, v66, v67
	v_mul_f32_e32 v67, v60, v65
	v_fmac_f32_e32 v67, v61, v64
	v_add_f32_e32 v74, v66, v67
	ds_read_b128 v[66:69], v134 offset:624
	v_fma_f32 v3, v44, v48, -v3
	v_add_f32_e32 v2, v2, v3
	v_mul_f32_e32 v3, v51, v55
	v_fma_f32 v3, v50, v54, -v3
	s_waitcnt lgkmcnt(0)
	v_mul_f32_e32 v75, v66, v71
	v_fmac_f32_e32 v75, v67, v70
	v_add_f32_e32 v74, v74, v75
	v_mul_f32_e32 v75, v68, v73
	v_fmac_f32_e32 v75, v69, v72
	v_add_f32_e32 v82, v74, v75
	ds_read_b128 v[74:77], v134 offset:640
	v_add_f32_e32 v2, v2, v3
	v_mul_f32_e32 v3, v53, v57
	v_fma_f32 v3, v52, v56, -v3
	v_add_f32_e32 v2, v2, v3
	s_waitcnt lgkmcnt(0)
	v_mul_f32_e32 v83, v74, v79
	v_fmac_f32_e32 v83, v75, v78
	v_add_f32_e32 v82, v82, v83
	v_mul_f32_e32 v83, v76, v81
	v_fmac_f32_e32 v83, v77, v80
	v_add_f32_e32 v90, v82, v83
	ds_read_b128 v[82:85], v134 offset:656
	v_mul_f32_e32 v3, v59, v63
	v_fma_f32 v3, v58, v62, -v3
	v_add_f32_e32 v2, v2, v3
	v_mul_f32_e32 v3, v61, v65
	;; [unrolled: 36-line block ×4, first 2 shown]
	s_waitcnt lgkmcnt(0)
	v_mul_f32_e32 v140, v130, v137
	v_fmac_f32_e32 v140, v131, v136
	v_add_f32_e32 v135, v135, v140
	v_mul_f32_e32 v140, v132, v139
	v_fmac_f32_e32 v140, v133, v138
	v_add_f32_e32 v135, v135, v140
	ds_read_b128 v[140:143], v134 offset:768
	scratch_load_dwordx4 v[180:183], off, off offset:384
	scratch_load_dwordx4 v[184:187], off, off offset:400
	;; [unrolled: 1-line block ×3, first 2 shown]
	scratch_load_dwordx2 v[196:197], off, off offset:432
	v_fma_f32 v3, v92, v96, -v3
	v_add_f32_e32 v2, v2, v3
	v_mul_f32_e32 v3, v99, v103
	v_fma_f32 v3, v98, v102, -v3
	v_add_f32_e32 v2, v2, v3
	v_mul_f32_e32 v3, v101, v105
	;; [unrolled: 3-line block ×10, first 2 shown]
	v_fma_f32 v3, v132, v138, -v3
	s_waitcnt lgkmcnt(0)
	v_mul_f32_e32 v148, v140, v145
	v_add_f32_e32 v2, v2, v3
	v_mul_f32_e32 v3, v141, v145
	v_fmac_f32_e32 v148, v141, v144
	v_fma_f32 v3, v140, v144, -v3
	v_add_f32_e32 v135, v135, v148
	v_mul_f32_e32 v148, v142, v147
	v_add_f32_e32 v2, v2, v3
	v_mul_f32_e32 v3, v143, v147
	v_fmac_f32_e32 v148, v143, v146
	v_fma_f32 v3, v142, v146, -v3
	v_add_f32_e32 v135, v135, v148
	;; [unrolled: 6-line block ×5, first 2 shown]
	v_add_f32_e32 v148, v2, v3
	v_mul_f32_e32 v2, v167, v171
	v_fma_f32 v192, v166, v170, -v2
	v_mul_f32_e32 v2, v173, v177
	v_fma_f32 v194, v172, v176, -v2
	ds_read_b128 v[2:5], v134 offset:832
	ds_read_b128 v[6:9], v134 offset:848
	ds_read_b128 v[10:13], v134 offset:864
	ds_read_b64 v[14:15], v134 offset:880
	v_pk_add_f32 v[16:17], v[148:149], v[192:193]
	s_waitcnt vmcnt(3) lgkmcnt(3)
	v_pk_mul_f32 v[18:19], v[2:3], v[180:181] op_sel:[1,1] op_sel_hi:[0,1]
	v_pk_add_f32 v[16:17], v[16:17], v[194:195]
	s_nop 0
	v_pk_add_f32 v[16:17], v[16:17], v[20:21]
	v_pk_fma_f32 v[20:21], v[2:3], v[180:181], v[18:19] neg_lo:[0,0,1] neg_hi:[0,0,1]
	v_pk_fma_f32 v[2:3], v[2:3], v[180:181], v[18:19] op_sel_hi:[1,0,1]
	s_nop 0
	v_mov_b32_e32 v21, v3
	v_pk_add_f32 v[2:3], v[16:17], v[20:21]
	v_mov_b32_e32 v16, v183
	v_pk_mul_f32 v[16:17], v[4:5], v[16:17] op_sel:[1,0] op_sel_hi:[0,0]
	v_pk_fma_f32 v[18:19], v[4:5], v[182:183], v[16:17] neg_lo:[0,0,1] neg_hi:[0,0,1]
	v_pk_fma_f32 v[4:5], v[4:5], v[182:183], v[16:17] op_sel_hi:[1,0,1]
	s_nop 0
	v_mov_b32_e32 v19, v5
	s_waitcnt vmcnt(2) lgkmcnt(2)
	v_pk_mul_f32 v[4:5], v[6:7], v[184:185] op_sel:[1,1] op_sel_hi:[0,1]
	v_pk_fma_f32 v[16:17], v[6:7], v[184:185], v[4:5] neg_lo:[0,0,1] neg_hi:[0,0,1]
	v_pk_fma_f32 v[4:5], v[6:7], v[184:185], v[4:5] op_sel_hi:[1,0,1]
	v_pk_add_f32 v[2:3], v[2:3], v[18:19]
	v_mov_b32_e32 v4, v187
	v_mov_b32_e32 v17, v5
	v_pk_mul_f32 v[4:5], v[8:9], v[4:5] op_sel:[1,0] op_sel_hi:[0,0]
	v_pk_fma_f32 v[6:7], v[8:9], v[186:187], v[4:5] neg_lo:[0,0,1] neg_hi:[0,0,1]
	v_pk_fma_f32 v[4:5], v[8:9], v[186:187], v[4:5] op_sel_hi:[1,0,1]
	v_pk_add_f32 v[2:3], v[2:3], v[16:17]
	v_mov_b32_e32 v7, v5
	s_waitcnt vmcnt(1) lgkmcnt(1)
	v_pk_mul_f32 v[4:5], v[10:11], v[188:189] op_sel:[1,1] op_sel_hi:[0,1]
	v_pk_add_f32 v[2:3], v[2:3], v[6:7]
	v_pk_fma_f32 v[6:7], v[10:11], v[188:189], v[4:5] neg_lo:[0,0,1] neg_hi:[0,0,1]
	v_pk_fma_f32 v[4:5], v[10:11], v[188:189], v[4:5] op_sel_hi:[1,0,1]
	s_nop 0
	v_mov_b32_e32 v4, v191
	v_mov_b32_e32 v7, v5
	v_pk_mul_f32 v[4:5], v[12:13], v[4:5] op_sel:[1,0] op_sel_hi:[0,0]
	v_pk_add_f32 v[2:3], v[2:3], v[6:7]
	v_pk_fma_f32 v[6:7], v[12:13], v[190:191], v[4:5] neg_lo:[0,0,1] neg_hi:[0,0,1]
	v_pk_fma_f32 v[4:5], v[12:13], v[190:191], v[4:5] op_sel_hi:[1,0,1]
	s_nop 0
	v_mov_b32_e32 v7, v5
	s_waitcnt vmcnt(0) lgkmcnt(0)
	v_pk_mul_f32 v[4:5], v[14:15], v[196:197] op_sel:[1,1] op_sel_hi:[0,1]
	v_pk_add_f32 v[2:3], v[2:3], v[6:7]
	v_pk_fma_f32 v[6:7], v[14:15], v[196:197], v[4:5] neg_lo:[0,0,1] neg_hi:[0,0,1]
	v_pk_fma_f32 v[4:5], v[14:15], v[196:197], v[4:5] op_sel_hi:[1,0,1]
	s_nop 0
	v_mov_b32_e32 v7, v5
	scratch_load_dwordx2 v[4:5], off, off offset:40
	v_pk_add_f32 v[2:3], v[2:3], v[6:7]
	s_waitcnt vmcnt(0)
	v_pk_add_f32 v[2:3], v[4:5], v[2:3] neg_lo:[0,1] neg_hi:[0,1]
	scratch_store_dwordx2 off, v[2:3], off offset:40
	s_and_saveexec_b64 s[0:1], vcc
	s_cbranch_execz .LBB118_335
; %bb.334:
	scratch_load_dwordx2 v[2:3], off, off offset:32
	v_mov_b32_e32 v135, v134
	scratch_store_dwordx2 off, v[134:135], off offset:32
	s_waitcnt vmcnt(1)
	ds_write_b64 v1, v[2:3]
.LBB118_335:
	s_or_b64 exec, exec, s[0:1]
	s_waitcnt lgkmcnt(0)
	; wave barrier
	scratch_load_dwordx4 v[6:9], off, off offset:40
	scratch_load_dwordx4 v[14:17], off, off offset:56
	;; [unrolled: 1-line block ×10, first 2 shown]
	ds_read2_b64 v[2:5], v134 offset0:61 offset1:62
	ds_read2_b64 v[156:159], v134 offset0:97 offset1:98
	scratch_load_dwordx4 v[86:89], off, off offset:200
	scratch_load_dwordx4 v[94:97], off, off offset:216
	;; [unrolled: 1-line block ×11, first 2 shown]
	v_cmp_lt_u32_e32 vcc, 3, v0
	ds_read2_b64 v[164:167], v134 offset0:99 offset1:100
	ds_read2_b64 v[172:175], v134 offset0:101 offset1:102
	s_waitcnt vmcnt(20) lgkmcnt(3)
	v_mul_f32_e32 v10, v2, v7
	v_fmac_f32_e32 v10, v3, v6
	v_mul_f32_e32 v11, v4, v9
	v_add_f32_e32 v10, 0, v10
	v_fmac_f32_e32 v11, v5, v8
	v_add_f32_e32 v18, v10, v11
	ds_read2_b64 v[10:13], v134 offset0:63 offset1:64
	v_mul_f32_e32 v3, v3, v7
	v_fma_f32 v2, v2, v6, -v3
	v_mul_f32_e32 v3, v5, v9
	v_add_f32_e32 v2, 0, v2
	s_waitcnt vmcnt(19) lgkmcnt(0)
	v_mul_f32_e32 v19, v10, v15
	v_fmac_f32_e32 v19, v11, v14
	v_add_f32_e32 v18, v18, v19
	v_mul_f32_e32 v19, v12, v17
	v_fmac_f32_e32 v19, v13, v16
	v_add_f32_e32 v26, v18, v19
	ds_read2_b64 v[18:21], v134 offset0:65 offset1:66
	v_fma_f32 v3, v4, v8, -v3
	v_add_f32_e32 v2, v2, v3
	v_mul_f32_e32 v3, v11, v15
	v_fma_f32 v3, v10, v14, -v3
	s_waitcnt vmcnt(18) lgkmcnt(0)
	v_mul_f32_e32 v27, v18, v23
	v_fmac_f32_e32 v27, v19, v22
	v_add_f32_e32 v26, v26, v27
	v_mul_f32_e32 v27, v20, v25
	v_fmac_f32_e32 v27, v21, v24
	v_add_f32_e32 v34, v26, v27
	ds_read2_b64 v[26:29], v134 offset0:67 offset1:68
	v_add_f32_e32 v2, v2, v3
	v_mul_f32_e32 v3, v13, v17
	v_fma_f32 v3, v12, v16, -v3
	v_add_f32_e32 v2, v2, v3
	s_waitcnt vmcnt(17) lgkmcnt(0)
	v_mul_f32_e32 v35, v26, v31
	v_fmac_f32_e32 v35, v27, v30
	v_add_f32_e32 v34, v34, v35
	v_mul_f32_e32 v35, v28, v33
	v_fmac_f32_e32 v35, v29, v32
	v_add_f32_e32 v42, v34, v35
	ds_read2_b64 v[34:37], v134 offset0:69 offset1:70
	v_mul_f32_e32 v3, v19, v23
	v_fma_f32 v3, v18, v22, -v3
	v_add_f32_e32 v2, v2, v3
	v_mul_f32_e32 v3, v21, v25
	s_waitcnt vmcnt(16) lgkmcnt(0)
	v_mul_f32_e32 v43, v34, v39
	v_fmac_f32_e32 v43, v35, v38
	v_add_f32_e32 v42, v42, v43
	v_mul_f32_e32 v43, v36, v41
	v_fmac_f32_e32 v43, v37, v40
	v_add_f32_e32 v50, v42, v43
	ds_read2_b64 v[42:45], v134 offset0:71 offset1:72
	v_fma_f32 v3, v20, v24, -v3
	v_add_f32_e32 v2, v2, v3
	v_mul_f32_e32 v3, v27, v31
	v_fma_f32 v3, v26, v30, -v3
	s_waitcnt vmcnt(15) lgkmcnt(0)
	v_mul_f32_e32 v51, v42, v47
	v_fmac_f32_e32 v51, v43, v46
	v_add_f32_e32 v50, v50, v51
	v_mul_f32_e32 v51, v44, v49
	v_fmac_f32_e32 v51, v45, v48
	v_add_f32_e32 v58, v50, v51
	ds_read2_b64 v[50:53], v134 offset0:73 offset1:74
	v_add_f32_e32 v2, v2, v3
	v_mul_f32_e32 v3, v29, v33
	v_fma_f32 v3, v28, v32, -v3
	v_add_f32_e32 v2, v2, v3
	s_waitcnt vmcnt(14) lgkmcnt(0)
	v_mul_f32_e32 v59, v50, v55
	v_fmac_f32_e32 v59, v51, v54
	v_add_f32_e32 v58, v58, v59
	v_mul_f32_e32 v59, v52, v57
	v_fmac_f32_e32 v59, v53, v56
	v_add_f32_e32 v66, v58, v59
	ds_read2_b64 v[58:61], v134 offset0:75 offset1:76
	v_mul_f32_e32 v3, v35, v39
	v_fma_f32 v3, v34, v38, -v3
	v_add_f32_e32 v2, v2, v3
	v_mul_f32_e32 v3, v37, v41
	;; [unrolled: 36-line block ×5, first 2 shown]
	s_waitcnt vmcnt(4) lgkmcnt(0)
	v_mul_f32_e32 v140, v130, v137
	v_fmac_f32_e32 v140, v131, v136
	v_add_f32_e32 v135, v135, v140
	v_mul_f32_e32 v140, v132, v139
	v_fmac_f32_e32 v140, v133, v138
	v_add_f32_e32 v135, v135, v140
	ds_read2_b64 v[140:143], v134 offset0:95 offset1:96
	scratch_load_dwordx4 v[180:183], off, off offset:376
	scratch_load_dwordx4 v[184:187], off, off offset:392
	;; [unrolled: 1-line block ×4, first 2 shown]
	v_fma_f32 v3, v84, v88, -v3
	v_add_f32_e32 v2, v2, v3
	v_mul_f32_e32 v3, v91, v95
	v_fma_f32 v3, v90, v94, -v3
	v_add_f32_e32 v2, v2, v3
	v_mul_f32_e32 v3, v93, v97
	;; [unrolled: 3-line block ×12, first 2 shown]
	v_fma_f32 v3, v132, v138, -v3
	s_waitcnt vmcnt(7) lgkmcnt(0)
	v_mul_f32_e32 v148, v140, v145
	v_add_f32_e32 v2, v2, v3
	v_mul_f32_e32 v3, v141, v145
	v_fmac_f32_e32 v148, v141, v144
	v_fma_f32 v3, v140, v144, -v3
	v_add_f32_e32 v135, v135, v148
	v_mul_f32_e32 v148, v142, v147
	v_add_f32_e32 v2, v2, v3
	v_mul_f32_e32 v3, v143, v147
	v_fmac_f32_e32 v148, v143, v146
	v_fma_f32 v3, v142, v146, -v3
	v_add_f32_e32 v135, v135, v148
	s_waitcnt vmcnt(6)
	v_mul_f32_e32 v148, v156, v161
	v_add_f32_e32 v2, v2, v3
	v_mul_f32_e32 v3, v157, v161
	v_fmac_f32_e32 v148, v157, v160
	v_fma_f32 v3, v156, v160, -v3
	v_add_f32_e32 v135, v135, v148
	v_mul_f32_e32 v148, v158, v163
	v_add_f32_e32 v2, v2, v3
	v_mul_f32_e32 v3, v159, v163
	v_fmac_f32_e32 v148, v159, v162
	v_fma_f32 v3, v158, v162, -v3
	v_add_f32_e32 v135, v135, v148
	s_waitcnt vmcnt(5)
	v_mul_f32_e32 v148, v164, v169
	v_add_f32_e32 v2, v2, v3
	v_mul_f32_e32 v3, v165, v169
	v_fmac_f32_e32 v148, v165, v168
	v_fma_f32 v3, v164, v168, -v3
	v_add_f32_e32 v135, v135, v148
	v_mul_f32_e32 v148, v166, v171
	v_add_f32_e32 v2, v2, v3
	v_mul_f32_e32 v3, v167, v171
	v_fmac_f32_e32 v148, v167, v170
	v_fma_f32 v3, v166, v170, -v3
	v_add_f32_e32 v149, v135, v148
	v_add_f32_e32 v148, v2, v3
	s_waitcnt vmcnt(4)
	v_mul_f32_e32 v2, v173, v177
	v_fma_f32 v196, v172, v176, -v2
	v_mul_f32_e32 v2, v175, v179
	v_fma_f32 v198, v174, v178, -v2
	ds_read2_b64 v[2:5], v134 offset0:103 offset1:104
	ds_read2_b64 v[6:9], v134 offset0:105 offset1:106
	;; [unrolled: 1-line block ×4, first 2 shown]
	v_mul_f32_e32 v197, v172, v177
	v_fmac_f32_e32 v197, v173, v176
	v_mul_f32_e32 v199, v174, v179
	s_waitcnt vmcnt(3) lgkmcnt(3)
	v_pk_mul_f32 v[20:21], v[2:3], v[180:181] op_sel:[1,1] op_sel_hi:[0,1]
	v_fmac_f32_e32 v199, v175, v178
	v_pk_add_f32 v[18:19], v[148:149], v[196:197]
	v_pk_fma_f32 v[22:23], v[2:3], v[180:181], v[20:21] neg_lo:[0,0,1] neg_hi:[0,0,1]
	v_pk_fma_f32 v[2:3], v[2:3], v[180:181], v[20:21] op_sel_hi:[1,0,1]
	v_pk_add_f32 v[18:19], v[18:19], v[198:199]
	v_mov_b32_e32 v23, v3
	v_pk_add_f32 v[2:3], v[18:19], v[22:23]
	v_mov_b32_e32 v18, v183
	v_pk_mul_f32 v[18:19], v[4:5], v[18:19] op_sel:[1,0] op_sel_hi:[0,0]
	v_pk_fma_f32 v[20:21], v[4:5], v[182:183], v[18:19] neg_lo:[0,0,1] neg_hi:[0,0,1]
	v_pk_fma_f32 v[4:5], v[4:5], v[182:183], v[18:19] op_sel_hi:[1,0,1]
	s_nop 0
	v_mov_b32_e32 v21, v5
	s_waitcnt vmcnt(2) lgkmcnt(2)
	v_pk_mul_f32 v[4:5], v[6:7], v[184:185] op_sel:[1,1] op_sel_hi:[0,1]
	v_pk_fma_f32 v[18:19], v[6:7], v[184:185], v[4:5] neg_lo:[0,0,1] neg_hi:[0,0,1]
	v_pk_fma_f32 v[4:5], v[6:7], v[184:185], v[4:5] op_sel_hi:[1,0,1]
	v_pk_add_f32 v[2:3], v[2:3], v[20:21]
	v_mov_b32_e32 v4, v187
	v_mov_b32_e32 v19, v5
	v_pk_mul_f32 v[4:5], v[8:9], v[4:5] op_sel:[1,0] op_sel_hi:[0,0]
	v_pk_fma_f32 v[6:7], v[8:9], v[186:187], v[4:5] neg_lo:[0,0,1] neg_hi:[0,0,1]
	v_pk_fma_f32 v[4:5], v[8:9], v[186:187], v[4:5] op_sel_hi:[1,0,1]
	v_pk_add_f32 v[2:3], v[2:3], v[18:19]
	v_mov_b32_e32 v7, v5
	s_waitcnt vmcnt(1) lgkmcnt(1)
	v_pk_mul_f32 v[4:5], v[10:11], v[188:189] op_sel:[1,1] op_sel_hi:[0,1]
	v_pk_add_f32 v[2:3], v[2:3], v[6:7]
	v_pk_fma_f32 v[6:7], v[10:11], v[188:189], v[4:5] neg_lo:[0,0,1] neg_hi:[0,0,1]
	v_pk_fma_f32 v[4:5], v[10:11], v[188:189], v[4:5] op_sel_hi:[1,0,1]
	s_nop 0
	v_mov_b32_e32 v4, v191
	v_mov_b32_e32 v7, v5
	v_pk_mul_f32 v[4:5], v[12:13], v[4:5] op_sel:[1,0] op_sel_hi:[0,0]
	v_pk_add_f32 v[2:3], v[2:3], v[6:7]
	v_pk_fma_f32 v[6:7], v[12:13], v[190:191], v[4:5] neg_lo:[0,0,1] neg_hi:[0,0,1]
	v_pk_fma_f32 v[4:5], v[12:13], v[190:191], v[4:5] op_sel_hi:[1,0,1]
	s_nop 0
	v_mov_b32_e32 v7, v5
	s_waitcnt vmcnt(0) lgkmcnt(0)
	v_pk_mul_f32 v[4:5], v[14:15], v[192:193] op_sel:[1,1] op_sel_hi:[0,1]
	v_pk_add_f32 v[2:3], v[2:3], v[6:7]
	v_pk_fma_f32 v[6:7], v[14:15], v[192:193], v[4:5] neg_lo:[0,0,1] neg_hi:[0,0,1]
	v_pk_fma_f32 v[4:5], v[14:15], v[192:193], v[4:5] op_sel_hi:[1,0,1]
	s_nop 0
	v_mov_b32_e32 v4, v195
	v_mov_b32_e32 v7, v5
	v_pk_mul_f32 v[4:5], v[16:17], v[4:5] op_sel:[1,0] op_sel_hi:[0,0]
	v_pk_add_f32 v[2:3], v[2:3], v[6:7]
	v_pk_fma_f32 v[6:7], v[16:17], v[194:195], v[4:5] neg_lo:[0,0,1] neg_hi:[0,0,1]
	v_pk_fma_f32 v[4:5], v[16:17], v[194:195], v[4:5] op_sel_hi:[1,0,1]
	s_nop 0
	v_mov_b32_e32 v7, v5
	scratch_load_dwordx2 v[4:5], off, off offset:32
	v_pk_add_f32 v[2:3], v[2:3], v[6:7]
	s_waitcnt vmcnt(0)
	v_pk_add_f32 v[2:3], v[4:5], v[2:3] neg_lo:[0,1] neg_hi:[0,1]
	scratch_store_dwordx2 off, v[2:3], off offset:32
	s_and_saveexec_b64 s[0:1], vcc
	s_cbranch_execz .LBB118_337
; %bb.336:
	scratch_load_dwordx2 v[2:3], off, off offset:24
	v_mov_b32_e32 v4, 0
	v_mov_b32_e32 v5, v4
	scratch_store_dwordx2 off, v[4:5], off offset:24
	s_waitcnt vmcnt(1)
	ds_write_b64 v1, v[2:3]
.LBB118_337:
	s_or_b64 exec, exec, s[0:1]
	v_mov_b32_e32 v142, 0
	s_waitcnt lgkmcnt(0)
	; wave barrier
	ds_read_b128 v[14:17], v142 offset:480
	ds_read_b128 v[10:13], v142 offset:496
	;; [unrolled: 1-line block ×4, first 2 shown]
	scratch_load_dwordx4 v[18:21], off, off offset:32
	scratch_load_dwordx4 v[38:41], off, off offset:96
	scratch_load_dwordx4 v[70:73], off, off offset:160
	scratch_load_dwordx4 v[78:81], off, off offset:176
	scratch_load_dwordx4 v[86:89], off, off offset:192
	scratch_load_dwordx4 v[94:97], off, off offset:208
	scratch_load_dwordx4 v[102:105], off, off offset:224
	scratch_load_dwordx4 v[110:113], off, off offset:240
	scratch_load_dwordx4 v[118:121], off, off offset:256
	scratch_load_dwordx4 v[126:129], off, off offset:272
	scratch_load_dwordx4 v[134:137], off, off offset:288
	scratch_load_dwordx4 v[144:147], off, off offset:304
	scratch_load_dwordx4 v[160:163], off, off offset:320
	scratch_load_dwordx4 v[168:171], off, off offset:336
	scratch_load_dwordx4 v[176:179], off, off offset:352
	scratch_load_dwordx4 v[184:187], off, off offset:368
	v_cmp_lt_u32_e32 vcc, 2, v0
	scratch_load_dwordx4 v[46:49], off, off offset:112
	scratch_load_dwordx4 v[54:57], off, off offset:128
	;; [unrolled: 1-line block ×3, first 2 shown]
	ds_read_b128 v[156:159], v142 offset:768
	ds_read_b128 v[164:167], v142 offset:784
	;; [unrolled: 1-line block ×4, first 2 shown]
	s_waitcnt vmcnt(18) lgkmcnt(7)
	v_mul_f32_e32 v22, v14, v19
	v_fmac_f32_e32 v22, v15, v18
	v_mul_f32_e32 v23, v16, v21
	v_add_f32_e32 v22, 0, v22
	v_fmac_f32_e32 v23, v17, v20
	v_add_f32_e32 v26, v22, v23
	scratch_load_dwordx4 v[22:25], off, off offset:48
	v_mul_f32_e32 v15, v15, v19
	v_fma_f32 v14, v14, v18, -v15
	v_mul_f32_e32 v15, v17, v21
	v_add_f32_e32 v14, 0, v14
	v_fma_f32 v15, v16, v20, -v15
	v_add_f32_e32 v14, v14, v15
	s_waitcnt vmcnt(5) lgkmcnt(1)
	v_mul_f32_e32 v201, v174, v179
	s_waitcnt vmcnt(4)
	v_mov_b32_e32 v18, v187
	v_fmac_f32_e32 v201, v175, v178
	s_waitcnt lgkmcnt(0)
	v_mul_f32_e32 v203, v180, v185
	v_pk_mul_f32 v[18:19], v[182:183], v[18:19] op_sel:[1,0] op_sel_hi:[0,0]
	v_fmac_f32_e32 v203, v181, v184
	v_pk_fma_f32 v[20:21], v[182:183], v[186:187], v[18:19] neg_lo:[0,0,1] neg_hi:[0,0,1]
	v_pk_fma_f32 v[18:19], v[182:183], v[186:187], v[18:19] op_sel_hi:[1,0,1]
	s_waitcnt vmcnt(0)
	v_mul_f32_e32 v27, v10, v23
	v_fmac_f32_e32 v27, v11, v22
	v_add_f32_e32 v26, v26, v27
	v_mul_f32_e32 v27, v12, v25
	v_fmac_f32_e32 v27, v13, v24
	v_add_f32_e32 v30, v26, v27
	scratch_load_dwordx4 v[26:29], off, off offset:64
	v_mul_f32_e32 v11, v11, v23
	v_fma_f32 v10, v10, v22, -v11
	v_mul_f32_e32 v11, v13, v25
	v_add_f32_e32 v10, v14, v10
	v_fma_f32 v11, v12, v24, -v11
	v_add_f32_e32 v10, v10, v11
	v_mov_b32_e32 v21, v19
	s_waitcnt vmcnt(0)
	v_mul_f32_e32 v31, v6, v27
	v_fmac_f32_e32 v31, v7, v26
	v_add_f32_e32 v30, v30, v31
	v_mul_f32_e32 v31, v8, v29
	v_fmac_f32_e32 v31, v9, v28
	v_add_f32_e32 v34, v30, v31
	scratch_load_dwordx4 v[30:33], off, off offset:80
	v_mul_f32_e32 v7, v7, v27
	v_fma_f32 v6, v6, v26, -v7
	v_mul_f32_e32 v7, v9, v29
	v_add_f32_e32 v6, v10, v6
	v_fma_f32 v7, v8, v28, -v7
	v_add_f32_e32 v6, v6, v7
	s_waitcnt vmcnt(0)
	v_mul_f32_e32 v35, v2, v31
	v_fmac_f32_e32 v35, v3, v30
	v_add_f32_e32 v34, v34, v35
	v_mul_f32_e32 v35, v4, v33
	v_fmac_f32_e32 v35, v5, v32
	v_add_f32_e32 v42, v34, v35
	ds_read_b128 v[34:37], v142 offset:544
	v_mul_f32_e32 v3, v3, v31
	v_fma_f32 v2, v2, v30, -v3
	v_mul_f32_e32 v3, v5, v33
	v_add_f32_e32 v2, v6, v2
	s_waitcnt lgkmcnt(0)
	v_mul_f32_e32 v43, v34, v39
	v_fmac_f32_e32 v43, v35, v38
	v_add_f32_e32 v42, v42, v43
	v_mul_f32_e32 v43, v36, v41
	v_fmac_f32_e32 v43, v37, v40
	v_add_f32_e32 v50, v42, v43
	ds_read_b128 v[42:45], v142 offset:560
	v_fma_f32 v3, v4, v32, -v3
	v_add_f32_e32 v2, v2, v3
	v_mul_f32_e32 v3, v35, v39
	v_fma_f32 v3, v34, v38, -v3
	s_waitcnt lgkmcnt(0)
	v_mul_f32_e32 v51, v42, v47
	v_fmac_f32_e32 v51, v43, v46
	v_add_f32_e32 v50, v50, v51
	v_mul_f32_e32 v51, v44, v49
	v_fmac_f32_e32 v51, v45, v48
	v_add_f32_e32 v58, v50, v51
	ds_read_b128 v[50:53], v142 offset:576
	v_add_f32_e32 v2, v2, v3
	v_mul_f32_e32 v3, v37, v41
	v_fma_f32 v3, v36, v40, -v3
	v_add_f32_e32 v2, v2, v3
	s_waitcnt lgkmcnt(0)
	v_mul_f32_e32 v59, v50, v55
	v_fmac_f32_e32 v59, v51, v54
	v_add_f32_e32 v58, v58, v59
	v_mul_f32_e32 v59, v52, v57
	v_fmac_f32_e32 v59, v53, v56
	v_add_f32_e32 v66, v58, v59
	ds_read_b128 v[58:61], v142 offset:592
	v_mul_f32_e32 v3, v43, v47
	v_fma_f32 v3, v42, v46, -v3
	v_add_f32_e32 v2, v2, v3
	v_mul_f32_e32 v3, v45, v49
	s_waitcnt lgkmcnt(0)
	v_mul_f32_e32 v67, v58, v63
	v_fmac_f32_e32 v67, v59, v62
	v_add_f32_e32 v66, v66, v67
	v_mul_f32_e32 v67, v60, v65
	v_fmac_f32_e32 v67, v61, v64
	v_add_f32_e32 v74, v66, v67
	ds_read_b128 v[66:69], v142 offset:608
	v_fma_f32 v3, v44, v48, -v3
	v_add_f32_e32 v2, v2, v3
	v_mul_f32_e32 v3, v51, v55
	v_fma_f32 v3, v50, v54, -v3
	s_waitcnt lgkmcnt(0)
	v_mul_f32_e32 v75, v66, v71
	v_fmac_f32_e32 v75, v67, v70
	v_add_f32_e32 v74, v74, v75
	v_mul_f32_e32 v75, v68, v73
	v_fmac_f32_e32 v75, v69, v72
	v_add_f32_e32 v82, v74, v75
	ds_read_b128 v[74:77], v142 offset:624
	v_add_f32_e32 v2, v2, v3
	v_mul_f32_e32 v3, v53, v57
	v_fma_f32 v3, v52, v56, -v3
	v_add_f32_e32 v2, v2, v3
	s_waitcnt lgkmcnt(0)
	v_mul_f32_e32 v83, v74, v79
	v_fmac_f32_e32 v83, v75, v78
	v_add_f32_e32 v82, v82, v83
	v_mul_f32_e32 v83, v76, v81
	v_fmac_f32_e32 v83, v77, v80
	v_add_f32_e32 v90, v82, v83
	ds_read_b128 v[82:85], v142 offset:640
	v_mul_f32_e32 v3, v59, v63
	v_fma_f32 v3, v58, v62, -v3
	v_add_f32_e32 v2, v2, v3
	v_mul_f32_e32 v3, v61, v65
	;; [unrolled: 36-line block ×4, first 2 shown]
	s_waitcnt lgkmcnt(0)
	v_mul_f32_e32 v139, v130, v135
	v_fmac_f32_e32 v139, v131, v134
	v_add_f32_e32 v138, v138, v139
	v_mul_f32_e32 v139, v132, v137
	v_fmac_f32_e32 v139, v133, v136
	v_add_f32_e32 v143, v138, v139
	ds_read_b128 v[138:141], v142 offset:752
	scratch_load_dwordx4 v[188:191], off, off offset:384
	scratch_load_dwordx4 v[192:195], off, off offset:400
	;; [unrolled: 1-line block ×3, first 2 shown]
	scratch_load_dwordx2 v[204:205], off, off offset:432
	v_fma_f32 v3, v92, v96, -v3
	v_add_f32_e32 v2, v2, v3
	v_mul_f32_e32 v3, v99, v103
	v_fma_f32 v3, v98, v102, -v3
	v_add_f32_e32 v2, v2, v3
	v_mul_f32_e32 v3, v101, v105
	v_fma_f32 v3, v100, v104, -v3
	v_add_f32_e32 v2, v2, v3
	v_mul_f32_e32 v3, v107, v111
	v_fma_f32 v3, v106, v110, -v3
	v_add_f32_e32 v2, v2, v3
	v_mul_f32_e32 v3, v109, v113
	v_fma_f32 v3, v108, v112, -v3
	v_add_f32_e32 v2, v2, v3
	v_mul_f32_e32 v3, v115, v119
	v_fma_f32 v3, v114, v118, -v3
	v_add_f32_e32 v2, v2, v3
	v_mul_f32_e32 v3, v117, v121
	v_fma_f32 v3, v116, v120, -v3
	v_add_f32_e32 v2, v2, v3
	v_mul_f32_e32 v3, v123, v127
	v_fma_f32 v3, v122, v126, -v3
	v_add_f32_e32 v2, v2, v3
	v_mul_f32_e32 v3, v125, v129
	v_fma_f32 v3, v124, v128, -v3
	v_add_f32_e32 v2, v2, v3
	v_mul_f32_e32 v3, v131, v135
	v_fma_f32 v3, v130, v134, -v3
	v_add_f32_e32 v2, v2, v3
	v_mul_f32_e32 v3, v133, v137
	v_fma_f32 v3, v132, v136, -v3
	s_waitcnt lgkmcnt(0)
	v_mul_f32_e32 v148, v138, v145
	v_add_f32_e32 v2, v2, v3
	v_mul_f32_e32 v3, v139, v145
	v_fmac_f32_e32 v148, v139, v144
	v_fma_f32 v3, v138, v144, -v3
	v_add_f32_e32 v143, v143, v148
	v_mul_f32_e32 v148, v140, v147
	v_add_f32_e32 v2, v2, v3
	v_mul_f32_e32 v3, v141, v147
	v_fmac_f32_e32 v148, v141, v146
	v_fma_f32 v3, v140, v146, -v3
	v_add_f32_e32 v143, v143, v148
	;; [unrolled: 6-line block ×7, first 2 shown]
	v_add_f32_e32 v148, v2, v3
	v_mul_f32_e32 v2, v175, v179
	v_fma_f32 v200, v174, v178, -v2
	v_mul_f32_e32 v2, v181, v185
	v_fma_f32 v202, v180, v184, -v2
	ds_read_b128 v[2:5], v142 offset:832
	ds_read_b128 v[6:9], v142 offset:848
	;; [unrolled: 1-line block ×3, first 2 shown]
	ds_read_b64 v[14:15], v142 offset:880
	v_pk_add_f32 v[16:17], v[148:149], v[200:201]
	s_waitcnt vmcnt(3) lgkmcnt(3)
	v_pk_mul_f32 v[18:19], v[2:3], v[188:189] op_sel:[1,1] op_sel_hi:[0,1]
	v_pk_add_f32 v[16:17], v[16:17], v[202:203]
	s_nop 0
	v_pk_add_f32 v[16:17], v[16:17], v[20:21]
	v_pk_fma_f32 v[20:21], v[2:3], v[188:189], v[18:19] neg_lo:[0,0,1] neg_hi:[0,0,1]
	v_pk_fma_f32 v[2:3], v[2:3], v[188:189], v[18:19] op_sel_hi:[1,0,1]
	s_nop 0
	v_mov_b32_e32 v21, v3
	v_pk_add_f32 v[2:3], v[16:17], v[20:21]
	v_mov_b32_e32 v16, v191
	v_pk_mul_f32 v[16:17], v[4:5], v[16:17] op_sel:[1,0] op_sel_hi:[0,0]
	v_pk_fma_f32 v[18:19], v[4:5], v[190:191], v[16:17] neg_lo:[0,0,1] neg_hi:[0,0,1]
	v_pk_fma_f32 v[4:5], v[4:5], v[190:191], v[16:17] op_sel_hi:[1,0,1]
	s_nop 0
	v_mov_b32_e32 v19, v5
	s_waitcnt vmcnt(2) lgkmcnt(2)
	v_pk_mul_f32 v[4:5], v[6:7], v[192:193] op_sel:[1,1] op_sel_hi:[0,1]
	v_pk_fma_f32 v[16:17], v[6:7], v[192:193], v[4:5] neg_lo:[0,0,1] neg_hi:[0,0,1]
	v_pk_fma_f32 v[4:5], v[6:7], v[192:193], v[4:5] op_sel_hi:[1,0,1]
	v_pk_add_f32 v[2:3], v[2:3], v[18:19]
	v_mov_b32_e32 v4, v195
	v_mov_b32_e32 v17, v5
	v_pk_mul_f32 v[4:5], v[8:9], v[4:5] op_sel:[1,0] op_sel_hi:[0,0]
	v_pk_fma_f32 v[6:7], v[8:9], v[194:195], v[4:5] neg_lo:[0,0,1] neg_hi:[0,0,1]
	v_pk_fma_f32 v[4:5], v[8:9], v[194:195], v[4:5] op_sel_hi:[1,0,1]
	v_pk_add_f32 v[2:3], v[2:3], v[16:17]
	v_mov_b32_e32 v7, v5
	s_waitcnt vmcnt(1) lgkmcnt(1)
	v_pk_mul_f32 v[4:5], v[10:11], v[196:197] op_sel:[1,1] op_sel_hi:[0,1]
	v_pk_add_f32 v[2:3], v[2:3], v[6:7]
	v_pk_fma_f32 v[6:7], v[10:11], v[196:197], v[4:5] neg_lo:[0,0,1] neg_hi:[0,0,1]
	v_pk_fma_f32 v[4:5], v[10:11], v[196:197], v[4:5] op_sel_hi:[1,0,1]
	s_nop 0
	v_mov_b32_e32 v4, v199
	v_mov_b32_e32 v7, v5
	v_pk_mul_f32 v[4:5], v[12:13], v[4:5] op_sel:[1,0] op_sel_hi:[0,0]
	v_pk_add_f32 v[2:3], v[2:3], v[6:7]
	v_pk_fma_f32 v[6:7], v[12:13], v[198:199], v[4:5] neg_lo:[0,0,1] neg_hi:[0,0,1]
	v_pk_fma_f32 v[4:5], v[12:13], v[198:199], v[4:5] op_sel_hi:[1,0,1]
	s_nop 0
	v_mov_b32_e32 v7, v5
	s_waitcnt vmcnt(0) lgkmcnt(0)
	v_pk_mul_f32 v[4:5], v[14:15], v[204:205] op_sel:[1,1] op_sel_hi:[0,1]
	v_pk_add_f32 v[2:3], v[2:3], v[6:7]
	v_pk_fma_f32 v[6:7], v[14:15], v[204:205], v[4:5] neg_lo:[0,0,1] neg_hi:[0,0,1]
	v_pk_fma_f32 v[4:5], v[14:15], v[204:205], v[4:5] op_sel_hi:[1,0,1]
	s_nop 0
	v_mov_b32_e32 v7, v5
	scratch_load_dwordx2 v[4:5], off, off offset:24
	v_pk_add_f32 v[2:3], v[2:3], v[6:7]
	s_waitcnt vmcnt(0)
	v_pk_add_f32 v[2:3], v[4:5], v[2:3] neg_lo:[0,1] neg_hi:[0,1]
	scratch_store_dwordx2 off, v[2:3], off offset:24
	s_and_saveexec_b64 s[0:1], vcc
	s_cbranch_execz .LBB118_339
; %bb.338:
	scratch_load_dwordx2 v[2:3], off, off offset:16
	v_mov_b32_e32 v143, v142
	scratch_store_dwordx2 off, v[142:143], off offset:16
	s_waitcnt vmcnt(1)
	ds_write_b64 v1, v[2:3]
.LBB118_339:
	s_or_b64 exec, exec, s[0:1]
	s_waitcnt lgkmcnt(0)
	; wave barrier
	scratch_load_dwordx4 v[6:9], off, off offset:24
	scratch_load_dwordx4 v[14:17], off, off offset:40
	;; [unrolled: 1-line block ×10, first 2 shown]
	ds_read2_b64 v[2:5], v142 offset0:59 offset1:60
	ds_read2_b64 v[156:159], v142 offset0:95 offset1:96
	scratch_load_dwordx4 v[86:89], off, off offset:184
	scratch_load_dwordx4 v[94:97], off, off offset:200
	;; [unrolled: 1-line block ×12, first 2 shown]
	v_cmp_lt_u32_e32 vcc, 1, v0
	ds_read2_b64 v[164:167], v142 offset0:97 offset1:98
	ds_read2_b64 v[172:175], v142 offset0:99 offset1:100
	;; [unrolled: 1-line block ×3, first 2 shown]
	s_waitcnt vmcnt(21) lgkmcnt(4)
	v_mul_f32_e32 v10, v2, v7
	v_fmac_f32_e32 v10, v3, v6
	v_mul_f32_e32 v11, v4, v9
	v_add_f32_e32 v10, 0, v10
	v_fmac_f32_e32 v11, v5, v8
	v_add_f32_e32 v18, v10, v11
	ds_read2_b64 v[10:13], v142 offset0:61 offset1:62
	v_mul_f32_e32 v3, v3, v7
	v_fma_f32 v2, v2, v6, -v3
	v_mul_f32_e32 v3, v5, v9
	v_add_f32_e32 v2, 0, v2
	s_waitcnt vmcnt(20) lgkmcnt(0)
	v_mul_f32_e32 v19, v10, v15
	v_fmac_f32_e32 v19, v11, v14
	v_add_f32_e32 v18, v18, v19
	v_mul_f32_e32 v19, v12, v17
	v_fmac_f32_e32 v19, v13, v16
	v_add_f32_e32 v26, v18, v19
	ds_read2_b64 v[18:21], v142 offset0:63 offset1:64
	v_fma_f32 v3, v4, v8, -v3
	v_add_f32_e32 v2, v2, v3
	v_mul_f32_e32 v3, v11, v15
	v_fma_f32 v3, v10, v14, -v3
	s_waitcnt vmcnt(19) lgkmcnt(0)
	v_mul_f32_e32 v27, v18, v23
	v_fmac_f32_e32 v27, v19, v22
	v_add_f32_e32 v26, v26, v27
	v_mul_f32_e32 v27, v20, v25
	v_fmac_f32_e32 v27, v21, v24
	v_add_f32_e32 v34, v26, v27
	ds_read2_b64 v[26:29], v142 offset0:65 offset1:66
	v_add_f32_e32 v2, v2, v3
	v_mul_f32_e32 v3, v13, v17
	v_fma_f32 v3, v12, v16, -v3
	v_add_f32_e32 v2, v2, v3
	s_waitcnt vmcnt(18) lgkmcnt(0)
	v_mul_f32_e32 v35, v26, v31
	v_fmac_f32_e32 v35, v27, v30
	v_add_f32_e32 v34, v34, v35
	v_mul_f32_e32 v35, v28, v33
	v_fmac_f32_e32 v35, v29, v32
	v_add_f32_e32 v42, v34, v35
	ds_read2_b64 v[34:37], v142 offset0:67 offset1:68
	v_mul_f32_e32 v3, v19, v23
	v_fma_f32 v3, v18, v22, -v3
	v_add_f32_e32 v2, v2, v3
	v_mul_f32_e32 v3, v21, v25
	s_waitcnt vmcnt(17) lgkmcnt(0)
	v_mul_f32_e32 v43, v34, v39
	v_fmac_f32_e32 v43, v35, v38
	v_add_f32_e32 v42, v42, v43
	v_mul_f32_e32 v43, v36, v41
	v_fmac_f32_e32 v43, v37, v40
	v_add_f32_e32 v50, v42, v43
	ds_read2_b64 v[42:45], v142 offset0:69 offset1:70
	v_fma_f32 v3, v20, v24, -v3
	v_add_f32_e32 v2, v2, v3
	v_mul_f32_e32 v3, v27, v31
	v_fma_f32 v3, v26, v30, -v3
	s_waitcnt vmcnt(16) lgkmcnt(0)
	v_mul_f32_e32 v51, v42, v47
	v_fmac_f32_e32 v51, v43, v46
	v_add_f32_e32 v50, v50, v51
	v_mul_f32_e32 v51, v44, v49
	v_fmac_f32_e32 v51, v45, v48
	v_add_f32_e32 v58, v50, v51
	ds_read2_b64 v[50:53], v142 offset0:71 offset1:72
	v_add_f32_e32 v2, v2, v3
	v_mul_f32_e32 v3, v29, v33
	v_fma_f32 v3, v28, v32, -v3
	v_add_f32_e32 v2, v2, v3
	s_waitcnt vmcnt(15) lgkmcnt(0)
	v_mul_f32_e32 v59, v50, v55
	v_fmac_f32_e32 v59, v51, v54
	v_add_f32_e32 v58, v58, v59
	v_mul_f32_e32 v59, v52, v57
	v_fmac_f32_e32 v59, v53, v56
	v_add_f32_e32 v66, v58, v59
	ds_read2_b64 v[58:61], v142 offset0:73 offset1:74
	v_mul_f32_e32 v3, v35, v39
	v_fma_f32 v3, v34, v38, -v3
	v_add_f32_e32 v2, v2, v3
	v_mul_f32_e32 v3, v37, v41
	;; [unrolled: 36-line block ×5, first 2 shown]
	s_waitcnt vmcnt(5) lgkmcnt(0)
	v_mul_f32_e32 v139, v130, v135
	v_fmac_f32_e32 v139, v131, v134
	v_add_f32_e32 v138, v138, v139
	v_mul_f32_e32 v139, v132, v137
	v_fmac_f32_e32 v139, v133, v136
	v_add_f32_e32 v143, v138, v139
	ds_read2_b64 v[138:141], v142 offset0:93 offset1:94
	scratch_load_dwordx4 v[188:191], off, off offset:376
	scratch_load_dwordx4 v[192:195], off, off offset:392
	;; [unrolled: 1-line block ×4, first 2 shown]
	v_fma_f32 v3, v84, v88, -v3
	v_add_f32_e32 v2, v2, v3
	v_mul_f32_e32 v3, v91, v95
	v_fma_f32 v3, v90, v94, -v3
	v_add_f32_e32 v2, v2, v3
	v_mul_f32_e32 v3, v93, v97
	v_fma_f32 v3, v92, v96, -v3
	v_add_f32_e32 v2, v2, v3
	v_mul_f32_e32 v3, v99, v103
	v_fma_f32 v3, v98, v102, -v3
	v_add_f32_e32 v2, v2, v3
	v_mul_f32_e32 v3, v101, v105
	v_fma_f32 v3, v100, v104, -v3
	v_add_f32_e32 v2, v2, v3
	v_mul_f32_e32 v3, v107, v111
	v_fma_f32 v3, v106, v110, -v3
	v_add_f32_e32 v2, v2, v3
	v_mul_f32_e32 v3, v109, v113
	v_fma_f32 v3, v108, v112, -v3
	v_add_f32_e32 v2, v2, v3
	v_mul_f32_e32 v3, v115, v119
	v_fma_f32 v3, v114, v118, -v3
	v_add_f32_e32 v2, v2, v3
	v_mul_f32_e32 v3, v117, v121
	v_fma_f32 v3, v116, v120, -v3
	v_add_f32_e32 v2, v2, v3
	v_mul_f32_e32 v3, v123, v127
	v_fma_f32 v3, v122, v126, -v3
	v_add_f32_e32 v2, v2, v3
	v_mul_f32_e32 v3, v125, v129
	v_fma_f32 v3, v124, v128, -v3
	v_add_f32_e32 v2, v2, v3
	v_mul_f32_e32 v3, v131, v135
	v_fma_f32 v3, v130, v134, -v3
	v_add_f32_e32 v2, v2, v3
	v_mul_f32_e32 v3, v133, v137
	v_fma_f32 v3, v132, v136, -v3
	s_waitcnt vmcnt(8) lgkmcnt(0)
	v_mul_f32_e32 v148, v138, v145
	v_add_f32_e32 v2, v2, v3
	v_mul_f32_e32 v3, v139, v145
	v_fmac_f32_e32 v148, v139, v144
	v_fma_f32 v3, v138, v144, -v3
	v_add_f32_e32 v143, v143, v148
	v_mul_f32_e32 v148, v140, v147
	v_add_f32_e32 v2, v2, v3
	v_mul_f32_e32 v3, v141, v147
	v_fmac_f32_e32 v148, v141, v146
	v_fma_f32 v3, v140, v146, -v3
	v_add_f32_e32 v143, v143, v148
	s_waitcnt vmcnt(7)
	v_mul_f32_e32 v148, v156, v161
	v_add_f32_e32 v2, v2, v3
	v_mul_f32_e32 v3, v157, v161
	v_fmac_f32_e32 v148, v157, v160
	v_fma_f32 v3, v156, v160, -v3
	v_add_f32_e32 v143, v143, v148
	v_mul_f32_e32 v148, v158, v163
	v_add_f32_e32 v2, v2, v3
	v_mul_f32_e32 v3, v159, v163
	v_fmac_f32_e32 v148, v159, v162
	v_fma_f32 v3, v158, v162, -v3
	v_add_f32_e32 v143, v143, v148
	s_waitcnt vmcnt(6)
	;; [unrolled: 13-line block ×3, first 2 shown]
	v_mul_f32_e32 v148, v172, v177
	v_add_f32_e32 v2, v2, v3
	v_mul_f32_e32 v3, v173, v177
	v_fmac_f32_e32 v148, v173, v176
	v_fma_f32 v3, v172, v176, -v3
	v_add_f32_e32 v143, v143, v148
	v_mul_f32_e32 v148, v174, v179
	v_add_f32_e32 v2, v2, v3
	v_mul_f32_e32 v3, v175, v179
	v_fmac_f32_e32 v148, v175, v178
	v_fma_f32 v3, v174, v178, -v3
	v_add_f32_e32 v149, v143, v148
	v_add_f32_e32 v148, v2, v3
	s_waitcnt vmcnt(4)
	v_mul_f32_e32 v2, v181, v185
	v_fma_f32 v204, v180, v184, -v2
	v_mul_f32_e32 v2, v183, v187
	v_fma_f32 v206, v182, v186, -v2
	ds_read2_b64 v[2:5], v142 offset0:103 offset1:104
	ds_read2_b64 v[6:9], v142 offset0:105 offset1:106
	;; [unrolled: 1-line block ×4, first 2 shown]
	v_mul_f32_e32 v205, v180, v185
	v_fmac_f32_e32 v205, v181, v184
	v_mul_f32_e32 v207, v182, v187
	s_waitcnt vmcnt(3) lgkmcnt(3)
	v_pk_mul_f32 v[20:21], v[2:3], v[188:189] op_sel:[1,1] op_sel_hi:[0,1]
	v_fmac_f32_e32 v207, v183, v186
	v_pk_add_f32 v[18:19], v[148:149], v[204:205]
	v_pk_fma_f32 v[22:23], v[2:3], v[188:189], v[20:21] neg_lo:[0,0,1] neg_hi:[0,0,1]
	v_pk_fma_f32 v[2:3], v[2:3], v[188:189], v[20:21] op_sel_hi:[1,0,1]
	v_pk_add_f32 v[18:19], v[18:19], v[206:207]
	v_mov_b32_e32 v23, v3
	v_pk_add_f32 v[2:3], v[18:19], v[22:23]
	v_mov_b32_e32 v18, v191
	v_pk_mul_f32 v[18:19], v[4:5], v[18:19] op_sel:[1,0] op_sel_hi:[0,0]
	v_pk_fma_f32 v[20:21], v[4:5], v[190:191], v[18:19] neg_lo:[0,0,1] neg_hi:[0,0,1]
	v_pk_fma_f32 v[4:5], v[4:5], v[190:191], v[18:19] op_sel_hi:[1,0,1]
	s_nop 0
	v_mov_b32_e32 v21, v5
	s_waitcnt vmcnt(2) lgkmcnt(2)
	v_pk_mul_f32 v[4:5], v[6:7], v[192:193] op_sel:[1,1] op_sel_hi:[0,1]
	v_pk_fma_f32 v[18:19], v[6:7], v[192:193], v[4:5] neg_lo:[0,0,1] neg_hi:[0,0,1]
	v_pk_fma_f32 v[4:5], v[6:7], v[192:193], v[4:5] op_sel_hi:[1,0,1]
	v_pk_add_f32 v[2:3], v[2:3], v[20:21]
	v_mov_b32_e32 v4, v195
	v_mov_b32_e32 v19, v5
	v_pk_mul_f32 v[4:5], v[8:9], v[4:5] op_sel:[1,0] op_sel_hi:[0,0]
	v_pk_fma_f32 v[6:7], v[8:9], v[194:195], v[4:5] neg_lo:[0,0,1] neg_hi:[0,0,1]
	v_pk_fma_f32 v[4:5], v[8:9], v[194:195], v[4:5] op_sel_hi:[1,0,1]
	v_pk_add_f32 v[2:3], v[2:3], v[18:19]
	v_mov_b32_e32 v7, v5
	s_waitcnt vmcnt(1) lgkmcnt(1)
	v_pk_mul_f32 v[4:5], v[10:11], v[196:197] op_sel:[1,1] op_sel_hi:[0,1]
	v_pk_add_f32 v[2:3], v[2:3], v[6:7]
	v_pk_fma_f32 v[6:7], v[10:11], v[196:197], v[4:5] neg_lo:[0,0,1] neg_hi:[0,0,1]
	v_pk_fma_f32 v[4:5], v[10:11], v[196:197], v[4:5] op_sel_hi:[1,0,1]
	s_nop 0
	v_mov_b32_e32 v4, v199
	v_mov_b32_e32 v7, v5
	v_pk_mul_f32 v[4:5], v[12:13], v[4:5] op_sel:[1,0] op_sel_hi:[0,0]
	v_pk_add_f32 v[2:3], v[2:3], v[6:7]
	v_pk_fma_f32 v[6:7], v[12:13], v[198:199], v[4:5] neg_lo:[0,0,1] neg_hi:[0,0,1]
	v_pk_fma_f32 v[4:5], v[12:13], v[198:199], v[4:5] op_sel_hi:[1,0,1]
	s_nop 0
	v_mov_b32_e32 v7, v5
	s_waitcnt vmcnt(0) lgkmcnt(0)
	v_pk_mul_f32 v[4:5], v[14:15], v[200:201] op_sel:[1,1] op_sel_hi:[0,1]
	v_pk_add_f32 v[2:3], v[2:3], v[6:7]
	v_pk_fma_f32 v[6:7], v[14:15], v[200:201], v[4:5] neg_lo:[0,0,1] neg_hi:[0,0,1]
	v_pk_fma_f32 v[4:5], v[14:15], v[200:201], v[4:5] op_sel_hi:[1,0,1]
	s_nop 0
	v_mov_b32_e32 v4, v203
	v_mov_b32_e32 v7, v5
	v_pk_mul_f32 v[4:5], v[16:17], v[4:5] op_sel:[1,0] op_sel_hi:[0,0]
	v_pk_add_f32 v[2:3], v[2:3], v[6:7]
	v_pk_fma_f32 v[6:7], v[16:17], v[202:203], v[4:5] neg_lo:[0,0,1] neg_hi:[0,0,1]
	v_pk_fma_f32 v[4:5], v[16:17], v[202:203], v[4:5] op_sel_hi:[1,0,1]
	s_nop 0
	v_mov_b32_e32 v7, v5
	scratch_load_dwordx2 v[4:5], off, off offset:16
	v_pk_add_f32 v[2:3], v[2:3], v[6:7]
	s_waitcnt vmcnt(0)
	v_pk_add_f32 v[2:3], v[4:5], v[2:3] neg_lo:[0,1] neg_hi:[0,1]
	scratch_store_dwordx2 off, v[2:3], off offset:16
	s_and_saveexec_b64 s[0:1], vcc
	s_cbranch_execz .LBB118_341
; %bb.340:
	scratch_load_dwordx2 v[2:3], off, off offset:8
	v_mov_b32_e32 v4, 0
	v_mov_b32_e32 v5, v4
	scratch_store_dwordx2 off, v[4:5], off offset:8
	s_waitcnt vmcnt(1)
	ds_write_b64 v1, v[2:3]
.LBB118_341:
	s_or_b64 exec, exec, s[0:1]
	v_mov_b32_e32 v156, 0
	s_waitcnt lgkmcnt(0)
	; wave barrier
	ds_read_b128 v[14:17], v156 offset:464
	ds_read_b128 v[10:13], v156 offset:480
	;; [unrolled: 1-line block ×4, first 2 shown]
	scratch_load_dwordx4 v[18:21], off, off offset:16
	scratch_load_dwordx4 v[38:41], off, off offset:80
	scratch_load_dwordx4 v[70:73], off, off offset:144
	scratch_load_dwordx4 v[78:81], off, off offset:160
	scratch_load_dwordx4 v[86:89], off, off offset:176
	scratch_load_dwordx4 v[94:97], off, off offset:192
	scratch_load_dwordx4 v[102:105], off, off offset:208
	scratch_load_dwordx4 v[110:113], off, off offset:224
	scratch_load_dwordx4 v[118:121], off, off offset:240
	scratch_load_dwordx4 v[126:129], off, off offset:256
	scratch_load_dwordx4 v[134:137], off, off offset:272
	scratch_load_dwordx4 v[142:145], off, off offset:288
	scratch_load_dwordx4 v[158:161], off, off offset:304
	scratch_load_dwordx4 v[166:169], off, off offset:320
	scratch_load_dwordx4 v[174:177], off, off offset:336
	scratch_load_dwordx4 v[182:185], off, off offset:352
	scratch_load_dwordx4 v[190:193], off, off offset:368
	v_cmp_ne_u32_e32 vcc, 0, v0
	scratch_load_dwordx4 v[46:49], off, off offset:96
	scratch_load_dwordx4 v[54:57], off, off offset:112
	;; [unrolled: 1-line block ×3, first 2 shown]
	s_waitcnt vmcnt(19) lgkmcnt(3)
	v_mul_f32_e32 v22, v14, v19
	v_fmac_f32_e32 v22, v15, v18
	v_mul_f32_e32 v23, v16, v21
	v_add_f32_e32 v22, 0, v22
	v_fmac_f32_e32 v23, v17, v20
	v_add_f32_e32 v26, v22, v23
	scratch_load_dwordx4 v[22:25], off, off offset:32
	v_mul_f32_e32 v15, v15, v19
	v_fma_f32 v14, v14, v18, -v15
	v_mul_f32_e32 v15, v17, v21
	v_add_f32_e32 v14, 0, v14
	v_fma_f32 v15, v16, v20, -v15
	v_add_f32_e32 v14, v14, v15
	s_waitcnt vmcnt(4)
	v_mov_b32_e32 v18, v193
	s_waitcnt vmcnt(0) lgkmcnt(2)
	v_mul_f32_e32 v27, v10, v23
	v_fmac_f32_e32 v27, v11, v22
	v_add_f32_e32 v26, v26, v27
	v_mul_f32_e32 v27, v12, v25
	v_fmac_f32_e32 v27, v13, v24
	v_add_f32_e32 v30, v26, v27
	scratch_load_dwordx4 v[26:29], off, off offset:48
	v_mul_f32_e32 v11, v11, v23
	v_fma_f32 v10, v10, v22, -v11
	v_mul_f32_e32 v11, v13, v25
	v_add_f32_e32 v10, v14, v10
	v_fma_f32 v11, v12, v24, -v11
	v_add_f32_e32 v10, v10, v11
	s_waitcnt vmcnt(0) lgkmcnt(1)
	v_mul_f32_e32 v31, v6, v27
	v_fmac_f32_e32 v31, v7, v26
	v_add_f32_e32 v30, v30, v31
	v_mul_f32_e32 v31, v8, v29
	v_fmac_f32_e32 v31, v9, v28
	v_add_f32_e32 v34, v30, v31
	scratch_load_dwordx4 v[30:33], off, off offset:64
	v_mul_f32_e32 v7, v7, v27
	v_fma_f32 v6, v6, v26, -v7
	v_mul_f32_e32 v7, v9, v29
	v_add_f32_e32 v6, v10, v6
	v_fma_f32 v7, v8, v28, -v7
	v_add_f32_e32 v6, v6, v7
	s_waitcnt vmcnt(0) lgkmcnt(0)
	v_mul_f32_e32 v35, v2, v31
	v_fmac_f32_e32 v35, v3, v30
	v_add_f32_e32 v34, v34, v35
	v_mul_f32_e32 v35, v4, v33
	v_fmac_f32_e32 v35, v5, v32
	v_add_f32_e32 v42, v34, v35
	ds_read_b128 v[34:37], v156 offset:528
	v_mul_f32_e32 v3, v3, v31
	v_fma_f32 v2, v2, v30, -v3
	v_mul_f32_e32 v3, v5, v33
	v_add_f32_e32 v2, v6, v2
	s_waitcnt lgkmcnt(0)
	v_mul_f32_e32 v43, v34, v39
	v_fmac_f32_e32 v43, v35, v38
	v_add_f32_e32 v42, v42, v43
	v_mul_f32_e32 v43, v36, v41
	v_fmac_f32_e32 v43, v37, v40
	v_add_f32_e32 v50, v42, v43
	ds_read_b128 v[42:45], v156 offset:544
	v_fma_f32 v3, v4, v32, -v3
	v_add_f32_e32 v2, v2, v3
	v_mul_f32_e32 v3, v35, v39
	v_fma_f32 v3, v34, v38, -v3
	s_waitcnt lgkmcnt(0)
	v_mul_f32_e32 v51, v42, v47
	v_fmac_f32_e32 v51, v43, v46
	v_add_f32_e32 v50, v50, v51
	v_mul_f32_e32 v51, v44, v49
	v_fmac_f32_e32 v51, v45, v48
	v_add_f32_e32 v58, v50, v51
	ds_read_b128 v[50:53], v156 offset:560
	v_add_f32_e32 v2, v2, v3
	v_mul_f32_e32 v3, v37, v41
	v_fma_f32 v3, v36, v40, -v3
	v_add_f32_e32 v2, v2, v3
	s_waitcnt lgkmcnt(0)
	v_mul_f32_e32 v59, v50, v55
	v_fmac_f32_e32 v59, v51, v54
	v_add_f32_e32 v58, v58, v59
	v_mul_f32_e32 v59, v52, v57
	v_fmac_f32_e32 v59, v53, v56
	v_add_f32_e32 v66, v58, v59
	ds_read_b128 v[58:61], v156 offset:576
	v_mul_f32_e32 v3, v43, v47
	v_fma_f32 v3, v42, v46, -v3
	v_add_f32_e32 v2, v2, v3
	v_mul_f32_e32 v3, v45, v49
	s_waitcnt lgkmcnt(0)
	v_mul_f32_e32 v67, v58, v63
	v_fmac_f32_e32 v67, v59, v62
	v_add_f32_e32 v66, v66, v67
	v_mul_f32_e32 v67, v60, v65
	v_fmac_f32_e32 v67, v61, v64
	v_add_f32_e32 v74, v66, v67
	ds_read_b128 v[66:69], v156 offset:592
	v_fma_f32 v3, v44, v48, -v3
	v_add_f32_e32 v2, v2, v3
	v_mul_f32_e32 v3, v51, v55
	v_fma_f32 v3, v50, v54, -v3
	s_waitcnt lgkmcnt(0)
	v_mul_f32_e32 v75, v66, v71
	v_fmac_f32_e32 v75, v67, v70
	v_add_f32_e32 v74, v74, v75
	v_mul_f32_e32 v75, v68, v73
	v_fmac_f32_e32 v75, v69, v72
	v_add_f32_e32 v82, v74, v75
	ds_read_b128 v[74:77], v156 offset:608
	v_add_f32_e32 v2, v2, v3
	v_mul_f32_e32 v3, v53, v57
	v_fma_f32 v3, v52, v56, -v3
	v_add_f32_e32 v2, v2, v3
	s_waitcnt lgkmcnt(0)
	v_mul_f32_e32 v83, v74, v79
	v_fmac_f32_e32 v83, v75, v78
	v_add_f32_e32 v82, v82, v83
	v_mul_f32_e32 v83, v76, v81
	v_fmac_f32_e32 v83, v77, v80
	v_add_f32_e32 v90, v82, v83
	ds_read_b128 v[82:85], v156 offset:624
	v_mul_f32_e32 v3, v59, v63
	v_fma_f32 v3, v58, v62, -v3
	v_add_f32_e32 v2, v2, v3
	v_mul_f32_e32 v3, v61, v65
	;; [unrolled: 36-line block ×5, first 2 shown]
	s_waitcnt lgkmcnt(0)
	v_mul_f32_e32 v170, v162, v167
	v_fmac_f32_e32 v170, v163, v166
	v_add_f32_e32 v157, v157, v170
	v_mul_f32_e32 v170, v164, v169
	v_fmac_f32_e32 v170, v165, v168
	v_add_f32_e32 v157, v157, v170
	ds_read_b128 v[170:173], v156 offset:784
	v_fma_f32 v3, v108, v112, -v3
	v_add_f32_e32 v2, v2, v3
	v_mul_f32_e32 v3, v115, v119
	v_fma_f32 v3, v114, v118, -v3
	s_waitcnt lgkmcnt(0)
	v_mul_f32_e32 v178, v170, v175
	v_fmac_f32_e32 v178, v171, v174
	v_add_f32_e32 v157, v157, v178
	v_mul_f32_e32 v178, v172, v177
	v_fmac_f32_e32 v178, v173, v176
	v_add_f32_e32 v157, v157, v178
	ds_read_b128 v[178:181], v156 offset:800
	v_add_f32_e32 v2, v2, v3
	v_mul_f32_e32 v3, v117, v121
	v_fma_f32 v3, v116, v120, -v3
	v_add_f32_e32 v2, v2, v3
	s_waitcnt lgkmcnt(0)
	v_mul_f32_e32 v186, v178, v183
	v_fmac_f32_e32 v186, v179, v182
	v_add_f32_e32 v207, v157, v186
	ds_read_b128 v[186:189], v156 offset:816
	scratch_load_dwordx4 v[194:197], off, off offset:384
	scratch_load_dwordx4 v[198:201], off, off offset:400
	scratch_load_dwordx4 v[202:205], off, off offset:416
	scratch_load_dwordx2 v[212:213], off, off offset:432
	v_mul_f32_e32 v3, v123, v127
	v_fma_f32 v3, v122, v126, -v3
	v_add_f32_e32 v2, v2, v3
	v_mul_f32_e32 v3, v125, v129
	v_fma_f32 v3, v124, v128, -v3
	v_add_f32_e32 v2, v2, v3
	;; [unrolled: 3-line block ×13, first 2 shown]
	v_mul_f32_e32 v2, v181, v185
	v_mul_f32_e32 v209, v180, v185
	v_fma_f32 v208, v180, v184, -v2
	s_waitcnt lgkmcnt(0)
	v_mul_f32_e32 v2, v187, v191
	v_fmac_f32_e32 v209, v181, v184
	v_mul_f32_e32 v211, v186, v191
	v_fma_f32 v210, v186, v190, -v2
	ds_read_b128 v[2:5], v156 offset:832
	ds_read_b128 v[6:9], v156 offset:848
	;; [unrolled: 1-line block ×3, first 2 shown]
	ds_read_b64 v[14:15], v156 offset:880
	v_pk_mul_f32 v[18:19], v[188:189], v[18:19] op_sel:[1,0] op_sel_hi:[0,0]
	v_fmac_f32_e32 v211, v187, v190
	v_pk_add_f32 v[16:17], v[206:207], v[208:209]
	v_pk_fma_f32 v[20:21], v[188:189], v[192:193], v[18:19] neg_lo:[0,0,1] neg_hi:[0,0,1]
	v_pk_fma_f32 v[18:19], v[188:189], v[192:193], v[18:19] op_sel_hi:[1,0,1]
	v_pk_add_f32 v[16:17], v[16:17], v[210:211]
	v_mov_b32_e32 v21, v19
	v_pk_add_f32 v[16:17], v[16:17], v[20:21]
	s_waitcnt vmcnt(3) lgkmcnt(3)
	v_pk_mul_f32 v[18:19], v[2:3], v[194:195] op_sel:[1,1] op_sel_hi:[0,1]
	v_pk_fma_f32 v[20:21], v[2:3], v[194:195], v[18:19] neg_lo:[0,0,1] neg_hi:[0,0,1]
	v_pk_fma_f32 v[2:3], v[2:3], v[194:195], v[18:19] op_sel_hi:[1,0,1]
	s_nop 0
	v_mov_b32_e32 v21, v3
	v_pk_add_f32 v[2:3], v[16:17], v[20:21]
	v_mov_b32_e32 v16, v197
	v_pk_mul_f32 v[16:17], v[4:5], v[16:17] op_sel:[1,0] op_sel_hi:[0,0]
	v_pk_fma_f32 v[18:19], v[4:5], v[196:197], v[16:17] neg_lo:[0,0,1] neg_hi:[0,0,1]
	v_pk_fma_f32 v[4:5], v[4:5], v[196:197], v[16:17] op_sel_hi:[1,0,1]
	s_nop 0
	v_mov_b32_e32 v19, v5
	s_waitcnt vmcnt(2) lgkmcnt(2)
	v_pk_mul_f32 v[4:5], v[6:7], v[198:199] op_sel:[1,1] op_sel_hi:[0,1]
	v_pk_fma_f32 v[16:17], v[6:7], v[198:199], v[4:5] neg_lo:[0,0,1] neg_hi:[0,0,1]
	v_pk_fma_f32 v[4:5], v[6:7], v[198:199], v[4:5] op_sel_hi:[1,0,1]
	v_pk_add_f32 v[2:3], v[2:3], v[18:19]
	v_mov_b32_e32 v4, v201
	v_mov_b32_e32 v17, v5
	v_pk_mul_f32 v[4:5], v[8:9], v[4:5] op_sel:[1,0] op_sel_hi:[0,0]
	v_pk_fma_f32 v[6:7], v[8:9], v[200:201], v[4:5] neg_lo:[0,0,1] neg_hi:[0,0,1]
	v_pk_fma_f32 v[4:5], v[8:9], v[200:201], v[4:5] op_sel_hi:[1,0,1]
	v_pk_add_f32 v[2:3], v[2:3], v[16:17]
	v_mov_b32_e32 v7, v5
	s_waitcnt vmcnt(1) lgkmcnt(1)
	v_pk_mul_f32 v[4:5], v[10:11], v[202:203] op_sel:[1,1] op_sel_hi:[0,1]
	v_pk_add_f32 v[2:3], v[2:3], v[6:7]
	v_pk_fma_f32 v[6:7], v[10:11], v[202:203], v[4:5] neg_lo:[0,0,1] neg_hi:[0,0,1]
	v_pk_fma_f32 v[4:5], v[10:11], v[202:203], v[4:5] op_sel_hi:[1,0,1]
	s_nop 0
	v_mov_b32_e32 v4, v205
	v_mov_b32_e32 v7, v5
	v_pk_mul_f32 v[4:5], v[12:13], v[4:5] op_sel:[1,0] op_sel_hi:[0,0]
	v_pk_add_f32 v[2:3], v[2:3], v[6:7]
	v_pk_fma_f32 v[6:7], v[12:13], v[204:205], v[4:5] neg_lo:[0,0,1] neg_hi:[0,0,1]
	v_pk_fma_f32 v[4:5], v[12:13], v[204:205], v[4:5] op_sel_hi:[1,0,1]
	s_nop 0
	v_mov_b32_e32 v7, v5
	s_waitcnt vmcnt(0) lgkmcnt(0)
	v_pk_mul_f32 v[4:5], v[14:15], v[212:213] op_sel:[1,1] op_sel_hi:[0,1]
	v_pk_add_f32 v[2:3], v[2:3], v[6:7]
	v_pk_fma_f32 v[6:7], v[14:15], v[212:213], v[4:5] neg_lo:[0,0,1] neg_hi:[0,0,1]
	v_pk_fma_f32 v[4:5], v[14:15], v[212:213], v[4:5] op_sel_hi:[1,0,1]
	s_nop 0
	v_mov_b32_e32 v7, v5
	scratch_load_dwordx2 v[4:5], off, off offset:8
	v_pk_add_f32 v[2:3], v[2:3], v[6:7]
	s_waitcnt vmcnt(0)
	v_pk_add_f32 v[2:3], v[4:5], v[2:3] neg_lo:[0,1] neg_hi:[0,1]
	scratch_store_dwordx2 off, v[2:3], off offset:8
	s_and_saveexec_b64 s[0:1], vcc
	s_cbranch_execz .LBB118_343
; %bb.342:
	scratch_load_dwordx2 v[2:3], off, off
	v_mov_b32_e32 v157, v156
	scratch_store_dwordx2 off, v[156:157], off
	s_waitcnt vmcnt(1)
	ds_write_b64 v1, v[2:3]
.LBB118_343:
	s_or_b64 exec, exec, s[0:1]
	s_waitcnt lgkmcnt(0)
	; wave barrier
	scratch_load_dwordx4 v[4:7], off, off offset:8
	scratch_load_dwordx4 v[12:15], off, off offset:24
	;; [unrolled: 1-line block ×10, first 2 shown]
	ds_read2_b64 v[0:3], v156 offset0:57 offset1:58
	ds_read2_b64 v[162:165], v156 offset0:95 offset1:96
	scratch_load_dwordx4 v[84:87], off, off offset:168
	scratch_load_dwordx4 v[92:95], off, off offset:184
	;; [unrolled: 1-line block ×13, first 2 shown]
	s_and_b64 vcc, exec, s[10:11]
	ds_read2_b64 v[170:173], v156 offset0:97 offset1:98
	ds_read2_b64 v[178:181], v156 offset0:99 offset1:100
	;; [unrolled: 1-line block ×3, first 2 shown]
	s_waitcnt vmcnt(22) lgkmcnt(4)
	v_mul_f32_e32 v8, v0, v5
	v_fmac_f32_e32 v8, v1, v4
	v_mul_f32_e32 v9, v2, v7
	v_add_f32_e32 v8, 0, v8
	v_fmac_f32_e32 v9, v3, v6
	v_add_f32_e32 v16, v8, v9
	ds_read2_b64 v[8:11], v156 offset0:59 offset1:60
	v_mul_f32_e32 v1, v1, v5
	v_fma_f32 v0, v0, v4, -v1
	v_mul_f32_e32 v1, v3, v7
	v_add_f32_e32 v0, 0, v0
	s_waitcnt vmcnt(21) lgkmcnt(0)
	v_mul_f32_e32 v17, v8, v13
	v_fmac_f32_e32 v17, v9, v12
	v_add_f32_e32 v16, v16, v17
	v_mul_f32_e32 v17, v10, v15
	v_fmac_f32_e32 v17, v11, v14
	v_add_f32_e32 v24, v16, v17
	ds_read2_b64 v[16:19], v156 offset0:61 offset1:62
	v_fma_f32 v1, v2, v6, -v1
	v_add_f32_e32 v0, v0, v1
	v_mul_f32_e32 v1, v9, v13
	v_fma_f32 v1, v8, v12, -v1
	s_waitcnt vmcnt(20) lgkmcnt(0)
	v_mul_f32_e32 v25, v16, v21
	v_fmac_f32_e32 v25, v17, v20
	v_add_f32_e32 v24, v24, v25
	v_mul_f32_e32 v25, v18, v23
	v_fmac_f32_e32 v25, v19, v22
	v_add_f32_e32 v32, v24, v25
	ds_read2_b64 v[24:27], v156 offset0:63 offset1:64
	v_add_f32_e32 v0, v0, v1
	v_mul_f32_e32 v1, v11, v15
	v_fma_f32 v1, v10, v14, -v1
	v_add_f32_e32 v0, v0, v1
	s_waitcnt vmcnt(19) lgkmcnt(0)
	v_mul_f32_e32 v33, v24, v29
	v_fmac_f32_e32 v33, v25, v28
	v_add_f32_e32 v32, v32, v33
	v_mul_f32_e32 v33, v26, v31
	v_fmac_f32_e32 v33, v27, v30
	v_add_f32_e32 v40, v32, v33
	ds_read2_b64 v[32:35], v156 offset0:65 offset1:66
	v_mul_f32_e32 v1, v17, v21
	v_fma_f32 v1, v16, v20, -v1
	v_add_f32_e32 v0, v0, v1
	v_mul_f32_e32 v1, v19, v23
	s_waitcnt vmcnt(18) lgkmcnt(0)
	v_mul_f32_e32 v41, v32, v37
	v_fmac_f32_e32 v41, v33, v36
	v_add_f32_e32 v40, v40, v41
	v_mul_f32_e32 v41, v34, v39
	v_fmac_f32_e32 v41, v35, v38
	v_add_f32_e32 v48, v40, v41
	ds_read2_b64 v[40:43], v156 offset0:67 offset1:68
	v_fma_f32 v1, v18, v22, -v1
	v_add_f32_e32 v0, v0, v1
	v_mul_f32_e32 v1, v25, v29
	v_fma_f32 v1, v24, v28, -v1
	s_waitcnt vmcnt(17) lgkmcnt(0)
	v_mul_f32_e32 v49, v40, v45
	v_fmac_f32_e32 v49, v41, v44
	v_add_f32_e32 v48, v48, v49
	v_mul_f32_e32 v49, v42, v47
	v_fmac_f32_e32 v49, v43, v46
	v_add_f32_e32 v56, v48, v49
	ds_read2_b64 v[48:51], v156 offset0:69 offset1:70
	v_add_f32_e32 v0, v0, v1
	v_mul_f32_e32 v1, v27, v31
	v_fma_f32 v1, v26, v30, -v1
	v_add_f32_e32 v0, v0, v1
	s_waitcnt vmcnt(16) lgkmcnt(0)
	v_mul_f32_e32 v57, v48, v53
	v_fmac_f32_e32 v57, v49, v52
	v_add_f32_e32 v56, v56, v57
	v_mul_f32_e32 v57, v50, v55
	v_fmac_f32_e32 v57, v51, v54
	v_add_f32_e32 v64, v56, v57
	ds_read2_b64 v[56:59], v156 offset0:71 offset1:72
	v_mul_f32_e32 v1, v33, v37
	v_fma_f32 v1, v32, v36, -v1
	v_add_f32_e32 v0, v0, v1
	v_mul_f32_e32 v1, v35, v39
	;; [unrolled: 36-line block ×5, first 2 shown]
	s_waitcnt vmcnt(6) lgkmcnt(0)
	v_mul_f32_e32 v137, v128, v133
	v_fmac_f32_e32 v137, v129, v132
	v_add_f32_e32 v136, v136, v137
	v_mul_f32_e32 v137, v130, v135
	v_fmac_f32_e32 v137, v131, v134
	v_add_f32_e32 v144, v136, v137
	ds_read2_b64 v[136:139], v156 offset0:91 offset1:92
	v_fma_f32 v1, v82, v86, -v1
	v_add_f32_e32 v0, v0, v1
	v_mul_f32_e32 v1, v89, v93
	v_fma_f32 v1, v88, v92, -v1
	s_waitcnt vmcnt(5) lgkmcnt(0)
	v_mul_f32_e32 v145, v136, v141
	v_fmac_f32_e32 v145, v137, v140
	v_add_f32_e32 v144, v144, v145
	v_mul_f32_e32 v145, v138, v143
	v_fmac_f32_e32 v145, v139, v142
	v_add_f32_e32 v148, v144, v145
	ds_read2_b64 v[144:147], v156 offset0:93 offset1:94
	scratch_load_dwordx4 v[194:197], off, off offset:376
	scratch_load_dwordx4 v[198:201], off, off offset:392
	;; [unrolled: 1-line block ×4, first 2 shown]
	v_add_f32_e32 v0, v0, v1
	v_mul_f32_e32 v1, v91, v95
	v_fma_f32 v1, v90, v94, -v1
	v_add_f32_e32 v0, v0, v1
	v_mul_f32_e32 v1, v97, v101
	v_fma_f32 v1, v96, v100, -v1
	;; [unrolled: 3-line block ×13, first 2 shown]
	s_waitcnt vmcnt(8) lgkmcnt(0)
	v_mul_f32_e32 v149, v144, v159
	v_add_f32_e32 v0, v0, v1
	v_mul_f32_e32 v1, v145, v159
	v_fmac_f32_e32 v149, v145, v158
	v_fma_f32 v1, v144, v158, -v1
	v_add_f32_e32 v148, v148, v149
	v_mul_f32_e32 v149, v146, v161
	v_add_f32_e32 v0, v0, v1
	v_mul_f32_e32 v1, v147, v161
	v_fmac_f32_e32 v149, v147, v160
	v_fma_f32 v1, v146, v160, -v1
	v_add_f32_e32 v148, v148, v149
	s_waitcnt vmcnt(7)
	v_mul_f32_e32 v149, v162, v167
	v_add_f32_e32 v0, v0, v1
	v_mul_f32_e32 v1, v163, v167
	v_fmac_f32_e32 v149, v163, v166
	v_fma_f32 v1, v162, v166, -v1
	v_add_f32_e32 v148, v148, v149
	v_mul_f32_e32 v149, v164, v169
	v_add_f32_e32 v0, v0, v1
	v_mul_f32_e32 v1, v165, v169
	v_fmac_f32_e32 v149, v165, v168
	v_fma_f32 v1, v164, v168, -v1
	v_add_f32_e32 v148, v148, v149
	s_waitcnt vmcnt(6)
	;; [unrolled: 13-line block ×3, first 2 shown]
	v_mul_f32_e32 v149, v178, v183
	v_add_f32_e32 v0, v0, v1
	v_mul_f32_e32 v1, v179, v183
	v_fmac_f32_e32 v149, v179, v182
	v_fma_f32 v1, v178, v182, -v1
	v_add_f32_e32 v148, v148, v149
	v_mul_f32_e32 v149, v180, v185
	v_add_f32_e32 v0, v0, v1
	v_mul_f32_e32 v1, v181, v185
	v_fmac_f32_e32 v149, v181, v184
	v_fma_f32 v1, v180, v184, -v1
	v_add_f32_e32 v149, v148, v149
	v_add_f32_e32 v148, v0, v1
	s_waitcnt vmcnt(4)
	v_mul_f32_e32 v0, v187, v191
	v_fma_f32 v210, v186, v190, -v0
	v_mul_f32_e32 v0, v189, v193
	v_fma_f32 v212, v188, v192, -v0
	ds_read2_b64 v[0:3], v156 offset0:103 offset1:104
	ds_read2_b64 v[4:7], v156 offset0:105 offset1:106
	ds_read2_b64 v[8:11], v156 offset0:107 offset1:108
	ds_read2_b64 v[12:15], v156 offset0:109 offset1:110
	v_mul_f32_e32 v211, v186, v191
	v_fmac_f32_e32 v211, v187, v190
	v_mul_f32_e32 v213, v188, v193
	s_waitcnt vmcnt(3) lgkmcnt(3)
	v_pk_mul_f32 v[18:19], v[0:1], v[194:195] op_sel:[1,1] op_sel_hi:[0,1]
	v_fmac_f32_e32 v213, v189, v192
	v_pk_add_f32 v[16:17], v[148:149], v[210:211]
	v_pk_fma_f32 v[20:21], v[0:1], v[194:195], v[18:19] neg_lo:[0,0,1] neg_hi:[0,0,1]
	v_pk_fma_f32 v[0:1], v[0:1], v[194:195], v[18:19] op_sel_hi:[1,0,1]
	v_pk_add_f32 v[16:17], v[16:17], v[212:213]
	v_mov_b32_e32 v21, v1
	v_pk_add_f32 v[0:1], v[16:17], v[20:21]
	v_mov_b32_e32 v16, v197
	v_pk_mul_f32 v[16:17], v[2:3], v[16:17] op_sel:[1,0] op_sel_hi:[0,0]
	v_pk_fma_f32 v[18:19], v[2:3], v[196:197], v[16:17] neg_lo:[0,0,1] neg_hi:[0,0,1]
	v_pk_fma_f32 v[2:3], v[2:3], v[196:197], v[16:17] op_sel_hi:[1,0,1]
	s_nop 0
	v_mov_b32_e32 v19, v3
	s_waitcnt vmcnt(2) lgkmcnt(2)
	v_pk_mul_f32 v[2:3], v[4:5], v[198:199] op_sel:[1,1] op_sel_hi:[0,1]
	v_pk_fma_f32 v[16:17], v[4:5], v[198:199], v[2:3] neg_lo:[0,0,1] neg_hi:[0,0,1]
	v_pk_fma_f32 v[2:3], v[4:5], v[198:199], v[2:3] op_sel_hi:[1,0,1]
	v_pk_add_f32 v[0:1], v[0:1], v[18:19]
	v_mov_b32_e32 v2, v201
	v_mov_b32_e32 v17, v3
	v_pk_mul_f32 v[2:3], v[6:7], v[2:3] op_sel:[1,0] op_sel_hi:[0,0]
	v_pk_fma_f32 v[4:5], v[6:7], v[200:201], v[2:3] neg_lo:[0,0,1] neg_hi:[0,0,1]
	v_pk_fma_f32 v[2:3], v[6:7], v[200:201], v[2:3] op_sel_hi:[1,0,1]
	v_pk_add_f32 v[0:1], v[0:1], v[16:17]
	v_mov_b32_e32 v5, v3
	s_waitcnt vmcnt(1) lgkmcnt(1)
	v_pk_mul_f32 v[2:3], v[8:9], v[202:203] op_sel:[1,1] op_sel_hi:[0,1]
	v_pk_add_f32 v[0:1], v[0:1], v[4:5]
	v_pk_fma_f32 v[4:5], v[8:9], v[202:203], v[2:3] neg_lo:[0,0,1] neg_hi:[0,0,1]
	v_pk_fma_f32 v[2:3], v[8:9], v[202:203], v[2:3] op_sel_hi:[1,0,1]
	s_nop 0
	v_mov_b32_e32 v2, v205
	v_mov_b32_e32 v5, v3
	v_pk_mul_f32 v[2:3], v[10:11], v[2:3] op_sel:[1,0] op_sel_hi:[0,0]
	v_pk_add_f32 v[0:1], v[0:1], v[4:5]
	v_pk_fma_f32 v[4:5], v[10:11], v[204:205], v[2:3] neg_lo:[0,0,1] neg_hi:[0,0,1]
	v_pk_fma_f32 v[2:3], v[10:11], v[204:205], v[2:3] op_sel_hi:[1,0,1]
	s_nop 0
	v_mov_b32_e32 v5, v3
	s_waitcnt vmcnt(0) lgkmcnt(0)
	v_pk_mul_f32 v[2:3], v[12:13], v[206:207] op_sel:[1,1] op_sel_hi:[0,1]
	v_pk_add_f32 v[0:1], v[0:1], v[4:5]
	v_pk_fma_f32 v[4:5], v[12:13], v[206:207], v[2:3] neg_lo:[0,0,1] neg_hi:[0,0,1]
	v_pk_fma_f32 v[2:3], v[12:13], v[206:207], v[2:3] op_sel_hi:[1,0,1]
	s_nop 0
	v_mov_b32_e32 v2, v209
	v_mov_b32_e32 v5, v3
	v_pk_mul_f32 v[2:3], v[14:15], v[2:3] op_sel:[1,0] op_sel_hi:[0,0]
	v_pk_add_f32 v[0:1], v[0:1], v[4:5]
	v_pk_fma_f32 v[4:5], v[14:15], v[208:209], v[2:3] neg_lo:[0,0,1] neg_hi:[0,0,1]
	v_pk_fma_f32 v[2:3], v[14:15], v[208:209], v[2:3] op_sel_hi:[1,0,1]
	s_nop 0
	v_mov_b32_e32 v5, v3
	scratch_load_dwordx2 v[2:3], off, off
	v_pk_add_f32 v[0:1], v[0:1], v[4:5]
	s_waitcnt vmcnt(0)
	v_pk_add_f32 v[0:1], v[2:3], v[0:1] neg_lo:[0,1] neg_hi:[0,1]
	scratch_store_dwordx2 off, v[0:1], off
	s_cbranch_vccz .LBB118_452
; %bb.344:
	v_mov_b32_e32 v0, 0
	global_load_dword v1, v0, s[8:9] offset:212
	s_waitcnt vmcnt(0)
	v_readfirstlane_b32 s0, v1
	s_add_i32 s0, s0, -1
	s_cmp_lg_u32 s0, 53
	s_cbranch_scc0 .LBB118_346
; %bb.345:
	s_lshl_b32 s0, s0, 3
	s_nop 0
	scratch_load_dwordx2 v[2:3], off, s0
	scratch_load_dwordx2 v[4:5], off, off offset:424
	s_waitcnt vmcnt(1)
	scratch_store_dwordx2 off, v[2:3], off offset:424
	s_waitcnt vmcnt(1)
	scratch_store_dwordx2 off, v[4:5], s0
.LBB118_346:
	global_load_dword v0, v0, s[8:9] offset:208
	s_waitcnt vmcnt(0)
	v_readfirstlane_b32 s0, v0
	s_add_i32 s0, s0, -1
	s_cmp_eq_u32 s0, 52
	s_cbranch_scc1 .LBB118_348
; %bb.347:
	s_lshl_b32 s0, s0, 3
	s_nop 0
	scratch_load_dwordx2 v[0:1], off, s0
	scratch_load_dwordx2 v[2:3], off, off offset:416
	s_waitcnt vmcnt(1)
	scratch_store_dwordx2 off, v[0:1], off offset:416
	s_waitcnt vmcnt(1)
	scratch_store_dwordx2 off, v[2:3], s0
.LBB118_348:
	v_mov_b32_e32 v0, 0
	global_load_dword v1, v0, s[8:9] offset:204
	s_waitcnt vmcnt(0)
	v_readfirstlane_b32 s0, v1
	s_add_i32 s0, s0, -1
	s_cmp_eq_u32 s0, 51
	s_cbranch_scc1 .LBB118_350
; %bb.349:
	s_lshl_b32 s0, s0, 3
	s_nop 0
	scratch_load_dwordx2 v[2:3], off, s0
	scratch_load_dwordx2 v[4:5], off, off offset:408
	s_waitcnt vmcnt(1)
	scratch_store_dwordx2 off, v[2:3], off offset:408
	s_waitcnt vmcnt(1)
	scratch_store_dwordx2 off, v[4:5], s0
.LBB118_350:
	global_load_dword v0, v0, s[8:9] offset:200
	s_waitcnt vmcnt(0)
	v_readfirstlane_b32 s0, v0
	s_add_i32 s0, s0, -1
	s_cmp_eq_u32 s0, 50
	s_cbranch_scc1 .LBB118_352
; %bb.351:
	s_lshl_b32 s0, s0, 3
	s_nop 0
	scratch_load_dwordx2 v[0:1], off, s0
	scratch_load_dwordx2 v[2:3], off, off offset:400
	s_waitcnt vmcnt(1)
	scratch_store_dwordx2 off, v[0:1], off offset:400
	s_waitcnt vmcnt(1)
	scratch_store_dwordx2 off, v[2:3], s0
.LBB118_352:
	v_mov_b32_e32 v0, 0
	global_load_dword v1, v0, s[8:9] offset:196
	s_waitcnt vmcnt(0)
	v_readfirstlane_b32 s0, v1
	s_add_i32 s0, s0, -1
	s_cmp_eq_u32 s0, 49
	s_cbranch_scc1 .LBB118_354
; %bb.353:
	s_lshl_b32 s0, s0, 3
	s_nop 0
	scratch_load_dwordx2 v[2:3], off, s0
	scratch_load_dwordx2 v[4:5], off, off offset:392
	s_waitcnt vmcnt(1)
	scratch_store_dwordx2 off, v[2:3], off offset:392
	s_waitcnt vmcnt(1)
	scratch_store_dwordx2 off, v[4:5], s0
.LBB118_354:
	;; [unrolled: 33-line block ×26, first 2 shown]
	global_load_dword v2, v0, s[8:9]
	s_nop 0
	scratch_load_dwordx2 v[0:1], off, off
	s_waitcnt vmcnt(1)
	v_readfirstlane_b32 s0, v2
	s_add_i32 s0, s0, -1
	s_cmp_eq_u32 s0, 0
	s_cbranch_scc1 .LBB118_452
; %bb.451:
	s_lshl_b32 s0, s0, 3
	s_nop 0
	scratch_load_dwordx2 v[2:3], off, s0
	s_waitcnt vmcnt(0)
	scratch_store_dwordx2 off, v[2:3], off
	scratch_store_dwordx2 off, v[0:1], s0
	scratch_load_dwordx2 v[0:1], off, off
.LBB118_452:
	s_waitcnt vmcnt(0)
	flat_store_dwordx2 v[150:151], v[0:1]
	scratch_load_dwordx2 v[0:1], off, off offset:8
	v_accvgpr_read_b32 v3, a1
	v_accvgpr_read_b32 v2, a0
	s_waitcnt vmcnt(0)
	flat_store_dwordx2 v[2:3], v[0:1]
	scratch_load_dwordx2 v[0:1], off, off offset:16
	v_accvgpr_read_b32 v2, a2
	v_accvgpr_read_b32 v3, a3
	;; [unrolled: 5-line block ×31, first 2 shown]
	s_waitcnt vmcnt(0)
	flat_store_dwordx2 v[2:3], v[0:1]
	scratch_load_dwordx2 v[0:1], off, off offset:256
	s_waitcnt vmcnt(0)
	flat_store_dwordx2 v[214:215], v[0:1]
	scratch_load_dwordx2 v[0:1], off, off offset:264
	;; [unrolled: 3-line block ×23, first 2 shown]
	s_waitcnt vmcnt(0)
	flat_store_dwordx2 v[154:155], v[0:1]
	s_endpgm
	.section	.rodata,"a",@progbits
	.p2align	6, 0x0
	.amdhsa_kernel _ZN9rocsolver6v33100L18getri_kernel_smallILi55E19rocblas_complex_numIfEPKPS3_EEvT1_iilPiilS8_bb
		.amdhsa_group_segment_fixed_size 888
		.amdhsa_private_segment_fixed_size 448
		.amdhsa_kernarg_size 60
		.amdhsa_user_sgpr_count 2
		.amdhsa_user_sgpr_dispatch_ptr 0
		.amdhsa_user_sgpr_queue_ptr 0
		.amdhsa_user_sgpr_kernarg_segment_ptr 1
		.amdhsa_user_sgpr_dispatch_id 0
		.amdhsa_user_sgpr_kernarg_preload_length 0
		.amdhsa_user_sgpr_kernarg_preload_offset 0
		.amdhsa_user_sgpr_private_segment_size 0
		.amdhsa_uses_dynamic_stack 0
		.amdhsa_enable_private_segment 1
		.amdhsa_system_sgpr_workgroup_id_x 1
		.amdhsa_system_sgpr_workgroup_id_y 0
		.amdhsa_system_sgpr_workgroup_id_z 0
		.amdhsa_system_sgpr_workgroup_info 0
		.amdhsa_system_vgpr_workitem_id 0
		.amdhsa_next_free_vgpr 318
		.amdhsa_next_free_sgpr 17
		.amdhsa_accum_offset 256
		.amdhsa_reserve_vcc 1
		.amdhsa_float_round_mode_32 0
		.amdhsa_float_round_mode_16_64 0
		.amdhsa_float_denorm_mode_32 3
		.amdhsa_float_denorm_mode_16_64 3
		.amdhsa_dx10_clamp 1
		.amdhsa_ieee_mode 1
		.amdhsa_fp16_overflow 0
		.amdhsa_tg_split 0
		.amdhsa_exception_fp_ieee_invalid_op 0
		.amdhsa_exception_fp_denorm_src 0
		.amdhsa_exception_fp_ieee_div_zero 0
		.amdhsa_exception_fp_ieee_overflow 0
		.amdhsa_exception_fp_ieee_underflow 0
		.amdhsa_exception_fp_ieee_inexact 0
		.amdhsa_exception_int_div_zero 0
	.end_amdhsa_kernel
	.section	.text._ZN9rocsolver6v33100L18getri_kernel_smallILi55E19rocblas_complex_numIfEPKPS3_EEvT1_iilPiilS8_bb,"axG",@progbits,_ZN9rocsolver6v33100L18getri_kernel_smallILi55E19rocblas_complex_numIfEPKPS3_EEvT1_iilPiilS8_bb,comdat
.Lfunc_end118:
	.size	_ZN9rocsolver6v33100L18getri_kernel_smallILi55E19rocblas_complex_numIfEPKPS3_EEvT1_iilPiilS8_bb, .Lfunc_end118-_ZN9rocsolver6v33100L18getri_kernel_smallILi55E19rocblas_complex_numIfEPKPS3_EEvT1_iilPiilS8_bb
                                        ; -- End function
	.set _ZN9rocsolver6v33100L18getri_kernel_smallILi55E19rocblas_complex_numIfEPKPS3_EEvT1_iilPiilS8_bb.num_vgpr, 256
	.set _ZN9rocsolver6v33100L18getri_kernel_smallILi55E19rocblas_complex_numIfEPKPS3_EEvT1_iilPiilS8_bb.num_agpr, 62
	.set _ZN9rocsolver6v33100L18getri_kernel_smallILi55E19rocblas_complex_numIfEPKPS3_EEvT1_iilPiilS8_bb.numbered_sgpr, 17
	.set _ZN9rocsolver6v33100L18getri_kernel_smallILi55E19rocblas_complex_numIfEPKPS3_EEvT1_iilPiilS8_bb.num_named_barrier, 0
	.set _ZN9rocsolver6v33100L18getri_kernel_smallILi55E19rocblas_complex_numIfEPKPS3_EEvT1_iilPiilS8_bb.private_seg_size, 448
	.set _ZN9rocsolver6v33100L18getri_kernel_smallILi55E19rocblas_complex_numIfEPKPS3_EEvT1_iilPiilS8_bb.uses_vcc, 1
	.set _ZN9rocsolver6v33100L18getri_kernel_smallILi55E19rocblas_complex_numIfEPKPS3_EEvT1_iilPiilS8_bb.uses_flat_scratch, 0
	.set _ZN9rocsolver6v33100L18getri_kernel_smallILi55E19rocblas_complex_numIfEPKPS3_EEvT1_iilPiilS8_bb.has_dyn_sized_stack, 0
	.set _ZN9rocsolver6v33100L18getri_kernel_smallILi55E19rocblas_complex_numIfEPKPS3_EEvT1_iilPiilS8_bb.has_recursion, 0
	.set _ZN9rocsolver6v33100L18getri_kernel_smallILi55E19rocblas_complex_numIfEPKPS3_EEvT1_iilPiilS8_bb.has_indirect_call, 0
	.section	.AMDGPU.csdata,"",@progbits
; Kernel info:
; codeLenInByte = 86976
; TotalNumSgprs: 23
; NumVgprs: 256
; NumAgprs: 62
; TotalNumVgprs: 318
; ScratchSize: 448
; MemoryBound: 0
; FloatMode: 240
; IeeeMode: 1
; LDSByteSize: 888 bytes/workgroup (compile time only)
; SGPRBlocks: 2
; VGPRBlocks: 39
; NumSGPRsForWavesPerEU: 23
; NumVGPRsForWavesPerEU: 318
; AccumOffset: 256
; Occupancy: 1
; WaveLimiterHint : 1
; COMPUTE_PGM_RSRC2:SCRATCH_EN: 1
; COMPUTE_PGM_RSRC2:USER_SGPR: 2
; COMPUTE_PGM_RSRC2:TRAP_HANDLER: 0
; COMPUTE_PGM_RSRC2:TGID_X_EN: 1
; COMPUTE_PGM_RSRC2:TGID_Y_EN: 0
; COMPUTE_PGM_RSRC2:TGID_Z_EN: 0
; COMPUTE_PGM_RSRC2:TIDIG_COMP_CNT: 0
; COMPUTE_PGM_RSRC3_GFX90A:ACCUM_OFFSET: 63
; COMPUTE_PGM_RSRC3_GFX90A:TG_SPLIT: 0
	.section	.text._ZN9rocsolver6v33100L18getri_kernel_smallILi56E19rocblas_complex_numIfEPKPS3_EEvT1_iilPiilS8_bb,"axG",@progbits,_ZN9rocsolver6v33100L18getri_kernel_smallILi56E19rocblas_complex_numIfEPKPS3_EEvT1_iilPiilS8_bb,comdat
	.globl	_ZN9rocsolver6v33100L18getri_kernel_smallILi56E19rocblas_complex_numIfEPKPS3_EEvT1_iilPiilS8_bb ; -- Begin function _ZN9rocsolver6v33100L18getri_kernel_smallILi56E19rocblas_complex_numIfEPKPS3_EEvT1_iilPiilS8_bb
	.p2align	8
	.type	_ZN9rocsolver6v33100L18getri_kernel_smallILi56E19rocblas_complex_numIfEPKPS3_EEvT1_iilPiilS8_bb,@function
_ZN9rocsolver6v33100L18getri_kernel_smallILi56E19rocblas_complex_numIfEPKPS3_EEvT1_iilPiilS8_bb: ; @_ZN9rocsolver6v33100L18getri_kernel_smallILi56E19rocblas_complex_numIfEPKPS3_EEvT1_iilPiilS8_bb
; %bb.0:
	v_cmp_gt_u32_e32 vcc, 56, v0
	s_and_saveexec_b64 s[4:5], vcc
	s_cbranch_execz .LBB119_238
; %bb.1:
	s_load_dword s14, s[0:1], 0x38
	s_load_dwordx2 s[8:9], s[0:1], 0x0
	s_load_dwordx4 s[4:7], s[0:1], 0x28
	s_waitcnt lgkmcnt(0)
	s_bitcmp1_b32 s14, 8
	s_cselect_b64 s[10:11], -1, 0
	s_ashr_i32 s3, s2, 31
	s_lshl_b64 s[12:13], s[2:3], 3
	s_add_u32 s8, s8, s12
	s_addc_u32 s9, s9, s13
	s_load_dwordx2 s[12:13], s[8:9], 0x0
	s_bfe_u32 s8, s14, 0x10008
	s_cmp_eq_u32 s8, 0
                                        ; implicit-def: $sgpr8_sgpr9
	s_cbranch_scc1 .LBB119_3
; %bb.2:
	s_load_dword s8, s[0:1], 0x20
	s_load_dwordx2 s[14:15], s[0:1], 0x18
	s_mul_i32 s9, s4, s3
	s_mul_hi_u32 s16, s4, s2
	s_add_i32 s16, s16, s9
	s_mul_i32 s5, s5, s2
	s_add_i32 s5, s16, s5
	s_mul_i32 s4, s4, s2
	s_waitcnt lgkmcnt(0)
	s_ashr_i32 s9, s8, 31
	s_lshl_b64 s[4:5], s[4:5], 2
	s_add_u32 s14, s14, s4
	s_addc_u32 s15, s15, s5
	s_lshl_b64 s[4:5], s[8:9], 2
	s_add_u32 s8, s14, s4
	s_addc_u32 s9, s15, s5
.LBB119_3:
	s_load_dwordx2 s[4:5], s[0:1], 0x8
	s_load_dword s14, s[0:1], 0x38
	v_lshlrev_b32_e32 v2, 3, v0
	v_mov_b32_e32 v3, 0
	s_waitcnt lgkmcnt(0)
	s_ashr_i32 s1, s4, 31
	s_mov_b32 s0, s4
	s_lshl_b64 s[0:1], s[0:1], 3
	s_add_u32 s0, s12, s0
	s_addc_u32 s1, s13, s1
	v_lshl_add_u64 v[150:151], s[0:1], 0, v[2:3]
	flat_load_dwordx2 v[4:5], v[150:151]
	s_mov_b32 s12, s5
	s_ashr_i32 s13, s5, 31
	v_lshl_add_u64 v[6:7], s[12:13], 3, v[150:151]
	v_accvgpr_write_b32 a0, v6
	s_add_i32 s4, s5, s5
	v_accvgpr_write_b32 a1, v7
	s_bitcmp0_b32 s14, 0
	s_waitcnt vmcnt(0) lgkmcnt(0)
	scratch_store_dwordx2 off, v[4:5], off
	flat_load_dwordx2 v[4:5], v[6:7]
	v_add_u32_e32 v6, s4, v0
	v_ashrrev_i32_e32 v7, 31, v6
	v_lshl_add_u64 v[8:9], v[6:7], 3, s[0:1]
	v_add_u32_e32 v6, s5, v6
	v_accvgpr_write_b32 a2, v8
	v_ashrrev_i32_e32 v7, 31, v6
	v_accvgpr_write_b32 a3, v9
	s_waitcnt vmcnt(0) lgkmcnt(0)
	scratch_store_dwordx2 off, v[4:5], off offset:8
	flat_load_dwordx2 v[4:5], v[8:9]
	v_lshl_add_u64 v[8:9], v[6:7], 3, s[0:1]
	v_add_u32_e32 v6, s5, v6
	v_accvgpr_write_b32 a4, v8
	v_ashrrev_i32_e32 v7, 31, v6
	v_accvgpr_write_b32 a5, v9
	s_waitcnt vmcnt(0) lgkmcnt(0)
	scratch_store_dwordx2 off, v[4:5], off offset:16
	flat_load_dwordx2 v[4:5], v[8:9]
	;; [unrolled: 8-line block ×33, first 2 shown]
	v_lshl_add_u64 v[8:9], v[6:7], 3, s[0:1]
	v_add_u32_e32 v6, s5, v6
	v_ashrrev_i32_e32 v7, 31, v6
	v_lshl_add_u64 v[222:223], v[6:7], 3, s[0:1]
	v_add_u32_e32 v6, s5, v6
	v_ashrrev_i32_e32 v7, 31, v6
	;; [unrolled: 3-line block ×20, first 2 shown]
	v_lshl_add_u64 v[156:157], v[6:7], 3, s[0:1]
	v_accvgpr_write_b32 a69, v9
	v_accvgpr_write_b32 a68, v8
	s_mov_b64 s[4:5], -1
	s_waitcnt vmcnt(0) lgkmcnt(0)
	scratch_store_dwordx2 off, v[4:5], off offset:272
	flat_load_dwordx2 v[4:5], v[8:9]
	s_waitcnt vmcnt(0) lgkmcnt(0)
	scratch_store_dwordx2 off, v[4:5], off offset:280
	flat_load_dwordx2 v[4:5], v[222:223]
	;; [unrolled: 3-line block ×21, first 2 shown]
	s_waitcnt vmcnt(0) lgkmcnt(0)
	scratch_store_dwordx2 off, v[4:5], off offset:440
	s_cbranch_scc1 .LBB119_236
; %bb.4:
	v_cmp_eq_u32_e64 s[0:1], 0, v0
	s_and_saveexec_b64 s[4:5], s[0:1]
; %bb.5:
	v_mov_b32_e32 v1, 0
	ds_write_b32 v1, v1 offset:896
; %bb.6:
	s_or_b64 exec, exec, s[4:5]
	s_waitcnt lgkmcnt(0)
	; wave barrier
	scratch_load_dwordx2 v[4:5], v2, off
	s_waitcnt vmcnt(0)
	v_cmp_eq_f32_e32 vcc, 0, v4
	v_cmp_eq_f32_e64 s[4:5], 0, v5
	s_and_b64 s[4:5], vcc, s[4:5]
	s_and_saveexec_b64 s[12:13], s[4:5]
	s_cbranch_execz .LBB119_10
; %bb.7:
	v_mov_b32_e32 v1, 0
	ds_read_b32 v4, v1 offset:896
	v_add_u32_e32 v3, 1, v0
	s_waitcnt lgkmcnt(0)
	v_readfirstlane_b32 s4, v4
	s_cmp_eq_u32 s4, 0
	s_cselect_b64 s[14:15], -1, 0
	v_cmp_gt_i32_e32 vcc, s4, v3
	s_or_b64 s[14:15], s[14:15], vcc
	s_and_b64 exec, exec, s[14:15]
	s_cbranch_execz .LBB119_10
; %bb.8:
	s_mov_b64 s[14:15], 0
	v_mov_b32_e32 v4, s4
.LBB119_9:                              ; =>This Inner Loop Header: Depth=1
	ds_cmpst_rtn_b32 v4, v1, v4, v3 offset:896
	s_waitcnt lgkmcnt(0)
	v_cmp_ne_u32_e32 vcc, 0, v4
	v_cmp_le_i32_e64 s[4:5], v4, v3
	s_and_b64 s[4:5], vcc, s[4:5]
	s_and_b64 s[4:5], exec, s[4:5]
	s_or_b64 s[14:15], s[4:5], s[14:15]
	s_andn2_b64 exec, exec, s[14:15]
	s_cbranch_execnz .LBB119_9
.LBB119_10:
	s_or_b64 exec, exec, s[12:13]
	v_mov_b32_e32 v3, 0
	; wave barrier
	ds_read_b32 v1, v3 offset:896
	s_and_saveexec_b64 s[4:5], s[0:1]
	s_cbranch_execz .LBB119_12
; %bb.11:
	s_lshl_b64 s[12:13], s[2:3], 2
	s_add_u32 s12, s6, s12
	s_addc_u32 s13, s7, s13
	s_waitcnt lgkmcnt(0)
	global_store_dword v3, v1, s[12:13]
.LBB119_12:
	s_or_b64 exec, exec, s[4:5]
	s_waitcnt lgkmcnt(0)
	v_cmp_ne_u32_e32 vcc, 0, v1
	s_mov_b64 s[4:5], 0
	s_cbranch_vccnz .LBB119_236
; %bb.13:
	v_mov_b32_e32 v3, v2
	scratch_load_dwordx2 v[4:5], v3, off
                                        ; implicit-def: $vgpr7
                                        ; implicit-def: $vgpr8
	s_waitcnt vmcnt(0)
	v_cmp_ngt_f32_e64 s[4:5], |v4|, |v5|
	s_and_saveexec_b64 s[12:13], s[4:5]
	s_xor_b64 s[4:5], exec, s[12:13]
	s_cbranch_execz .LBB119_15
; %bb.14:
	v_div_scale_f32 v1, s[12:13], v5, v5, v4
	v_rcp_f32_e32 v6, v1
	v_div_scale_f32 v7, vcc, v4, v5, v4
	v_fma_f32 v8, -v1, v6, 1.0
	v_fmac_f32_e32 v6, v8, v6
	v_mul_f32_e32 v8, v7, v6
	v_fma_f32 v9, -v1, v8, v7
	v_fmac_f32_e32 v8, v9, v6
	v_fma_f32 v1, -v1, v8, v7
	v_div_fmas_f32 v1, v1, v6, v8
	v_div_fixup_f32 v1, v1, v5, v4
	v_fmac_f32_e32 v5, v4, v1
	v_div_scale_f32 v4, s[12:13], v5, v5, -1.0
	v_rcp_f32_e32 v6, v4
	s_nop 0
	v_fma_f32 v7, -v4, v6, 1.0
	v_fmac_f32_e32 v6, v7, v6
	v_div_scale_f32 v7, vcc, -1.0, v5, -1.0
	v_mul_f32_e32 v8, v7, v6
	v_fma_f32 v9, -v4, v8, v7
	v_fmac_f32_e32 v8, v9, v6
	v_fma_f32 v4, -v4, v8, v7
	v_div_fmas_f32 v4, v4, v6, v8
	v_div_fixup_f32 v7, v4, v5, -1.0
	v_mul_f32_e32 v8, v1, v7
	v_xor_b32_e32 v6, 0x80000000, v8
                                        ; implicit-def: $vgpr4_vgpr5
.LBB119_15:
	s_andn2_saveexec_b64 s[4:5], s[4:5]
	s_cbranch_execz .LBB119_17
; %bb.16:
	v_div_scale_f32 v1, s[12:13], v4, v4, v5
	v_rcp_f32_e32 v6, v1
	v_div_scale_f32 v7, vcc, v5, v4, v5
	v_fma_f32 v8, -v1, v6, 1.0
	v_fmac_f32_e32 v6, v8, v6
	v_mul_f32_e32 v8, v7, v6
	v_fma_f32 v9, -v1, v8, v7
	v_fmac_f32_e32 v8, v9, v6
	v_fma_f32 v1, -v1, v8, v7
	v_div_fmas_f32 v1, v1, v6, v8
	v_div_fixup_f32 v1, v1, v4, v5
	v_fmac_f32_e32 v4, v5, v1
	v_div_scale_f32 v5, s[12:13], v4, v4, 1.0
	v_rcp_f32_e32 v6, v5
	s_nop 0
	v_fma_f32 v7, -v5, v6, 1.0
	v_fmac_f32_e32 v6, v7, v6
	v_div_scale_f32 v7, vcc, 1.0, v4, 1.0
	v_mul_f32_e32 v8, v7, v6
	v_fma_f32 v9, -v5, v8, v7
	v_fmac_f32_e32 v8, v9, v6
	v_fma_f32 v5, -v5, v8, v7
	v_div_fmas_f32 v5, v5, v6, v8
	v_div_fixup_f32 v6, v5, v4, 1.0
	v_xor_b32_e32 v8, 0x80000000, v6
	v_mul_f32_e64 v7, v1, -v6
.LBB119_17:
	s_or_b64 exec, exec, s[4:5]
	scratch_store_dwordx2 v3, v[6:7], off
	scratch_load_dwordx2 v[4:5], off, off offset:8
	v_xor_b32_e32 v9, 0x80000000, v7
	v_add_u32_e32 v1, 0x1c0, v2
	s_waitcnt vmcnt(0)
	ds_write2_b64 v2, v[8:9], v[4:5] offset1:56
	s_waitcnt lgkmcnt(0)
	; wave barrier
	s_and_saveexec_b64 s[4:5], s[0:1]
	s_cbranch_execz .LBB119_19
; %bb.18:
	scratch_load_dwordx2 v[4:5], v3, off
	ds_read_b64 v[6:7], v1
	v_mov_b32_e32 v8, 0
	ds_read_b64 v[8:9], v8 offset:8
	s_waitcnt vmcnt(0) lgkmcnt(1)
	v_pk_mul_f32 v[10:11], v[6:7], v[4:5] op_sel:[1,1] op_sel_hi:[0,1]
	v_pk_fma_f32 v[12:13], v[6:7], v[4:5], v[10:11] neg_lo:[0,0,1] neg_hi:[0,0,1]
	v_pk_fma_f32 v[4:5], v[6:7], v[4:5], v[10:11] op_sel_hi:[1,0,1]
	s_nop 0
	v_mov_b32_e32 v13, v5
	v_pk_add_f32 v[4:5], v[12:13], 0 op_sel_hi:[1,0]
	s_waitcnt lgkmcnt(0)
	v_pk_mul_f32 v[6:7], v[4:5], v[8:9] op_sel:[1,1] op_sel_hi:[0,1]
	v_pk_fma_f32 v[10:11], v[4:5], v[8:9], v[6:7] neg_lo:[0,0,1] neg_hi:[0,0,1]
	v_pk_fma_f32 v[4:5], v[4:5], v[8:9], v[6:7] op_sel_hi:[1,0,1]
	s_nop 0
	v_mov_b32_e32 v11, v5
	scratch_store_dwordx2 off, v[10:11], off offset:8
.LBB119_19:
	s_or_b64 exec, exec, s[4:5]
	; wave barrier
	scratch_load_dwordx2 v[4:5], off, off offset:16
	v_cmp_gt_u32_e32 vcc, 2, v0
	s_waitcnt vmcnt(0)
	ds_write_b64 v1, v[4:5]
	s_waitcnt lgkmcnt(0)
	; wave barrier
	s_and_saveexec_b64 s[4:5], vcc
	s_cbranch_execz .LBB119_23
; %bb.20:
	scratch_load_dwordx2 v[4:5], v3, off
	ds_read_b64 v[6:7], v1
	s_waitcnt vmcnt(0) lgkmcnt(0)
	v_pk_mul_f32 v[8:9], v[6:7], v[4:5] op_sel:[1,1] op_sel_hi:[0,1]
	v_pk_fma_f32 v[10:11], v[6:7], v[4:5], v[8:9] neg_lo:[0,0,1] neg_hi:[0,0,1]
	v_pk_fma_f32 v[4:5], v[6:7], v[4:5], v[8:9] op_sel_hi:[1,0,1]
	s_nop 0
	v_mov_b32_e32 v11, v5
	v_pk_add_f32 v[4:5], v[10:11], 0 op_sel_hi:[1,0]
	s_and_saveexec_b64 s[12:13], s[0:1]
	s_cbranch_execz .LBB119_22
; %bb.21:
	scratch_load_dwordx2 v[6:7], off, off offset:8
	v_mov_b32_e32 v3, 0
	ds_read_b64 v[8:9], v3 offset:456
	s_waitcnt vmcnt(0) lgkmcnt(0)
	v_pk_mul_f32 v[10:11], v[8:9], v[6:7] op_sel:[1,1] op_sel_hi:[0,1]
	v_pk_fma_f32 v[12:13], v[8:9], v[6:7], v[10:11] neg_lo:[0,0,1] neg_hi:[0,0,1]
	v_pk_fma_f32 v[6:7], v[8:9], v[6:7], v[10:11] op_sel_hi:[1,0,1]
	s_nop 0
	v_mov_b32_e32 v13, v7
	v_pk_add_f32 v[4:5], v[4:5], v[12:13]
.LBB119_22:
	s_or_b64 exec, exec, s[12:13]
	v_mov_b32_e32 v3, 0
	ds_read_b64 v[6:7], v3 offset:16
	s_waitcnt lgkmcnt(0)
	v_pk_mul_f32 v[8:9], v[4:5], v[6:7] op_sel:[1,1] op_sel_hi:[0,1]
	v_pk_fma_f32 v[10:11], v[4:5], v[6:7], v[8:9] neg_lo:[0,0,1] neg_hi:[0,0,1]
	v_pk_fma_f32 v[4:5], v[4:5], v[6:7], v[8:9] op_sel_hi:[1,0,1]
	s_nop 0
	v_mov_b32_e32 v11, v5
	scratch_store_dwordx2 off, v[10:11], off offset:16
.LBB119_23:
	s_or_b64 exec, exec, s[4:5]
	; wave barrier
	scratch_load_dwordx2 v[4:5], off, off offset:24
	v_cmp_gt_u32_e32 vcc, 3, v0
	v_add_u32_e32 v6, -1, v0
	s_waitcnt vmcnt(0)
	ds_write_b64 v1, v[4:5]
	s_waitcnt lgkmcnt(0)
	; wave barrier
	s_and_saveexec_b64 s[0:1], vcc
	s_cbranch_execz .LBB119_27
; %bb.24:
	v_mov_b32_e32 v4, 0
	v_add_u32_e32 v3, -1, v0
	v_add_u32_e32 v7, 0x1c0, v2
	v_mov_b32_e32 v8, v2
	s_mov_b64 s[4:5], 0
	v_mov_b32_e32 v5, v4
.LBB119_25:                             ; =>This Inner Loop Header: Depth=1
	scratch_load_dwordx2 v[10:11], v8, off
	ds_read_b64 v[12:13], v7
	v_add_u32_e32 v3, 1, v3
	v_cmp_lt_u32_e32 vcc, 1, v3
	v_add_u32_e32 v7, 8, v7
	v_add_u32_e32 v8, 8, v8
	s_or_b64 s[4:5], vcc, s[4:5]
	s_waitcnt vmcnt(0) lgkmcnt(0)
	v_pk_mul_f32 v[14:15], v[12:13], v[10:11] op_sel:[1,1] op_sel_hi:[0,1]
	v_pk_fma_f32 v[16:17], v[12:13], v[10:11], v[14:15] neg_lo:[0,0,1] neg_hi:[0,0,1]
	v_pk_fma_f32 v[10:11], v[12:13], v[10:11], v[14:15] op_sel_hi:[1,0,1]
	s_nop 0
	v_mov_b32_e32 v17, v11
	v_pk_add_f32 v[4:5], v[4:5], v[16:17]
	s_andn2_b64 exec, exec, s[4:5]
	s_cbranch_execnz .LBB119_25
; %bb.26:
	s_or_b64 exec, exec, s[4:5]
	v_mov_b32_e32 v3, 0
	ds_read_b64 v[8:9], v3 offset:24
	s_waitcnt lgkmcnt(0)
	v_pk_mul_f32 v[10:11], v[4:5], v[8:9] op_sel:[1,1] op_sel_hi:[0,1]
	v_pk_fma_f32 v[12:13], v[4:5], v[8:9], v[10:11] neg_lo:[0,0,1] neg_hi:[0,0,1]
	v_pk_fma_f32 v[4:5], v[4:5], v[8:9], v[10:11] op_sel_hi:[1,0,1]
	s_nop 0
	v_mov_b32_e32 v13, v5
	scratch_store_dwordx2 off, v[12:13], off offset:24
.LBB119_27:
	s_or_b64 exec, exec, s[0:1]
	; wave barrier
	scratch_load_dwordx2 v[4:5], off, off offset:32
	v_cmp_gt_u32_e32 vcc, 4, v0
	s_waitcnt vmcnt(0)
	ds_write_b64 v1, v[4:5]
	s_waitcnt lgkmcnt(0)
	; wave barrier
	s_and_saveexec_b64 s[0:1], vcc
	s_cbranch_execz .LBB119_31
; %bb.28:
	v_mov_b32_e32 v4, 0
	v_add_u32_e32 v3, -1, v0
	v_add_u32_e32 v7, 0x1c0, v2
	v_mov_b32_e32 v8, v2
	s_mov_b64 s[4:5], 0
	v_mov_b32_e32 v5, v4
.LBB119_29:                             ; =>This Inner Loop Header: Depth=1
	scratch_load_dwordx2 v[10:11], v8, off
	ds_read_b64 v[12:13], v7
	v_add_u32_e32 v3, 1, v3
	v_cmp_lt_u32_e32 vcc, 2, v3
	v_add_u32_e32 v7, 8, v7
	v_add_u32_e32 v8, 8, v8
	s_or_b64 s[4:5], vcc, s[4:5]
	s_waitcnt vmcnt(0) lgkmcnt(0)
	v_pk_mul_f32 v[14:15], v[12:13], v[10:11] op_sel:[1,1] op_sel_hi:[0,1]
	v_pk_fma_f32 v[16:17], v[12:13], v[10:11], v[14:15] neg_lo:[0,0,1] neg_hi:[0,0,1]
	v_pk_fma_f32 v[10:11], v[12:13], v[10:11], v[14:15] op_sel_hi:[1,0,1]
	s_nop 0
	v_mov_b32_e32 v17, v11
	v_pk_add_f32 v[4:5], v[4:5], v[16:17]
	s_andn2_b64 exec, exec, s[4:5]
	s_cbranch_execnz .LBB119_29
; %bb.30:
	s_or_b64 exec, exec, s[4:5]
	v_mov_b32_e32 v3, 0
	ds_read_b64 v[8:9], v3 offset:32
	s_waitcnt lgkmcnt(0)
	v_pk_mul_f32 v[10:11], v[4:5], v[8:9] op_sel:[1,1] op_sel_hi:[0,1]
	v_pk_fma_f32 v[12:13], v[4:5], v[8:9], v[10:11] neg_lo:[0,0,1] neg_hi:[0,0,1]
	v_pk_fma_f32 v[4:5], v[4:5], v[8:9], v[10:11] op_sel_hi:[1,0,1]
	s_nop 0
	v_mov_b32_e32 v13, v5
	scratch_store_dwordx2 off, v[12:13], off offset:32
.LBB119_31:
	s_or_b64 exec, exec, s[0:1]
	; wave barrier
	scratch_load_dwordx2 v[4:5], off, off offset:40
	v_cmp_gt_u32_e32 vcc, 5, v0
	;; [unrolled: 46-line block ×19, first 2 shown]
	s_waitcnt vmcnt(0)
	ds_write_b64 v1, v[4:5]
	s_waitcnt lgkmcnt(0)
	; wave barrier
	s_and_saveexec_b64 s[0:1], vcc
	s_cbranch_execz .LBB119_103
; %bb.100:
	v_mov_b32_e32 v4, 0
	v_add_u32_e32 v3, -1, v0
	v_add_u32_e32 v7, 0x1c0, v2
	v_mov_b32_e32 v8, v2
	s_mov_b64 s[4:5], 0
	v_mov_b32_e32 v5, v4
.LBB119_101:                            ; =>This Inner Loop Header: Depth=1
	scratch_load_dwordx2 v[10:11], v8, off
	ds_read_b64 v[12:13], v7
	v_add_u32_e32 v3, 1, v3
	v_cmp_lt_u32_e32 vcc, 20, v3
	v_add_u32_e32 v7, 8, v7
	v_add_u32_e32 v8, 8, v8
	s_or_b64 s[4:5], vcc, s[4:5]
	s_waitcnt vmcnt(0) lgkmcnt(0)
	v_pk_mul_f32 v[14:15], v[12:13], v[10:11] op_sel:[1,1] op_sel_hi:[0,1]
	v_pk_fma_f32 v[16:17], v[12:13], v[10:11], v[14:15] neg_lo:[0,0,1] neg_hi:[0,0,1]
	v_pk_fma_f32 v[10:11], v[12:13], v[10:11], v[14:15] op_sel_hi:[1,0,1]
	s_nop 0
	v_mov_b32_e32 v17, v11
	v_pk_add_f32 v[4:5], v[4:5], v[16:17]
	s_andn2_b64 exec, exec, s[4:5]
	s_cbranch_execnz .LBB119_101
; %bb.102:
	s_or_b64 exec, exec, s[4:5]
	v_mov_b32_e32 v3, 0
	ds_read_b64 v[8:9], v3 offset:176
	s_waitcnt lgkmcnt(0)
	v_pk_mul_f32 v[10:11], v[4:5], v[8:9] op_sel:[1,1] op_sel_hi:[0,1]
	v_pk_fma_f32 v[12:13], v[4:5], v[8:9], v[10:11] neg_lo:[0,0,1] neg_hi:[0,0,1]
	v_pk_fma_f32 v[4:5], v[4:5], v[8:9], v[10:11] op_sel_hi:[1,0,1]
	s_nop 0
	v_mov_b32_e32 v13, v5
	scratch_store_dwordx2 off, v[12:13], off offset:176
.LBB119_103:
	s_or_b64 exec, exec, s[0:1]
	; wave barrier
	scratch_load_dwordx2 v[4:5], off, off offset:184
	v_cmp_gt_u32_e32 vcc, 23, v0
	s_waitcnt vmcnt(0)
	ds_write_b64 v1, v[4:5]
	s_waitcnt lgkmcnt(0)
	; wave barrier
	s_and_saveexec_b64 s[0:1], vcc
	s_cbranch_execz .LBB119_107
; %bb.104:
	v_mov_b32_e32 v4, 0
	v_add_u32_e32 v3, -1, v0
	v_add_u32_e32 v7, 0x1c0, v2
	v_mov_b32_e32 v8, v2
	s_mov_b64 s[4:5], 0
	v_mov_b32_e32 v5, v4
.LBB119_105:                            ; =>This Inner Loop Header: Depth=1
	scratch_load_dwordx2 v[10:11], v8, off
	ds_read_b64 v[12:13], v7
	v_add_u32_e32 v3, 1, v3
	v_cmp_lt_u32_e32 vcc, 21, v3
	v_add_u32_e32 v7, 8, v7
	v_add_u32_e32 v8, 8, v8
	s_or_b64 s[4:5], vcc, s[4:5]
	s_waitcnt vmcnt(0) lgkmcnt(0)
	v_pk_mul_f32 v[14:15], v[12:13], v[10:11] op_sel:[1,1] op_sel_hi:[0,1]
	v_pk_fma_f32 v[16:17], v[12:13], v[10:11], v[14:15] neg_lo:[0,0,1] neg_hi:[0,0,1]
	v_pk_fma_f32 v[10:11], v[12:13], v[10:11], v[14:15] op_sel_hi:[1,0,1]
	s_nop 0
	v_mov_b32_e32 v17, v11
	v_pk_add_f32 v[4:5], v[4:5], v[16:17]
	s_andn2_b64 exec, exec, s[4:5]
	s_cbranch_execnz .LBB119_105
; %bb.106:
	s_or_b64 exec, exec, s[4:5]
	v_mov_b32_e32 v3, 0
	ds_read_b64 v[8:9], v3 offset:184
	s_waitcnt lgkmcnt(0)
	v_pk_mul_f32 v[10:11], v[4:5], v[8:9] op_sel:[1,1] op_sel_hi:[0,1]
	v_pk_fma_f32 v[12:13], v[4:5], v[8:9], v[10:11] neg_lo:[0,0,1] neg_hi:[0,0,1]
	v_pk_fma_f32 v[4:5], v[4:5], v[8:9], v[10:11] op_sel_hi:[1,0,1]
	s_nop 0
	v_mov_b32_e32 v13, v5
	scratch_store_dwordx2 off, v[12:13], off offset:184
.LBB119_107:
	s_or_b64 exec, exec, s[0:1]
	; wave barrier
	scratch_load_dwordx2 v[4:5], off, off offset:192
	v_cmp_gt_u32_e32 vcc, 24, v0
	s_waitcnt vmcnt(0)
	ds_write_b64 v1, v[4:5]
	s_waitcnt lgkmcnt(0)
	; wave barrier
	s_and_saveexec_b64 s[0:1], vcc
	s_cbranch_execz .LBB119_111
; %bb.108:
	v_mov_b32_e32 v4, 0
	v_add_u32_e32 v3, -1, v0
	v_add_u32_e32 v7, 0x1c0, v2
	v_mov_b32_e32 v8, v2
	s_mov_b64 s[4:5], 0
	v_mov_b32_e32 v5, v4
.LBB119_109:                            ; =>This Inner Loop Header: Depth=1
	scratch_load_dwordx2 v[10:11], v8, off
	ds_read_b64 v[12:13], v7
	v_add_u32_e32 v3, 1, v3
	v_cmp_lt_u32_e32 vcc, 22, v3
	v_add_u32_e32 v7, 8, v7
	v_add_u32_e32 v8, 8, v8
	s_or_b64 s[4:5], vcc, s[4:5]
	s_waitcnt vmcnt(0) lgkmcnt(0)
	v_pk_mul_f32 v[14:15], v[12:13], v[10:11] op_sel:[1,1] op_sel_hi:[0,1]
	v_pk_fma_f32 v[16:17], v[12:13], v[10:11], v[14:15] neg_lo:[0,0,1] neg_hi:[0,0,1]
	v_pk_fma_f32 v[10:11], v[12:13], v[10:11], v[14:15] op_sel_hi:[1,0,1]
	s_nop 0
	v_mov_b32_e32 v17, v11
	v_pk_add_f32 v[4:5], v[4:5], v[16:17]
	s_andn2_b64 exec, exec, s[4:5]
	s_cbranch_execnz .LBB119_109
; %bb.110:
	s_or_b64 exec, exec, s[4:5]
	v_mov_b32_e32 v3, 0
	ds_read_b64 v[8:9], v3 offset:192
	s_waitcnt lgkmcnt(0)
	v_pk_mul_f32 v[10:11], v[4:5], v[8:9] op_sel:[1,1] op_sel_hi:[0,1]
	v_pk_fma_f32 v[12:13], v[4:5], v[8:9], v[10:11] neg_lo:[0,0,1] neg_hi:[0,0,1]
	v_pk_fma_f32 v[4:5], v[4:5], v[8:9], v[10:11] op_sel_hi:[1,0,1]
	s_nop 0
	v_mov_b32_e32 v13, v5
	scratch_store_dwordx2 off, v[12:13], off offset:192
.LBB119_111:
	s_or_b64 exec, exec, s[0:1]
	; wave barrier
	scratch_load_dwordx2 v[4:5], off, off offset:200
	v_cmp_gt_u32_e32 vcc, 25, v0
	s_waitcnt vmcnt(0)
	ds_write_b64 v1, v[4:5]
	s_waitcnt lgkmcnt(0)
	; wave barrier
	s_and_saveexec_b64 s[0:1], vcc
	s_cbranch_execz .LBB119_115
; %bb.112:
	v_mov_b32_e32 v4, 0
	v_add_u32_e32 v3, -1, v0
	v_add_u32_e32 v7, 0x1c0, v2
	v_mov_b32_e32 v8, v2
	s_mov_b64 s[4:5], 0
	v_mov_b32_e32 v5, v4
.LBB119_113:                            ; =>This Inner Loop Header: Depth=1
	scratch_load_dwordx2 v[10:11], v8, off
	ds_read_b64 v[12:13], v7
	v_add_u32_e32 v3, 1, v3
	v_cmp_lt_u32_e32 vcc, 23, v3
	v_add_u32_e32 v7, 8, v7
	v_add_u32_e32 v8, 8, v8
	s_or_b64 s[4:5], vcc, s[4:5]
	s_waitcnt vmcnt(0) lgkmcnt(0)
	v_pk_mul_f32 v[14:15], v[12:13], v[10:11] op_sel:[1,1] op_sel_hi:[0,1]
	v_pk_fma_f32 v[16:17], v[12:13], v[10:11], v[14:15] neg_lo:[0,0,1] neg_hi:[0,0,1]
	v_pk_fma_f32 v[10:11], v[12:13], v[10:11], v[14:15] op_sel_hi:[1,0,1]
	s_nop 0
	v_mov_b32_e32 v17, v11
	v_pk_add_f32 v[4:5], v[4:5], v[16:17]
	s_andn2_b64 exec, exec, s[4:5]
	s_cbranch_execnz .LBB119_113
; %bb.114:
	s_or_b64 exec, exec, s[4:5]
	v_mov_b32_e32 v3, 0
	ds_read_b64 v[8:9], v3 offset:200
	s_waitcnt lgkmcnt(0)
	v_pk_mul_f32 v[10:11], v[4:5], v[8:9] op_sel:[1,1] op_sel_hi:[0,1]
	v_pk_fma_f32 v[12:13], v[4:5], v[8:9], v[10:11] neg_lo:[0,0,1] neg_hi:[0,0,1]
	v_pk_fma_f32 v[4:5], v[4:5], v[8:9], v[10:11] op_sel_hi:[1,0,1]
	s_nop 0
	v_mov_b32_e32 v13, v5
	scratch_store_dwordx2 off, v[12:13], off offset:200
.LBB119_115:
	s_or_b64 exec, exec, s[0:1]
	; wave barrier
	scratch_load_dwordx2 v[4:5], off, off offset:208
	v_cmp_gt_u32_e32 vcc, 26, v0
	s_waitcnt vmcnt(0)
	ds_write_b64 v1, v[4:5]
	s_waitcnt lgkmcnt(0)
	; wave barrier
	s_and_saveexec_b64 s[0:1], vcc
	s_cbranch_execz .LBB119_119
; %bb.116:
	v_mov_b32_e32 v4, 0
	v_add_u32_e32 v3, -1, v0
	v_add_u32_e32 v7, 0x1c0, v2
	v_mov_b32_e32 v8, v2
	s_mov_b64 s[4:5], 0
	v_mov_b32_e32 v5, v4
.LBB119_117:                            ; =>This Inner Loop Header: Depth=1
	scratch_load_dwordx2 v[10:11], v8, off
	ds_read_b64 v[12:13], v7
	v_add_u32_e32 v3, 1, v3
	v_cmp_lt_u32_e32 vcc, 24, v3
	v_add_u32_e32 v7, 8, v7
	v_add_u32_e32 v8, 8, v8
	s_or_b64 s[4:5], vcc, s[4:5]
	s_waitcnt vmcnt(0) lgkmcnt(0)
	v_pk_mul_f32 v[14:15], v[12:13], v[10:11] op_sel:[1,1] op_sel_hi:[0,1]
	v_pk_fma_f32 v[16:17], v[12:13], v[10:11], v[14:15] neg_lo:[0,0,1] neg_hi:[0,0,1]
	v_pk_fma_f32 v[10:11], v[12:13], v[10:11], v[14:15] op_sel_hi:[1,0,1]
	s_nop 0
	v_mov_b32_e32 v17, v11
	v_pk_add_f32 v[4:5], v[4:5], v[16:17]
	s_andn2_b64 exec, exec, s[4:5]
	s_cbranch_execnz .LBB119_117
; %bb.118:
	s_or_b64 exec, exec, s[4:5]
	v_mov_b32_e32 v3, 0
	ds_read_b64 v[8:9], v3 offset:208
	s_waitcnt lgkmcnt(0)
	v_pk_mul_f32 v[10:11], v[4:5], v[8:9] op_sel:[1,1] op_sel_hi:[0,1]
	v_pk_fma_f32 v[12:13], v[4:5], v[8:9], v[10:11] neg_lo:[0,0,1] neg_hi:[0,0,1]
	v_pk_fma_f32 v[4:5], v[4:5], v[8:9], v[10:11] op_sel_hi:[1,0,1]
	s_nop 0
	v_mov_b32_e32 v13, v5
	scratch_store_dwordx2 off, v[12:13], off offset:208
.LBB119_119:
	s_or_b64 exec, exec, s[0:1]
	; wave barrier
	scratch_load_dwordx2 v[4:5], off, off offset:216
	v_cmp_gt_u32_e32 vcc, 27, v0
	s_waitcnt vmcnt(0)
	ds_write_b64 v1, v[4:5]
	s_waitcnt lgkmcnt(0)
	; wave barrier
	s_and_saveexec_b64 s[0:1], vcc
	s_cbranch_execz .LBB119_123
; %bb.120:
	v_mov_b32_e32 v4, 0
	v_add_u32_e32 v3, -1, v0
	v_add_u32_e32 v7, 0x1c0, v2
	v_mov_b32_e32 v8, v2
	s_mov_b64 s[4:5], 0
	v_mov_b32_e32 v5, v4
.LBB119_121:                            ; =>This Inner Loop Header: Depth=1
	scratch_load_dwordx2 v[10:11], v8, off
	ds_read_b64 v[12:13], v7
	v_add_u32_e32 v3, 1, v3
	v_cmp_lt_u32_e32 vcc, 25, v3
	v_add_u32_e32 v7, 8, v7
	v_add_u32_e32 v8, 8, v8
	s_or_b64 s[4:5], vcc, s[4:5]
	s_waitcnt vmcnt(0) lgkmcnt(0)
	v_pk_mul_f32 v[14:15], v[12:13], v[10:11] op_sel:[1,1] op_sel_hi:[0,1]
	v_pk_fma_f32 v[16:17], v[12:13], v[10:11], v[14:15] neg_lo:[0,0,1] neg_hi:[0,0,1]
	v_pk_fma_f32 v[10:11], v[12:13], v[10:11], v[14:15] op_sel_hi:[1,0,1]
	s_nop 0
	v_mov_b32_e32 v17, v11
	v_pk_add_f32 v[4:5], v[4:5], v[16:17]
	s_andn2_b64 exec, exec, s[4:5]
	s_cbranch_execnz .LBB119_121
; %bb.122:
	s_or_b64 exec, exec, s[4:5]
	v_mov_b32_e32 v3, 0
	ds_read_b64 v[8:9], v3 offset:216
	s_waitcnt lgkmcnt(0)
	v_pk_mul_f32 v[10:11], v[4:5], v[8:9] op_sel:[1,1] op_sel_hi:[0,1]
	v_pk_fma_f32 v[12:13], v[4:5], v[8:9], v[10:11] neg_lo:[0,0,1] neg_hi:[0,0,1]
	v_pk_fma_f32 v[4:5], v[4:5], v[8:9], v[10:11] op_sel_hi:[1,0,1]
	s_nop 0
	v_mov_b32_e32 v13, v5
	scratch_store_dwordx2 off, v[12:13], off offset:216
.LBB119_123:
	s_or_b64 exec, exec, s[0:1]
	; wave barrier
	scratch_load_dwordx2 v[4:5], off, off offset:224
	v_cmp_gt_u32_e32 vcc, 28, v0
	s_waitcnt vmcnt(0)
	ds_write_b64 v1, v[4:5]
	s_waitcnt lgkmcnt(0)
	; wave barrier
	s_and_saveexec_b64 s[0:1], vcc
	s_cbranch_execz .LBB119_127
; %bb.124:
	v_mov_b32_e32 v4, 0
	v_add_u32_e32 v3, -1, v0
	v_add_u32_e32 v7, 0x1c0, v2
	v_mov_b32_e32 v8, v2
	s_mov_b64 s[4:5], 0
	v_mov_b32_e32 v5, v4
.LBB119_125:                            ; =>This Inner Loop Header: Depth=1
	scratch_load_dwordx2 v[10:11], v8, off
	ds_read_b64 v[12:13], v7
	v_add_u32_e32 v3, 1, v3
	v_cmp_lt_u32_e32 vcc, 26, v3
	v_add_u32_e32 v7, 8, v7
	v_add_u32_e32 v8, 8, v8
	s_or_b64 s[4:5], vcc, s[4:5]
	s_waitcnt vmcnt(0) lgkmcnt(0)
	v_pk_mul_f32 v[14:15], v[12:13], v[10:11] op_sel:[1,1] op_sel_hi:[0,1]
	v_pk_fma_f32 v[16:17], v[12:13], v[10:11], v[14:15] neg_lo:[0,0,1] neg_hi:[0,0,1]
	v_pk_fma_f32 v[10:11], v[12:13], v[10:11], v[14:15] op_sel_hi:[1,0,1]
	s_nop 0
	v_mov_b32_e32 v17, v11
	v_pk_add_f32 v[4:5], v[4:5], v[16:17]
	s_andn2_b64 exec, exec, s[4:5]
	s_cbranch_execnz .LBB119_125
; %bb.126:
	s_or_b64 exec, exec, s[4:5]
	v_mov_b32_e32 v3, 0
	ds_read_b64 v[8:9], v3 offset:224
	s_waitcnt lgkmcnt(0)
	v_pk_mul_f32 v[10:11], v[4:5], v[8:9] op_sel:[1,1] op_sel_hi:[0,1]
	v_pk_fma_f32 v[12:13], v[4:5], v[8:9], v[10:11] neg_lo:[0,0,1] neg_hi:[0,0,1]
	v_pk_fma_f32 v[4:5], v[4:5], v[8:9], v[10:11] op_sel_hi:[1,0,1]
	s_nop 0
	v_mov_b32_e32 v13, v5
	scratch_store_dwordx2 off, v[12:13], off offset:224
.LBB119_127:
	s_or_b64 exec, exec, s[0:1]
	; wave barrier
	scratch_load_dwordx2 v[4:5], off, off offset:232
	v_cmp_gt_u32_e32 vcc, 29, v0
	s_waitcnt vmcnt(0)
	ds_write_b64 v1, v[4:5]
	s_waitcnt lgkmcnt(0)
	; wave barrier
	s_and_saveexec_b64 s[0:1], vcc
	s_cbranch_execz .LBB119_131
; %bb.128:
	v_mov_b32_e32 v4, 0
	v_add_u32_e32 v3, -1, v0
	v_add_u32_e32 v7, 0x1c0, v2
	v_mov_b32_e32 v8, v2
	s_mov_b64 s[4:5], 0
	v_mov_b32_e32 v5, v4
.LBB119_129:                            ; =>This Inner Loop Header: Depth=1
	scratch_load_dwordx2 v[10:11], v8, off
	ds_read_b64 v[12:13], v7
	v_add_u32_e32 v3, 1, v3
	v_cmp_lt_u32_e32 vcc, 27, v3
	v_add_u32_e32 v7, 8, v7
	v_add_u32_e32 v8, 8, v8
	s_or_b64 s[4:5], vcc, s[4:5]
	s_waitcnt vmcnt(0) lgkmcnt(0)
	v_pk_mul_f32 v[14:15], v[12:13], v[10:11] op_sel:[1,1] op_sel_hi:[0,1]
	v_pk_fma_f32 v[16:17], v[12:13], v[10:11], v[14:15] neg_lo:[0,0,1] neg_hi:[0,0,1]
	v_pk_fma_f32 v[10:11], v[12:13], v[10:11], v[14:15] op_sel_hi:[1,0,1]
	s_nop 0
	v_mov_b32_e32 v17, v11
	v_pk_add_f32 v[4:5], v[4:5], v[16:17]
	s_andn2_b64 exec, exec, s[4:5]
	s_cbranch_execnz .LBB119_129
; %bb.130:
	s_or_b64 exec, exec, s[4:5]
	v_mov_b32_e32 v3, 0
	ds_read_b64 v[8:9], v3 offset:232
	s_waitcnt lgkmcnt(0)
	v_pk_mul_f32 v[10:11], v[4:5], v[8:9] op_sel:[1,1] op_sel_hi:[0,1]
	v_pk_fma_f32 v[12:13], v[4:5], v[8:9], v[10:11] neg_lo:[0,0,1] neg_hi:[0,0,1]
	v_pk_fma_f32 v[4:5], v[4:5], v[8:9], v[10:11] op_sel_hi:[1,0,1]
	s_nop 0
	v_mov_b32_e32 v13, v5
	scratch_store_dwordx2 off, v[12:13], off offset:232
.LBB119_131:
	s_or_b64 exec, exec, s[0:1]
	; wave barrier
	scratch_load_dwordx2 v[4:5], off, off offset:240
	v_cmp_gt_u32_e32 vcc, 30, v0
	s_waitcnt vmcnt(0)
	ds_write_b64 v1, v[4:5]
	s_waitcnt lgkmcnt(0)
	; wave barrier
	s_and_saveexec_b64 s[0:1], vcc
	s_cbranch_execz .LBB119_135
; %bb.132:
	v_mov_b32_e32 v4, 0
	v_add_u32_e32 v3, -1, v0
	v_add_u32_e32 v7, 0x1c0, v2
	v_mov_b32_e32 v8, v2
	s_mov_b64 s[4:5], 0
	v_mov_b32_e32 v5, v4
.LBB119_133:                            ; =>This Inner Loop Header: Depth=1
	scratch_load_dwordx2 v[10:11], v8, off
	ds_read_b64 v[12:13], v7
	v_add_u32_e32 v3, 1, v3
	v_cmp_lt_u32_e32 vcc, 28, v3
	v_add_u32_e32 v7, 8, v7
	v_add_u32_e32 v8, 8, v8
	s_or_b64 s[4:5], vcc, s[4:5]
	s_waitcnt vmcnt(0) lgkmcnt(0)
	v_pk_mul_f32 v[14:15], v[12:13], v[10:11] op_sel:[1,1] op_sel_hi:[0,1]
	v_pk_fma_f32 v[16:17], v[12:13], v[10:11], v[14:15] neg_lo:[0,0,1] neg_hi:[0,0,1]
	v_pk_fma_f32 v[10:11], v[12:13], v[10:11], v[14:15] op_sel_hi:[1,0,1]
	s_nop 0
	v_mov_b32_e32 v17, v11
	v_pk_add_f32 v[4:5], v[4:5], v[16:17]
	s_andn2_b64 exec, exec, s[4:5]
	s_cbranch_execnz .LBB119_133
; %bb.134:
	s_or_b64 exec, exec, s[4:5]
	v_mov_b32_e32 v3, 0
	ds_read_b64 v[8:9], v3 offset:240
	s_waitcnt lgkmcnt(0)
	v_pk_mul_f32 v[10:11], v[4:5], v[8:9] op_sel:[1,1] op_sel_hi:[0,1]
	v_pk_fma_f32 v[12:13], v[4:5], v[8:9], v[10:11] neg_lo:[0,0,1] neg_hi:[0,0,1]
	v_pk_fma_f32 v[4:5], v[4:5], v[8:9], v[10:11] op_sel_hi:[1,0,1]
	s_nop 0
	v_mov_b32_e32 v13, v5
	scratch_store_dwordx2 off, v[12:13], off offset:240
.LBB119_135:
	s_or_b64 exec, exec, s[0:1]
	; wave barrier
	scratch_load_dwordx2 v[4:5], off, off offset:248
	v_cmp_gt_u32_e32 vcc, 31, v0
	s_waitcnt vmcnt(0)
	ds_write_b64 v1, v[4:5]
	s_waitcnt lgkmcnt(0)
	; wave barrier
	s_and_saveexec_b64 s[0:1], vcc
	s_cbranch_execz .LBB119_139
; %bb.136:
	v_mov_b32_e32 v4, 0
	v_add_u32_e32 v3, -1, v0
	v_add_u32_e32 v7, 0x1c0, v2
	v_mov_b32_e32 v8, v2
	s_mov_b64 s[4:5], 0
	v_mov_b32_e32 v5, v4
.LBB119_137:                            ; =>This Inner Loop Header: Depth=1
	scratch_load_dwordx2 v[10:11], v8, off
	ds_read_b64 v[12:13], v7
	v_add_u32_e32 v3, 1, v3
	v_cmp_lt_u32_e32 vcc, 29, v3
	v_add_u32_e32 v7, 8, v7
	v_add_u32_e32 v8, 8, v8
	s_or_b64 s[4:5], vcc, s[4:5]
	s_waitcnt vmcnt(0) lgkmcnt(0)
	v_pk_mul_f32 v[14:15], v[12:13], v[10:11] op_sel:[1,1] op_sel_hi:[0,1]
	v_pk_fma_f32 v[16:17], v[12:13], v[10:11], v[14:15] neg_lo:[0,0,1] neg_hi:[0,0,1]
	v_pk_fma_f32 v[10:11], v[12:13], v[10:11], v[14:15] op_sel_hi:[1,0,1]
	s_nop 0
	v_mov_b32_e32 v17, v11
	v_pk_add_f32 v[4:5], v[4:5], v[16:17]
	s_andn2_b64 exec, exec, s[4:5]
	s_cbranch_execnz .LBB119_137
; %bb.138:
	s_or_b64 exec, exec, s[4:5]
	v_mov_b32_e32 v3, 0
	ds_read_b64 v[8:9], v3 offset:248
	s_waitcnt lgkmcnt(0)
	v_pk_mul_f32 v[10:11], v[4:5], v[8:9] op_sel:[1,1] op_sel_hi:[0,1]
	v_pk_fma_f32 v[12:13], v[4:5], v[8:9], v[10:11] neg_lo:[0,0,1] neg_hi:[0,0,1]
	v_pk_fma_f32 v[4:5], v[4:5], v[8:9], v[10:11] op_sel_hi:[1,0,1]
	s_nop 0
	v_mov_b32_e32 v13, v5
	scratch_store_dwordx2 off, v[12:13], off offset:248
.LBB119_139:
	s_or_b64 exec, exec, s[0:1]
	; wave barrier
	scratch_load_dwordx2 v[4:5], off, off offset:256
	v_cmp_gt_u32_e32 vcc, 32, v0
	s_waitcnt vmcnt(0)
	ds_write_b64 v1, v[4:5]
	s_waitcnt lgkmcnt(0)
	; wave barrier
	s_and_saveexec_b64 s[0:1], vcc
	s_cbranch_execz .LBB119_143
; %bb.140:
	v_mov_b32_e32 v4, 0
	v_add_u32_e32 v3, -1, v0
	v_add_u32_e32 v7, 0x1c0, v2
	v_mov_b32_e32 v8, v2
	s_mov_b64 s[4:5], 0
	v_mov_b32_e32 v5, v4
.LBB119_141:                            ; =>This Inner Loop Header: Depth=1
	scratch_load_dwordx2 v[10:11], v8, off
	ds_read_b64 v[12:13], v7
	v_add_u32_e32 v3, 1, v3
	v_cmp_lt_u32_e32 vcc, 30, v3
	v_add_u32_e32 v7, 8, v7
	v_add_u32_e32 v8, 8, v8
	s_or_b64 s[4:5], vcc, s[4:5]
	s_waitcnt vmcnt(0) lgkmcnt(0)
	v_pk_mul_f32 v[14:15], v[12:13], v[10:11] op_sel:[1,1] op_sel_hi:[0,1]
	v_pk_fma_f32 v[16:17], v[12:13], v[10:11], v[14:15] neg_lo:[0,0,1] neg_hi:[0,0,1]
	v_pk_fma_f32 v[10:11], v[12:13], v[10:11], v[14:15] op_sel_hi:[1,0,1]
	s_nop 0
	v_mov_b32_e32 v17, v11
	v_pk_add_f32 v[4:5], v[4:5], v[16:17]
	s_andn2_b64 exec, exec, s[4:5]
	s_cbranch_execnz .LBB119_141
; %bb.142:
	s_or_b64 exec, exec, s[4:5]
	v_mov_b32_e32 v3, 0
	ds_read_b64 v[8:9], v3 offset:256
	s_waitcnt lgkmcnt(0)
	v_pk_mul_f32 v[10:11], v[4:5], v[8:9] op_sel:[1,1] op_sel_hi:[0,1]
	v_pk_fma_f32 v[12:13], v[4:5], v[8:9], v[10:11] neg_lo:[0,0,1] neg_hi:[0,0,1]
	v_pk_fma_f32 v[4:5], v[4:5], v[8:9], v[10:11] op_sel_hi:[1,0,1]
	s_nop 0
	v_mov_b32_e32 v13, v5
	scratch_store_dwordx2 off, v[12:13], off offset:256
.LBB119_143:
	s_or_b64 exec, exec, s[0:1]
	; wave barrier
	scratch_load_dwordx2 v[4:5], off, off offset:264
	v_cmp_gt_u32_e32 vcc, 33, v0
	s_waitcnt vmcnt(0)
	ds_write_b64 v1, v[4:5]
	s_waitcnt lgkmcnt(0)
	; wave barrier
	s_and_saveexec_b64 s[0:1], vcc
	s_cbranch_execz .LBB119_147
; %bb.144:
	v_mov_b32_e32 v4, 0
	v_add_u32_e32 v3, -1, v0
	v_add_u32_e32 v7, 0x1c0, v2
	v_mov_b32_e32 v8, v2
	s_mov_b64 s[4:5], 0
	v_mov_b32_e32 v5, v4
.LBB119_145:                            ; =>This Inner Loop Header: Depth=1
	scratch_load_dwordx2 v[10:11], v8, off
	ds_read_b64 v[12:13], v7
	v_add_u32_e32 v3, 1, v3
	v_cmp_lt_u32_e32 vcc, 31, v3
	v_add_u32_e32 v7, 8, v7
	v_add_u32_e32 v8, 8, v8
	s_or_b64 s[4:5], vcc, s[4:5]
	s_waitcnt vmcnt(0) lgkmcnt(0)
	v_pk_mul_f32 v[14:15], v[12:13], v[10:11] op_sel:[1,1] op_sel_hi:[0,1]
	v_pk_fma_f32 v[16:17], v[12:13], v[10:11], v[14:15] neg_lo:[0,0,1] neg_hi:[0,0,1]
	v_pk_fma_f32 v[10:11], v[12:13], v[10:11], v[14:15] op_sel_hi:[1,0,1]
	s_nop 0
	v_mov_b32_e32 v17, v11
	v_pk_add_f32 v[4:5], v[4:5], v[16:17]
	s_andn2_b64 exec, exec, s[4:5]
	s_cbranch_execnz .LBB119_145
; %bb.146:
	s_or_b64 exec, exec, s[4:5]
	v_mov_b32_e32 v3, 0
	ds_read_b64 v[8:9], v3 offset:264
	s_waitcnt lgkmcnt(0)
	v_pk_mul_f32 v[10:11], v[4:5], v[8:9] op_sel:[1,1] op_sel_hi:[0,1]
	v_pk_fma_f32 v[12:13], v[4:5], v[8:9], v[10:11] neg_lo:[0,0,1] neg_hi:[0,0,1]
	v_pk_fma_f32 v[4:5], v[4:5], v[8:9], v[10:11] op_sel_hi:[1,0,1]
	s_nop 0
	v_mov_b32_e32 v13, v5
	scratch_store_dwordx2 off, v[12:13], off offset:264
.LBB119_147:
	s_or_b64 exec, exec, s[0:1]
	; wave barrier
	scratch_load_dwordx2 v[4:5], off, off offset:272
	v_cmp_gt_u32_e32 vcc, 34, v0
	s_waitcnt vmcnt(0)
	ds_write_b64 v1, v[4:5]
	s_waitcnt lgkmcnt(0)
	; wave barrier
	s_and_saveexec_b64 s[0:1], vcc
	s_cbranch_execz .LBB119_151
; %bb.148:
	v_mov_b32_e32 v4, 0
	v_add_u32_e32 v3, -1, v0
	v_add_u32_e32 v7, 0x1c0, v2
	v_mov_b32_e32 v8, v2
	s_mov_b64 s[4:5], 0
	v_mov_b32_e32 v5, v4
.LBB119_149:                            ; =>This Inner Loop Header: Depth=1
	scratch_load_dwordx2 v[10:11], v8, off
	ds_read_b64 v[12:13], v7
	v_add_u32_e32 v3, 1, v3
	v_cmp_lt_u32_e32 vcc, 32, v3
	v_add_u32_e32 v7, 8, v7
	v_add_u32_e32 v8, 8, v8
	s_or_b64 s[4:5], vcc, s[4:5]
	s_waitcnt vmcnt(0) lgkmcnt(0)
	v_pk_mul_f32 v[14:15], v[12:13], v[10:11] op_sel:[1,1] op_sel_hi:[0,1]
	v_pk_fma_f32 v[16:17], v[12:13], v[10:11], v[14:15] neg_lo:[0,0,1] neg_hi:[0,0,1]
	v_pk_fma_f32 v[10:11], v[12:13], v[10:11], v[14:15] op_sel_hi:[1,0,1]
	s_nop 0
	v_mov_b32_e32 v17, v11
	v_pk_add_f32 v[4:5], v[4:5], v[16:17]
	s_andn2_b64 exec, exec, s[4:5]
	s_cbranch_execnz .LBB119_149
; %bb.150:
	s_or_b64 exec, exec, s[4:5]
	v_mov_b32_e32 v3, 0
	ds_read_b64 v[8:9], v3 offset:272
	s_waitcnt lgkmcnt(0)
	v_pk_mul_f32 v[10:11], v[4:5], v[8:9] op_sel:[1,1] op_sel_hi:[0,1]
	v_pk_fma_f32 v[12:13], v[4:5], v[8:9], v[10:11] neg_lo:[0,0,1] neg_hi:[0,0,1]
	v_pk_fma_f32 v[4:5], v[4:5], v[8:9], v[10:11] op_sel_hi:[1,0,1]
	s_nop 0
	v_mov_b32_e32 v13, v5
	scratch_store_dwordx2 off, v[12:13], off offset:272
.LBB119_151:
	s_or_b64 exec, exec, s[0:1]
	; wave barrier
	scratch_load_dwordx2 v[4:5], off, off offset:280
	v_cmp_gt_u32_e32 vcc, 35, v0
	s_waitcnt vmcnt(0)
	ds_write_b64 v1, v[4:5]
	s_waitcnt lgkmcnt(0)
	; wave barrier
	s_and_saveexec_b64 s[0:1], vcc
	s_cbranch_execz .LBB119_155
; %bb.152:
	v_mov_b32_e32 v4, 0
	v_add_u32_e32 v3, -1, v0
	v_add_u32_e32 v7, 0x1c0, v2
	v_mov_b32_e32 v8, v2
	s_mov_b64 s[4:5], 0
	v_mov_b32_e32 v5, v4
.LBB119_153:                            ; =>This Inner Loop Header: Depth=1
	scratch_load_dwordx2 v[10:11], v8, off
	ds_read_b64 v[12:13], v7
	v_add_u32_e32 v3, 1, v3
	v_cmp_lt_u32_e32 vcc, 33, v3
	v_add_u32_e32 v7, 8, v7
	v_add_u32_e32 v8, 8, v8
	s_or_b64 s[4:5], vcc, s[4:5]
	s_waitcnt vmcnt(0) lgkmcnt(0)
	v_pk_mul_f32 v[14:15], v[12:13], v[10:11] op_sel:[1,1] op_sel_hi:[0,1]
	v_pk_fma_f32 v[16:17], v[12:13], v[10:11], v[14:15] neg_lo:[0,0,1] neg_hi:[0,0,1]
	v_pk_fma_f32 v[10:11], v[12:13], v[10:11], v[14:15] op_sel_hi:[1,0,1]
	s_nop 0
	v_mov_b32_e32 v17, v11
	v_pk_add_f32 v[4:5], v[4:5], v[16:17]
	s_andn2_b64 exec, exec, s[4:5]
	s_cbranch_execnz .LBB119_153
; %bb.154:
	s_or_b64 exec, exec, s[4:5]
	v_mov_b32_e32 v3, 0
	ds_read_b64 v[8:9], v3 offset:280
	s_waitcnt lgkmcnt(0)
	v_pk_mul_f32 v[10:11], v[4:5], v[8:9] op_sel:[1,1] op_sel_hi:[0,1]
	v_pk_fma_f32 v[12:13], v[4:5], v[8:9], v[10:11] neg_lo:[0,0,1] neg_hi:[0,0,1]
	v_pk_fma_f32 v[4:5], v[4:5], v[8:9], v[10:11] op_sel_hi:[1,0,1]
	s_nop 0
	v_mov_b32_e32 v13, v5
	scratch_store_dwordx2 off, v[12:13], off offset:280
.LBB119_155:
	s_or_b64 exec, exec, s[0:1]
	; wave barrier
	scratch_load_dwordx2 v[4:5], off, off offset:288
	v_cmp_gt_u32_e32 vcc, 36, v0
	s_waitcnt vmcnt(0)
	ds_write_b64 v1, v[4:5]
	s_waitcnt lgkmcnt(0)
	; wave barrier
	s_and_saveexec_b64 s[0:1], vcc
	s_cbranch_execz .LBB119_159
; %bb.156:
	v_mov_b32_e32 v4, 0
	v_add_u32_e32 v3, -1, v0
	v_add_u32_e32 v7, 0x1c0, v2
	v_mov_b32_e32 v8, v2
	s_mov_b64 s[4:5], 0
	v_mov_b32_e32 v5, v4
.LBB119_157:                            ; =>This Inner Loop Header: Depth=1
	scratch_load_dwordx2 v[10:11], v8, off
	ds_read_b64 v[12:13], v7
	v_add_u32_e32 v3, 1, v3
	v_cmp_lt_u32_e32 vcc, 34, v3
	v_add_u32_e32 v7, 8, v7
	v_add_u32_e32 v8, 8, v8
	s_or_b64 s[4:5], vcc, s[4:5]
	s_waitcnt vmcnt(0) lgkmcnt(0)
	v_pk_mul_f32 v[14:15], v[12:13], v[10:11] op_sel:[1,1] op_sel_hi:[0,1]
	v_pk_fma_f32 v[16:17], v[12:13], v[10:11], v[14:15] neg_lo:[0,0,1] neg_hi:[0,0,1]
	v_pk_fma_f32 v[10:11], v[12:13], v[10:11], v[14:15] op_sel_hi:[1,0,1]
	s_nop 0
	v_mov_b32_e32 v17, v11
	v_pk_add_f32 v[4:5], v[4:5], v[16:17]
	s_andn2_b64 exec, exec, s[4:5]
	s_cbranch_execnz .LBB119_157
; %bb.158:
	s_or_b64 exec, exec, s[4:5]
	v_mov_b32_e32 v3, 0
	ds_read_b64 v[8:9], v3 offset:288
	s_waitcnt lgkmcnt(0)
	v_pk_mul_f32 v[10:11], v[4:5], v[8:9] op_sel:[1,1] op_sel_hi:[0,1]
	v_pk_fma_f32 v[12:13], v[4:5], v[8:9], v[10:11] neg_lo:[0,0,1] neg_hi:[0,0,1]
	v_pk_fma_f32 v[4:5], v[4:5], v[8:9], v[10:11] op_sel_hi:[1,0,1]
	s_nop 0
	v_mov_b32_e32 v13, v5
	scratch_store_dwordx2 off, v[12:13], off offset:288
.LBB119_159:
	s_or_b64 exec, exec, s[0:1]
	; wave barrier
	scratch_load_dwordx2 v[4:5], off, off offset:296
	v_cmp_gt_u32_e32 vcc, 37, v0
	s_waitcnt vmcnt(0)
	ds_write_b64 v1, v[4:5]
	s_waitcnt lgkmcnt(0)
	; wave barrier
	s_and_saveexec_b64 s[0:1], vcc
	s_cbranch_execz .LBB119_163
; %bb.160:
	v_mov_b32_e32 v4, 0
	v_add_u32_e32 v3, -1, v0
	v_add_u32_e32 v7, 0x1c0, v2
	v_mov_b32_e32 v8, v2
	s_mov_b64 s[4:5], 0
	v_mov_b32_e32 v5, v4
.LBB119_161:                            ; =>This Inner Loop Header: Depth=1
	scratch_load_dwordx2 v[10:11], v8, off
	ds_read_b64 v[12:13], v7
	v_add_u32_e32 v3, 1, v3
	v_cmp_lt_u32_e32 vcc, 35, v3
	v_add_u32_e32 v7, 8, v7
	v_add_u32_e32 v8, 8, v8
	s_or_b64 s[4:5], vcc, s[4:5]
	s_waitcnt vmcnt(0) lgkmcnt(0)
	v_pk_mul_f32 v[14:15], v[12:13], v[10:11] op_sel:[1,1] op_sel_hi:[0,1]
	v_pk_fma_f32 v[16:17], v[12:13], v[10:11], v[14:15] neg_lo:[0,0,1] neg_hi:[0,0,1]
	v_pk_fma_f32 v[10:11], v[12:13], v[10:11], v[14:15] op_sel_hi:[1,0,1]
	s_nop 0
	v_mov_b32_e32 v17, v11
	v_pk_add_f32 v[4:5], v[4:5], v[16:17]
	s_andn2_b64 exec, exec, s[4:5]
	s_cbranch_execnz .LBB119_161
; %bb.162:
	s_or_b64 exec, exec, s[4:5]
	v_mov_b32_e32 v3, 0
	ds_read_b64 v[8:9], v3 offset:296
	s_waitcnt lgkmcnt(0)
	v_pk_mul_f32 v[10:11], v[4:5], v[8:9] op_sel:[1,1] op_sel_hi:[0,1]
	v_pk_fma_f32 v[12:13], v[4:5], v[8:9], v[10:11] neg_lo:[0,0,1] neg_hi:[0,0,1]
	v_pk_fma_f32 v[4:5], v[4:5], v[8:9], v[10:11] op_sel_hi:[1,0,1]
	s_nop 0
	v_mov_b32_e32 v13, v5
	scratch_store_dwordx2 off, v[12:13], off offset:296
.LBB119_163:
	s_or_b64 exec, exec, s[0:1]
	; wave barrier
	scratch_load_dwordx2 v[4:5], off, off offset:304
	v_cmp_gt_u32_e32 vcc, 38, v0
	s_waitcnt vmcnt(0)
	ds_write_b64 v1, v[4:5]
	s_waitcnt lgkmcnt(0)
	; wave barrier
	s_and_saveexec_b64 s[0:1], vcc
	s_cbranch_execz .LBB119_167
; %bb.164:
	v_mov_b32_e32 v4, 0
	v_add_u32_e32 v3, -1, v0
	v_add_u32_e32 v7, 0x1c0, v2
	v_mov_b32_e32 v8, v2
	s_mov_b64 s[4:5], 0
	v_mov_b32_e32 v5, v4
.LBB119_165:                            ; =>This Inner Loop Header: Depth=1
	scratch_load_dwordx2 v[10:11], v8, off
	ds_read_b64 v[12:13], v7
	v_add_u32_e32 v3, 1, v3
	v_cmp_lt_u32_e32 vcc, 36, v3
	v_add_u32_e32 v7, 8, v7
	v_add_u32_e32 v8, 8, v8
	s_or_b64 s[4:5], vcc, s[4:5]
	s_waitcnt vmcnt(0) lgkmcnt(0)
	v_pk_mul_f32 v[14:15], v[12:13], v[10:11] op_sel:[1,1] op_sel_hi:[0,1]
	v_pk_fma_f32 v[16:17], v[12:13], v[10:11], v[14:15] neg_lo:[0,0,1] neg_hi:[0,0,1]
	v_pk_fma_f32 v[10:11], v[12:13], v[10:11], v[14:15] op_sel_hi:[1,0,1]
	s_nop 0
	v_mov_b32_e32 v17, v11
	v_pk_add_f32 v[4:5], v[4:5], v[16:17]
	s_andn2_b64 exec, exec, s[4:5]
	s_cbranch_execnz .LBB119_165
; %bb.166:
	s_or_b64 exec, exec, s[4:5]
	v_mov_b32_e32 v3, 0
	ds_read_b64 v[8:9], v3 offset:304
	s_waitcnt lgkmcnt(0)
	v_pk_mul_f32 v[10:11], v[4:5], v[8:9] op_sel:[1,1] op_sel_hi:[0,1]
	v_pk_fma_f32 v[12:13], v[4:5], v[8:9], v[10:11] neg_lo:[0,0,1] neg_hi:[0,0,1]
	v_pk_fma_f32 v[4:5], v[4:5], v[8:9], v[10:11] op_sel_hi:[1,0,1]
	s_nop 0
	v_mov_b32_e32 v13, v5
	scratch_store_dwordx2 off, v[12:13], off offset:304
.LBB119_167:
	s_or_b64 exec, exec, s[0:1]
	; wave barrier
	scratch_load_dwordx2 v[4:5], off, off offset:312
	v_cmp_gt_u32_e32 vcc, 39, v0
	s_waitcnt vmcnt(0)
	ds_write_b64 v1, v[4:5]
	s_waitcnt lgkmcnt(0)
	; wave barrier
	s_and_saveexec_b64 s[0:1], vcc
	s_cbranch_execz .LBB119_171
; %bb.168:
	v_mov_b32_e32 v4, 0
	v_add_u32_e32 v3, -1, v0
	v_add_u32_e32 v7, 0x1c0, v2
	v_mov_b32_e32 v8, v2
	s_mov_b64 s[4:5], 0
	v_mov_b32_e32 v5, v4
.LBB119_169:                            ; =>This Inner Loop Header: Depth=1
	scratch_load_dwordx2 v[10:11], v8, off
	ds_read_b64 v[12:13], v7
	v_add_u32_e32 v3, 1, v3
	v_cmp_lt_u32_e32 vcc, 37, v3
	v_add_u32_e32 v7, 8, v7
	v_add_u32_e32 v8, 8, v8
	s_or_b64 s[4:5], vcc, s[4:5]
	s_waitcnt vmcnt(0) lgkmcnt(0)
	v_pk_mul_f32 v[14:15], v[12:13], v[10:11] op_sel:[1,1] op_sel_hi:[0,1]
	v_pk_fma_f32 v[16:17], v[12:13], v[10:11], v[14:15] neg_lo:[0,0,1] neg_hi:[0,0,1]
	v_pk_fma_f32 v[10:11], v[12:13], v[10:11], v[14:15] op_sel_hi:[1,0,1]
	s_nop 0
	v_mov_b32_e32 v17, v11
	v_pk_add_f32 v[4:5], v[4:5], v[16:17]
	s_andn2_b64 exec, exec, s[4:5]
	s_cbranch_execnz .LBB119_169
; %bb.170:
	s_or_b64 exec, exec, s[4:5]
	v_mov_b32_e32 v3, 0
	ds_read_b64 v[8:9], v3 offset:312
	s_waitcnt lgkmcnt(0)
	v_pk_mul_f32 v[10:11], v[4:5], v[8:9] op_sel:[1,1] op_sel_hi:[0,1]
	v_pk_fma_f32 v[12:13], v[4:5], v[8:9], v[10:11] neg_lo:[0,0,1] neg_hi:[0,0,1]
	v_pk_fma_f32 v[4:5], v[4:5], v[8:9], v[10:11] op_sel_hi:[1,0,1]
	s_nop 0
	v_mov_b32_e32 v13, v5
	scratch_store_dwordx2 off, v[12:13], off offset:312
.LBB119_171:
	s_or_b64 exec, exec, s[0:1]
	; wave barrier
	scratch_load_dwordx2 v[4:5], off, off offset:320
	v_cmp_gt_u32_e32 vcc, 40, v0
	s_waitcnt vmcnt(0)
	ds_write_b64 v1, v[4:5]
	s_waitcnt lgkmcnt(0)
	; wave barrier
	s_and_saveexec_b64 s[0:1], vcc
	s_cbranch_execz .LBB119_175
; %bb.172:
	v_mov_b32_e32 v4, 0
	v_add_u32_e32 v3, -1, v0
	v_add_u32_e32 v7, 0x1c0, v2
	v_mov_b32_e32 v8, v2
	s_mov_b64 s[4:5], 0
	v_mov_b32_e32 v5, v4
.LBB119_173:                            ; =>This Inner Loop Header: Depth=1
	scratch_load_dwordx2 v[10:11], v8, off
	ds_read_b64 v[12:13], v7
	v_add_u32_e32 v3, 1, v3
	v_cmp_lt_u32_e32 vcc, 38, v3
	v_add_u32_e32 v7, 8, v7
	v_add_u32_e32 v8, 8, v8
	s_or_b64 s[4:5], vcc, s[4:5]
	s_waitcnt vmcnt(0) lgkmcnt(0)
	v_pk_mul_f32 v[14:15], v[12:13], v[10:11] op_sel:[1,1] op_sel_hi:[0,1]
	v_pk_fma_f32 v[16:17], v[12:13], v[10:11], v[14:15] neg_lo:[0,0,1] neg_hi:[0,0,1]
	v_pk_fma_f32 v[10:11], v[12:13], v[10:11], v[14:15] op_sel_hi:[1,0,1]
	s_nop 0
	v_mov_b32_e32 v17, v11
	v_pk_add_f32 v[4:5], v[4:5], v[16:17]
	s_andn2_b64 exec, exec, s[4:5]
	s_cbranch_execnz .LBB119_173
; %bb.174:
	s_or_b64 exec, exec, s[4:5]
	v_mov_b32_e32 v3, 0
	ds_read_b64 v[8:9], v3 offset:320
	s_waitcnt lgkmcnt(0)
	v_pk_mul_f32 v[10:11], v[4:5], v[8:9] op_sel:[1,1] op_sel_hi:[0,1]
	v_pk_fma_f32 v[12:13], v[4:5], v[8:9], v[10:11] neg_lo:[0,0,1] neg_hi:[0,0,1]
	v_pk_fma_f32 v[4:5], v[4:5], v[8:9], v[10:11] op_sel_hi:[1,0,1]
	s_nop 0
	v_mov_b32_e32 v13, v5
	scratch_store_dwordx2 off, v[12:13], off offset:320
.LBB119_175:
	s_or_b64 exec, exec, s[0:1]
	; wave barrier
	scratch_load_dwordx2 v[4:5], off, off offset:328
	v_cmp_gt_u32_e32 vcc, 41, v0
	s_waitcnt vmcnt(0)
	ds_write_b64 v1, v[4:5]
	s_waitcnt lgkmcnt(0)
	; wave barrier
	s_and_saveexec_b64 s[0:1], vcc
	s_cbranch_execz .LBB119_179
; %bb.176:
	v_mov_b32_e32 v4, 0
	v_add_u32_e32 v3, -1, v0
	v_add_u32_e32 v7, 0x1c0, v2
	v_mov_b32_e32 v8, v2
	s_mov_b64 s[4:5], 0
	v_mov_b32_e32 v5, v4
.LBB119_177:                            ; =>This Inner Loop Header: Depth=1
	scratch_load_dwordx2 v[10:11], v8, off
	ds_read_b64 v[12:13], v7
	v_add_u32_e32 v3, 1, v3
	v_cmp_lt_u32_e32 vcc, 39, v3
	v_add_u32_e32 v7, 8, v7
	v_add_u32_e32 v8, 8, v8
	s_or_b64 s[4:5], vcc, s[4:5]
	s_waitcnt vmcnt(0) lgkmcnt(0)
	v_pk_mul_f32 v[14:15], v[12:13], v[10:11] op_sel:[1,1] op_sel_hi:[0,1]
	v_pk_fma_f32 v[16:17], v[12:13], v[10:11], v[14:15] neg_lo:[0,0,1] neg_hi:[0,0,1]
	v_pk_fma_f32 v[10:11], v[12:13], v[10:11], v[14:15] op_sel_hi:[1,0,1]
	s_nop 0
	v_mov_b32_e32 v17, v11
	v_pk_add_f32 v[4:5], v[4:5], v[16:17]
	s_andn2_b64 exec, exec, s[4:5]
	s_cbranch_execnz .LBB119_177
; %bb.178:
	s_or_b64 exec, exec, s[4:5]
	v_mov_b32_e32 v3, 0
	ds_read_b64 v[8:9], v3 offset:328
	s_waitcnt lgkmcnt(0)
	v_pk_mul_f32 v[10:11], v[4:5], v[8:9] op_sel:[1,1] op_sel_hi:[0,1]
	v_pk_fma_f32 v[12:13], v[4:5], v[8:9], v[10:11] neg_lo:[0,0,1] neg_hi:[0,0,1]
	v_pk_fma_f32 v[4:5], v[4:5], v[8:9], v[10:11] op_sel_hi:[1,0,1]
	s_nop 0
	v_mov_b32_e32 v13, v5
	scratch_store_dwordx2 off, v[12:13], off offset:328
.LBB119_179:
	s_or_b64 exec, exec, s[0:1]
	; wave barrier
	scratch_load_dwordx2 v[4:5], off, off offset:336
	v_cmp_gt_u32_e32 vcc, 42, v0
	s_waitcnt vmcnt(0)
	ds_write_b64 v1, v[4:5]
	s_waitcnt lgkmcnt(0)
	; wave barrier
	s_and_saveexec_b64 s[0:1], vcc
	s_cbranch_execz .LBB119_183
; %bb.180:
	v_mov_b32_e32 v4, 0
	v_add_u32_e32 v3, -1, v0
	v_add_u32_e32 v7, 0x1c0, v2
	v_mov_b32_e32 v8, v2
	s_mov_b64 s[4:5], 0
	v_mov_b32_e32 v5, v4
.LBB119_181:                            ; =>This Inner Loop Header: Depth=1
	scratch_load_dwordx2 v[10:11], v8, off
	ds_read_b64 v[12:13], v7
	v_add_u32_e32 v3, 1, v3
	v_cmp_lt_u32_e32 vcc, 40, v3
	v_add_u32_e32 v7, 8, v7
	v_add_u32_e32 v8, 8, v8
	s_or_b64 s[4:5], vcc, s[4:5]
	s_waitcnt vmcnt(0) lgkmcnt(0)
	v_pk_mul_f32 v[14:15], v[12:13], v[10:11] op_sel:[1,1] op_sel_hi:[0,1]
	v_pk_fma_f32 v[16:17], v[12:13], v[10:11], v[14:15] neg_lo:[0,0,1] neg_hi:[0,0,1]
	v_pk_fma_f32 v[10:11], v[12:13], v[10:11], v[14:15] op_sel_hi:[1,0,1]
	s_nop 0
	v_mov_b32_e32 v17, v11
	v_pk_add_f32 v[4:5], v[4:5], v[16:17]
	s_andn2_b64 exec, exec, s[4:5]
	s_cbranch_execnz .LBB119_181
; %bb.182:
	s_or_b64 exec, exec, s[4:5]
	v_mov_b32_e32 v3, 0
	ds_read_b64 v[8:9], v3 offset:336
	s_waitcnt lgkmcnt(0)
	v_pk_mul_f32 v[10:11], v[4:5], v[8:9] op_sel:[1,1] op_sel_hi:[0,1]
	v_pk_fma_f32 v[12:13], v[4:5], v[8:9], v[10:11] neg_lo:[0,0,1] neg_hi:[0,0,1]
	v_pk_fma_f32 v[4:5], v[4:5], v[8:9], v[10:11] op_sel_hi:[1,0,1]
	s_nop 0
	v_mov_b32_e32 v13, v5
	scratch_store_dwordx2 off, v[12:13], off offset:336
.LBB119_183:
	s_or_b64 exec, exec, s[0:1]
	; wave barrier
	scratch_load_dwordx2 v[4:5], off, off offset:344
	v_cmp_gt_u32_e32 vcc, 43, v0
	s_waitcnt vmcnt(0)
	ds_write_b64 v1, v[4:5]
	s_waitcnt lgkmcnt(0)
	; wave barrier
	s_and_saveexec_b64 s[0:1], vcc
	s_cbranch_execz .LBB119_187
; %bb.184:
	v_mov_b32_e32 v4, 0
	v_add_u32_e32 v3, -1, v0
	v_add_u32_e32 v7, 0x1c0, v2
	v_mov_b32_e32 v8, v2
	s_mov_b64 s[4:5], 0
	v_mov_b32_e32 v5, v4
.LBB119_185:                            ; =>This Inner Loop Header: Depth=1
	scratch_load_dwordx2 v[10:11], v8, off
	ds_read_b64 v[12:13], v7
	v_add_u32_e32 v3, 1, v3
	v_cmp_lt_u32_e32 vcc, 41, v3
	v_add_u32_e32 v7, 8, v7
	v_add_u32_e32 v8, 8, v8
	s_or_b64 s[4:5], vcc, s[4:5]
	s_waitcnt vmcnt(0) lgkmcnt(0)
	v_pk_mul_f32 v[14:15], v[12:13], v[10:11] op_sel:[1,1] op_sel_hi:[0,1]
	v_pk_fma_f32 v[16:17], v[12:13], v[10:11], v[14:15] neg_lo:[0,0,1] neg_hi:[0,0,1]
	v_pk_fma_f32 v[10:11], v[12:13], v[10:11], v[14:15] op_sel_hi:[1,0,1]
	s_nop 0
	v_mov_b32_e32 v17, v11
	v_pk_add_f32 v[4:5], v[4:5], v[16:17]
	s_andn2_b64 exec, exec, s[4:5]
	s_cbranch_execnz .LBB119_185
; %bb.186:
	s_or_b64 exec, exec, s[4:5]
	v_mov_b32_e32 v3, 0
	ds_read_b64 v[8:9], v3 offset:344
	s_waitcnt lgkmcnt(0)
	v_pk_mul_f32 v[10:11], v[4:5], v[8:9] op_sel:[1,1] op_sel_hi:[0,1]
	v_pk_fma_f32 v[12:13], v[4:5], v[8:9], v[10:11] neg_lo:[0,0,1] neg_hi:[0,0,1]
	v_pk_fma_f32 v[4:5], v[4:5], v[8:9], v[10:11] op_sel_hi:[1,0,1]
	s_nop 0
	v_mov_b32_e32 v13, v5
	scratch_store_dwordx2 off, v[12:13], off offset:344
.LBB119_187:
	s_or_b64 exec, exec, s[0:1]
	; wave barrier
	scratch_load_dwordx2 v[4:5], off, off offset:352
	v_cmp_gt_u32_e32 vcc, 44, v0
	s_waitcnt vmcnt(0)
	ds_write_b64 v1, v[4:5]
	s_waitcnt lgkmcnt(0)
	; wave barrier
	s_and_saveexec_b64 s[0:1], vcc
	s_cbranch_execz .LBB119_191
; %bb.188:
	v_mov_b32_e32 v4, 0
	v_add_u32_e32 v3, -1, v0
	v_add_u32_e32 v7, 0x1c0, v2
	v_mov_b32_e32 v8, v2
	s_mov_b64 s[4:5], 0
	v_mov_b32_e32 v5, v4
.LBB119_189:                            ; =>This Inner Loop Header: Depth=1
	scratch_load_dwordx2 v[10:11], v8, off
	ds_read_b64 v[12:13], v7
	v_add_u32_e32 v3, 1, v3
	v_cmp_lt_u32_e32 vcc, 42, v3
	v_add_u32_e32 v7, 8, v7
	v_add_u32_e32 v8, 8, v8
	s_or_b64 s[4:5], vcc, s[4:5]
	s_waitcnt vmcnt(0) lgkmcnt(0)
	v_pk_mul_f32 v[14:15], v[12:13], v[10:11] op_sel:[1,1] op_sel_hi:[0,1]
	v_pk_fma_f32 v[16:17], v[12:13], v[10:11], v[14:15] neg_lo:[0,0,1] neg_hi:[0,0,1]
	v_pk_fma_f32 v[10:11], v[12:13], v[10:11], v[14:15] op_sel_hi:[1,0,1]
	s_nop 0
	v_mov_b32_e32 v17, v11
	v_pk_add_f32 v[4:5], v[4:5], v[16:17]
	s_andn2_b64 exec, exec, s[4:5]
	s_cbranch_execnz .LBB119_189
; %bb.190:
	s_or_b64 exec, exec, s[4:5]
	v_mov_b32_e32 v3, 0
	ds_read_b64 v[8:9], v3 offset:352
	s_waitcnt lgkmcnt(0)
	v_pk_mul_f32 v[10:11], v[4:5], v[8:9] op_sel:[1,1] op_sel_hi:[0,1]
	v_pk_fma_f32 v[12:13], v[4:5], v[8:9], v[10:11] neg_lo:[0,0,1] neg_hi:[0,0,1]
	v_pk_fma_f32 v[4:5], v[4:5], v[8:9], v[10:11] op_sel_hi:[1,0,1]
	s_nop 0
	v_mov_b32_e32 v13, v5
	scratch_store_dwordx2 off, v[12:13], off offset:352
.LBB119_191:
	s_or_b64 exec, exec, s[0:1]
	; wave barrier
	scratch_load_dwordx2 v[4:5], off, off offset:360
	v_cmp_gt_u32_e32 vcc, 45, v0
	s_waitcnt vmcnt(0)
	ds_write_b64 v1, v[4:5]
	s_waitcnt lgkmcnt(0)
	; wave barrier
	s_and_saveexec_b64 s[0:1], vcc
	s_cbranch_execz .LBB119_195
; %bb.192:
	v_mov_b32_e32 v4, 0
	v_add_u32_e32 v3, -1, v0
	v_add_u32_e32 v7, 0x1c0, v2
	v_mov_b32_e32 v8, v2
	s_mov_b64 s[4:5], 0
	v_mov_b32_e32 v5, v4
.LBB119_193:                            ; =>This Inner Loop Header: Depth=1
	scratch_load_dwordx2 v[10:11], v8, off
	ds_read_b64 v[12:13], v7
	v_add_u32_e32 v3, 1, v3
	v_cmp_lt_u32_e32 vcc, 43, v3
	v_add_u32_e32 v7, 8, v7
	v_add_u32_e32 v8, 8, v8
	s_or_b64 s[4:5], vcc, s[4:5]
	s_waitcnt vmcnt(0) lgkmcnt(0)
	v_pk_mul_f32 v[14:15], v[12:13], v[10:11] op_sel:[1,1] op_sel_hi:[0,1]
	v_pk_fma_f32 v[16:17], v[12:13], v[10:11], v[14:15] neg_lo:[0,0,1] neg_hi:[0,0,1]
	v_pk_fma_f32 v[10:11], v[12:13], v[10:11], v[14:15] op_sel_hi:[1,0,1]
	s_nop 0
	v_mov_b32_e32 v17, v11
	v_pk_add_f32 v[4:5], v[4:5], v[16:17]
	s_andn2_b64 exec, exec, s[4:5]
	s_cbranch_execnz .LBB119_193
; %bb.194:
	s_or_b64 exec, exec, s[4:5]
	v_mov_b32_e32 v3, 0
	ds_read_b64 v[8:9], v3 offset:360
	s_waitcnt lgkmcnt(0)
	v_pk_mul_f32 v[10:11], v[4:5], v[8:9] op_sel:[1,1] op_sel_hi:[0,1]
	v_pk_fma_f32 v[12:13], v[4:5], v[8:9], v[10:11] neg_lo:[0,0,1] neg_hi:[0,0,1]
	v_pk_fma_f32 v[4:5], v[4:5], v[8:9], v[10:11] op_sel_hi:[1,0,1]
	s_nop 0
	v_mov_b32_e32 v13, v5
	scratch_store_dwordx2 off, v[12:13], off offset:360
.LBB119_195:
	s_or_b64 exec, exec, s[0:1]
	; wave barrier
	scratch_load_dwordx2 v[4:5], off, off offset:368
	v_cmp_gt_u32_e32 vcc, 46, v0
	s_waitcnt vmcnt(0)
	ds_write_b64 v1, v[4:5]
	s_waitcnt lgkmcnt(0)
	; wave barrier
	s_and_saveexec_b64 s[0:1], vcc
	s_cbranch_execz .LBB119_199
; %bb.196:
	v_mov_b32_e32 v4, 0
	v_add_u32_e32 v3, -1, v0
	v_add_u32_e32 v7, 0x1c0, v2
	v_mov_b32_e32 v8, v2
	s_mov_b64 s[4:5], 0
	v_mov_b32_e32 v5, v4
.LBB119_197:                            ; =>This Inner Loop Header: Depth=1
	scratch_load_dwordx2 v[10:11], v8, off
	ds_read_b64 v[12:13], v7
	v_add_u32_e32 v3, 1, v3
	v_cmp_lt_u32_e32 vcc, 44, v3
	v_add_u32_e32 v7, 8, v7
	v_add_u32_e32 v8, 8, v8
	s_or_b64 s[4:5], vcc, s[4:5]
	s_waitcnt vmcnt(0) lgkmcnt(0)
	v_pk_mul_f32 v[14:15], v[12:13], v[10:11] op_sel:[1,1] op_sel_hi:[0,1]
	v_pk_fma_f32 v[16:17], v[12:13], v[10:11], v[14:15] neg_lo:[0,0,1] neg_hi:[0,0,1]
	v_pk_fma_f32 v[10:11], v[12:13], v[10:11], v[14:15] op_sel_hi:[1,0,1]
	s_nop 0
	v_mov_b32_e32 v17, v11
	v_pk_add_f32 v[4:5], v[4:5], v[16:17]
	s_andn2_b64 exec, exec, s[4:5]
	s_cbranch_execnz .LBB119_197
; %bb.198:
	s_or_b64 exec, exec, s[4:5]
	v_mov_b32_e32 v3, 0
	ds_read_b64 v[8:9], v3 offset:368
	s_waitcnt lgkmcnt(0)
	v_pk_mul_f32 v[10:11], v[4:5], v[8:9] op_sel:[1,1] op_sel_hi:[0,1]
	v_pk_fma_f32 v[12:13], v[4:5], v[8:9], v[10:11] neg_lo:[0,0,1] neg_hi:[0,0,1]
	v_pk_fma_f32 v[4:5], v[4:5], v[8:9], v[10:11] op_sel_hi:[1,0,1]
	s_nop 0
	v_mov_b32_e32 v13, v5
	scratch_store_dwordx2 off, v[12:13], off offset:368
.LBB119_199:
	s_or_b64 exec, exec, s[0:1]
	; wave barrier
	scratch_load_dwordx2 v[4:5], off, off offset:376
	v_cmp_gt_u32_e32 vcc, 47, v0
	s_waitcnt vmcnt(0)
	ds_write_b64 v1, v[4:5]
	s_waitcnt lgkmcnt(0)
	; wave barrier
	s_and_saveexec_b64 s[0:1], vcc
	s_cbranch_execz .LBB119_203
; %bb.200:
	v_mov_b32_e32 v4, 0
	v_add_u32_e32 v3, -1, v0
	v_add_u32_e32 v7, 0x1c0, v2
	v_mov_b32_e32 v8, v2
	s_mov_b64 s[4:5], 0
	v_mov_b32_e32 v5, v4
.LBB119_201:                            ; =>This Inner Loop Header: Depth=1
	scratch_load_dwordx2 v[10:11], v8, off
	ds_read_b64 v[12:13], v7
	v_add_u32_e32 v3, 1, v3
	v_cmp_lt_u32_e32 vcc, 45, v3
	v_add_u32_e32 v7, 8, v7
	v_add_u32_e32 v8, 8, v8
	s_or_b64 s[4:5], vcc, s[4:5]
	s_waitcnt vmcnt(0) lgkmcnt(0)
	v_pk_mul_f32 v[14:15], v[12:13], v[10:11] op_sel:[1,1] op_sel_hi:[0,1]
	v_pk_fma_f32 v[16:17], v[12:13], v[10:11], v[14:15] neg_lo:[0,0,1] neg_hi:[0,0,1]
	v_pk_fma_f32 v[10:11], v[12:13], v[10:11], v[14:15] op_sel_hi:[1,0,1]
	s_nop 0
	v_mov_b32_e32 v17, v11
	v_pk_add_f32 v[4:5], v[4:5], v[16:17]
	s_andn2_b64 exec, exec, s[4:5]
	s_cbranch_execnz .LBB119_201
; %bb.202:
	s_or_b64 exec, exec, s[4:5]
	v_mov_b32_e32 v3, 0
	ds_read_b64 v[8:9], v3 offset:376
	s_waitcnt lgkmcnt(0)
	v_pk_mul_f32 v[10:11], v[4:5], v[8:9] op_sel:[1,1] op_sel_hi:[0,1]
	v_pk_fma_f32 v[12:13], v[4:5], v[8:9], v[10:11] neg_lo:[0,0,1] neg_hi:[0,0,1]
	v_pk_fma_f32 v[4:5], v[4:5], v[8:9], v[10:11] op_sel_hi:[1,0,1]
	s_nop 0
	v_mov_b32_e32 v13, v5
	scratch_store_dwordx2 off, v[12:13], off offset:376
.LBB119_203:
	s_or_b64 exec, exec, s[0:1]
	; wave barrier
	scratch_load_dwordx2 v[4:5], off, off offset:384
	v_cmp_gt_u32_e32 vcc, 48, v0
	s_waitcnt vmcnt(0)
	ds_write_b64 v1, v[4:5]
	s_waitcnt lgkmcnt(0)
	; wave barrier
	s_and_saveexec_b64 s[0:1], vcc
	s_cbranch_execz .LBB119_207
; %bb.204:
	v_mov_b32_e32 v4, 0
	v_add_u32_e32 v3, -1, v0
	v_add_u32_e32 v7, 0x1c0, v2
	v_mov_b32_e32 v8, v2
	s_mov_b64 s[4:5], 0
	v_mov_b32_e32 v5, v4
.LBB119_205:                            ; =>This Inner Loop Header: Depth=1
	scratch_load_dwordx2 v[10:11], v8, off
	ds_read_b64 v[12:13], v7
	v_add_u32_e32 v3, 1, v3
	v_cmp_lt_u32_e32 vcc, 46, v3
	v_add_u32_e32 v7, 8, v7
	v_add_u32_e32 v8, 8, v8
	s_or_b64 s[4:5], vcc, s[4:5]
	s_waitcnt vmcnt(0) lgkmcnt(0)
	v_pk_mul_f32 v[14:15], v[12:13], v[10:11] op_sel:[1,1] op_sel_hi:[0,1]
	v_pk_fma_f32 v[16:17], v[12:13], v[10:11], v[14:15] neg_lo:[0,0,1] neg_hi:[0,0,1]
	v_pk_fma_f32 v[10:11], v[12:13], v[10:11], v[14:15] op_sel_hi:[1,0,1]
	s_nop 0
	v_mov_b32_e32 v17, v11
	v_pk_add_f32 v[4:5], v[4:5], v[16:17]
	s_andn2_b64 exec, exec, s[4:5]
	s_cbranch_execnz .LBB119_205
; %bb.206:
	s_or_b64 exec, exec, s[4:5]
	v_mov_b32_e32 v3, 0
	ds_read_b64 v[8:9], v3 offset:384
	s_waitcnt lgkmcnt(0)
	v_pk_mul_f32 v[10:11], v[4:5], v[8:9] op_sel:[1,1] op_sel_hi:[0,1]
	v_pk_fma_f32 v[12:13], v[4:5], v[8:9], v[10:11] neg_lo:[0,0,1] neg_hi:[0,0,1]
	v_pk_fma_f32 v[4:5], v[4:5], v[8:9], v[10:11] op_sel_hi:[1,0,1]
	s_nop 0
	v_mov_b32_e32 v13, v5
	scratch_store_dwordx2 off, v[12:13], off offset:384
.LBB119_207:
	s_or_b64 exec, exec, s[0:1]
	; wave barrier
	scratch_load_dwordx2 v[4:5], off, off offset:392
	v_cmp_gt_u32_e32 vcc, 49, v0
	s_waitcnt vmcnt(0)
	ds_write_b64 v1, v[4:5]
	s_waitcnt lgkmcnt(0)
	; wave barrier
	s_and_saveexec_b64 s[0:1], vcc
	s_cbranch_execz .LBB119_211
; %bb.208:
	v_mov_b32_e32 v4, 0
	v_add_u32_e32 v3, -1, v0
	v_add_u32_e32 v7, 0x1c0, v2
	v_mov_b32_e32 v8, v2
	s_mov_b64 s[4:5], 0
	v_mov_b32_e32 v5, v4
.LBB119_209:                            ; =>This Inner Loop Header: Depth=1
	scratch_load_dwordx2 v[10:11], v8, off
	ds_read_b64 v[12:13], v7
	v_add_u32_e32 v3, 1, v3
	v_cmp_lt_u32_e32 vcc, 47, v3
	v_add_u32_e32 v7, 8, v7
	v_add_u32_e32 v8, 8, v8
	s_or_b64 s[4:5], vcc, s[4:5]
	s_waitcnt vmcnt(0) lgkmcnt(0)
	v_pk_mul_f32 v[14:15], v[12:13], v[10:11] op_sel:[1,1] op_sel_hi:[0,1]
	v_pk_fma_f32 v[16:17], v[12:13], v[10:11], v[14:15] neg_lo:[0,0,1] neg_hi:[0,0,1]
	v_pk_fma_f32 v[10:11], v[12:13], v[10:11], v[14:15] op_sel_hi:[1,0,1]
	s_nop 0
	v_mov_b32_e32 v17, v11
	v_pk_add_f32 v[4:5], v[4:5], v[16:17]
	s_andn2_b64 exec, exec, s[4:5]
	s_cbranch_execnz .LBB119_209
; %bb.210:
	s_or_b64 exec, exec, s[4:5]
	v_mov_b32_e32 v3, 0
	ds_read_b64 v[8:9], v3 offset:392
	s_waitcnt lgkmcnt(0)
	v_pk_mul_f32 v[10:11], v[4:5], v[8:9] op_sel:[1,1] op_sel_hi:[0,1]
	v_pk_fma_f32 v[12:13], v[4:5], v[8:9], v[10:11] neg_lo:[0,0,1] neg_hi:[0,0,1]
	v_pk_fma_f32 v[4:5], v[4:5], v[8:9], v[10:11] op_sel_hi:[1,0,1]
	s_nop 0
	v_mov_b32_e32 v13, v5
	scratch_store_dwordx2 off, v[12:13], off offset:392
.LBB119_211:
	s_or_b64 exec, exec, s[0:1]
	; wave barrier
	scratch_load_dwordx2 v[4:5], off, off offset:400
	v_cmp_gt_u32_e32 vcc, 50, v0
	s_waitcnt vmcnt(0)
	ds_write_b64 v1, v[4:5]
	s_waitcnt lgkmcnt(0)
	; wave barrier
	s_and_saveexec_b64 s[0:1], vcc
	s_cbranch_execz .LBB119_215
; %bb.212:
	v_mov_b32_e32 v4, 0
	v_add_u32_e32 v3, -1, v0
	v_add_u32_e32 v7, 0x1c0, v2
	v_mov_b32_e32 v8, v2
	s_mov_b64 s[4:5], 0
	v_mov_b32_e32 v5, v4
.LBB119_213:                            ; =>This Inner Loop Header: Depth=1
	scratch_load_dwordx2 v[10:11], v8, off
	ds_read_b64 v[12:13], v7
	v_add_u32_e32 v3, 1, v3
	v_cmp_lt_u32_e32 vcc, 48, v3
	v_add_u32_e32 v7, 8, v7
	v_add_u32_e32 v8, 8, v8
	s_or_b64 s[4:5], vcc, s[4:5]
	s_waitcnt vmcnt(0) lgkmcnt(0)
	v_pk_mul_f32 v[14:15], v[12:13], v[10:11] op_sel:[1,1] op_sel_hi:[0,1]
	v_pk_fma_f32 v[16:17], v[12:13], v[10:11], v[14:15] neg_lo:[0,0,1] neg_hi:[0,0,1]
	v_pk_fma_f32 v[10:11], v[12:13], v[10:11], v[14:15] op_sel_hi:[1,0,1]
	s_nop 0
	v_mov_b32_e32 v17, v11
	v_pk_add_f32 v[4:5], v[4:5], v[16:17]
	s_andn2_b64 exec, exec, s[4:5]
	s_cbranch_execnz .LBB119_213
; %bb.214:
	s_or_b64 exec, exec, s[4:5]
	v_mov_b32_e32 v3, 0
	ds_read_b64 v[8:9], v3 offset:400
	s_waitcnt lgkmcnt(0)
	v_pk_mul_f32 v[10:11], v[4:5], v[8:9] op_sel:[1,1] op_sel_hi:[0,1]
	v_pk_fma_f32 v[12:13], v[4:5], v[8:9], v[10:11] neg_lo:[0,0,1] neg_hi:[0,0,1]
	v_pk_fma_f32 v[4:5], v[4:5], v[8:9], v[10:11] op_sel_hi:[1,0,1]
	s_nop 0
	v_mov_b32_e32 v13, v5
	scratch_store_dwordx2 off, v[12:13], off offset:400
.LBB119_215:
	s_or_b64 exec, exec, s[0:1]
	; wave barrier
	scratch_load_dwordx2 v[4:5], off, off offset:408
	v_cmp_gt_u32_e32 vcc, 51, v0
	s_waitcnt vmcnt(0)
	ds_write_b64 v1, v[4:5]
	s_waitcnt lgkmcnt(0)
	; wave barrier
	s_and_saveexec_b64 s[0:1], vcc
	s_cbranch_execz .LBB119_219
; %bb.216:
	v_mov_b32_e32 v4, 0
	v_add_u32_e32 v3, -1, v0
	v_add_u32_e32 v7, 0x1c0, v2
	v_mov_b32_e32 v8, v2
	s_mov_b64 s[4:5], 0
	v_mov_b32_e32 v5, v4
.LBB119_217:                            ; =>This Inner Loop Header: Depth=1
	scratch_load_dwordx2 v[10:11], v8, off
	ds_read_b64 v[12:13], v7
	v_add_u32_e32 v3, 1, v3
	v_cmp_lt_u32_e32 vcc, 49, v3
	v_add_u32_e32 v7, 8, v7
	v_add_u32_e32 v8, 8, v8
	s_or_b64 s[4:5], vcc, s[4:5]
	s_waitcnt vmcnt(0) lgkmcnt(0)
	v_pk_mul_f32 v[14:15], v[12:13], v[10:11] op_sel:[1,1] op_sel_hi:[0,1]
	v_pk_fma_f32 v[16:17], v[12:13], v[10:11], v[14:15] neg_lo:[0,0,1] neg_hi:[0,0,1]
	v_pk_fma_f32 v[10:11], v[12:13], v[10:11], v[14:15] op_sel_hi:[1,0,1]
	s_nop 0
	v_mov_b32_e32 v17, v11
	v_pk_add_f32 v[4:5], v[4:5], v[16:17]
	s_andn2_b64 exec, exec, s[4:5]
	s_cbranch_execnz .LBB119_217
; %bb.218:
	s_or_b64 exec, exec, s[4:5]
	v_mov_b32_e32 v3, 0
	ds_read_b64 v[8:9], v3 offset:408
	s_waitcnt lgkmcnt(0)
	v_pk_mul_f32 v[10:11], v[4:5], v[8:9] op_sel:[1,1] op_sel_hi:[0,1]
	v_pk_fma_f32 v[12:13], v[4:5], v[8:9], v[10:11] neg_lo:[0,0,1] neg_hi:[0,0,1]
	v_pk_fma_f32 v[4:5], v[4:5], v[8:9], v[10:11] op_sel_hi:[1,0,1]
	s_nop 0
	v_mov_b32_e32 v13, v5
	scratch_store_dwordx2 off, v[12:13], off offset:408
.LBB119_219:
	s_or_b64 exec, exec, s[0:1]
	; wave barrier
	scratch_load_dwordx2 v[4:5], off, off offset:416
	v_cmp_gt_u32_e32 vcc, 52, v0
	s_waitcnt vmcnt(0)
	ds_write_b64 v1, v[4:5]
	s_waitcnt lgkmcnt(0)
	; wave barrier
	s_and_saveexec_b64 s[0:1], vcc
	s_cbranch_execz .LBB119_223
; %bb.220:
	v_mov_b32_e32 v4, 0
	v_add_u32_e32 v3, -1, v0
	v_add_u32_e32 v7, 0x1c0, v2
	v_mov_b32_e32 v8, v2
	s_mov_b64 s[4:5], 0
	v_mov_b32_e32 v5, v4
.LBB119_221:                            ; =>This Inner Loop Header: Depth=1
	scratch_load_dwordx2 v[10:11], v8, off
	ds_read_b64 v[12:13], v7
	v_add_u32_e32 v3, 1, v3
	v_cmp_lt_u32_e32 vcc, 50, v3
	v_add_u32_e32 v7, 8, v7
	v_add_u32_e32 v8, 8, v8
	s_or_b64 s[4:5], vcc, s[4:5]
	s_waitcnt vmcnt(0) lgkmcnt(0)
	v_pk_mul_f32 v[14:15], v[12:13], v[10:11] op_sel:[1,1] op_sel_hi:[0,1]
	v_pk_fma_f32 v[16:17], v[12:13], v[10:11], v[14:15] neg_lo:[0,0,1] neg_hi:[0,0,1]
	v_pk_fma_f32 v[10:11], v[12:13], v[10:11], v[14:15] op_sel_hi:[1,0,1]
	s_nop 0
	v_mov_b32_e32 v17, v11
	v_pk_add_f32 v[4:5], v[4:5], v[16:17]
	s_andn2_b64 exec, exec, s[4:5]
	s_cbranch_execnz .LBB119_221
; %bb.222:
	s_or_b64 exec, exec, s[4:5]
	v_mov_b32_e32 v3, 0
	ds_read_b64 v[8:9], v3 offset:416
	s_waitcnt lgkmcnt(0)
	v_pk_mul_f32 v[10:11], v[4:5], v[8:9] op_sel:[1,1] op_sel_hi:[0,1]
	v_pk_fma_f32 v[12:13], v[4:5], v[8:9], v[10:11] neg_lo:[0,0,1] neg_hi:[0,0,1]
	v_pk_fma_f32 v[4:5], v[4:5], v[8:9], v[10:11] op_sel_hi:[1,0,1]
	s_nop 0
	v_mov_b32_e32 v13, v5
	scratch_store_dwordx2 off, v[12:13], off offset:416
.LBB119_223:
	s_or_b64 exec, exec, s[0:1]
	; wave barrier
	scratch_load_dwordx2 v[4:5], off, off offset:424
	v_cmp_gt_u32_e32 vcc, 53, v0
	s_waitcnt vmcnt(0)
	ds_write_b64 v1, v[4:5]
	s_waitcnt lgkmcnt(0)
	; wave barrier
	s_and_saveexec_b64 s[0:1], vcc
	s_cbranch_execz .LBB119_227
; %bb.224:
	v_mov_b32_e32 v4, 0
	v_add_u32_e32 v3, -1, v0
	v_add_u32_e32 v7, 0x1c0, v2
	v_mov_b32_e32 v8, v2
	s_mov_b64 s[4:5], 0
	v_mov_b32_e32 v5, v4
.LBB119_225:                            ; =>This Inner Loop Header: Depth=1
	scratch_load_dwordx2 v[10:11], v8, off
	ds_read_b64 v[12:13], v7
	v_add_u32_e32 v3, 1, v3
	v_cmp_lt_u32_e32 vcc, 51, v3
	v_add_u32_e32 v7, 8, v7
	v_add_u32_e32 v8, 8, v8
	s_or_b64 s[4:5], vcc, s[4:5]
	s_waitcnt vmcnt(0) lgkmcnt(0)
	v_pk_mul_f32 v[14:15], v[12:13], v[10:11] op_sel:[1,1] op_sel_hi:[0,1]
	v_pk_fma_f32 v[16:17], v[12:13], v[10:11], v[14:15] neg_lo:[0,0,1] neg_hi:[0,0,1]
	v_pk_fma_f32 v[10:11], v[12:13], v[10:11], v[14:15] op_sel_hi:[1,0,1]
	s_nop 0
	v_mov_b32_e32 v17, v11
	v_pk_add_f32 v[4:5], v[4:5], v[16:17]
	s_andn2_b64 exec, exec, s[4:5]
	s_cbranch_execnz .LBB119_225
; %bb.226:
	s_or_b64 exec, exec, s[4:5]
	v_mov_b32_e32 v3, 0
	ds_read_b64 v[8:9], v3 offset:424
	s_waitcnt lgkmcnt(0)
	v_pk_mul_f32 v[10:11], v[4:5], v[8:9] op_sel:[1,1] op_sel_hi:[0,1]
	v_pk_fma_f32 v[12:13], v[4:5], v[8:9], v[10:11] neg_lo:[0,0,1] neg_hi:[0,0,1]
	v_pk_fma_f32 v[4:5], v[4:5], v[8:9], v[10:11] op_sel_hi:[1,0,1]
	s_nop 0
	v_mov_b32_e32 v13, v5
	scratch_store_dwordx2 off, v[12:13], off offset:424
.LBB119_227:
	s_or_b64 exec, exec, s[0:1]
	; wave barrier
	scratch_load_dwordx2 v[4:5], off, off offset:432
	v_cmp_gt_u32_e32 vcc, 54, v0
	s_waitcnt vmcnt(0)
	ds_write_b64 v1, v[4:5]
	s_waitcnt lgkmcnt(0)
	; wave barrier
	s_and_saveexec_b64 s[0:1], vcc
	s_cbranch_execz .LBB119_231
; %bb.228:
	v_mov_b32_e32 v4, 0
	v_add_u32_e32 v3, -1, v0
	v_add_u32_e32 v7, 0x1c0, v2
	v_mov_b32_e32 v8, v2
	s_mov_b64 s[4:5], 0
	v_mov_b32_e32 v5, v4
.LBB119_229:                            ; =>This Inner Loop Header: Depth=1
	scratch_load_dwordx2 v[10:11], v8, off
	ds_read_b64 v[12:13], v7
	v_add_u32_e32 v3, 1, v3
	v_cmp_lt_u32_e32 vcc, 52, v3
	v_add_u32_e32 v7, 8, v7
	v_add_u32_e32 v8, 8, v8
	s_or_b64 s[4:5], vcc, s[4:5]
	s_waitcnt vmcnt(0) lgkmcnt(0)
	v_pk_mul_f32 v[14:15], v[12:13], v[10:11] op_sel:[1,1] op_sel_hi:[0,1]
	v_pk_fma_f32 v[16:17], v[12:13], v[10:11], v[14:15] neg_lo:[0,0,1] neg_hi:[0,0,1]
	v_pk_fma_f32 v[10:11], v[12:13], v[10:11], v[14:15] op_sel_hi:[1,0,1]
	s_nop 0
	v_mov_b32_e32 v17, v11
	v_pk_add_f32 v[4:5], v[4:5], v[16:17]
	s_andn2_b64 exec, exec, s[4:5]
	s_cbranch_execnz .LBB119_229
; %bb.230:
	s_or_b64 exec, exec, s[4:5]
	v_mov_b32_e32 v3, 0
	ds_read_b64 v[8:9], v3 offset:432
	s_waitcnt lgkmcnt(0)
	v_pk_mul_f32 v[10:11], v[4:5], v[8:9] op_sel:[1,1] op_sel_hi:[0,1]
	v_pk_fma_f32 v[12:13], v[4:5], v[8:9], v[10:11] neg_lo:[0,0,1] neg_hi:[0,0,1]
	v_pk_fma_f32 v[4:5], v[4:5], v[8:9], v[10:11] op_sel_hi:[1,0,1]
	s_nop 0
	v_mov_b32_e32 v13, v5
	scratch_store_dwordx2 off, v[12:13], off offset:432
.LBB119_231:
	s_or_b64 exec, exec, s[0:1]
	; wave barrier
	scratch_load_dwordx2 v[4:5], off, off offset:440
	v_cmp_ne_u32_e32 vcc, 55, v0
	s_waitcnt vmcnt(0)
	ds_write_b64 v1, v[4:5]
	s_waitcnt lgkmcnt(0)
	; wave barrier
	s_and_saveexec_b64 s[0:1], vcc
	s_cbranch_execz .LBB119_235
; %bb.232:
	v_add_u32_e32 v1, 0x1c0, v2
	v_mov_b32_e32 v4, v2
	v_mov_b32_e32 v2, 0
	s_mov_b64 s[4:5], 0
	v_mov_b32_e32 v3, v2
.LBB119_233:                            ; =>This Inner Loop Header: Depth=1
	scratch_load_dwordx2 v[8:9], v4, off
	ds_read_b64 v[10:11], v1
	v_add_u32_e32 v6, 1, v6
	v_cmp_lt_u32_e32 vcc, 53, v6
	v_add_u32_e32 v1, 8, v1
	v_add_u32_e32 v4, 8, v4
	s_or_b64 s[4:5], vcc, s[4:5]
	s_waitcnt vmcnt(0) lgkmcnt(0)
	v_pk_mul_f32 v[12:13], v[10:11], v[8:9] op_sel:[1,1] op_sel_hi:[0,1]
	v_pk_fma_f32 v[14:15], v[10:11], v[8:9], v[12:13] neg_lo:[0,0,1] neg_hi:[0,0,1]
	v_pk_fma_f32 v[8:9], v[10:11], v[8:9], v[12:13] op_sel_hi:[1,0,1]
	s_nop 0
	v_mov_b32_e32 v15, v9
	v_pk_add_f32 v[2:3], v[2:3], v[14:15]
	s_andn2_b64 exec, exec, s[4:5]
	s_cbranch_execnz .LBB119_233
; %bb.234:
	s_or_b64 exec, exec, s[4:5]
	v_mov_b32_e32 v1, 0
	ds_read_b64 v[4:5], v1 offset:440
	s_waitcnt lgkmcnt(0)
	v_pk_mul_f32 v[6:7], v[2:3], v[4:5] op_sel:[1,1] op_sel_hi:[0,1]
	v_pk_fma_f32 v[8:9], v[2:3], v[4:5], v[6:7] neg_lo:[0,0,1] neg_hi:[0,0,1]
	v_pk_fma_f32 v[2:3], v[2:3], v[4:5], v[6:7] op_sel_hi:[1,0,1]
	s_nop 0
	v_mov_b32_e32 v9, v3
	scratch_store_dwordx2 off, v[8:9], off offset:440
.LBB119_235:
	s_or_b64 exec, exec, s[0:1]
	s_mov_b64 s[4:5], -1
	; wave barrier
.LBB119_236:
	s_and_b64 vcc, exec, s[4:5]
	s_cbranch_vccz .LBB119_238
; %bb.237:
	s_lshl_b64 s[0:1], s[2:3], 2
	s_add_u32 s0, s6, s0
	s_addc_u32 s1, s7, s1
	v_mov_b32_e32 v1, 0
	global_load_dword v1, v1, s[0:1]
	s_waitcnt vmcnt(0)
	v_cmp_ne_u32_e32 vcc, 0, v1
	s_cbranch_vccz .LBB119_239
.LBB119_238:
	s_endpgm
.LBB119_239:
	v_mov_b32_e32 v1, 0x1c0
	v_lshl_add_u32 v1, v0, 3, v1
	v_cmp_eq_u32_e32 vcc, 55, v0
	s_and_saveexec_b64 s[0:1], vcc
	s_cbranch_execz .LBB119_241
; %bb.240:
	scratch_load_dwordx2 v[2:3], off, off offset:432
	v_mov_b32_e32 v4, 0
	v_mov_b32_e32 v5, v4
	scratch_store_dwordx2 off, v[4:5], off offset:432
	s_waitcnt vmcnt(1)
	ds_write_b64 v1, v[2:3]
.LBB119_241:
	s_or_b64 exec, exec, s[0:1]
	s_waitcnt lgkmcnt(0)
	; wave barrier
	scratch_load_dwordx2 v[4:5], off, off offset:440
	scratch_load_dwordx2 v[6:7], off, off offset:432
	v_mov_b32_e32 v2, 0
	ds_read_b64 v[8:9], v2 offset:888
	v_cmp_lt_u32_e32 vcc, 53, v0
	s_waitcnt vmcnt(1) lgkmcnt(0)
	v_pk_mul_f32 v[10:11], v[8:9], v[4:5] op_sel:[1,1] op_sel_hi:[0,1]
	v_pk_fma_f32 v[12:13], v[8:9], v[4:5], v[10:11] neg_lo:[0,0,1] neg_hi:[0,0,1]
	v_pk_fma_f32 v[4:5], v[8:9], v[4:5], v[10:11] op_sel_hi:[1,0,1]
	s_nop 0
	v_mov_b32_e32 v13, v5
	v_pk_add_f32 v[4:5], v[12:13], 0 op_sel_hi:[1,0]
	s_waitcnt vmcnt(0)
	v_pk_add_f32 v[4:5], v[6:7], v[4:5] neg_lo:[0,1] neg_hi:[0,1]
	scratch_store_dwordx2 off, v[4:5], off offset:432
	s_and_saveexec_b64 s[0:1], vcc
	s_cbranch_execz .LBB119_243
; %bb.242:
	scratch_load_dwordx2 v[4:5], off, off offset:424
	v_mov_b32_e32 v3, v2
	scratch_store_dwordx2 off, v[2:3], off offset:424
	s_waitcnt vmcnt(1)
	ds_write_b64 v1, v[4:5]
.LBB119_243:
	s_or_b64 exec, exec, s[0:1]
	s_waitcnt lgkmcnt(0)
	; wave barrier
	scratch_load_dwordx4 v[4:7], off, off offset:432
	scratch_load_dwordx2 v[12:13], off, off offset:424
	ds_read_b128 v[8:11], v2 offset:880
	v_cmp_lt_u32_e32 vcc, 52, v0
	s_waitcnt vmcnt(1) lgkmcnt(0)
	v_pk_mul_f32 v[2:3], v[8:9], v[4:5] op_sel:[1,1] op_sel_hi:[0,1]
	v_mov_b32_e32 v14, v7
	v_pk_fma_f32 v[16:17], v[8:9], v[4:5], v[2:3] neg_lo:[0,0,1] neg_hi:[0,0,1]
	v_pk_fma_f32 v[2:3], v[8:9], v[4:5], v[2:3] op_sel_hi:[1,0,1]
	v_pk_mul_f32 v[4:5], v[10:11], v[14:15] op_sel:[1,0] op_sel_hi:[0,0]
	v_mov_b32_e32 v17, v3
	v_pk_fma_f32 v[2:3], v[10:11], v[6:7], v[4:5] neg_lo:[0,0,1] neg_hi:[0,0,1]
	v_pk_fma_f32 v[4:5], v[10:11], v[6:7], v[4:5] op_sel_hi:[1,0,1]
	v_pk_add_f32 v[6:7], v[16:17], 0 op_sel_hi:[1,0]
	v_mov_b32_e32 v3, v5
	v_pk_add_f32 v[2:3], v[6:7], v[2:3]
	s_waitcnt vmcnt(0)
	v_pk_add_f32 v[2:3], v[12:13], v[2:3] neg_lo:[0,1] neg_hi:[0,1]
	scratch_store_dwordx2 off, v[2:3], off offset:424
	s_and_saveexec_b64 s[0:1], vcc
	s_cbranch_execz .LBB119_245
; %bb.244:
	scratch_load_dwordx2 v[2:3], off, off offset:416
	v_mov_b32_e32 v4, 0
	v_mov_b32_e32 v5, v4
	scratch_store_dwordx2 off, v[4:5], off offset:416
	s_waitcnt vmcnt(1)
	ds_write_b64 v1, v[2:3]
.LBB119_245:
	s_or_b64 exec, exec, s[0:1]
	s_waitcnt lgkmcnt(0)
	; wave barrier
	scratch_load_dwordx4 v[4:7], off, off offset:424
	scratch_load_dwordx2 v[12:13], off, off offset:440
	scratch_load_dwordx2 v[14:15], off, off offset:416
	v_mov_b32_e32 v2, 0
	ds_read2_b64 v[8:11], v2 offset0:109 offset1:110
	ds_read_b64 v[16:17], v2 offset:888
	v_cmp_lt_u32_e32 vcc, 51, v0
	s_waitcnt vmcnt(2) lgkmcnt(1)
	v_pk_mul_f32 v[18:19], v[8:9], v[4:5] op_sel:[1,1] op_sel_hi:[0,1]
	v_mov_b32_e32 v20, v7
	v_pk_fma_f32 v[24:25], v[8:9], v[4:5], v[18:19] neg_lo:[0,0,1] neg_hi:[0,0,1]
	v_pk_fma_f32 v[4:5], v[8:9], v[4:5], v[18:19] op_sel_hi:[1,0,1]
	v_pk_mul_f32 v[8:9], v[10:11], v[20:21] op_sel:[1,0] op_sel_hi:[0,0]
	s_waitcnt vmcnt(1) lgkmcnt(0)
	v_pk_mul_f32 v[22:23], v[16:17], v[12:13] op_sel:[1,1] op_sel_hi:[0,1]
	v_mov_b32_e32 v25, v5
	v_pk_fma_f32 v[4:5], v[10:11], v[6:7], v[8:9] neg_lo:[0,0,1] neg_hi:[0,0,1]
	v_pk_fma_f32 v[6:7], v[10:11], v[6:7], v[8:9] op_sel_hi:[1,0,1]
	v_pk_fma_f32 v[18:19], v[16:17], v[12:13], v[22:23] neg_lo:[0,0,1] neg_hi:[0,0,1]
	v_pk_fma_f32 v[12:13], v[16:17], v[12:13], v[22:23] op_sel_hi:[1,0,1]
	v_pk_add_f32 v[8:9], v[24:25], 0 op_sel_hi:[1,0]
	v_mov_b32_e32 v5, v7
	v_mov_b32_e32 v19, v13
	v_pk_add_f32 v[4:5], v[8:9], v[4:5]
	s_nop 0
	v_pk_add_f32 v[4:5], v[4:5], v[18:19]
	s_waitcnt vmcnt(0)
	v_pk_add_f32 v[4:5], v[14:15], v[4:5] neg_lo:[0,1] neg_hi:[0,1]
	scratch_store_dwordx2 off, v[4:5], off offset:416
	s_and_saveexec_b64 s[0:1], vcc
	s_cbranch_execz .LBB119_247
; %bb.246:
	scratch_load_dwordx2 v[4:5], off, off offset:408
	v_mov_b32_e32 v3, v2
	scratch_store_dwordx2 off, v[2:3], off offset:408
	s_waitcnt vmcnt(1)
	ds_write_b64 v1, v[4:5]
.LBB119_247:
	s_or_b64 exec, exec, s[0:1]
	s_waitcnt lgkmcnt(0)
	; wave barrier
	scratch_load_dwordx4 v[4:7], off, off offset:416
	scratch_load_dwordx4 v[8:11], off, off offset:432
	scratch_load_dwordx2 v[20:21], off, off offset:408
	ds_read_b128 v[12:15], v2 offset:864
	ds_read_b128 v[16:19], v2 offset:880
	v_cmp_lt_u32_e32 vcc, 50, v0
	s_waitcnt vmcnt(2) lgkmcnt(1)
	v_pk_mul_f32 v[2:3], v[12:13], v[4:5] op_sel:[1,1] op_sel_hi:[0,1]
	v_mov_b32_e32 v22, v7
	s_waitcnt vmcnt(1) lgkmcnt(0)
	v_pk_mul_f32 v[24:25], v[16:17], v[8:9] op_sel:[1,1] op_sel_hi:[0,1]
	v_mov_b32_e32 v26, v11
	v_pk_fma_f32 v[28:29], v[12:13], v[4:5], v[2:3] neg_lo:[0,0,1] neg_hi:[0,0,1]
	v_pk_fma_f32 v[2:3], v[12:13], v[4:5], v[2:3] op_sel_hi:[1,0,1]
	v_pk_mul_f32 v[4:5], v[14:15], v[22:23] op_sel:[1,0] op_sel_hi:[0,0]
	v_pk_fma_f32 v[12:13], v[16:17], v[8:9], v[24:25] neg_lo:[0,0,1] neg_hi:[0,0,1]
	v_pk_fma_f32 v[8:9], v[16:17], v[8:9], v[24:25] op_sel_hi:[1,0,1]
	v_pk_mul_f32 v[16:17], v[18:19], v[26:27] op_sel:[1,0] op_sel_hi:[0,0]
	v_mov_b32_e32 v29, v3
	v_pk_fma_f32 v[2:3], v[14:15], v[6:7], v[4:5] neg_lo:[0,0,1] neg_hi:[0,0,1]
	v_pk_fma_f32 v[4:5], v[14:15], v[6:7], v[4:5] op_sel_hi:[1,0,1]
	v_mov_b32_e32 v13, v9
	v_pk_fma_f32 v[6:7], v[18:19], v[10:11], v[16:17] neg_lo:[0,0,1] neg_hi:[0,0,1]
	v_pk_fma_f32 v[8:9], v[18:19], v[10:11], v[16:17] op_sel_hi:[1,0,1]
	v_pk_add_f32 v[10:11], v[28:29], 0 op_sel_hi:[1,0]
	v_mov_b32_e32 v3, v5
	v_pk_add_f32 v[2:3], v[10:11], v[2:3]
	v_mov_b32_e32 v7, v9
	v_pk_add_f32 v[2:3], v[2:3], v[12:13]
	s_nop 0
	v_pk_add_f32 v[2:3], v[2:3], v[6:7]
	s_waitcnt vmcnt(0)
	v_pk_add_f32 v[2:3], v[20:21], v[2:3] neg_lo:[0,1] neg_hi:[0,1]
	scratch_store_dwordx2 off, v[2:3], off offset:408
	s_and_saveexec_b64 s[0:1], vcc
	s_cbranch_execz .LBB119_249
; %bb.248:
	scratch_load_dwordx2 v[2:3], off, off offset:400
	v_mov_b32_e32 v4, 0
	v_mov_b32_e32 v5, v4
	scratch_store_dwordx2 off, v[4:5], off offset:400
	s_waitcnt vmcnt(1)
	ds_write_b64 v1, v[2:3]
.LBB119_249:
	s_or_b64 exec, exec, s[0:1]
	s_waitcnt lgkmcnt(0)
	; wave barrier
	scratch_load_dwordx4 v[4:7], off, off offset:408
	scratch_load_dwordx4 v[8:11], off, off offset:424
	scratch_load_dwordx2 v[20:21], off, off offset:440
	scratch_load_dwordx2 v[22:23], off, off offset:400
	v_mov_b32_e32 v2, 0
	ds_read2_b64 v[12:15], v2 offset0:107 offset1:108
	ds_read2_b64 v[16:19], v2 offset0:109 offset1:110
	ds_read_b64 v[24:25], v2 offset:888
	v_cmp_lt_u32_e32 vcc, 49, v0
	s_waitcnt vmcnt(3) lgkmcnt(2)
	v_pk_mul_f32 v[26:27], v[12:13], v[4:5] op_sel:[1,1] op_sel_hi:[0,1]
	v_mov_b32_e32 v28, v7
	v_pk_fma_f32 v[36:37], v[12:13], v[4:5], v[26:27] neg_lo:[0,0,1] neg_hi:[0,0,1]
	v_pk_fma_f32 v[4:5], v[12:13], v[4:5], v[26:27] op_sel_hi:[1,0,1]
	v_pk_mul_f32 v[12:13], v[14:15], v[28:29] op_sel:[1,0] op_sel_hi:[0,0]
	s_waitcnt vmcnt(2) lgkmcnt(1)
	v_pk_mul_f32 v[30:31], v[16:17], v[8:9] op_sel:[1,1] op_sel_hi:[0,1]
	v_mov_b32_e32 v32, v11
	v_mov_b32_e32 v37, v5
	v_pk_fma_f32 v[4:5], v[14:15], v[6:7], v[12:13] neg_lo:[0,0,1] neg_hi:[0,0,1]
	v_pk_fma_f32 v[6:7], v[14:15], v[6:7], v[12:13] op_sel_hi:[1,0,1]
	v_pk_fma_f32 v[26:27], v[16:17], v[8:9], v[30:31] neg_lo:[0,0,1] neg_hi:[0,0,1]
	v_pk_fma_f32 v[8:9], v[16:17], v[8:9], v[30:31] op_sel_hi:[1,0,1]
	v_pk_mul_f32 v[16:17], v[18:19], v[32:33] op_sel:[1,0] op_sel_hi:[0,0]
	v_pk_add_f32 v[12:13], v[36:37], 0 op_sel_hi:[1,0]
	v_mov_b32_e32 v5, v7
	s_waitcnt vmcnt(1) lgkmcnt(0)
	v_pk_mul_f32 v[34:35], v[24:25], v[20:21] op_sel:[1,1] op_sel_hi:[0,1]
	v_mov_b32_e32 v27, v9
	v_pk_fma_f32 v[8:9], v[18:19], v[10:11], v[16:17] neg_lo:[0,0,1] neg_hi:[0,0,1]
	v_pk_fma_f32 v[10:11], v[18:19], v[10:11], v[16:17] op_sel_hi:[1,0,1]
	v_pk_add_f32 v[4:5], v[12:13], v[4:5]
	v_pk_fma_f32 v[28:29], v[24:25], v[20:21], v[34:35] neg_lo:[0,0,1] neg_hi:[0,0,1]
	v_pk_fma_f32 v[20:21], v[24:25], v[20:21], v[34:35] op_sel_hi:[1,0,1]
	v_mov_b32_e32 v9, v11
	v_pk_add_f32 v[4:5], v[4:5], v[26:27]
	v_mov_b32_e32 v29, v21
	v_pk_add_f32 v[4:5], v[4:5], v[8:9]
	s_nop 0
	v_pk_add_f32 v[4:5], v[4:5], v[28:29]
	s_waitcnt vmcnt(0)
	v_pk_add_f32 v[4:5], v[22:23], v[4:5] neg_lo:[0,1] neg_hi:[0,1]
	scratch_store_dwordx2 off, v[4:5], off offset:400
	s_and_saveexec_b64 s[0:1], vcc
	s_cbranch_execz .LBB119_251
; %bb.250:
	scratch_load_dwordx2 v[4:5], off, off offset:392
	v_mov_b32_e32 v3, v2
	scratch_store_dwordx2 off, v[2:3], off offset:392
	s_waitcnt vmcnt(1)
	ds_write_b64 v1, v[4:5]
.LBB119_251:
	s_or_b64 exec, exec, s[0:1]
	s_waitcnt lgkmcnt(0)
	; wave barrier
	scratch_load_dwordx4 v[4:7], off, off offset:400
	scratch_load_dwordx4 v[8:11], off, off offset:416
	;; [unrolled: 1-line block ×3, first 2 shown]
	scratch_load_dwordx2 v[28:29], off, off offset:392
	ds_read_b128 v[16:19], v2 offset:848
	ds_read_b128 v[20:23], v2 offset:864
	;; [unrolled: 1-line block ×3, first 2 shown]
	v_cmp_lt_u32_e32 vcc, 48, v0
	s_waitcnt vmcnt(3) lgkmcnt(2)
	v_pk_mul_f32 v[2:3], v[16:17], v[4:5] op_sel:[1,1] op_sel_hi:[0,1]
	v_mov_b32_e32 v30, v7
	s_waitcnt vmcnt(2) lgkmcnt(1)
	v_pk_mul_f32 v[32:33], v[20:21], v[8:9] op_sel:[1,1] op_sel_hi:[0,1]
	v_mov_b32_e32 v34, v11
	;; [unrolled: 3-line block ×3, first 2 shown]
	v_pk_fma_f32 v[40:41], v[16:17], v[4:5], v[2:3] neg_lo:[0,0,1] neg_hi:[0,0,1]
	v_pk_fma_f32 v[2:3], v[16:17], v[4:5], v[2:3] op_sel_hi:[1,0,1]
	v_pk_mul_f32 v[4:5], v[18:19], v[30:31] op_sel:[1,0] op_sel_hi:[0,0]
	v_pk_fma_f32 v[16:17], v[20:21], v[8:9], v[32:33] neg_lo:[0,0,1] neg_hi:[0,0,1]
	v_pk_fma_f32 v[8:9], v[20:21], v[8:9], v[32:33] op_sel_hi:[1,0,1]
	v_pk_mul_f32 v[20:21], v[22:23], v[34:35] op_sel:[1,0] op_sel_hi:[0,0]
	;; [unrolled: 3-line block ×3, first 2 shown]
	v_mov_b32_e32 v41, v3
	v_pk_fma_f32 v[2:3], v[18:19], v[6:7], v[4:5] neg_lo:[0,0,1] neg_hi:[0,0,1]
	v_pk_fma_f32 v[4:5], v[18:19], v[6:7], v[4:5] op_sel_hi:[1,0,1]
	v_mov_b32_e32 v17, v9
	v_pk_fma_f32 v[6:7], v[22:23], v[10:11], v[20:21] neg_lo:[0,0,1] neg_hi:[0,0,1]
	v_pk_fma_f32 v[8:9], v[22:23], v[10:11], v[20:21] op_sel_hi:[1,0,1]
	;; [unrolled: 3-line block ×3, first 2 shown]
	v_pk_add_f32 v[14:15], v[40:41], 0 op_sel_hi:[1,0]
	v_mov_b32_e32 v3, v5
	v_pk_add_f32 v[2:3], v[14:15], v[2:3]
	v_mov_b32_e32 v7, v9
	v_pk_add_f32 v[2:3], v[2:3], v[16:17]
	;; [unrolled: 2-line block ×3, first 2 shown]
	s_nop 0
	v_pk_add_f32 v[2:3], v[2:3], v[30:31]
	s_nop 0
	v_pk_add_f32 v[2:3], v[2:3], v[10:11]
	s_waitcnt vmcnt(0)
	v_pk_add_f32 v[2:3], v[28:29], v[2:3] neg_lo:[0,1] neg_hi:[0,1]
	scratch_store_dwordx2 off, v[2:3], off offset:392
	s_and_saveexec_b64 s[0:1], vcc
	s_cbranch_execz .LBB119_253
; %bb.252:
	scratch_load_dwordx2 v[2:3], off, off offset:384
	v_mov_b32_e32 v4, 0
	v_mov_b32_e32 v5, v4
	scratch_store_dwordx2 off, v[4:5], off offset:384
	s_waitcnt vmcnt(1)
	ds_write_b64 v1, v[2:3]
.LBB119_253:
	s_or_b64 exec, exec, s[0:1]
	s_waitcnt lgkmcnt(0)
	; wave barrier
	scratch_load_dwordx4 v[4:7], off, off offset:392
	scratch_load_dwordx4 v[8:11], off, off offset:408
	;; [unrolled: 1-line block ×3, first 2 shown]
	scratch_load_dwordx2 v[28:29], off, off offset:440
	scratch_load_dwordx2 v[30:31], off, off offset:384
	v_mov_b32_e32 v2, 0
	ds_read2_b64 v[16:19], v2 offset0:105 offset1:106
	ds_read2_b64 v[20:23], v2 offset0:107 offset1:108
	;; [unrolled: 1-line block ×3, first 2 shown]
	ds_read_b64 v[32:33], v2 offset:888
	v_cmp_lt_u32_e32 vcc, 47, v0
	s_waitcnt vmcnt(4) lgkmcnt(3)
	v_pk_mul_f32 v[34:35], v[16:17], v[4:5] op_sel:[1,1] op_sel_hi:[0,1]
	v_mov_b32_e32 v36, v7
	v_pk_fma_f32 v[48:49], v[16:17], v[4:5], v[34:35] neg_lo:[0,0,1] neg_hi:[0,0,1]
	v_pk_fma_f32 v[4:5], v[16:17], v[4:5], v[34:35] op_sel_hi:[1,0,1]
	v_pk_mul_f32 v[16:17], v[18:19], v[36:37] op_sel:[1,0] op_sel_hi:[0,0]
	s_waitcnt vmcnt(3) lgkmcnt(2)
	v_pk_mul_f32 v[38:39], v[20:21], v[8:9] op_sel:[1,1] op_sel_hi:[0,1]
	v_mov_b32_e32 v40, v11
	v_mov_b32_e32 v49, v5
	v_pk_fma_f32 v[4:5], v[18:19], v[6:7], v[16:17] neg_lo:[0,0,1] neg_hi:[0,0,1]
	v_pk_fma_f32 v[6:7], v[18:19], v[6:7], v[16:17] op_sel_hi:[1,0,1]
	v_pk_fma_f32 v[34:35], v[20:21], v[8:9], v[38:39] neg_lo:[0,0,1] neg_hi:[0,0,1]
	v_pk_fma_f32 v[8:9], v[20:21], v[8:9], v[38:39] op_sel_hi:[1,0,1]
	v_pk_mul_f32 v[20:21], v[22:23], v[40:41] op_sel:[1,0] op_sel_hi:[0,0]
	v_pk_add_f32 v[16:17], v[48:49], 0 op_sel_hi:[1,0]
	v_mov_b32_e32 v5, v7
	s_waitcnt vmcnt(2) lgkmcnt(1)
	v_pk_mul_f32 v[42:43], v[24:25], v[12:13] op_sel:[1,1] op_sel_hi:[0,1]
	v_mov_b32_e32 v44, v15
	v_mov_b32_e32 v35, v9
	v_pk_fma_f32 v[8:9], v[22:23], v[10:11], v[20:21] neg_lo:[0,0,1] neg_hi:[0,0,1]
	v_pk_fma_f32 v[10:11], v[22:23], v[10:11], v[20:21] op_sel_hi:[1,0,1]
	v_pk_add_f32 v[4:5], v[16:17], v[4:5]
	v_pk_fma_f32 v[36:37], v[24:25], v[12:13], v[42:43] neg_lo:[0,0,1] neg_hi:[0,0,1]
	v_pk_fma_f32 v[12:13], v[24:25], v[12:13], v[42:43] op_sel_hi:[1,0,1]
	v_pk_mul_f32 v[24:25], v[26:27], v[44:45] op_sel:[1,0] op_sel_hi:[0,0]
	v_mov_b32_e32 v9, v11
	v_pk_add_f32 v[4:5], v[4:5], v[34:35]
	s_waitcnt vmcnt(1) lgkmcnt(0)
	v_pk_mul_f32 v[46:47], v[32:33], v[28:29] op_sel:[1,1] op_sel_hi:[0,1]
	v_mov_b32_e32 v37, v13
	v_pk_fma_f32 v[12:13], v[26:27], v[14:15], v[24:25] neg_lo:[0,0,1] neg_hi:[0,0,1]
	v_pk_fma_f32 v[14:15], v[26:27], v[14:15], v[24:25] op_sel_hi:[1,0,1]
	v_pk_add_f32 v[4:5], v[4:5], v[8:9]
	v_pk_fma_f32 v[38:39], v[32:33], v[28:29], v[46:47] neg_lo:[0,0,1] neg_hi:[0,0,1]
	v_pk_fma_f32 v[28:29], v[32:33], v[28:29], v[46:47] op_sel_hi:[1,0,1]
	v_mov_b32_e32 v13, v15
	v_pk_add_f32 v[4:5], v[4:5], v[36:37]
	v_mov_b32_e32 v39, v29
	v_pk_add_f32 v[4:5], v[4:5], v[12:13]
	s_nop 0
	v_pk_add_f32 v[4:5], v[4:5], v[38:39]
	s_waitcnt vmcnt(0)
	v_pk_add_f32 v[4:5], v[30:31], v[4:5] neg_lo:[0,1] neg_hi:[0,1]
	scratch_store_dwordx2 off, v[4:5], off offset:384
	s_and_saveexec_b64 s[0:1], vcc
	s_cbranch_execz .LBB119_255
; %bb.254:
	scratch_load_dwordx2 v[4:5], off, off offset:376
	v_mov_b32_e32 v3, v2
	scratch_store_dwordx2 off, v[2:3], off offset:376
	s_waitcnt vmcnt(1)
	ds_write_b64 v1, v[4:5]
.LBB119_255:
	s_or_b64 exec, exec, s[0:1]
	s_waitcnt lgkmcnt(0)
	; wave barrier
	scratch_load_dwordx4 v[4:7], off, off offset:384
	scratch_load_dwordx4 v[8:11], off, off offset:400
	;; [unrolled: 1-line block ×4, first 2 shown]
	scratch_load_dwordx2 v[36:37], off, off offset:376
	ds_read_b128 v[20:23], v2 offset:832
	ds_read_b128 v[24:27], v2 offset:848
	;; [unrolled: 1-line block ×4, first 2 shown]
	v_cmp_lt_u32_e32 vcc, 46, v0
	s_waitcnt vmcnt(4) lgkmcnt(3)
	v_pk_mul_f32 v[2:3], v[20:21], v[4:5] op_sel:[1,1] op_sel_hi:[0,1]
	v_mov_b32_e32 v38, v7
	s_waitcnt vmcnt(3) lgkmcnt(2)
	v_pk_mul_f32 v[40:41], v[24:25], v[8:9] op_sel:[1,1] op_sel_hi:[0,1]
	v_mov_b32_e32 v42, v11
	;; [unrolled: 3-line block ×4, first 2 shown]
	v_pk_fma_f32 v[52:53], v[20:21], v[4:5], v[2:3] neg_lo:[0,0,1] neg_hi:[0,0,1]
	v_pk_fma_f32 v[2:3], v[20:21], v[4:5], v[2:3] op_sel_hi:[1,0,1]
	v_pk_mul_f32 v[4:5], v[22:23], v[38:39] op_sel:[1,0] op_sel_hi:[0,0]
	v_pk_fma_f32 v[20:21], v[24:25], v[8:9], v[40:41] neg_lo:[0,0,1] neg_hi:[0,0,1]
	v_pk_fma_f32 v[8:9], v[24:25], v[8:9], v[40:41] op_sel_hi:[1,0,1]
	v_pk_mul_f32 v[24:25], v[26:27], v[42:43] op_sel:[1,0] op_sel_hi:[0,0]
	;; [unrolled: 3-line block ×4, first 2 shown]
	v_mov_b32_e32 v53, v3
	v_pk_fma_f32 v[2:3], v[22:23], v[6:7], v[4:5] neg_lo:[0,0,1] neg_hi:[0,0,1]
	v_pk_fma_f32 v[4:5], v[22:23], v[6:7], v[4:5] op_sel_hi:[1,0,1]
	v_mov_b32_e32 v21, v9
	v_pk_fma_f32 v[6:7], v[26:27], v[10:11], v[24:25] neg_lo:[0,0,1] neg_hi:[0,0,1]
	v_pk_fma_f32 v[8:9], v[26:27], v[10:11], v[24:25] op_sel_hi:[1,0,1]
	;; [unrolled: 3-line block ×4, first 2 shown]
	v_pk_add_f32 v[18:19], v[52:53], 0 op_sel_hi:[1,0]
	v_mov_b32_e32 v3, v5
	v_pk_add_f32 v[2:3], v[18:19], v[2:3]
	v_mov_b32_e32 v7, v9
	v_pk_add_f32 v[2:3], v[2:3], v[20:21]
	;; [unrolled: 2-line block ×4, first 2 shown]
	s_nop 0
	v_pk_add_f32 v[2:3], v[2:3], v[10:11]
	s_nop 0
	v_pk_add_f32 v[2:3], v[2:3], v[40:41]
	;; [unrolled: 2-line block ×3, first 2 shown]
	s_waitcnt vmcnt(0)
	v_pk_add_f32 v[2:3], v[36:37], v[2:3] neg_lo:[0,1] neg_hi:[0,1]
	scratch_store_dwordx2 off, v[2:3], off offset:376
	s_and_saveexec_b64 s[0:1], vcc
	s_cbranch_execz .LBB119_257
; %bb.256:
	scratch_load_dwordx2 v[2:3], off, off offset:368
	v_mov_b32_e32 v4, 0
	v_mov_b32_e32 v5, v4
	scratch_store_dwordx2 off, v[4:5], off offset:368
	s_waitcnt vmcnt(1)
	ds_write_b64 v1, v[2:3]
.LBB119_257:
	s_or_b64 exec, exec, s[0:1]
	s_waitcnt lgkmcnt(0)
	; wave barrier
	scratch_load_dwordx4 v[4:7], off, off offset:376
	scratch_load_dwordx4 v[8:11], off, off offset:392
	;; [unrolled: 1-line block ×4, first 2 shown]
	scratch_load_dwordx2 v[36:37], off, off offset:440
	scratch_load_dwordx2 v[38:39], off, off offset:368
	v_mov_b32_e32 v2, 0
	ds_read2_b64 v[20:23], v2 offset0:103 offset1:104
	ds_read2_b64 v[24:27], v2 offset0:105 offset1:106
	;; [unrolled: 1-line block ×4, first 2 shown]
	ds_read_b64 v[40:41], v2 offset:888
	v_cmp_lt_u32_e32 vcc, 45, v0
	s_waitcnt vmcnt(5) lgkmcnt(4)
	v_mul_f32_e32 v43, v20, v5
	v_mul_f32_e32 v3, v21, v5
	v_mov_b32_e32 v44, v7
	s_waitcnt vmcnt(4) lgkmcnt(3)
	v_pk_mul_f32 v[46:47], v[24:25], v[8:9] op_sel:[1,1] op_sel_hi:[0,1]
	v_mov_b32_e32 v48, v11
	s_waitcnt vmcnt(1) lgkmcnt(0)
	v_pk_mul_f32 v[58:59], v[40:41], v[36:37] op_sel:[1,1] op_sel_hi:[0,1]
	v_fmac_f32_e32 v43, v21, v4
	v_fma_f32 v42, v20, v4, -v3
	v_pk_mul_f32 v[4:5], v[22:23], v[44:45] op_sel:[1,0] op_sel_hi:[0,0]
	v_pk_fma_f32 v[20:21], v[24:25], v[8:9], v[46:47] neg_lo:[0,0,1] neg_hi:[0,0,1]
	v_pk_fma_f32 v[8:9], v[24:25], v[8:9], v[46:47] op_sel_hi:[1,0,1]
	v_pk_mul_f32 v[24:25], v[26:27], v[48:49] op_sel:[1,0] op_sel_hi:[0,0]
	v_pk_fma_f32 v[48:49], v[40:41], v[36:37], v[58:59] neg_lo:[0,0,1] neg_hi:[0,0,1]
	v_pk_fma_f32 v[36:37], v[40:41], v[36:37], v[58:59] op_sel_hi:[1,0,1]
	v_pk_add_f32 v[40:41], v[42:43], 0 op_sel_hi:[1,0]
	v_pk_fma_f32 v[42:43], v[22:23], v[6:7], v[4:5] neg_lo:[0,0,1] neg_hi:[0,0,1]
	v_pk_fma_f32 v[4:5], v[22:23], v[6:7], v[4:5] op_sel_hi:[1,0,1]
	v_pk_mul_f32 v[50:51], v[28:29], v[12:13] op_sel:[1,1] op_sel_hi:[0,1]
	v_mov_b32_e32 v43, v5
	v_mov_b32_e32 v52, v15
	;; [unrolled: 1-line block ×3, first 2 shown]
	v_pk_fma_f32 v[6:7], v[26:27], v[10:11], v[24:25] neg_lo:[0,0,1] neg_hi:[0,0,1]
	v_pk_fma_f32 v[8:9], v[26:27], v[10:11], v[24:25] op_sel_hi:[1,0,1]
	v_pk_add_f32 v[4:5], v[40:41], v[42:43]
	v_pk_fma_f32 v[44:45], v[28:29], v[12:13], v[50:51] neg_lo:[0,0,1] neg_hi:[0,0,1]
	v_pk_fma_f32 v[12:13], v[28:29], v[12:13], v[50:51] op_sel_hi:[1,0,1]
	v_pk_mul_f32 v[28:29], v[30:31], v[52:53] op_sel:[1,0] op_sel_hi:[0,0]
	v_mov_b32_e32 v7, v9
	v_pk_add_f32 v[4:5], v[4:5], v[20:21]
	v_pk_mul_f32 v[54:55], v[32:33], v[16:17] op_sel:[1,1] op_sel_hi:[0,1]
	v_mov_b32_e32 v56, v19
	v_mov_b32_e32 v45, v13
	v_pk_fma_f32 v[10:11], v[30:31], v[14:15], v[28:29] neg_lo:[0,0,1] neg_hi:[0,0,1]
	v_pk_fma_f32 v[12:13], v[30:31], v[14:15], v[28:29] op_sel_hi:[1,0,1]
	v_pk_add_f32 v[4:5], v[4:5], v[6:7]
	v_pk_fma_f32 v[46:47], v[32:33], v[16:17], v[54:55] neg_lo:[0,0,1] neg_hi:[0,0,1]
	v_pk_fma_f32 v[16:17], v[32:33], v[16:17], v[54:55] op_sel_hi:[1,0,1]
	v_pk_mul_f32 v[32:33], v[34:35], v[56:57] op_sel:[1,0] op_sel_hi:[0,0]
	v_mov_b32_e32 v11, v13
	v_pk_add_f32 v[4:5], v[4:5], v[44:45]
	v_mov_b32_e32 v47, v17
	v_pk_fma_f32 v[14:15], v[34:35], v[18:19], v[32:33] neg_lo:[0,0,1] neg_hi:[0,0,1]
	v_pk_fma_f32 v[16:17], v[34:35], v[18:19], v[32:33] op_sel_hi:[1,0,1]
	v_pk_add_f32 v[4:5], v[4:5], v[10:11]
	v_mov_b32_e32 v15, v17
	v_pk_add_f32 v[4:5], v[4:5], v[46:47]
	v_mov_b32_e32 v49, v37
	v_pk_add_f32 v[4:5], v[4:5], v[14:15]
	s_nop 0
	v_pk_add_f32 v[4:5], v[4:5], v[48:49]
	s_waitcnt vmcnt(0)
	v_pk_add_f32 v[4:5], v[38:39], v[4:5] neg_lo:[0,1] neg_hi:[0,1]
	scratch_store_dwordx2 off, v[4:5], off offset:368
	s_and_saveexec_b64 s[0:1], vcc
	s_cbranch_execz .LBB119_259
; %bb.258:
	scratch_load_dwordx2 v[4:5], off, off offset:360
	v_mov_b32_e32 v3, v2
	scratch_store_dwordx2 off, v[2:3], off offset:360
	s_waitcnt vmcnt(1)
	ds_write_b64 v1, v[4:5]
.LBB119_259:
	s_or_b64 exec, exec, s[0:1]
	s_waitcnt lgkmcnt(0)
	; wave barrier
	ds_read_b128 v[4:7], v2 offset:816
	ds_read_b128 v[8:11], v2 offset:832
	;; [unrolled: 1-line block ×4, first 2 shown]
	scratch_load_dwordx4 v[20:23], off, off offset:368
	scratch_load_dwordx4 v[24:27], off, off offset:384
	;; [unrolled: 1-line block ×5, first 2 shown]
	v_cmp_lt_u32_e32 vcc, 44, v0
	s_waitcnt vmcnt(4) lgkmcnt(3)
	v_mul_f32_e32 v41, v4, v21
	v_mul_f32_e32 v3, v5, v21
	v_fmac_f32_e32 v41, v5, v20
	v_mul_f32_e32 v43, v6, v23
	v_fma_f32 v40, v4, v20, -v3
	v_mul_f32_e32 v3, v7, v23
	s_waitcnt vmcnt(3) lgkmcnt(2)
	v_pk_mul_f32 v[20:21], v[8:9], v[24:25] op_sel:[1,1] op_sel_hi:[0,1]
	v_fmac_f32_e32 v43, v7, v22
	v_fma_f32 v42, v6, v22, -v3
	v_pk_fma_f32 v[22:23], v[8:9], v[24:25], v[20:21] neg_lo:[0,0,1] neg_hi:[0,0,1]
	v_pk_fma_f32 v[8:9], v[8:9], v[24:25], v[20:21] op_sel_hi:[1,0,1]
	v_pk_add_f32 v[6:7], v[40:41], 0 op_sel_hi:[1,0]
	v_mov_b32_e32 v8, v27
	v_mov_b32_e32 v23, v9
	v_pk_mul_f32 v[8:9], v[10:11], v[8:9] op_sel:[1,0] op_sel_hi:[0,0]
	v_pk_fma_f32 v[20:21], v[10:11], v[26:27], v[8:9] neg_lo:[0,0,1] neg_hi:[0,0,1]
	v_pk_fma_f32 v[8:9], v[10:11], v[26:27], v[8:9] op_sel_hi:[1,0,1]
	v_pk_add_f32 v[6:7], v[6:7], v[42:43]
	v_mov_b32_e32 v21, v9
	s_waitcnt vmcnt(2) lgkmcnt(1)
	v_pk_mul_f32 v[8:9], v[12:13], v[28:29] op_sel:[1,1] op_sel_hi:[0,1]
	v_pk_fma_f32 v[10:11], v[12:13], v[28:29], v[8:9] neg_lo:[0,0,1] neg_hi:[0,0,1]
	v_pk_fma_f32 v[8:9], v[12:13], v[28:29], v[8:9] op_sel_hi:[1,0,1]
	v_pk_add_f32 v[6:7], v[6:7], v[22:23]
	v_mov_b32_e32 v8, v31
	v_pk_add_f32 v[6:7], v[6:7], v[20:21]
	v_mov_b32_e32 v11, v9
	v_pk_mul_f32 v[8:9], v[14:15], v[8:9] op_sel:[1,0] op_sel_hi:[0,0]
	v_pk_add_f32 v[6:7], v[6:7], v[10:11]
	v_pk_fma_f32 v[10:11], v[14:15], v[30:31], v[8:9] neg_lo:[0,0,1] neg_hi:[0,0,1]
	v_pk_fma_f32 v[8:9], v[14:15], v[30:31], v[8:9] op_sel_hi:[1,0,1]
	ds_read_b128 v[2:5], v2 offset:880
	v_mov_b32_e32 v11, v9
	s_waitcnt vmcnt(1) lgkmcnt(1)
	v_pk_mul_f32 v[8:9], v[16:17], v[32:33] op_sel:[1,1] op_sel_hi:[0,1]
	v_pk_add_f32 v[6:7], v[6:7], v[10:11]
	v_pk_fma_f32 v[10:11], v[16:17], v[32:33], v[8:9] neg_lo:[0,0,1] neg_hi:[0,0,1]
	v_pk_fma_f32 v[8:9], v[16:17], v[32:33], v[8:9] op_sel_hi:[1,0,1]
	s_nop 0
	v_mov_b32_e32 v8, v35
	v_mov_b32_e32 v11, v9
	v_pk_mul_f32 v[8:9], v[18:19], v[8:9] op_sel:[1,0] op_sel_hi:[0,0]
	v_pk_add_f32 v[6:7], v[6:7], v[10:11]
	v_pk_fma_f32 v[10:11], v[18:19], v[34:35], v[8:9] neg_lo:[0,0,1] neg_hi:[0,0,1]
	v_pk_fma_f32 v[8:9], v[18:19], v[34:35], v[8:9] op_sel_hi:[1,0,1]
	s_nop 0
	v_mov_b32_e32 v11, v9
	s_waitcnt vmcnt(0) lgkmcnt(0)
	v_pk_mul_f32 v[8:9], v[2:3], v[36:37] op_sel:[1,1] op_sel_hi:[0,1]
	v_pk_add_f32 v[6:7], v[6:7], v[10:11]
	v_pk_fma_f32 v[10:11], v[2:3], v[36:37], v[8:9] neg_lo:[0,0,1] neg_hi:[0,0,1]
	v_pk_fma_f32 v[2:3], v[2:3], v[36:37], v[8:9] op_sel_hi:[1,0,1]
	s_nop 0
	v_mov_b32_e32 v11, v3
	v_pk_add_f32 v[2:3], v[6:7], v[10:11]
	v_mov_b32_e32 v6, v39
	v_pk_mul_f32 v[6:7], v[4:5], v[6:7] op_sel:[1,0] op_sel_hi:[0,0]
	v_pk_fma_f32 v[8:9], v[4:5], v[38:39], v[6:7] neg_lo:[0,0,1] neg_hi:[0,0,1]
	v_pk_fma_f32 v[4:5], v[4:5], v[38:39], v[6:7] op_sel_hi:[1,0,1]
	s_nop 0
	v_mov_b32_e32 v9, v5
	scratch_load_dwordx2 v[4:5], off, off offset:360
	v_pk_add_f32 v[2:3], v[2:3], v[8:9]
	s_waitcnt vmcnt(0)
	v_pk_add_f32 v[2:3], v[4:5], v[2:3] neg_lo:[0,1] neg_hi:[0,1]
	scratch_store_dwordx2 off, v[2:3], off offset:360
	s_and_saveexec_b64 s[0:1], vcc
	s_cbranch_execz .LBB119_261
; %bb.260:
	scratch_load_dwordx2 v[2:3], off, off offset:352
	v_mov_b32_e32 v4, 0
	v_mov_b32_e32 v5, v4
	scratch_store_dwordx2 off, v[4:5], off offset:352
	s_waitcnt vmcnt(1)
	ds_write_b64 v1, v[2:3]
.LBB119_261:
	s_or_b64 exec, exec, s[0:1]
	s_waitcnt lgkmcnt(0)
	; wave barrier
	scratch_load_dwordx4 v[8:11], off, off offset:360
	scratch_load_dwordx4 v[16:19], off, off offset:376
	v_mov_b32_e32 v2, 0
	ds_read2_b64 v[4:7], v2 offset0:101 offset1:102
	ds_read2_b64 v[12:15], v2 offset0:103 offset1:104
	scratch_load_dwordx4 v[20:23], off, off offset:392
	scratch_load_dwordx4 v[24:27], off, off offset:408
	;; [unrolled: 1-line block ×3, first 2 shown]
	scratch_load_dwordx2 v[42:43], off, off offset:440
	v_cmp_lt_u32_e32 vcc, 43, v0
	s_waitcnt vmcnt(5) lgkmcnt(1)
	v_mul_f32_e32 v3, v4, v9
	v_fmac_f32_e32 v3, v5, v8
	v_add_f32_e32 v37, 0, v3
	v_mul_f32_e32 v3, v5, v9
	v_fma_f32 v3, v4, v8, -v3
	v_mul_f32_e32 v39, v6, v11
	v_add_f32_e32 v36, 0, v3
	v_mul_f32_e32 v3, v7, v11
	v_fmac_f32_e32 v39, v7, v10
	s_waitcnt vmcnt(4) lgkmcnt(0)
	v_mul_f32_e32 v41, v12, v17
	v_fma_f32 v38, v6, v10, -v3
	v_mul_f32_e32 v3, v13, v17
	v_fmac_f32_e32 v41, v13, v16
	v_fma_f32 v40, v12, v16, -v3
	v_pk_add_f32 v[16:17], v[36:37], v[38:39]
	v_mov_b32_e32 v36, v19
	v_pk_mul_f32 v[36:37], v[14:15], v[36:37] op_sel:[1,0] op_sel_hi:[0,0]
	ds_read2_b64 v[4:7], v2 offset0:105 offset1:106
	ds_read2_b64 v[8:11], v2 offset0:107 offset1:108
	;; [unrolled: 1-line block ×3, first 2 shown]
	ds_read_b64 v[12:13], v2 offset:888
	v_pk_fma_f32 v[38:39], v[14:15], v[18:19], v[36:37] neg_lo:[0,0,1] neg_hi:[0,0,1]
	v_pk_fma_f32 v[14:15], v[14:15], v[18:19], v[36:37] op_sel_hi:[1,0,1]
	v_pk_add_f32 v[16:17], v[16:17], v[40:41]
	v_mov_b32_e32 v39, v15
	v_pk_add_f32 v[14:15], v[16:17], v[38:39]
	s_waitcnt vmcnt(3) lgkmcnt(3)
	v_pk_mul_f32 v[16:17], v[4:5], v[20:21] op_sel:[1,1] op_sel_hi:[0,1]
	v_pk_fma_f32 v[18:19], v[4:5], v[20:21], v[16:17] neg_lo:[0,0,1] neg_hi:[0,0,1]
	v_pk_fma_f32 v[4:5], v[4:5], v[20:21], v[16:17] op_sel_hi:[1,0,1]
	s_nop 0
	v_mov_b32_e32 v19, v5
	v_pk_add_f32 v[4:5], v[14:15], v[18:19]
	v_mov_b32_e32 v14, v23
	v_pk_mul_f32 v[14:15], v[6:7], v[14:15] op_sel:[1,0] op_sel_hi:[0,0]
	v_pk_fma_f32 v[16:17], v[6:7], v[22:23], v[14:15] neg_lo:[0,0,1] neg_hi:[0,0,1]
	v_pk_fma_f32 v[6:7], v[6:7], v[22:23], v[14:15] op_sel_hi:[1,0,1]
	s_nop 0
	v_mov_b32_e32 v17, v7
	s_waitcnt vmcnt(2) lgkmcnt(2)
	v_pk_mul_f32 v[6:7], v[8:9], v[24:25] op_sel:[1,1] op_sel_hi:[0,1]
	v_pk_fma_f32 v[14:15], v[8:9], v[24:25], v[6:7] neg_lo:[0,0,1] neg_hi:[0,0,1]
	v_pk_fma_f32 v[6:7], v[8:9], v[24:25], v[6:7] op_sel_hi:[1,0,1]
	v_pk_add_f32 v[4:5], v[4:5], v[16:17]
	v_mov_b32_e32 v6, v27
	v_mov_b32_e32 v15, v7
	v_pk_mul_f32 v[6:7], v[10:11], v[6:7] op_sel:[1,0] op_sel_hi:[0,0]
	v_pk_fma_f32 v[8:9], v[10:11], v[26:27], v[6:7] neg_lo:[0,0,1] neg_hi:[0,0,1]
	v_pk_fma_f32 v[6:7], v[10:11], v[26:27], v[6:7] op_sel_hi:[1,0,1]
	v_pk_add_f32 v[4:5], v[4:5], v[14:15]
	v_mov_b32_e32 v9, v7
	s_waitcnt vmcnt(1) lgkmcnt(1)
	v_pk_mul_f32 v[6:7], v[32:33], v[28:29] op_sel:[1,1] op_sel_hi:[0,1]
	v_pk_add_f32 v[4:5], v[4:5], v[8:9]
	v_pk_fma_f32 v[8:9], v[32:33], v[28:29], v[6:7] neg_lo:[0,0,1] neg_hi:[0,0,1]
	v_pk_fma_f32 v[6:7], v[32:33], v[28:29], v[6:7] op_sel_hi:[1,0,1]
	s_nop 0
	v_mov_b32_e32 v6, v31
	v_mov_b32_e32 v9, v7
	v_pk_mul_f32 v[6:7], v[34:35], v[6:7] op_sel:[1,0] op_sel_hi:[0,0]
	v_pk_add_f32 v[4:5], v[4:5], v[8:9]
	v_pk_fma_f32 v[8:9], v[34:35], v[30:31], v[6:7] neg_lo:[0,0,1] neg_hi:[0,0,1]
	v_pk_fma_f32 v[6:7], v[34:35], v[30:31], v[6:7] op_sel_hi:[1,0,1]
	s_nop 0
	v_mov_b32_e32 v9, v7
	s_waitcnt vmcnt(0) lgkmcnt(0)
	v_pk_mul_f32 v[6:7], v[12:13], v[42:43] op_sel:[1,1] op_sel_hi:[0,1]
	v_pk_add_f32 v[4:5], v[4:5], v[8:9]
	v_pk_fma_f32 v[8:9], v[12:13], v[42:43], v[6:7] neg_lo:[0,0,1] neg_hi:[0,0,1]
	v_pk_fma_f32 v[6:7], v[12:13], v[42:43], v[6:7] op_sel_hi:[1,0,1]
	s_nop 0
	v_mov_b32_e32 v9, v7
	scratch_load_dwordx2 v[6:7], off, off offset:352
	v_pk_add_f32 v[4:5], v[4:5], v[8:9]
	s_waitcnt vmcnt(0)
	v_pk_add_f32 v[4:5], v[6:7], v[4:5] neg_lo:[0,1] neg_hi:[0,1]
	scratch_store_dwordx2 off, v[4:5], off offset:352
	s_and_saveexec_b64 s[0:1], vcc
	s_cbranch_execz .LBB119_263
; %bb.262:
	scratch_load_dwordx2 v[4:5], off, off offset:344
	v_mov_b32_e32 v3, v2
	scratch_store_dwordx2 off, v[2:3], off offset:344
	s_waitcnt vmcnt(1)
	ds_write_b64 v1, v[4:5]
.LBB119_263:
	s_or_b64 exec, exec, s[0:1]
	s_waitcnt lgkmcnt(0)
	; wave barrier
	ds_read_b128 v[4:7], v2 offset:800
	ds_read_b128 v[8:11], v2 offset:816
	;; [unrolled: 1-line block ×4, first 2 shown]
	scratch_load_dwordx4 v[20:23], off, off offset:352
	v_cmp_lt_u32_e32 vcc, 42, v0
	s_waitcnt vmcnt(0) lgkmcnt(3)
	v_mul_f32_e32 v3, v4, v21
	v_fmac_f32_e32 v3, v5, v20
	v_mul_f32_e32 v24, v6, v23
	v_add_f32_e32 v3, 0, v3
	v_fmac_f32_e32 v24, v7, v22
	v_add_f32_e32 v45, v3, v24
	scratch_load_dwordx4 v[24:27], off, off offset:368
	scratch_load_dwordx4 v[28:31], off, off offset:384
	;; [unrolled: 1-line block ×5, first 2 shown]
	v_mul_f32_e32 v3, v5, v21
	v_fma_f32 v3, v4, v20, -v3
	v_mul_f32_e32 v4, v7, v23
	v_fma_f32 v4, v6, v22, -v4
	v_add_f32_e32 v3, 0, v3
	v_add_f32_e32 v44, v3, v4
	s_waitcnt vmcnt(3) lgkmcnt(1)
	v_pk_mul_f32 v[20:21], v[12:13], v[28:29] op_sel:[1,1] op_sel_hi:[0,1]
	v_pk_fma_f32 v[22:23], v[12:13], v[28:29], v[20:21] neg_lo:[0,0,1] neg_hi:[0,0,1]
	v_pk_fma_f32 v[12:13], v[12:13], v[28:29], v[20:21] op_sel_hi:[1,0,1]
	v_mul_f32_e32 v47, v8, v25
	v_mov_b32_e32 v12, v31
	v_mul_f32_e32 v3, v9, v25
	v_mov_b32_e32 v23, v13
	v_pk_mul_f32 v[12:13], v[14:15], v[12:13] op_sel:[1,0] op_sel_hi:[0,0]
	v_fmac_f32_e32 v47, v9, v24
	v_mul_f32_e32 v49, v10, v27
	v_fma_f32 v46, v8, v24, -v3
	v_mul_f32_e32 v3, v11, v27
	v_pk_fma_f32 v[20:21], v[14:15], v[30:31], v[12:13] neg_lo:[0,0,1] neg_hi:[0,0,1]
	v_pk_fma_f32 v[12:13], v[14:15], v[30:31], v[12:13] op_sel_hi:[1,0,1]
	v_fmac_f32_e32 v49, v11, v26
	v_fma_f32 v48, v10, v26, -v3
	ds_read_b128 v[4:7], v2 offset:864
	ds_read_b128 v[8:11], v2 offset:880
	v_pk_add_f32 v[2:3], v[44:45], v[46:47]
	v_mov_b32_e32 v21, v13
	s_waitcnt vmcnt(2) lgkmcnt(2)
	v_pk_mul_f32 v[12:13], v[16:17], v[32:33] op_sel:[1,1] op_sel_hi:[0,1]
	v_pk_add_f32 v[2:3], v[2:3], v[48:49]
	v_pk_fma_f32 v[14:15], v[16:17], v[32:33], v[12:13] neg_lo:[0,0,1] neg_hi:[0,0,1]
	v_pk_fma_f32 v[12:13], v[16:17], v[32:33], v[12:13] op_sel_hi:[1,0,1]
	v_pk_add_f32 v[2:3], v[2:3], v[22:23]
	v_mov_b32_e32 v12, v35
	v_pk_add_f32 v[2:3], v[2:3], v[20:21]
	v_mov_b32_e32 v15, v13
	v_pk_mul_f32 v[12:13], v[18:19], v[12:13] op_sel:[1,0] op_sel_hi:[0,0]
	v_pk_add_f32 v[2:3], v[2:3], v[14:15]
	v_pk_fma_f32 v[14:15], v[18:19], v[34:35], v[12:13] neg_lo:[0,0,1] neg_hi:[0,0,1]
	v_pk_fma_f32 v[12:13], v[18:19], v[34:35], v[12:13] op_sel_hi:[1,0,1]
	s_nop 0
	v_mov_b32_e32 v15, v13
	s_waitcnt vmcnt(1) lgkmcnt(1)
	v_pk_mul_f32 v[12:13], v[4:5], v[36:37] op_sel:[1,1] op_sel_hi:[0,1]
	v_pk_add_f32 v[2:3], v[2:3], v[14:15]
	v_pk_fma_f32 v[14:15], v[4:5], v[36:37], v[12:13] neg_lo:[0,0,1] neg_hi:[0,0,1]
	v_pk_fma_f32 v[4:5], v[4:5], v[36:37], v[12:13] op_sel_hi:[1,0,1]
	s_nop 0
	v_mov_b32_e32 v4, v39
	v_mov_b32_e32 v15, v5
	v_pk_mul_f32 v[4:5], v[6:7], v[4:5] op_sel:[1,0] op_sel_hi:[0,0]
	v_pk_fma_f32 v[12:13], v[6:7], v[38:39], v[4:5] neg_lo:[0,0,1] neg_hi:[0,0,1]
	v_pk_fma_f32 v[4:5], v[6:7], v[38:39], v[4:5] op_sel_hi:[1,0,1]
	v_pk_add_f32 v[2:3], v[2:3], v[14:15]
	v_mov_b32_e32 v13, v5
	s_waitcnt vmcnt(0) lgkmcnt(0)
	v_pk_mul_f32 v[4:5], v[8:9], v[40:41] op_sel:[1,1] op_sel_hi:[0,1]
	v_pk_fma_f32 v[6:7], v[8:9], v[40:41], v[4:5] neg_lo:[0,0,1] neg_hi:[0,0,1]
	v_pk_fma_f32 v[4:5], v[8:9], v[40:41], v[4:5] op_sel_hi:[1,0,1]
	v_pk_add_f32 v[2:3], v[2:3], v[12:13]
	v_mov_b32_e32 v4, v43
	v_mov_b32_e32 v7, v5
	v_pk_mul_f32 v[4:5], v[10:11], v[4:5] op_sel:[1,0] op_sel_hi:[0,0]
	v_pk_add_f32 v[2:3], v[2:3], v[6:7]
	v_pk_fma_f32 v[6:7], v[10:11], v[42:43], v[4:5] neg_lo:[0,0,1] neg_hi:[0,0,1]
	v_pk_fma_f32 v[4:5], v[10:11], v[42:43], v[4:5] op_sel_hi:[1,0,1]
	s_nop 0
	v_mov_b32_e32 v7, v5
	scratch_load_dwordx2 v[4:5], off, off offset:344
	v_pk_add_f32 v[2:3], v[2:3], v[6:7]
	s_waitcnt vmcnt(0)
	v_pk_add_f32 v[2:3], v[4:5], v[2:3] neg_lo:[0,1] neg_hi:[0,1]
	scratch_store_dwordx2 off, v[2:3], off offset:344
	s_and_saveexec_b64 s[0:1], vcc
	s_cbranch_execz .LBB119_265
; %bb.264:
	scratch_load_dwordx2 v[2:3], off, off offset:336
	v_mov_b32_e32 v4, 0
	v_mov_b32_e32 v5, v4
	scratch_store_dwordx2 off, v[4:5], off offset:336
	s_waitcnt vmcnt(1)
	ds_write_b64 v1, v[2:3]
.LBB119_265:
	s_or_b64 exec, exec, s[0:1]
	s_waitcnt lgkmcnt(0)
	; wave barrier
	scratch_load_dwordx4 v[8:11], off, off offset:344
	scratch_load_dwordx4 v[16:19], off, off offset:360
	v_mov_b32_e32 v2, 0
	ds_read2_b64 v[4:7], v2 offset0:99 offset1:100
	scratch_load_dwordx4 v[24:27], off, off offset:376
	v_cmp_lt_u32_e32 vcc, 41, v0
	s_waitcnt vmcnt(2) lgkmcnt(0)
	v_mul_f32_e32 v3, v4, v9
	v_fmac_f32_e32 v3, v5, v8
	v_mul_f32_e32 v12, v6, v11
	v_add_f32_e32 v3, 0, v3
	v_fmac_f32_e32 v12, v7, v10
	v_add_f32_e32 v3, v3, v12
	ds_read2_b64 v[12:15], v2 offset0:101 offset1:102
	s_waitcnt vmcnt(1) lgkmcnt(0)
	v_mul_f32_e32 v20, v12, v17
	v_fmac_f32_e32 v20, v13, v16
	v_add_f32_e32 v41, v3, v20
	ds_read2_b64 v[20:23], v2 offset0:103 offset1:104
	scratch_load_dwordx4 v[28:31], off, off offset:392
	scratch_load_dwordx4 v[32:35], off, off offset:408
	;; [unrolled: 1-line block ×3, first 2 shown]
	scratch_load_dwordx2 v[46:47], off, off offset:440
	v_mul_f32_e32 v3, v5, v9
	v_fma_f32 v3, v4, v8, -v3
	v_mul_f32_e32 v4, v7, v11
	v_add_f32_e32 v3, 0, v3
	v_fma_f32 v4, v6, v10, -v4
	v_add_f32_e32 v3, v3, v4
	v_mul_f32_e32 v4, v13, v17
	v_fma_f32 v4, v12, v16, -v4
	v_add_f32_e32 v40, v3, v4
	v_mul_f32_e32 v3, v15, v19
	v_fma_f32 v42, v14, v18, -v3
	s_waitcnt vmcnt(4) lgkmcnt(0)
	v_mul_f32_e32 v3, v21, v25
	v_mul_f32_e32 v43, v14, v19
	;; [unrolled: 1-line block ×3, first 2 shown]
	v_fma_f32 v44, v20, v24, -v3
	v_mov_b32_e32 v20, v27
	v_fmac_f32_e32 v43, v15, v18
	v_fmac_f32_e32 v45, v21, v24
	ds_read2_b64 v[4:7], v2 offset0:105 offset1:106
	ds_read2_b64 v[8:11], v2 offset0:107 offset1:108
	;; [unrolled: 1-line block ×3, first 2 shown]
	ds_read_b64 v[16:17], v2 offset:888
	v_pk_mul_f32 v[20:21], v[22:23], v[20:21] op_sel:[1,0] op_sel_hi:[0,0]
	v_pk_fma_f32 v[24:25], v[22:23], v[26:27], v[20:21] neg_lo:[0,0,1] neg_hi:[0,0,1]
	v_pk_fma_f32 v[20:21], v[22:23], v[26:27], v[20:21] op_sel_hi:[1,0,1]
	v_pk_add_f32 v[18:19], v[40:41], v[42:43]
	v_mov_b32_e32 v25, v21
	v_pk_add_f32 v[18:19], v[18:19], v[44:45]
	s_waitcnt vmcnt(3) lgkmcnt(3)
	v_pk_mul_f32 v[20:21], v[4:5], v[28:29] op_sel:[1,1] op_sel_hi:[0,1]
	v_pk_fma_f32 v[22:23], v[4:5], v[28:29], v[20:21] neg_lo:[0,0,1] neg_hi:[0,0,1]
	v_pk_fma_f32 v[4:5], v[4:5], v[28:29], v[20:21] op_sel_hi:[1,0,1]
	v_pk_add_f32 v[18:19], v[18:19], v[24:25]
	v_mov_b32_e32 v23, v5
	v_pk_add_f32 v[4:5], v[18:19], v[22:23]
	v_mov_b32_e32 v18, v31
	v_pk_mul_f32 v[18:19], v[6:7], v[18:19] op_sel:[1,0] op_sel_hi:[0,0]
	v_pk_fma_f32 v[20:21], v[6:7], v[30:31], v[18:19] neg_lo:[0,0,1] neg_hi:[0,0,1]
	v_pk_fma_f32 v[6:7], v[6:7], v[30:31], v[18:19] op_sel_hi:[1,0,1]
	s_nop 0
	v_mov_b32_e32 v21, v7
	s_waitcnt vmcnt(2) lgkmcnt(2)
	v_pk_mul_f32 v[6:7], v[8:9], v[32:33] op_sel:[1,1] op_sel_hi:[0,1]
	v_pk_fma_f32 v[18:19], v[8:9], v[32:33], v[6:7] neg_lo:[0,0,1] neg_hi:[0,0,1]
	v_pk_fma_f32 v[6:7], v[8:9], v[32:33], v[6:7] op_sel_hi:[1,0,1]
	v_pk_add_f32 v[4:5], v[4:5], v[20:21]
	v_mov_b32_e32 v6, v35
	v_mov_b32_e32 v19, v7
	v_pk_mul_f32 v[6:7], v[10:11], v[6:7] op_sel:[1,0] op_sel_hi:[0,0]
	v_pk_fma_f32 v[8:9], v[10:11], v[34:35], v[6:7] neg_lo:[0,0,1] neg_hi:[0,0,1]
	v_pk_fma_f32 v[6:7], v[10:11], v[34:35], v[6:7] op_sel_hi:[1,0,1]
	v_pk_add_f32 v[4:5], v[4:5], v[18:19]
	v_mov_b32_e32 v9, v7
	s_waitcnt vmcnt(1) lgkmcnt(1)
	v_pk_mul_f32 v[6:7], v[12:13], v[36:37] op_sel:[1,1] op_sel_hi:[0,1]
	v_pk_add_f32 v[4:5], v[4:5], v[8:9]
	v_pk_fma_f32 v[8:9], v[12:13], v[36:37], v[6:7] neg_lo:[0,0,1] neg_hi:[0,0,1]
	v_pk_fma_f32 v[6:7], v[12:13], v[36:37], v[6:7] op_sel_hi:[1,0,1]
	s_nop 0
	v_mov_b32_e32 v6, v39
	v_mov_b32_e32 v9, v7
	v_pk_mul_f32 v[6:7], v[14:15], v[6:7] op_sel:[1,0] op_sel_hi:[0,0]
	v_pk_add_f32 v[4:5], v[4:5], v[8:9]
	v_pk_fma_f32 v[8:9], v[14:15], v[38:39], v[6:7] neg_lo:[0,0,1] neg_hi:[0,0,1]
	v_pk_fma_f32 v[6:7], v[14:15], v[38:39], v[6:7] op_sel_hi:[1,0,1]
	s_nop 0
	v_mov_b32_e32 v9, v7
	s_waitcnt vmcnt(0) lgkmcnt(0)
	v_pk_mul_f32 v[6:7], v[16:17], v[46:47] op_sel:[1,1] op_sel_hi:[0,1]
	v_pk_add_f32 v[4:5], v[4:5], v[8:9]
	v_pk_fma_f32 v[8:9], v[16:17], v[46:47], v[6:7] neg_lo:[0,0,1] neg_hi:[0,0,1]
	v_pk_fma_f32 v[6:7], v[16:17], v[46:47], v[6:7] op_sel_hi:[1,0,1]
	s_nop 0
	v_mov_b32_e32 v9, v7
	scratch_load_dwordx2 v[6:7], off, off offset:336
	v_pk_add_f32 v[4:5], v[4:5], v[8:9]
	s_waitcnt vmcnt(0)
	v_pk_add_f32 v[4:5], v[6:7], v[4:5] neg_lo:[0,1] neg_hi:[0,1]
	scratch_store_dwordx2 off, v[4:5], off offset:336
	s_and_saveexec_b64 s[0:1], vcc
	s_cbranch_execz .LBB119_267
; %bb.266:
	scratch_load_dwordx2 v[4:5], off, off offset:328
	v_mov_b32_e32 v3, v2
	scratch_store_dwordx2 off, v[2:3], off offset:328
	s_waitcnt vmcnt(1)
	ds_write_b64 v1, v[4:5]
.LBB119_267:
	s_or_b64 exec, exec, s[0:1]
	s_waitcnt lgkmcnt(0)
	; wave barrier
	ds_read_b128 v[4:7], v2 offset:784
	ds_read_b128 v[8:11], v2 offset:800
	;; [unrolled: 1-line block ×4, first 2 shown]
	scratch_load_dwordx4 v[20:23], off, off offset:336
	v_cmp_lt_u32_e32 vcc, 40, v0
	s_waitcnt vmcnt(0) lgkmcnt(3)
	v_mul_f32_e32 v3, v4, v21
	v_fmac_f32_e32 v3, v5, v20
	v_mul_f32_e32 v24, v6, v23
	v_add_f32_e32 v3, 0, v3
	v_fmac_f32_e32 v24, v7, v22
	v_add_f32_e32 v3, v3, v24
	scratch_load_dwordx4 v[24:27], off, off offset:352
	s_waitcnt vmcnt(0) lgkmcnt(2)
	v_mul_f32_e32 v28, v8, v25
	v_fmac_f32_e32 v28, v9, v24
	v_add_f32_e32 v3, v3, v28
	v_mul_f32_e32 v28, v10, v27
	v_fmac_f32_e32 v28, v11, v26
	v_add_f32_e32 v49, v3, v28
	scratch_load_dwordx4 v[28:31], off, off offset:368
	scratch_load_dwordx4 v[32:35], off, off offset:384
	;; [unrolled: 1-line block ×5, first 2 shown]
	v_mul_f32_e32 v3, v5, v21
	v_fma_f32 v3, v4, v20, -v3
	v_mul_f32_e32 v4, v7, v23
	v_add_f32_e32 v3, 0, v3
	v_fma_f32 v4, v6, v22, -v4
	v_add_f32_e32 v3, v3, v4
	v_mul_f32_e32 v4, v9, v25
	v_fma_f32 v4, v8, v24, -v4
	v_add_f32_e32 v3, v3, v4
	v_mul_f32_e32 v4, v11, v27
	v_fma_f32 v4, v10, v26, -v4
	v_add_f32_e32 v48, v3, v4
	s_waitcnt vmcnt(3) lgkmcnt(0)
	v_pk_mul_f32 v[20:21], v[16:17], v[32:33] op_sel:[1,1] op_sel_hi:[0,1]
	v_pk_fma_f32 v[22:23], v[16:17], v[32:33], v[20:21] neg_lo:[0,0,1] neg_hi:[0,0,1]
	v_mul_f32_e32 v3, v13, v29
	v_mul_f32_e32 v51, v12, v29
	;; [unrolled: 1-line block ×3, first 2 shown]
	v_fma_f32 v50, v12, v28, -v3
	v_mul_f32_e32 v3, v15, v31
	v_pk_fma_f32 v[16:17], v[16:17], v[32:33], v[20:21] op_sel_hi:[1,0,1]
	v_fmac_f32_e32 v51, v13, v28
	v_fmac_f32_e32 v53, v15, v30
	v_fma_f32 v52, v14, v30, -v3
	ds_read_b128 v[4:7], v2 offset:848
	ds_read_b128 v[8:11], v2 offset:864
	;; [unrolled: 1-line block ×3, first 2 shown]
	v_mov_b32_e32 v16, v35
	v_mov_b32_e32 v23, v17
	v_pk_mul_f32 v[16:17], v[18:19], v[16:17] op_sel:[1,0] op_sel_hi:[0,0]
	v_pk_fma_f32 v[20:21], v[18:19], v[34:35], v[16:17] neg_lo:[0,0,1] neg_hi:[0,0,1]
	v_pk_fma_f32 v[16:17], v[18:19], v[34:35], v[16:17] op_sel_hi:[1,0,1]
	v_pk_add_f32 v[2:3], v[48:49], v[50:51]
	v_mov_b32_e32 v21, v17
	s_waitcnt vmcnt(2) lgkmcnt(2)
	v_pk_mul_f32 v[16:17], v[4:5], v[36:37] op_sel:[1,1] op_sel_hi:[0,1]
	v_pk_fma_f32 v[18:19], v[4:5], v[36:37], v[16:17] neg_lo:[0,0,1] neg_hi:[0,0,1]
	v_pk_fma_f32 v[4:5], v[4:5], v[36:37], v[16:17] op_sel_hi:[1,0,1]
	v_pk_add_f32 v[2:3], v[2:3], v[52:53]
	v_mov_b32_e32 v4, v39
	v_mov_b32_e32 v19, v5
	v_pk_mul_f32 v[4:5], v[6:7], v[4:5] op_sel:[1,0] op_sel_hi:[0,0]
	v_pk_fma_f32 v[16:17], v[6:7], v[38:39], v[4:5] neg_lo:[0,0,1] neg_hi:[0,0,1]
	v_pk_fma_f32 v[4:5], v[6:7], v[38:39], v[4:5] op_sel_hi:[1,0,1]
	v_pk_add_f32 v[2:3], v[2:3], v[22:23]
	v_mov_b32_e32 v17, v5
	s_waitcnt vmcnt(1) lgkmcnt(1)
	v_pk_mul_f32 v[4:5], v[8:9], v[40:41] op_sel:[1,1] op_sel_hi:[0,1]
	v_pk_add_f32 v[2:3], v[2:3], v[20:21]
	v_pk_fma_f32 v[6:7], v[8:9], v[40:41], v[4:5] neg_lo:[0,0,1] neg_hi:[0,0,1]
	v_pk_fma_f32 v[4:5], v[8:9], v[40:41], v[4:5] op_sel_hi:[1,0,1]
	v_pk_add_f32 v[2:3], v[2:3], v[18:19]
	v_mov_b32_e32 v4, v43
	v_pk_add_f32 v[2:3], v[2:3], v[16:17]
	v_mov_b32_e32 v7, v5
	v_pk_mul_f32 v[4:5], v[10:11], v[4:5] op_sel:[1,0] op_sel_hi:[0,0]
	v_pk_add_f32 v[2:3], v[2:3], v[6:7]
	v_pk_fma_f32 v[6:7], v[10:11], v[42:43], v[4:5] neg_lo:[0,0,1] neg_hi:[0,0,1]
	v_pk_fma_f32 v[4:5], v[10:11], v[42:43], v[4:5] op_sel_hi:[1,0,1]
	s_nop 0
	v_mov_b32_e32 v7, v5
	s_waitcnt vmcnt(0) lgkmcnt(0)
	v_pk_mul_f32 v[4:5], v[12:13], v[44:45] op_sel:[1,1] op_sel_hi:[0,1]
	v_pk_add_f32 v[2:3], v[2:3], v[6:7]
	v_pk_fma_f32 v[6:7], v[12:13], v[44:45], v[4:5] neg_lo:[0,0,1] neg_hi:[0,0,1]
	v_pk_fma_f32 v[4:5], v[12:13], v[44:45], v[4:5] op_sel_hi:[1,0,1]
	s_nop 0
	v_mov_b32_e32 v4, v47
	v_mov_b32_e32 v7, v5
	v_pk_mul_f32 v[4:5], v[14:15], v[4:5] op_sel:[1,0] op_sel_hi:[0,0]
	v_pk_add_f32 v[2:3], v[2:3], v[6:7]
	v_pk_fma_f32 v[6:7], v[14:15], v[46:47], v[4:5] neg_lo:[0,0,1] neg_hi:[0,0,1]
	v_pk_fma_f32 v[4:5], v[14:15], v[46:47], v[4:5] op_sel_hi:[1,0,1]
	s_nop 0
	v_mov_b32_e32 v7, v5
	scratch_load_dwordx2 v[4:5], off, off offset:328
	v_pk_add_f32 v[2:3], v[2:3], v[6:7]
	s_waitcnt vmcnt(0)
	v_pk_add_f32 v[2:3], v[4:5], v[2:3] neg_lo:[0,1] neg_hi:[0,1]
	scratch_store_dwordx2 off, v[2:3], off offset:328
	s_and_saveexec_b64 s[0:1], vcc
	s_cbranch_execz .LBB119_269
; %bb.268:
	scratch_load_dwordx2 v[2:3], off, off offset:320
	v_mov_b32_e32 v4, 0
	v_mov_b32_e32 v5, v4
	scratch_store_dwordx2 off, v[4:5], off offset:320
	s_waitcnt vmcnt(1)
	ds_write_b64 v1, v[2:3]
.LBB119_269:
	s_or_b64 exec, exec, s[0:1]
	s_waitcnt lgkmcnt(0)
	; wave barrier
	scratch_load_dwordx4 v[8:11], off, off offset:328
	scratch_load_dwordx4 v[16:19], off, off offset:344
	;; [unrolled: 1-line block ×4, first 2 shown]
	v_mov_b32_e32 v2, 0
	ds_read2_b64 v[4:7], v2 offset0:97 offset1:98
	v_cmp_lt_u32_e32 vcc, 39, v0
	s_waitcnt vmcnt(3) lgkmcnt(0)
	v_mul_f32_e32 v3, v4, v9
	v_fmac_f32_e32 v3, v5, v8
	v_mul_f32_e32 v12, v6, v11
	v_add_f32_e32 v3, 0, v3
	v_fmac_f32_e32 v12, v7, v10
	v_add_f32_e32 v3, v3, v12
	ds_read2_b64 v[12:15], v2 offset0:99 offset1:100
	s_waitcnt vmcnt(2) lgkmcnt(0)
	v_mul_f32_e32 v20, v12, v17
	v_fmac_f32_e32 v20, v13, v16
	v_add_f32_e32 v3, v3, v20
	v_mul_f32_e32 v20, v14, v19
	v_fmac_f32_e32 v20, v15, v18
	v_add_f32_e32 v3, v3, v20
	ds_read2_b64 v[20:23], v2 offset0:101 offset1:102
	s_waitcnt vmcnt(1) lgkmcnt(0)
	v_mul_f32_e32 v28, v20, v25
	v_fmac_f32_e32 v28, v21, v24
	v_add_f32_e32 v49, v3, v28
	ds_read2_b64 v[28:31], v2 offset0:103 offset1:104
	scratch_load_dwordx4 v[36:39], off, off offset:392
	scratch_load_dwordx4 v[40:43], off, off offset:408
	;; [unrolled: 1-line block ×3, first 2 shown]
	scratch_load_dwordx2 v[54:55], off, off offset:440
	v_mul_f32_e32 v3, v5, v9
	v_fma_f32 v3, v4, v8, -v3
	v_mul_f32_e32 v4, v7, v11
	v_add_f32_e32 v3, 0, v3
	v_fma_f32 v4, v6, v10, -v4
	v_add_f32_e32 v3, v3, v4
	v_mul_f32_e32 v4, v13, v17
	v_fma_f32 v4, v12, v16, -v4
	v_add_f32_e32 v3, v3, v4
	v_mul_f32_e32 v4, v15, v19
	;; [unrolled: 3-line block ×3, first 2 shown]
	v_fma_f32 v4, v20, v24, -v4
	v_mul_f32_e32 v51, v22, v27
	v_add_f32_e32 v48, v3, v4
	v_mul_f32_e32 v3, v23, v27
	s_waitcnt vmcnt(4)
	v_mov_b32_e32 v20, v35
	v_fmac_f32_e32 v51, v23, v26
	s_waitcnt lgkmcnt(0)
	v_mul_f32_e32 v53, v28, v33
	v_fma_f32 v50, v22, v26, -v3
	v_mul_f32_e32 v3, v29, v33
	ds_read2_b64 v[4:7], v2 offset0:105 offset1:106
	ds_read2_b64 v[8:11], v2 offset0:107 offset1:108
	;; [unrolled: 1-line block ×3, first 2 shown]
	ds_read_b64 v[16:17], v2 offset:888
	v_pk_mul_f32 v[20:21], v[30:31], v[20:21] op_sel:[1,0] op_sel_hi:[0,0]
	v_fmac_f32_e32 v53, v29, v32
	v_fma_f32 v52, v28, v32, -v3
	v_pk_add_f32 v[18:19], v[48:49], v[50:51]
	v_pk_fma_f32 v[22:23], v[30:31], v[34:35], v[20:21] neg_lo:[0,0,1] neg_hi:[0,0,1]
	v_pk_fma_f32 v[20:21], v[30:31], v[34:35], v[20:21] op_sel_hi:[1,0,1]
	v_pk_add_f32 v[18:19], v[18:19], v[52:53]
	v_mov_b32_e32 v23, v21
	v_pk_add_f32 v[18:19], v[18:19], v[22:23]
	s_waitcnt vmcnt(3) lgkmcnt(3)
	v_pk_mul_f32 v[20:21], v[4:5], v[36:37] op_sel:[1,1] op_sel_hi:[0,1]
	v_pk_fma_f32 v[22:23], v[4:5], v[36:37], v[20:21] neg_lo:[0,0,1] neg_hi:[0,0,1]
	v_pk_fma_f32 v[4:5], v[4:5], v[36:37], v[20:21] op_sel_hi:[1,0,1]
	s_nop 0
	v_mov_b32_e32 v23, v5
	v_pk_add_f32 v[4:5], v[18:19], v[22:23]
	v_mov_b32_e32 v18, v39
	v_pk_mul_f32 v[18:19], v[6:7], v[18:19] op_sel:[1,0] op_sel_hi:[0,0]
	v_pk_fma_f32 v[20:21], v[6:7], v[38:39], v[18:19] neg_lo:[0,0,1] neg_hi:[0,0,1]
	v_pk_fma_f32 v[6:7], v[6:7], v[38:39], v[18:19] op_sel_hi:[1,0,1]
	s_nop 0
	v_mov_b32_e32 v21, v7
	s_waitcnt vmcnt(2) lgkmcnt(2)
	v_pk_mul_f32 v[6:7], v[8:9], v[40:41] op_sel:[1,1] op_sel_hi:[0,1]
	v_pk_fma_f32 v[18:19], v[8:9], v[40:41], v[6:7] neg_lo:[0,0,1] neg_hi:[0,0,1]
	v_pk_fma_f32 v[6:7], v[8:9], v[40:41], v[6:7] op_sel_hi:[1,0,1]
	v_pk_add_f32 v[4:5], v[4:5], v[20:21]
	v_mov_b32_e32 v6, v43
	v_mov_b32_e32 v19, v7
	v_pk_mul_f32 v[6:7], v[10:11], v[6:7] op_sel:[1,0] op_sel_hi:[0,0]
	v_pk_fma_f32 v[8:9], v[10:11], v[42:43], v[6:7] neg_lo:[0,0,1] neg_hi:[0,0,1]
	v_pk_fma_f32 v[6:7], v[10:11], v[42:43], v[6:7] op_sel_hi:[1,0,1]
	v_pk_add_f32 v[4:5], v[4:5], v[18:19]
	v_mov_b32_e32 v9, v7
	s_waitcnt vmcnt(1) lgkmcnt(1)
	v_pk_mul_f32 v[6:7], v[12:13], v[44:45] op_sel:[1,1] op_sel_hi:[0,1]
	v_pk_add_f32 v[4:5], v[4:5], v[8:9]
	v_pk_fma_f32 v[8:9], v[12:13], v[44:45], v[6:7] neg_lo:[0,0,1] neg_hi:[0,0,1]
	v_pk_fma_f32 v[6:7], v[12:13], v[44:45], v[6:7] op_sel_hi:[1,0,1]
	s_nop 0
	v_mov_b32_e32 v6, v47
	v_mov_b32_e32 v9, v7
	v_pk_mul_f32 v[6:7], v[14:15], v[6:7] op_sel:[1,0] op_sel_hi:[0,0]
	v_pk_add_f32 v[4:5], v[4:5], v[8:9]
	v_pk_fma_f32 v[8:9], v[14:15], v[46:47], v[6:7] neg_lo:[0,0,1] neg_hi:[0,0,1]
	v_pk_fma_f32 v[6:7], v[14:15], v[46:47], v[6:7] op_sel_hi:[1,0,1]
	s_nop 0
	v_mov_b32_e32 v9, v7
	s_waitcnt vmcnt(0) lgkmcnt(0)
	v_pk_mul_f32 v[6:7], v[16:17], v[54:55] op_sel:[1,1] op_sel_hi:[0,1]
	v_pk_add_f32 v[4:5], v[4:5], v[8:9]
	v_pk_fma_f32 v[8:9], v[16:17], v[54:55], v[6:7] neg_lo:[0,0,1] neg_hi:[0,0,1]
	v_pk_fma_f32 v[6:7], v[16:17], v[54:55], v[6:7] op_sel_hi:[1,0,1]
	s_nop 0
	v_mov_b32_e32 v9, v7
	scratch_load_dwordx2 v[6:7], off, off offset:320
	v_pk_add_f32 v[4:5], v[4:5], v[8:9]
	s_waitcnt vmcnt(0)
	v_pk_add_f32 v[4:5], v[6:7], v[4:5] neg_lo:[0,1] neg_hi:[0,1]
	scratch_store_dwordx2 off, v[4:5], off offset:320
	s_and_saveexec_b64 s[0:1], vcc
	s_cbranch_execz .LBB119_271
; %bb.270:
	scratch_load_dwordx2 v[4:5], off, off offset:312
	v_mov_b32_e32 v3, v2
	scratch_store_dwordx2 off, v[2:3], off offset:312
	s_waitcnt vmcnt(1)
	ds_write_b64 v1, v[4:5]
.LBB119_271:
	s_or_b64 exec, exec, s[0:1]
	s_waitcnt lgkmcnt(0)
	; wave barrier
	ds_read_b128 v[4:7], v2 offset:768
	ds_read_b128 v[8:11], v2 offset:784
	ds_read_b128 v[12:15], v2 offset:800
	ds_read_b128 v[16:19], v2 offset:816
	scratch_load_dwordx4 v[20:23], off, off offset:320
	v_cmp_lt_u32_e32 vcc, 38, v0
	s_waitcnt vmcnt(0) lgkmcnt(3)
	v_mul_f32_e32 v3, v4, v21
	v_fmac_f32_e32 v3, v5, v20
	v_mul_f32_e32 v24, v6, v23
	v_add_f32_e32 v3, 0, v3
	v_fmac_f32_e32 v24, v7, v22
	v_add_f32_e32 v3, v3, v24
	scratch_load_dwordx4 v[24:27], off, off offset:336
	s_waitcnt vmcnt(0) lgkmcnt(2)
	v_mul_f32_e32 v28, v8, v25
	v_fmac_f32_e32 v28, v9, v24
	v_add_f32_e32 v3, v3, v28
	v_mul_f32_e32 v28, v10, v27
	v_fmac_f32_e32 v28, v11, v26
	v_add_f32_e32 v3, v3, v28
	scratch_load_dwordx4 v[28:31], off, off offset:352
	s_waitcnt vmcnt(0) lgkmcnt(1)
	v_mul_f32_e32 v32, v12, v29
	v_fmac_f32_e32 v32, v13, v28
	v_add_f32_e32 v3, v3, v32
	v_mul_f32_e32 v32, v14, v31
	v_fmac_f32_e32 v32, v15, v30
	v_add_f32_e32 v53, v3, v32
	scratch_load_dwordx4 v[32:35], off, off offset:368
	scratch_load_dwordx4 v[36:39], off, off offset:384
	;; [unrolled: 1-line block ×5, first 2 shown]
	v_mul_f32_e32 v3, v5, v21
	v_fma_f32 v3, v4, v20, -v3
	v_mul_f32_e32 v4, v7, v23
	v_add_f32_e32 v3, 0, v3
	v_fma_f32 v4, v6, v22, -v4
	v_add_f32_e32 v3, v3, v4
	v_mul_f32_e32 v4, v9, v25
	v_fma_f32 v4, v8, v24, -v4
	v_add_f32_e32 v3, v3, v4
	v_mul_f32_e32 v4, v11, v27
	;; [unrolled: 3-line block ×4, first 2 shown]
	v_fma_f32 v4, v14, v30, -v4
	v_add_f32_e32 v52, v3, v4
	s_waitcnt vmcnt(4) lgkmcnt(0)
	v_mul_f32_e32 v3, v17, v33
	v_mul_f32_e32 v55, v16, v33
	v_mul_f32_e32 v57, v18, v35
	v_fma_f32 v54, v16, v32, -v3
	v_mul_f32_e32 v3, v19, v35
	v_fmac_f32_e32 v55, v17, v32
	v_fmac_f32_e32 v57, v19, v34
	v_fma_f32 v56, v18, v34, -v3
	ds_read_b128 v[4:7], v2 offset:832
	ds_read_b128 v[8:11], v2 offset:848
	;; [unrolled: 1-line block ×4, first 2 shown]
	v_pk_add_f32 v[2:3], v[52:53], v[54:55]
	s_waitcnt vmcnt(3) lgkmcnt(3)
	v_pk_mul_f32 v[20:21], v[4:5], v[36:37] op_sel:[1,1] op_sel_hi:[0,1]
	v_pk_fma_f32 v[22:23], v[4:5], v[36:37], v[20:21] neg_lo:[0,0,1] neg_hi:[0,0,1]
	v_pk_fma_f32 v[4:5], v[4:5], v[36:37], v[20:21] op_sel_hi:[1,0,1]
	v_pk_add_f32 v[2:3], v[2:3], v[56:57]
	v_mov_b32_e32 v4, v39
	v_mov_b32_e32 v23, v5
	v_pk_mul_f32 v[4:5], v[6:7], v[4:5] op_sel:[1,0] op_sel_hi:[0,0]
	v_pk_fma_f32 v[20:21], v[6:7], v[38:39], v[4:5] neg_lo:[0,0,1] neg_hi:[0,0,1]
	v_pk_fma_f32 v[4:5], v[6:7], v[38:39], v[4:5] op_sel_hi:[1,0,1]
	v_pk_add_f32 v[2:3], v[2:3], v[22:23]
	v_mov_b32_e32 v21, v5
	s_waitcnt vmcnt(2) lgkmcnt(2)
	v_pk_mul_f32 v[4:5], v[8:9], v[40:41] op_sel:[1,1] op_sel_hi:[0,1]
	v_pk_fma_f32 v[6:7], v[8:9], v[40:41], v[4:5] neg_lo:[0,0,1] neg_hi:[0,0,1]
	v_pk_fma_f32 v[4:5], v[8:9], v[40:41], v[4:5] op_sel_hi:[1,0,1]
	v_pk_add_f32 v[2:3], v[2:3], v[20:21]
	v_mov_b32_e32 v4, v43
	v_mov_b32_e32 v7, v5
	v_pk_mul_f32 v[4:5], v[10:11], v[4:5] op_sel:[1,0] op_sel_hi:[0,0]
	v_pk_add_f32 v[2:3], v[2:3], v[6:7]
	v_pk_fma_f32 v[6:7], v[10:11], v[42:43], v[4:5] neg_lo:[0,0,1] neg_hi:[0,0,1]
	v_pk_fma_f32 v[4:5], v[10:11], v[42:43], v[4:5] op_sel_hi:[1,0,1]
	s_nop 0
	v_mov_b32_e32 v7, v5
	s_waitcnt vmcnt(1) lgkmcnt(1)
	v_pk_mul_f32 v[4:5], v[12:13], v[44:45] op_sel:[1,1] op_sel_hi:[0,1]
	v_pk_add_f32 v[2:3], v[2:3], v[6:7]
	v_pk_fma_f32 v[6:7], v[12:13], v[44:45], v[4:5] neg_lo:[0,0,1] neg_hi:[0,0,1]
	v_pk_fma_f32 v[4:5], v[12:13], v[44:45], v[4:5] op_sel_hi:[1,0,1]
	s_nop 0
	v_mov_b32_e32 v4, v47
	v_mov_b32_e32 v7, v5
	v_pk_mul_f32 v[4:5], v[14:15], v[4:5] op_sel:[1,0] op_sel_hi:[0,0]
	v_pk_add_f32 v[2:3], v[2:3], v[6:7]
	v_pk_fma_f32 v[6:7], v[14:15], v[46:47], v[4:5] neg_lo:[0,0,1] neg_hi:[0,0,1]
	v_pk_fma_f32 v[4:5], v[14:15], v[46:47], v[4:5] op_sel_hi:[1,0,1]
	s_nop 0
	v_mov_b32_e32 v7, v5
	s_waitcnt vmcnt(0) lgkmcnt(0)
	v_pk_mul_f32 v[4:5], v[16:17], v[48:49] op_sel:[1,1] op_sel_hi:[0,1]
	v_pk_add_f32 v[2:3], v[2:3], v[6:7]
	v_pk_fma_f32 v[6:7], v[16:17], v[48:49], v[4:5] neg_lo:[0,0,1] neg_hi:[0,0,1]
	v_pk_fma_f32 v[4:5], v[16:17], v[48:49], v[4:5] op_sel_hi:[1,0,1]
	s_nop 0
	v_mov_b32_e32 v4, v51
	v_mov_b32_e32 v7, v5
	v_pk_mul_f32 v[4:5], v[18:19], v[4:5] op_sel:[1,0] op_sel_hi:[0,0]
	v_pk_add_f32 v[2:3], v[2:3], v[6:7]
	v_pk_fma_f32 v[6:7], v[18:19], v[50:51], v[4:5] neg_lo:[0,0,1] neg_hi:[0,0,1]
	v_pk_fma_f32 v[4:5], v[18:19], v[50:51], v[4:5] op_sel_hi:[1,0,1]
	s_nop 0
	v_mov_b32_e32 v7, v5
	scratch_load_dwordx2 v[4:5], off, off offset:312
	v_pk_add_f32 v[2:3], v[2:3], v[6:7]
	s_waitcnt vmcnt(0)
	v_pk_add_f32 v[2:3], v[4:5], v[2:3] neg_lo:[0,1] neg_hi:[0,1]
	scratch_store_dwordx2 off, v[2:3], off offset:312
	s_and_saveexec_b64 s[0:1], vcc
	s_cbranch_execz .LBB119_273
; %bb.272:
	scratch_load_dwordx2 v[2:3], off, off offset:304
	v_mov_b32_e32 v4, 0
	v_mov_b32_e32 v5, v4
	scratch_store_dwordx2 off, v[4:5], off offset:304
	s_waitcnt vmcnt(1)
	ds_write_b64 v1, v[2:3]
.LBB119_273:
	s_or_b64 exec, exec, s[0:1]
	s_waitcnt lgkmcnt(0)
	; wave barrier
	scratch_load_dwordx4 v[4:7], off, off offset:312
	scratch_load_dwordx4 v[8:11], off, off offset:328
	;; [unrolled: 1-line block ×8, first 2 shown]
	scratch_load_dwordx2 v[68:69], off, off offset:440
	scratch_load_dwordx2 v[70:71], off, off offset:304
	v_mov_b32_e32 v2, 0
	ds_read2_b64 v[36:39], v2 offset0:95 offset1:96
	ds_read2_b64 v[40:43], v2 offset0:97 offset1:98
	;; [unrolled: 1-line block ×8, first 2 shown]
	ds_read_b64 v[72:73], v2 offset:888
	v_cmp_lt_u32_e32 vcc, 37, v0
	s_waitcnt vmcnt(9) lgkmcnt(8)
	v_mul_f32_e32 v79, v38, v7
	v_mul_f32_e32 v3, v36, v5
	s_waitcnt vmcnt(8) lgkmcnt(7)
	v_mul_f32_e32 v83, v40, v9
	s_waitcnt vmcnt(7) lgkmcnt(6)
	v_mul_f32_e32 v87, v44, v13
	v_mul_f32_e32 v5, v37, v5
	;; [unrolled: 1-line block ×5, first 2 shown]
	s_waitcnt vmcnt(5)
	v_mov_b32_e32 v78, v23
	s_waitcnt vmcnt(3) lgkmcnt(2)
	v_pk_mul_f32 v[84:85], v[60:61], v[28:29] op_sel:[1,1] op_sel_hi:[0,1]
	v_fmac_f32_e32 v79, v39, v6
	v_mul_f32_e32 v86, v42, v11
	v_mul_f32_e32 v89, v48, v17
	;; [unrolled: 1-line block ×4, first 2 shown]
	v_fmac_f32_e32 v3, v37, v4
	v_fmac_f32_e32 v87, v45, v12
	v_fma_f32 v36, v36, v4, -v5
	v_fma_f32 v37, v38, v6, -v7
	;; [unrolled: 1-line block ×4, first 2 shown]
	v_pk_mul_f32 v[4:5], v[54:55], v[78:79] op_sel:[1,0] op_sel_hi:[0,0]
	v_pk_fma_f32 v[12:13], v[60:61], v[28:29], v[84:85] neg_lo:[0,0,1] neg_hi:[0,0,1]
	v_fmac_f32_e32 v89, v49, v16
	v_fma_f32 v39, v42, v10, -v11
	v_fma_f32 v42, v48, v16, -v17
	v_add_f32_e32 v3, 0, v3
	v_add_f32_e32 v13, 0, v36
	v_pk_fma_f32 v[16:17], v[54:55], v[22:23], v[4:5] neg_lo:[0,0,1] neg_hi:[0,0,1]
	v_pk_fma_f32 v[4:5], v[54:55], v[22:23], v[4:5] op_sel_hi:[1,0,1]
	v_fmac_f32_e32 v83, v41, v8
	v_add_f32_e32 v3, v3, v79
	v_add_f32_e32 v4, v13, v37
	v_fmac_f32_e32 v86, v43, v10
	v_add_f32_e32 v3, v3, v83
	v_add_f32_e32 v4, v4, v38
	v_mul_f32_e32 v88, v46, v15
	v_mul_f32_e32 v15, v47, v15
	v_add_f32_e32 v3, v3, v86
	v_add_f32_e32 v4, v4, v39
	v_fmac_f32_e32 v88, v47, v14
	v_fma_f32 v41, v46, v14, -v15
	v_add_f32_e32 v3, v3, v87
	v_add_f32_e32 v4, v4, v40
	v_mul_f32_e32 v75, v50, v19
	v_mul_f32_e32 v19, v51, v19
	v_add_f32_e32 v3, v3, v88
	v_add_f32_e32 v4, v4, v41
	v_mul_f32_e32 v77, v52, v21
	v_mul_f32_e32 v21, v53, v21
	v_fmac_f32_e32 v75, v51, v18
	v_fma_f32 v74, v50, v18, -v19
	v_mov_b32_e32 v17, v5
	v_add_f32_e32 v5, v3, v89
	v_add_f32_e32 v4, v4, v42
	v_pk_mul_f32 v[80:81], v[56:57], v[24:25] op_sel:[1,1] op_sel_hi:[0,1]
	v_fmac_f32_e32 v77, v53, v20
	v_fma_f32 v76, v52, v20, -v21
	v_pk_add_f32 v[4:5], v[4:5], v[74:75]
	v_mov_b32_e32 v82, v27
	v_pk_fma_f32 v[6:7], v[56:57], v[24:25], v[80:81] neg_lo:[0,0,1] neg_hi:[0,0,1]
	v_pk_fma_f32 v[8:9], v[56:57], v[24:25], v[80:81] op_sel_hi:[1,0,1]
	v_pk_add_f32 v[4:5], v[4:5], v[76:77]
	v_pk_mul_f32 v[10:11], v[58:59], v[82:83] op_sel:[1,0] op_sel_hi:[0,0]
	v_mov_b32_e32 v7, v9
	v_pk_add_f32 v[4:5], v[4:5], v[16:17]
	v_pk_fma_f32 v[8:9], v[58:59], v[26:27], v[10:11] neg_lo:[0,0,1] neg_hi:[0,0,1]
	v_pk_fma_f32 v[10:11], v[58:59], v[26:27], v[10:11] op_sel_hi:[1,0,1]
	v_pk_add_f32 v[4:5], v[4:5], v[6:7]
	v_mov_b32_e32 v6, v31
	v_pk_fma_f32 v[14:15], v[60:61], v[28:29], v[84:85] op_sel_hi:[1,0,1]
	v_mov_b32_e32 v9, v11
	v_pk_mul_f32 v[6:7], v[62:63], v[6:7] op_sel:[1,0] op_sel_hi:[0,0]
	v_pk_add_f32 v[4:5], v[4:5], v[8:9]
	v_mov_b32_e32 v13, v15
	v_pk_fma_f32 v[8:9], v[62:63], v[30:31], v[6:7] neg_lo:[0,0,1] neg_hi:[0,0,1]
	v_pk_fma_f32 v[6:7], v[62:63], v[30:31], v[6:7] op_sel_hi:[1,0,1]
	v_pk_add_f32 v[4:5], v[4:5], v[12:13]
	v_mov_b32_e32 v9, v7
	s_waitcnt vmcnt(2) lgkmcnt(1)
	v_pk_mul_f32 v[6:7], v[64:65], v[32:33] op_sel:[1,1] op_sel_hi:[0,1]
	v_pk_add_f32 v[4:5], v[4:5], v[8:9]
	v_pk_fma_f32 v[8:9], v[64:65], v[32:33], v[6:7] neg_lo:[0,0,1] neg_hi:[0,0,1]
	v_pk_fma_f32 v[6:7], v[64:65], v[32:33], v[6:7] op_sel_hi:[1,0,1]
	s_nop 0
	v_mov_b32_e32 v6, v35
	v_mov_b32_e32 v9, v7
	v_pk_mul_f32 v[6:7], v[66:67], v[6:7] op_sel:[1,0] op_sel_hi:[0,0]
	v_pk_add_f32 v[4:5], v[4:5], v[8:9]
	v_pk_fma_f32 v[8:9], v[66:67], v[34:35], v[6:7] neg_lo:[0,0,1] neg_hi:[0,0,1]
	v_pk_fma_f32 v[6:7], v[66:67], v[34:35], v[6:7] op_sel_hi:[1,0,1]
	s_nop 0
	v_mov_b32_e32 v9, v7
	s_waitcnt vmcnt(1) lgkmcnt(0)
	v_pk_mul_f32 v[6:7], v[72:73], v[68:69] op_sel:[1,1] op_sel_hi:[0,1]
	v_pk_add_f32 v[4:5], v[4:5], v[8:9]
	v_pk_fma_f32 v[8:9], v[72:73], v[68:69], v[6:7] neg_lo:[0,0,1] neg_hi:[0,0,1]
	v_pk_fma_f32 v[6:7], v[72:73], v[68:69], v[6:7] op_sel_hi:[1,0,1]
	s_nop 0
	v_mov_b32_e32 v9, v7
	v_pk_add_f32 v[4:5], v[4:5], v[8:9]
	s_waitcnt vmcnt(0)
	v_pk_add_f32 v[4:5], v[70:71], v[4:5] neg_lo:[0,1] neg_hi:[0,1]
	scratch_store_dwordx2 off, v[4:5], off offset:304
	s_and_saveexec_b64 s[0:1], vcc
	s_cbranch_execz .LBB119_275
; %bb.274:
	scratch_load_dwordx2 v[4:5], off, off offset:296
	v_mov_b32_e32 v3, v2
	scratch_store_dwordx2 off, v[2:3], off offset:296
	s_waitcnt vmcnt(1)
	ds_write_b64 v1, v[4:5]
.LBB119_275:
	s_or_b64 exec, exec, s[0:1]
	s_waitcnt lgkmcnt(0)
	; wave barrier
	scratch_load_dwordx4 v[4:7], off, off offset:304
	scratch_load_dwordx4 v[8:11], off, off offset:320
	;; [unrolled: 1-line block ×7, first 2 shown]
	ds_read_b128 v[32:35], v2 offset:752
	ds_read_b128 v[36:39], v2 offset:768
	;; [unrolled: 1-line block ×4, first 2 shown]
	scratch_load_dwordx4 v[48:51], off, off offset:416
	scratch_load_dwordx4 v[52:55], off, off offset:432
	ds_read_b128 v[56:59], v2 offset:816
	ds_read_b128 v[60:63], v2 offset:832
	;; [unrolled: 1-line block ×5, first 2 shown]
	scratch_load_dwordx2 v[2:3], off, off offset:296
	v_cmp_lt_u32_e32 vcc, 36, v0
	s_waitcnt vmcnt(9) lgkmcnt(8)
	v_mul_f32_e32 v83, v32, v5
	v_mul_f32_e32 v86, v34, v7
	s_waitcnt vmcnt(8) lgkmcnt(7)
	v_mul_f32_e32 v87, v36, v9
	s_waitcnt vmcnt(7) lgkmcnt(6)
	v_mul_f32_e32 v89, v40, v13
	v_mul_f32_e32 v5, v33, v5
	;; [unrolled: 1-line block ×5, first 2 shown]
	s_waitcnt vmcnt(4) lgkmcnt(3)
	v_pk_mul_f32 v[80:81], v[60:61], v[24:25] op_sel:[1,1] op_sel_hi:[0,1]
	v_mov_b32_e32 v82, v27
	s_waitcnt vmcnt(3) lgkmcnt(2)
	v_pk_mul_f32 v[84:85], v[64:65], v[28:29] op_sel:[1,1] op_sel_hi:[0,1]
	v_fmac_f32_e32 v83, v33, v4
	v_mul_f32_e32 v90, v42, v15
	v_mul_f32_e32 v91, v44, v17
	;; [unrolled: 1-line block ×4, first 2 shown]
	v_fmac_f32_e32 v86, v35, v6
	v_fmac_f32_e32 v87, v37, v8
	;; [unrolled: 1-line block ×3, first 2 shown]
	v_fma_f32 v32, v32, v4, -v5
	v_fma_f32 v33, v34, v6, -v7
	;; [unrolled: 1-line block ×4, first 2 shown]
	v_pk_fma_f32 v[4:5], v[60:61], v[24:25], v[80:81] neg_lo:[0,0,1] neg_hi:[0,0,1]
	v_pk_fma_f32 v[6:7], v[60:61], v[24:25], v[80:81] op_sel_hi:[1,0,1]
	v_pk_mul_f32 v[8:9], v[62:63], v[82:83] op_sel:[1,0] op_sel_hi:[0,0]
	v_pk_fma_f32 v[12:13], v[64:65], v[28:29], v[84:85] op_sel_hi:[1,0,1]
	v_fmac_f32_e32 v90, v43, v14
	v_fma_f32 v14, v42, v14, -v15
	v_fma_f32 v15, v44, v16, -v17
	v_add_f32_e32 v12, 0, v83
	v_add_f32_e32 v17, 0, v32
	v_mov_b32_e32 v5, v7
	v_pk_fma_f32 v[6:7], v[62:63], v[26:27], v[8:9] neg_lo:[0,0,1] neg_hi:[0,0,1]
	v_pk_fma_f32 v[8:9], v[62:63], v[26:27], v[8:9] op_sel_hi:[1,0,1]
	v_mul_f32_e32 v88, v38, v11
	v_mul_f32_e32 v11, v39, v11
	v_add_f32_e32 v8, v12, v86
	v_add_f32_e32 v12, v17, v33
	v_fmac_f32_e32 v88, v39, v10
	v_fma_f32 v35, v38, v10, -v11
	v_mov_b32_e32 v7, v9
	v_add_f32_e32 v8, v8, v87
	v_add_f32_e32 v9, v12, v34
	;; [unrolled: 1-line block ×6, first 2 shown]
	v_mul_f32_e32 v92, v46, v19
	v_mul_f32_e32 v19, v47, v19
	v_fmac_f32_e32 v91, v45, v16
	v_add_f32_e32 v8, v8, v90
	v_add_f32_e32 v9, v9, v14
	v_mul_f32_e32 v77, v56, v21
	v_mul_f32_e32 v21, v57, v21
	v_fmac_f32_e32 v92, v47, v18
	v_fma_f32 v16, v46, v18, -v19
	v_add_f32_e32 v8, v8, v91
	v_add_f32_e32 v12, v9, v15
	v_mul_f32_e32 v79, v58, v23
	v_mul_f32_e32 v23, v59, v23
	v_fmac_f32_e32 v77, v57, v20
	v_fma_f32 v76, v56, v20, -v21
	v_add_f32_e32 v9, v8, v92
	v_add_f32_e32 v8, v12, v16
	v_fmac_f32_e32 v79, v59, v22
	v_fma_f32 v78, v58, v22, -v23
	v_pk_add_f32 v[8:9], v[8:9], v[76:77]
	v_pk_fma_f32 v[10:11], v[64:65], v[28:29], v[84:85] neg_lo:[0,0,1] neg_hi:[0,0,1]
	v_pk_add_f32 v[8:9], v[8:9], v[78:79]
	v_mov_b32_e32 v11, v13
	v_pk_add_f32 v[4:5], v[8:9], v[4:5]
	s_nop 0
	v_pk_add_f32 v[4:5], v[4:5], v[6:7]
	v_mov_b32_e32 v6, v31
	v_pk_mul_f32 v[6:7], v[66:67], v[6:7] op_sel:[1,0] op_sel_hi:[0,0]
	v_pk_fma_f32 v[8:9], v[66:67], v[30:31], v[6:7] neg_lo:[0,0,1] neg_hi:[0,0,1]
	v_pk_fma_f32 v[6:7], v[66:67], v[30:31], v[6:7] op_sel_hi:[1,0,1]
	v_pk_add_f32 v[4:5], v[4:5], v[10:11]
	v_mov_b32_e32 v9, v7
	s_waitcnt vmcnt(2) lgkmcnt(1)
	v_pk_mul_f32 v[6:7], v[68:69], v[48:49] op_sel:[1,1] op_sel_hi:[0,1]
	v_pk_add_f32 v[4:5], v[4:5], v[8:9]
	v_pk_fma_f32 v[8:9], v[68:69], v[48:49], v[6:7] neg_lo:[0,0,1] neg_hi:[0,0,1]
	v_pk_fma_f32 v[6:7], v[68:69], v[48:49], v[6:7] op_sel_hi:[1,0,1]
	s_nop 0
	v_mov_b32_e32 v6, v51
	v_mov_b32_e32 v9, v7
	v_pk_mul_f32 v[6:7], v[70:71], v[6:7] op_sel:[1,0] op_sel_hi:[0,0]
	v_pk_add_f32 v[4:5], v[4:5], v[8:9]
	v_pk_fma_f32 v[8:9], v[70:71], v[50:51], v[6:7] neg_lo:[0,0,1] neg_hi:[0,0,1]
	v_pk_fma_f32 v[6:7], v[70:71], v[50:51], v[6:7] op_sel_hi:[1,0,1]
	s_nop 0
	v_mov_b32_e32 v9, v7
	s_waitcnt vmcnt(1) lgkmcnt(0)
	v_pk_mul_f32 v[6:7], v[72:73], v[52:53] op_sel:[1,1] op_sel_hi:[0,1]
	v_pk_add_f32 v[4:5], v[4:5], v[8:9]
	v_pk_fma_f32 v[8:9], v[72:73], v[52:53], v[6:7] neg_lo:[0,0,1] neg_hi:[0,0,1]
	v_pk_fma_f32 v[6:7], v[72:73], v[52:53], v[6:7] op_sel_hi:[1,0,1]
	s_nop 0
	v_mov_b32_e32 v6, v55
	v_mov_b32_e32 v9, v7
	v_pk_mul_f32 v[6:7], v[74:75], v[6:7] op_sel:[1,0] op_sel_hi:[0,0]
	v_pk_add_f32 v[4:5], v[4:5], v[8:9]
	v_pk_fma_f32 v[8:9], v[74:75], v[54:55], v[6:7] neg_lo:[0,0,1] neg_hi:[0,0,1]
	v_pk_fma_f32 v[6:7], v[74:75], v[54:55], v[6:7] op_sel_hi:[1,0,1]
	s_nop 0
	v_mov_b32_e32 v9, v7
	v_pk_add_f32 v[4:5], v[4:5], v[8:9]
	s_waitcnt vmcnt(0)
	v_pk_add_f32 v[2:3], v[2:3], v[4:5] neg_lo:[0,1] neg_hi:[0,1]
	scratch_store_dwordx2 off, v[2:3], off offset:296
	s_and_saveexec_b64 s[0:1], vcc
	s_cbranch_execz .LBB119_277
; %bb.276:
	scratch_load_dwordx2 v[2:3], off, off offset:288
	v_mov_b32_e32 v4, 0
	v_mov_b32_e32 v5, v4
	scratch_store_dwordx2 off, v[4:5], off offset:288
	s_waitcnt vmcnt(1)
	ds_write_b64 v1, v[2:3]
.LBB119_277:
	s_or_b64 exec, exec, s[0:1]
	s_waitcnt lgkmcnt(0)
	; wave barrier
	scratch_load_dwordx4 v[4:7], off, off offset:296
	scratch_load_dwordx4 v[8:11], off, off offset:312
	;; [unrolled: 1-line block ×9, first 2 shown]
	scratch_load_dwordx2 v[76:77], off, off offset:440
	scratch_load_dwordx2 v[78:79], off, off offset:288
	v_mov_b32_e32 v2, 0
	ds_read2_b64 v[40:43], v2 offset0:93 offset1:94
	ds_read2_b64 v[44:47], v2 offset0:95 offset1:96
	;; [unrolled: 1-line block ×9, first 2 shown]
	ds_read_b64 v[80:81], v2 offset:888
	v_cmp_lt_u32_e32 vcc, 35, v0
	s_waitcnt vmcnt(10) lgkmcnt(9)
	v_mul_f32_e32 v87, v42, v7
	v_mul_f32_e32 v3, v40, v5
	;; [unrolled: 1-line block ×3, first 2 shown]
	v_fmac_f32_e32 v87, v43, v6
	s_waitcnt vmcnt(9) lgkmcnt(8)
	v_mul_f32_e32 v88, v44, v9
	s_waitcnt vmcnt(5)
	v_mov_b32_e32 v86, v27
	v_mul_f32_e32 v89, v46, v11
	s_waitcnt lgkmcnt(7)
	v_mul_f32_e32 v91, v50, v15
	v_mul_f32_e32 v7, v43, v7
	;; [unrolled: 1-line block ×5, first 2 shown]
	v_fmac_f32_e32 v3, v41, v4
	v_fma_f32 v40, v40, v4, -v5
	s_waitcnt lgkmcnt(4)
	v_pk_mul_f32 v[4:5], v[62:63], v[86:87] op_sel:[1,0] op_sel_hi:[0,0]
	v_fmac_f32_e32 v88, v45, v8
	v_fma_f32 v41, v42, v6, -v7
	v_fma_f32 v8, v44, v8, -v9
	;; [unrolled: 1-line block ×4, first 2 shown]
	v_add_f32_e32 v3, 0, v3
	v_add_f32_e32 v15, 0, v40
	v_pk_fma_f32 v[6:7], v[62:63], v[26:27], v[4:5] neg_lo:[0,0,1] neg_hi:[0,0,1]
	v_pk_fma_f32 v[4:5], v[62:63], v[26:27], v[4:5] op_sel_hi:[1,0,1]
	v_add_f32_e32 v3, v3, v87
	v_add_f32_e32 v4, v15, v41
	v_mul_f32_e32 v90, v48, v13
	v_mul_f32_e32 v13, v49, v13
	v_fmac_f32_e32 v89, v47, v10
	v_add_f32_e32 v3, v3, v88
	v_add_f32_e32 v4, v4, v8
	v_fmac_f32_e32 v90, v49, v12
	v_fma_f32 v10, v48, v12, -v13
	v_add_f32_e32 v3, v3, v89
	v_add_f32_e32 v4, v4, v9
	v_mul_f32_e32 v92, v52, v17
	v_mul_f32_e32 v17, v53, v17
	v_fmac_f32_e32 v91, v51, v14
	v_add_f32_e32 v3, v3, v90
	v_add_f32_e32 v4, v4, v10
	v_mul_f32_e32 v93, v54, v19
	v_mul_f32_e32 v19, v55, v19
	v_fmac_f32_e32 v92, v53, v16
	v_fma_f32 v12, v52, v16, -v17
	v_add_f32_e32 v3, v3, v91
	v_add_f32_e32 v4, v4, v11
	v_mul_f32_e32 v94, v56, v21
	v_mul_f32_e32 v21, v57, v21
	v_fmac_f32_e32 v93, v55, v18
	v_fma_f32 v13, v54, v18, -v19
	;; [unrolled: 6-line block ×4, first 2 shown]
	v_mov_b32_e32 v7, v5
	v_add_f32_e32 v5, v3, v94
	v_add_f32_e32 v4, v4, v14
	v_fmac_f32_e32 v85, v61, v24
	v_fma_f32 v84, v60, v24, -v25
	v_pk_add_f32 v[4:5], v[4:5], v[82:83]
	s_nop 0
	v_pk_add_f32 v[4:5], v[4:5], v[84:85]
	s_nop 0
	v_pk_add_f32 v[4:5], v[4:5], v[6:7]
	s_waitcnt vmcnt(4) lgkmcnt(3)
	v_pk_mul_f32 v[6:7], v[64:65], v[28:29] op_sel:[1,1] op_sel_hi:[0,1]
	v_pk_fma_f32 v[8:9], v[64:65], v[28:29], v[6:7] neg_lo:[0,0,1] neg_hi:[0,0,1]
	v_pk_fma_f32 v[6:7], v[64:65], v[28:29], v[6:7] op_sel_hi:[1,0,1]
	s_nop 0
	v_mov_b32_e32 v6, v31
	v_mov_b32_e32 v9, v7
	v_pk_mul_f32 v[6:7], v[66:67], v[6:7] op_sel:[1,0] op_sel_hi:[0,0]
	v_pk_add_f32 v[4:5], v[4:5], v[8:9]
	v_pk_fma_f32 v[8:9], v[66:67], v[30:31], v[6:7] neg_lo:[0,0,1] neg_hi:[0,0,1]
	v_pk_fma_f32 v[6:7], v[66:67], v[30:31], v[6:7] op_sel_hi:[1,0,1]
	s_nop 0
	v_mov_b32_e32 v9, v7
	s_waitcnt vmcnt(3) lgkmcnt(2)
	v_pk_mul_f32 v[6:7], v[68:69], v[32:33] op_sel:[1,1] op_sel_hi:[0,1]
	v_pk_add_f32 v[4:5], v[4:5], v[8:9]
	v_pk_fma_f32 v[8:9], v[68:69], v[32:33], v[6:7] neg_lo:[0,0,1] neg_hi:[0,0,1]
	v_pk_fma_f32 v[6:7], v[68:69], v[32:33], v[6:7] op_sel_hi:[1,0,1]
	s_nop 0
	v_mov_b32_e32 v6, v35
	v_mov_b32_e32 v9, v7
	v_pk_mul_f32 v[6:7], v[70:71], v[6:7] op_sel:[1,0] op_sel_hi:[0,0]
	v_pk_add_f32 v[4:5], v[4:5], v[8:9]
	v_pk_fma_f32 v[8:9], v[70:71], v[34:35], v[6:7] neg_lo:[0,0,1] neg_hi:[0,0,1]
	v_pk_fma_f32 v[6:7], v[70:71], v[34:35], v[6:7] op_sel_hi:[1,0,1]
	s_nop 0
	v_mov_b32_e32 v9, v7
	s_waitcnt vmcnt(2) lgkmcnt(1)
	v_pk_mul_f32 v[6:7], v[72:73], v[36:37] op_sel:[1,1] op_sel_hi:[0,1]
	v_pk_add_f32 v[4:5], v[4:5], v[8:9]
	;; [unrolled: 14-line block ×3, first 2 shown]
	v_pk_fma_f32 v[8:9], v[80:81], v[76:77], v[6:7] neg_lo:[0,0,1] neg_hi:[0,0,1]
	v_pk_fma_f32 v[6:7], v[80:81], v[76:77], v[6:7] op_sel_hi:[1,0,1]
	s_nop 0
	v_mov_b32_e32 v9, v7
	v_pk_add_f32 v[4:5], v[4:5], v[8:9]
	s_waitcnt vmcnt(0)
	v_pk_add_f32 v[4:5], v[78:79], v[4:5] neg_lo:[0,1] neg_hi:[0,1]
	scratch_store_dwordx2 off, v[4:5], off offset:288
	s_and_saveexec_b64 s[0:1], vcc
	s_cbranch_execz .LBB119_279
; %bb.278:
	scratch_load_dwordx2 v[4:5], off, off offset:280
	v_mov_b32_e32 v3, v2
	scratch_store_dwordx2 off, v[2:3], off offset:280
	s_waitcnt vmcnt(1)
	ds_write_b64 v1, v[4:5]
.LBB119_279:
	s_or_b64 exec, exec, s[0:1]
	s_waitcnt lgkmcnt(0)
	; wave barrier
	scratch_load_dwordx4 v[4:7], off, off offset:288
	scratch_load_dwordx4 v[8:11], off, off offset:304
	;; [unrolled: 1-line block ×7, first 2 shown]
	ds_read_b128 v[32:35], v2 offset:736
	ds_read_b128 v[36:39], v2 offset:752
	;; [unrolled: 1-line block ×6, first 2 shown]
	scratch_load_dwordx4 v[56:59], off, off offset:400
	scratch_load_dwordx4 v[60:63], off, off offset:416
	scratch_load_dwordx4 v[64:67], off, off offset:432
	ds_read_b128 v[68:71], v2 offset:832
	ds_read_b128 v[72:75], v2 offset:848
	;; [unrolled: 1-line block ×4, first 2 shown]
	scratch_load_dwordx2 v[2:3], off, off offset:280
	v_cmp_lt_u32_e32 vcc, 34, v0
	s_waitcnt vmcnt(10) lgkmcnt(9)
	v_mul_f32_e32 v90, v32, v5
	v_mul_f32_e32 v5, v33, v5
	;; [unrolled: 1-line block ×3, first 2 shown]
	s_waitcnt vmcnt(9) lgkmcnt(8)
	v_mul_f32_e32 v92, v36, v9
	s_waitcnt vmcnt(8) lgkmcnt(7)
	v_mul_f32_e32 v95, v42, v15
	v_mul_f32_e32 v7, v35, v7
	v_mul_f32_e32 v9, v37, v9
	v_mul_f32_e32 v15, v43, v15
	v_fmac_f32_e32 v90, v33, v4
	v_fma_f32 v4, v32, v4, -v5
	v_fmac_f32_e32 v91, v35, v6
	v_fmac_f32_e32 v95, v43, v14
	v_fma_f32 v5, v34, v6, -v7
	v_fma_f32 v6, v36, v8, -v9
	;; [unrolled: 1-line block ×3, first 2 shown]
	v_add_f32_e32 v14, 0, v90
	v_add_f32_e32 v4, 0, v4
	v_mul_f32_e32 v93, v38, v11
	v_mul_f32_e32 v11, v39, v11
	v_fmac_f32_e32 v92, v37, v8
	v_add_f32_e32 v14, v14, v91
	v_add_f32_e32 v4, v4, v5
	v_mul_f32_e32 v94, v40, v13
	v_mul_f32_e32 v13, v41, v13
	v_fmac_f32_e32 v93, v39, v10
	v_fma_f32 v7, v38, v10, -v11
	v_add_f32_e32 v5, v14, v92
	v_add_f32_e32 v4, v4, v6
	v_fmac_f32_e32 v94, v41, v12
	v_fma_f32 v8, v40, v12, -v13
	v_add_f32_e32 v5, v5, v93
	v_add_f32_e32 v4, v4, v7
	s_waitcnt vmcnt(7) lgkmcnt(6)
	v_mul_f32_e32 v96, v44, v17
	v_mul_f32_e32 v17, v45, v17
	v_add_f32_e32 v5, v5, v94
	v_add_f32_e32 v4, v4, v8
	v_mul_f32_e32 v97, v46, v19
	v_mul_f32_e32 v19, v47, v19
	v_fmac_f32_e32 v96, v45, v16
	v_fma_f32 v10, v44, v16, -v17
	v_add_f32_e32 v5, v5, v95
	v_add_f32_e32 v4, v4, v9
	s_waitcnt vmcnt(6) lgkmcnt(5)
	v_mul_f32_e32 v98, v48, v21
	v_mul_f32_e32 v21, v49, v21
	v_fmac_f32_e32 v97, v47, v18
	v_fma_f32 v11, v46, v18, -v19
	v_add_f32_e32 v5, v5, v96
	v_add_f32_e32 v4, v4, v10
	v_mul_f32_e32 v99, v50, v23
	v_mul_f32_e32 v23, v51, v23
	v_fmac_f32_e32 v98, v49, v20
	v_fma_f32 v12, v48, v20, -v21
	v_add_f32_e32 v5, v5, v97
	v_add_f32_e32 v4, v4, v11
	s_waitcnt vmcnt(5) lgkmcnt(4)
	v_mul_f32_e32 v85, v52, v25
	v_mul_f32_e32 v25, v53, v25
	v_fmac_f32_e32 v99, v51, v22
	v_fma_f32 v13, v50, v22, -v23
	v_add_f32_e32 v5, v5, v98
	v_add_f32_e32 v4, v4, v12
	v_mul_f32_e32 v87, v54, v27
	v_mul_f32_e32 v27, v55, v27
	s_waitcnt vmcnt(4) lgkmcnt(3)
	v_pk_mul_f32 v[88:89], v[68:69], v[28:29] op_sel:[1,1] op_sel_hi:[0,1]
	v_fmac_f32_e32 v85, v53, v24
	v_fma_f32 v84, v52, v24, -v25
	v_add_f32_e32 v5, v5, v99
	v_add_f32_e32 v4, v4, v13
	v_fmac_f32_e32 v87, v55, v26
	v_fma_f32 v86, v54, v26, -v27
	v_pk_add_f32 v[4:5], v[4:5], v[84:85]
	v_pk_fma_f32 v[6:7], v[68:69], v[28:29], v[88:89] neg_lo:[0,0,1] neg_hi:[0,0,1]
	v_pk_fma_f32 v[8:9], v[68:69], v[28:29], v[88:89] op_sel_hi:[1,0,1]
	v_pk_add_f32 v[4:5], v[4:5], v[86:87]
	v_mov_b32_e32 v7, v9
	v_pk_add_f32 v[4:5], v[4:5], v[6:7]
	v_mov_b32_e32 v6, v31
	v_pk_mul_f32 v[6:7], v[70:71], v[6:7] op_sel:[1,0] op_sel_hi:[0,0]
	v_pk_fma_f32 v[8:9], v[70:71], v[30:31], v[6:7] neg_lo:[0,0,1] neg_hi:[0,0,1]
	v_pk_fma_f32 v[6:7], v[70:71], v[30:31], v[6:7] op_sel_hi:[1,0,1]
	s_nop 0
	v_mov_b32_e32 v9, v7
	s_waitcnt vmcnt(3) lgkmcnt(2)
	v_pk_mul_f32 v[6:7], v[72:73], v[56:57] op_sel:[1,1] op_sel_hi:[0,1]
	v_pk_add_f32 v[4:5], v[4:5], v[8:9]
	v_pk_fma_f32 v[8:9], v[72:73], v[56:57], v[6:7] neg_lo:[0,0,1] neg_hi:[0,0,1]
	v_pk_fma_f32 v[6:7], v[72:73], v[56:57], v[6:7] op_sel_hi:[1,0,1]
	s_nop 0
	v_mov_b32_e32 v6, v59
	v_mov_b32_e32 v9, v7
	v_pk_mul_f32 v[6:7], v[74:75], v[6:7] op_sel:[1,0] op_sel_hi:[0,0]
	v_pk_add_f32 v[4:5], v[4:5], v[8:9]
	v_pk_fma_f32 v[8:9], v[74:75], v[58:59], v[6:7] neg_lo:[0,0,1] neg_hi:[0,0,1]
	v_pk_fma_f32 v[6:7], v[74:75], v[58:59], v[6:7] op_sel_hi:[1,0,1]
	s_nop 0
	v_mov_b32_e32 v9, v7
	s_waitcnt vmcnt(2) lgkmcnt(1)
	v_pk_mul_f32 v[6:7], v[76:77], v[60:61] op_sel:[1,1] op_sel_hi:[0,1]
	v_pk_add_f32 v[4:5], v[4:5], v[8:9]
	v_pk_fma_f32 v[8:9], v[76:77], v[60:61], v[6:7] neg_lo:[0,0,1] neg_hi:[0,0,1]
	v_pk_fma_f32 v[6:7], v[76:77], v[60:61], v[6:7] op_sel_hi:[1,0,1]
	s_nop 0
	v_mov_b32_e32 v6, v63
	v_mov_b32_e32 v9, v7
	v_pk_mul_f32 v[6:7], v[78:79], v[6:7] op_sel:[1,0] op_sel_hi:[0,0]
	v_pk_add_f32 v[4:5], v[4:5], v[8:9]
	v_pk_fma_f32 v[8:9], v[78:79], v[62:63], v[6:7] neg_lo:[0,0,1] neg_hi:[0,0,1]
	v_pk_fma_f32 v[6:7], v[78:79], v[62:63], v[6:7] op_sel_hi:[1,0,1]
	s_nop 0
	v_mov_b32_e32 v9, v7
	s_waitcnt vmcnt(1) lgkmcnt(0)
	v_pk_mul_f32 v[6:7], v[80:81], v[64:65] op_sel:[1,1] op_sel_hi:[0,1]
	v_pk_add_f32 v[4:5], v[4:5], v[8:9]
	v_pk_fma_f32 v[8:9], v[80:81], v[64:65], v[6:7] neg_lo:[0,0,1] neg_hi:[0,0,1]
	v_pk_fma_f32 v[6:7], v[80:81], v[64:65], v[6:7] op_sel_hi:[1,0,1]
	s_nop 0
	v_mov_b32_e32 v6, v67
	v_mov_b32_e32 v9, v7
	v_pk_mul_f32 v[6:7], v[82:83], v[6:7] op_sel:[1,0] op_sel_hi:[0,0]
	v_pk_add_f32 v[4:5], v[4:5], v[8:9]
	v_pk_fma_f32 v[8:9], v[82:83], v[66:67], v[6:7] neg_lo:[0,0,1] neg_hi:[0,0,1]
	v_pk_fma_f32 v[6:7], v[82:83], v[66:67], v[6:7] op_sel_hi:[1,0,1]
	s_nop 0
	v_mov_b32_e32 v9, v7
	v_pk_add_f32 v[4:5], v[4:5], v[8:9]
	s_waitcnt vmcnt(0)
	v_pk_add_f32 v[2:3], v[2:3], v[4:5] neg_lo:[0,1] neg_hi:[0,1]
	scratch_store_dwordx2 off, v[2:3], off offset:280
	s_and_saveexec_b64 s[0:1], vcc
	s_cbranch_execz .LBB119_281
; %bb.280:
	scratch_load_dwordx2 v[2:3], off, off offset:272
	v_mov_b32_e32 v4, 0
	v_mov_b32_e32 v5, v4
	scratch_store_dwordx2 off, v[4:5], off offset:272
	s_waitcnt vmcnt(1)
	ds_write_b64 v1, v[2:3]
.LBB119_281:
	s_or_b64 exec, exec, s[0:1]
	s_waitcnt lgkmcnt(0)
	; wave barrier
	scratch_load_dwordx4 v[2:5], off, off offset:280
	scratch_load_dwordx4 v[8:11], off, off offset:296
	;; [unrolled: 1-line block ×10, first 2 shown]
	scratch_load_dwordx2 v[76:77], off, off offset:440
	scratch_load_dwordx2 v[78:79], off, off offset:272
	v_mov_b32_e32 v6, 0
	ds_read2_b64 v[44:47], v6 offset0:91 offset1:92
	ds_read2_b64 v[48:51], v6 offset0:93 offset1:94
	;; [unrolled: 1-line block ×8, first 2 shown]
	v_cmp_lt_u32_e32 vcc, 33, v0
	s_waitcnt vmcnt(11) lgkmcnt(7)
	v_mul_f32_e32 v7, v44, v3
	v_mul_f32_e32 v3, v45, v3
	;; [unrolled: 1-line block ×4, first 2 shown]
	v_fmac_f32_e32 v7, v45, v2
	v_fma_f32 v2, v44, v2, -v3
	s_waitcnt vmcnt(10) lgkmcnt(6)
	v_mul_f32_e32 v82, v48, v9
	v_mul_f32_e32 v9, v49, v9
	v_fma_f32 v3, v46, v4, -v5
	v_add_f32_e32 v2, 0, v2
	v_mul_f32_e32 v84, v50, v11
	v_mul_f32_e32 v11, v51, v11
	v_fmac_f32_e32 v80, v47, v4
	v_fma_f32 v4, v48, v8, -v9
	v_add_f32_e32 v7, 0, v7
	v_add_f32_e32 v2, v2, v3
	s_waitcnt vmcnt(9) lgkmcnt(5)
	v_mul_f32_e32 v85, v52, v13
	v_mul_f32_e32 v13, v53, v13
	v_fmac_f32_e32 v82, v49, v8
	v_fma_f32 v5, v50, v10, -v11
	v_add_f32_e32 v7, v7, v80
	v_add_f32_e32 v2, v2, v4
	v_mul_f32_e32 v86, v54, v15
	v_mul_f32_e32 v15, v55, v15
	v_fmac_f32_e32 v84, v51, v10
	v_fma_f32 v8, v52, v12, -v13
	v_add_f32_e32 v3, v7, v82
	v_add_f32_e32 v2, v2, v5
	s_waitcnt vmcnt(8) lgkmcnt(4)
	v_mul_f32_e32 v87, v56, v17
	v_mul_f32_e32 v17, v57, v17
	v_fmac_f32_e32 v85, v53, v12
	v_fma_f32 v9, v54, v14, -v15
	v_add_f32_e32 v3, v3, v84
	;; [unrolled: 13-line block ×4, first 2 shown]
	v_add_f32_e32 v2, v2, v12
	v_fmac_f32_e32 v90, v63, v22
	v_fma_f32 v14, v64, v24, -v25
	v_add_f32_e32 v3, v3, v89
	v_add_f32_e32 v2, v2, v13
	v_mul_f32_e32 v81, v66, v27
	v_fmac_f32_e32 v91, v65, v24
	v_add_f32_e32 v3, v3, v90
	v_add_f32_e32 v12, v2, v14
	v_mul_f32_e32 v2, v67, v27
	s_waitcnt vmcnt(5)
	v_mov_b32_e32 v16, v31
	s_waitcnt lgkmcnt(1)
	v_mul_f32_e32 v83, v68, v29
	v_fmac_f32_e32 v81, v67, v26
	v_add_f32_e32 v13, v3, v91
	v_fma_f32 v80, v66, v26, -v2
	v_mul_f32_e32 v2, v69, v29
	v_pk_mul_f32 v[16:17], v[70:71], v[16:17] op_sel:[1,0] op_sel_hi:[0,0]
	v_fmac_f32_e32 v83, v69, v28
	v_fma_f32 v82, v68, v28, -v2
	v_pk_add_f32 v[12:13], v[12:13], v[80:81]
	v_pk_fma_f32 v[18:19], v[70:71], v[30:31], v[16:17] neg_lo:[0,0,1] neg_hi:[0,0,1]
	v_pk_fma_f32 v[16:17], v[70:71], v[30:31], v[16:17] op_sel_hi:[1,0,1]
	v_pk_add_f32 v[12:13], v[12:13], v[82:83]
	v_mov_b32_e32 v19, v17
	s_waitcnt vmcnt(4) lgkmcnt(0)
	v_pk_mul_f32 v[16:17], v[72:73], v[32:33] op_sel:[1,1] op_sel_hi:[0,1]
	v_pk_add_f32 v[12:13], v[12:13], v[18:19]
	v_pk_fma_f32 v[18:19], v[72:73], v[32:33], v[16:17] neg_lo:[0,0,1] neg_hi:[0,0,1]
	v_pk_fma_f32 v[16:17], v[72:73], v[32:33], v[16:17] op_sel_hi:[1,0,1]
	ds_read2_b64 v[2:5], v6 offset0:107 offset1:108
	ds_read2_b64 v[8:11], v6 offset0:109 offset1:110
	ds_read_b64 v[14:15], v6 offset:888
	v_mov_b32_e32 v16, v35
	v_mov_b32_e32 v19, v17
	v_pk_mul_f32 v[16:17], v[74:75], v[16:17] op_sel:[1,0] op_sel_hi:[0,0]
	v_pk_add_f32 v[12:13], v[12:13], v[18:19]
	v_pk_fma_f32 v[18:19], v[74:75], v[34:35], v[16:17] neg_lo:[0,0,1] neg_hi:[0,0,1]
	v_pk_fma_f32 v[16:17], v[74:75], v[34:35], v[16:17] op_sel_hi:[1,0,1]
	s_nop 0
	v_mov_b32_e32 v19, v17
	s_waitcnt vmcnt(3) lgkmcnt(2)
	v_pk_mul_f32 v[16:17], v[2:3], v[36:37] op_sel:[1,1] op_sel_hi:[0,1]
	v_pk_add_f32 v[12:13], v[12:13], v[18:19]
	v_pk_fma_f32 v[18:19], v[2:3], v[36:37], v[16:17] neg_lo:[0,0,1] neg_hi:[0,0,1]
	v_pk_fma_f32 v[2:3], v[2:3], v[36:37], v[16:17] op_sel_hi:[1,0,1]
	s_nop 0
	v_mov_b32_e32 v19, v3
	v_pk_add_f32 v[2:3], v[12:13], v[18:19]
	v_mov_b32_e32 v12, v39
	v_pk_mul_f32 v[12:13], v[4:5], v[12:13] op_sel:[1,0] op_sel_hi:[0,0]
	v_pk_fma_f32 v[16:17], v[4:5], v[38:39], v[12:13] neg_lo:[0,0,1] neg_hi:[0,0,1]
	v_pk_fma_f32 v[4:5], v[4:5], v[38:39], v[12:13] op_sel_hi:[1,0,1]
	s_nop 0
	v_mov_b32_e32 v17, v5
	s_waitcnt vmcnt(2) lgkmcnt(1)
	v_pk_mul_f32 v[4:5], v[8:9], v[40:41] op_sel:[1,1] op_sel_hi:[0,1]
	v_pk_fma_f32 v[12:13], v[8:9], v[40:41], v[4:5] neg_lo:[0,0,1] neg_hi:[0,0,1]
	v_pk_fma_f32 v[4:5], v[8:9], v[40:41], v[4:5] op_sel_hi:[1,0,1]
	v_pk_add_f32 v[2:3], v[2:3], v[16:17]
	v_mov_b32_e32 v4, v43
	v_mov_b32_e32 v13, v5
	v_pk_mul_f32 v[4:5], v[10:11], v[4:5] op_sel:[1,0] op_sel_hi:[0,0]
	v_pk_fma_f32 v[8:9], v[10:11], v[42:43], v[4:5] neg_lo:[0,0,1] neg_hi:[0,0,1]
	v_pk_fma_f32 v[4:5], v[10:11], v[42:43], v[4:5] op_sel_hi:[1,0,1]
	v_pk_add_f32 v[2:3], v[2:3], v[12:13]
	v_mov_b32_e32 v9, v5
	s_waitcnt vmcnt(1) lgkmcnt(0)
	v_pk_mul_f32 v[4:5], v[14:15], v[76:77] op_sel:[1,1] op_sel_hi:[0,1]
	v_pk_add_f32 v[2:3], v[2:3], v[8:9]
	v_pk_fma_f32 v[8:9], v[14:15], v[76:77], v[4:5] neg_lo:[0,0,1] neg_hi:[0,0,1]
	v_pk_fma_f32 v[4:5], v[14:15], v[76:77], v[4:5] op_sel_hi:[1,0,1]
	s_nop 0
	v_mov_b32_e32 v9, v5
	v_pk_add_f32 v[2:3], v[2:3], v[8:9]
	s_waitcnt vmcnt(0)
	v_pk_add_f32 v[2:3], v[78:79], v[2:3] neg_lo:[0,1] neg_hi:[0,1]
	scratch_store_dwordx2 off, v[2:3], off offset:272
	s_and_saveexec_b64 s[0:1], vcc
	s_cbranch_execz .LBB119_283
; %bb.282:
	scratch_load_dwordx2 v[2:3], off, off offset:264
	v_mov_b32_e32 v7, v6
	scratch_store_dwordx2 off, v[6:7], off offset:264
	s_waitcnt vmcnt(1)
	ds_write_b64 v1, v[2:3]
.LBB119_283:
	s_or_b64 exec, exec, s[0:1]
	s_waitcnt lgkmcnt(0)
	; wave barrier
	scratch_load_dwordx4 v[8:11], off, off offset:272
	scratch_load_dwordx4 v[12:15], off, off offset:288
	;; [unrolled: 1-line block ×7, first 2 shown]
	ds_read_b128 v[36:39], v6 offset:720
	ds_read_b128 v[40:43], v6 offset:736
	;; [unrolled: 1-line block ×6, first 2 shown]
	scratch_load_dwordx4 v[60:63], off, off offset:384
	scratch_load_dwordx4 v[64:67], off, off offset:400
	;; [unrolled: 1-line block ×4, first 2 shown]
	ds_read_b128 v[72:75], v6 offset:816
	ds_read_b128 v[76:79], v6 offset:832
	scratch_load_dwordx2 v[80:81], off, off offset:264
	v_cmp_lt_u32_e32 vcc, 32, v0
	s_waitcnt vmcnt(11) lgkmcnt(7)
	v_mul_f32_e32 v7, v36, v9
	v_mul_f32_e32 v82, v38, v11
	;; [unrolled: 1-line block ×3, first 2 shown]
	v_fmac_f32_e32 v7, v37, v8
	s_waitcnt vmcnt(10) lgkmcnt(6)
	v_mul_f32_e32 v84, v40, v13
	v_mul_f32_e32 v11, v39, v11
	v_fmac_f32_e32 v82, v39, v10
	v_fma_f32 v8, v36, v8, -v9
	v_add_f32_e32 v7, 0, v7
	v_mul_f32_e32 v86, v42, v15
	v_mul_f32_e32 v13, v41, v13
	v_fmac_f32_e32 v84, v41, v12
	v_fma_f32 v9, v38, v10, -v11
	v_add_f32_e32 v8, 0, v8
	v_add_f32_e32 v7, v7, v82
	s_waitcnt vmcnt(9) lgkmcnt(5)
	v_mul_f32_e32 v87, v44, v17
	v_mul_f32_e32 v15, v43, v15
	v_fmac_f32_e32 v86, v43, v14
	v_fma_f32 v10, v40, v12, -v13
	v_add_f32_e32 v8, v8, v9
	v_add_f32_e32 v7, v7, v84
	v_mul_f32_e32 v88, v46, v19
	v_mul_f32_e32 v17, v45, v17
	v_fmac_f32_e32 v87, v45, v16
	v_fma_f32 v11, v42, v14, -v15
	v_add_f32_e32 v8, v8, v10
	v_add_f32_e32 v7, v7, v86
	s_waitcnt vmcnt(8) lgkmcnt(4)
	v_mul_f32_e32 v89, v48, v21
	v_mul_f32_e32 v19, v47, v19
	v_fmac_f32_e32 v88, v47, v18
	v_fma_f32 v12, v44, v16, -v17
	v_add_f32_e32 v8, v8, v11
	;; [unrolled: 13-line block ×4, first 2 shown]
	v_add_f32_e32 v7, v7, v91
	v_mul_f32_e32 v94, v58, v31
	v_mul_f32_e32 v29, v57, v29
	v_fmac_f32_e32 v93, v57, v28
	v_fma_f32 v17, v54, v26, -v27
	v_add_f32_e32 v8, v8, v16
	v_add_f32_e32 v7, v7, v92
	v_fmac_f32_e32 v94, v59, v30
	v_fma_f32 v18, v56, v28, -v29
	v_add_f32_e32 v8, v8, v17
	v_add_f32_e32 v7, v7, v93
	;; [unrolled: 1-line block ×4, first 2 shown]
	v_mul_f32_e32 v8, v59, v31
	v_fma_f32 v8, v58, v30, -v8
	s_waitcnt vmcnt(5) lgkmcnt(1)
	v_mul_f32_e32 v83, v72, v33
	v_add_f32_e32 v20, v7, v8
	v_mul_f32_e32 v7, v73, v33
	v_fmac_f32_e32 v83, v73, v32
	v_fma_f32 v82, v72, v32, -v7
	v_mul_f32_e32 v7, v75, v35
	v_fma_f32 v84, v74, v34, -v7
	ds_read_b128 v[8:11], v6 offset:848
	ds_read_b128 v[12:15], v6 offset:864
	;; [unrolled: 1-line block ×3, first 2 shown]
	v_pk_add_f32 v[6:7], v[20:21], v[82:83]
	s_waitcnt vmcnt(4) lgkmcnt(3)
	v_pk_mul_f32 v[20:21], v[76:77], v[60:61] op_sel:[1,1] op_sel_hi:[0,1]
	v_mul_f32_e32 v85, v74, v35
	v_pk_fma_f32 v[22:23], v[76:77], v[60:61], v[20:21] neg_lo:[0,0,1] neg_hi:[0,0,1]
	v_pk_fma_f32 v[20:21], v[76:77], v[60:61], v[20:21] op_sel_hi:[1,0,1]
	v_fmac_f32_e32 v85, v75, v34
	v_mov_b32_e32 v20, v63
	v_pk_add_f32 v[6:7], v[6:7], v[84:85]
	v_mov_b32_e32 v23, v21
	v_pk_mul_f32 v[20:21], v[78:79], v[20:21] op_sel:[1,0] op_sel_hi:[0,0]
	v_pk_add_f32 v[6:7], v[6:7], v[22:23]
	v_pk_fma_f32 v[22:23], v[78:79], v[62:63], v[20:21] neg_lo:[0,0,1] neg_hi:[0,0,1]
	v_pk_fma_f32 v[20:21], v[78:79], v[62:63], v[20:21] op_sel_hi:[1,0,1]
	s_nop 0
	v_mov_b32_e32 v23, v21
	s_waitcnt vmcnt(3) lgkmcnt(2)
	v_pk_mul_f32 v[20:21], v[8:9], v[64:65] op_sel:[1,1] op_sel_hi:[0,1]
	v_pk_add_f32 v[6:7], v[6:7], v[22:23]
	v_pk_fma_f32 v[22:23], v[8:9], v[64:65], v[20:21] neg_lo:[0,0,1] neg_hi:[0,0,1]
	v_pk_fma_f32 v[8:9], v[8:9], v[64:65], v[20:21] op_sel_hi:[1,0,1]
	s_nop 0
	v_mov_b32_e32 v8, v67
	v_mov_b32_e32 v23, v9
	v_pk_mul_f32 v[8:9], v[10:11], v[8:9] op_sel:[1,0] op_sel_hi:[0,0]
	v_pk_fma_f32 v[20:21], v[10:11], v[66:67], v[8:9] neg_lo:[0,0,1] neg_hi:[0,0,1]
	v_pk_fma_f32 v[8:9], v[10:11], v[66:67], v[8:9] op_sel_hi:[1,0,1]
	v_pk_add_f32 v[6:7], v[6:7], v[22:23]
	v_mov_b32_e32 v21, v9
	s_waitcnt vmcnt(2) lgkmcnt(1)
	v_pk_mul_f32 v[8:9], v[12:13], v[68:69] op_sel:[1,1] op_sel_hi:[0,1]
	v_pk_fma_f32 v[10:11], v[12:13], v[68:69], v[8:9] neg_lo:[0,0,1] neg_hi:[0,0,1]
	v_pk_fma_f32 v[8:9], v[12:13], v[68:69], v[8:9] op_sel_hi:[1,0,1]
	v_pk_add_f32 v[6:7], v[6:7], v[20:21]
	v_mov_b32_e32 v8, v71
	v_mov_b32_e32 v11, v9
	v_pk_mul_f32 v[8:9], v[14:15], v[8:9] op_sel:[1,0] op_sel_hi:[0,0]
	v_pk_add_f32 v[6:7], v[6:7], v[10:11]
	v_pk_fma_f32 v[10:11], v[14:15], v[70:71], v[8:9] neg_lo:[0,0,1] neg_hi:[0,0,1]
	v_pk_fma_f32 v[8:9], v[14:15], v[70:71], v[8:9] op_sel_hi:[1,0,1]
	s_nop 0
	v_mov_b32_e32 v11, v9
	s_waitcnt vmcnt(1) lgkmcnt(0)
	v_pk_mul_f32 v[8:9], v[16:17], v[2:3] op_sel:[1,1] op_sel_hi:[0,1]
	v_pk_add_f32 v[6:7], v[6:7], v[10:11]
	v_pk_fma_f32 v[10:11], v[16:17], v[2:3], v[8:9] neg_lo:[0,0,1] neg_hi:[0,0,1]
	v_pk_fma_f32 v[2:3], v[16:17], v[2:3], v[8:9] op_sel_hi:[1,0,1]
	s_nop 0
	v_mov_b32_e32 v11, v3
	v_pk_add_f32 v[2:3], v[6:7], v[10:11]
	v_mov_b32_e32 v6, v5
	v_pk_mul_f32 v[6:7], v[18:19], v[6:7] op_sel:[1,0] op_sel_hi:[0,0]
	v_pk_fma_f32 v[8:9], v[18:19], v[4:5], v[6:7] neg_lo:[0,0,1] neg_hi:[0,0,1]
	v_pk_fma_f32 v[4:5], v[18:19], v[4:5], v[6:7] op_sel_hi:[1,0,1]
	s_nop 0
	v_mov_b32_e32 v9, v5
	v_pk_add_f32 v[2:3], v[2:3], v[8:9]
	s_waitcnt vmcnt(0)
	v_pk_add_f32 v[2:3], v[80:81], v[2:3] neg_lo:[0,1] neg_hi:[0,1]
	scratch_store_dwordx2 off, v[2:3], off offset:264
	s_and_saveexec_b64 s[0:1], vcc
	s_cbranch_execz .LBB119_285
; %bb.284:
	scratch_load_dwordx2 v[2:3], off, off offset:256
	v_mov_b32_e32 v4, 0
	v_mov_b32_e32 v5, v4
	scratch_store_dwordx2 off, v[4:5], off offset:256
	s_waitcnt vmcnt(1)
	ds_write_b64 v1, v[2:3]
.LBB119_285:
	s_or_b64 exec, exec, s[0:1]
	s_waitcnt lgkmcnt(0)
	; wave barrier
	scratch_load_dwordx4 v[2:5], off, off offset:264
	scratch_load_dwordx4 v[14:17], off, off offset:280
	;; [unrolled: 1-line block ×11, first 2 shown]
	scratch_load_dwordx2 v[22:23], off, off offset:440
	scratch_load_dwordx2 v[36:37], off, off offset:256
	v_mov_b32_e32 v38, 0
	ds_read2_b64 v[52:55], v38 offset0:89 offset1:90
	ds_read2_b64 v[56:59], v38 offset0:91 offset1:92
	;; [unrolled: 1-line block ×8, first 2 shown]
	v_cmp_lt_u32_e32 vcc, 31, v0
	s_waitcnt vmcnt(12) lgkmcnt(7)
	v_mul_f32_e32 v39, v52, v3
	v_mul_f32_e32 v84, v54, v5
	;; [unrolled: 1-line block ×3, first 2 shown]
	v_fmac_f32_e32 v39, v53, v2
	s_waitcnt vmcnt(8) lgkmcnt(3)
	v_mul_f32_e32 v93, v68, v19
	v_mul_f32_e32 v19, v69, v19
	v_mul_f32_e32 v86, v56, v15
	v_mul_f32_e32 v5, v55, v5
	v_fmac_f32_e32 v84, v55, v4
	v_fmac_f32_e32 v93, v69, v18
	v_fma_f32 v2, v52, v2, -v3
	v_fma_f32 v18, v68, v18, -v19
	v_add_f32_e32 v19, 0, v39
	v_mul_f32_e32 v88, v58, v17
	v_fmac_f32_e32 v86, v57, v14
	v_fma_f32 v3, v54, v4, -v5
	v_add_f32_e32 v2, 0, v2
	v_add_f32_e32 v19, v19, v84
	v_mul_f32_e32 v89, v60, v25
	v_fmac_f32_e32 v88, v59, v16
	v_add_f32_e32 v2, v2, v3
	v_add_f32_e32 v3, v19, v86
	v_mul_f32_e32 v90, v62, v27
	v_fmac_f32_e32 v89, v61, v24
	v_add_f32_e32 v3, v3, v88
	v_mul_f32_e32 v91, v64, v29
	v_mul_f32_e32 v15, v57, v15
	v_fmac_f32_e32 v90, v63, v26
	v_add_f32_e32 v3, v3, v89
	v_mul_f32_e32 v92, v66, v31
	v_mul_f32_e32 v17, v59, v17
	v_fmac_f32_e32 v91, v65, v28
	v_fma_f32 v4, v56, v14, -v15
	v_add_f32_e32 v3, v3, v90
	v_mul_f32_e32 v25, v61, v25
	v_fmac_f32_e32 v92, v67, v30
	v_fma_f32 v5, v58, v16, -v17
	v_add_f32_e32 v2, v2, v4
	v_add_f32_e32 v3, v3, v91
	v_mul_f32_e32 v94, v70, v21
	v_mul_f32_e32 v27, v63, v27
	v_fma_f32 v14, v60, v24, -v25
	v_add_f32_e32 v2, v2, v5
	v_add_f32_e32 v3, v3, v92
	s_waitcnt vmcnt(7) lgkmcnt(2)
	v_mul_f32_e32 v95, v72, v33
	v_mul_f32_e32 v29, v65, v29
	v_fmac_f32_e32 v94, v71, v20
	v_fma_f32 v15, v62, v26, -v27
	v_add_f32_e32 v2, v2, v14
	v_add_f32_e32 v3, v3, v93
	v_mul_f32_e32 v96, v74, v35
	v_mul_f32_e32 v31, v67, v31
	v_fmac_f32_e32 v95, v73, v32
	v_fma_f32 v16, v64, v28, -v29
	v_add_f32_e32 v2, v2, v15
	v_add_f32_e32 v3, v3, v94
	s_waitcnt vmcnt(6) lgkmcnt(1)
	v_mul_f32_e32 v97, v76, v41
	v_fmac_f32_e32 v96, v75, v34
	v_fma_f32 v17, v66, v30, -v31
	v_add_f32_e32 v2, v2, v16
	v_add_f32_e32 v3, v3, v95
	v_mul_f32_e32 v21, v71, v21
	v_fmac_f32_e32 v97, v77, v40
	v_add_f32_e32 v2, v2, v17
	v_add_f32_e32 v3, v3, v96
	;; [unrolled: 1-line block ×4, first 2 shown]
	v_fma_f32 v3, v70, v20, -v21
	v_add_f32_e32 v2, v2, v3
	v_mul_f32_e32 v3, v73, v33
	v_fma_f32 v3, v72, v32, -v3
	v_add_f32_e32 v2, v2, v3
	v_mul_f32_e32 v3, v75, v35
	;; [unrolled: 3-line block ×4, first 2 shown]
	v_mul_f32_e32 v85, v78, v43
	v_fma_f32 v84, v78, v42, -v2
	s_waitcnt vmcnt(5) lgkmcnt(0)
	v_mul_f32_e32 v2, v81, v45
	v_mov_b32_e32 v28, v47
	v_mul_f32_e32 v87, v80, v45
	v_fmac_f32_e32 v85, v79, v42
	v_fma_f32 v86, v80, v44, -v2
	ds_read2_b64 v[2:5], v38 offset0:105 offset1:106
	ds_read2_b64 v[14:17], v38 offset0:107 offset1:108
	ds_read2_b64 v[18:21], v38 offset0:109 offset1:110
	ds_read_b64 v[26:27], v38 offset:888
	v_pk_mul_f32 v[28:29], v[82:83], v[28:29] op_sel:[1,0] op_sel_hi:[0,0]
	v_fmac_f32_e32 v87, v81, v44
	v_pk_add_f32 v[24:25], v[24:25], v[84:85]
	v_pk_fma_f32 v[30:31], v[82:83], v[46:47], v[28:29] neg_lo:[0,0,1] neg_hi:[0,0,1]
	v_pk_fma_f32 v[28:29], v[82:83], v[46:47], v[28:29] op_sel_hi:[1,0,1]
	v_pk_add_f32 v[24:25], v[24:25], v[86:87]
	v_mov_b32_e32 v31, v29
	s_waitcnt vmcnt(4) lgkmcnt(3)
	v_pk_mul_f32 v[28:29], v[2:3], v[48:49] op_sel:[1,1] op_sel_hi:[0,1]
	v_pk_add_f32 v[24:25], v[24:25], v[30:31]
	v_pk_fma_f32 v[30:31], v[2:3], v[48:49], v[28:29] neg_lo:[0,0,1] neg_hi:[0,0,1]
	v_pk_fma_f32 v[2:3], v[2:3], v[48:49], v[28:29] op_sel_hi:[1,0,1]
	s_nop 0
	v_mov_b32_e32 v31, v3
	v_pk_add_f32 v[2:3], v[24:25], v[30:31]
	v_mov_b32_e32 v24, v51
	v_pk_mul_f32 v[24:25], v[4:5], v[24:25] op_sel:[1,0] op_sel_hi:[0,0]
	v_pk_fma_f32 v[28:29], v[4:5], v[50:51], v[24:25] neg_lo:[0,0,1] neg_hi:[0,0,1]
	v_pk_fma_f32 v[4:5], v[4:5], v[50:51], v[24:25] op_sel_hi:[1,0,1]
	s_nop 0
	v_mov_b32_e32 v29, v5
	s_waitcnt vmcnt(3) lgkmcnt(2)
	v_pk_mul_f32 v[4:5], v[14:15], v[10:11] op_sel:[1,1] op_sel_hi:[0,1]
	v_pk_fma_f32 v[24:25], v[14:15], v[10:11], v[4:5] neg_lo:[0,0,1] neg_hi:[0,0,1]
	v_pk_fma_f32 v[4:5], v[14:15], v[10:11], v[4:5] op_sel_hi:[1,0,1]
	v_pk_add_f32 v[2:3], v[2:3], v[28:29]
	v_mov_b32_e32 v4, v13
	v_mov_b32_e32 v25, v5
	v_pk_mul_f32 v[4:5], v[16:17], v[4:5] op_sel:[1,0] op_sel_hi:[0,0]
	v_pk_fma_f32 v[10:11], v[16:17], v[12:13], v[4:5] neg_lo:[0,0,1] neg_hi:[0,0,1]
	v_pk_fma_f32 v[4:5], v[16:17], v[12:13], v[4:5] op_sel_hi:[1,0,1]
	v_pk_add_f32 v[2:3], v[2:3], v[24:25]
	v_mov_b32_e32 v11, v5
	s_waitcnt vmcnt(2) lgkmcnt(1)
	v_pk_mul_f32 v[4:5], v[18:19], v[6:7] op_sel:[1,1] op_sel_hi:[0,1]
	v_pk_add_f32 v[2:3], v[2:3], v[10:11]
	v_pk_fma_f32 v[10:11], v[18:19], v[6:7], v[4:5] neg_lo:[0,0,1] neg_hi:[0,0,1]
	v_pk_fma_f32 v[4:5], v[18:19], v[6:7], v[4:5] op_sel_hi:[1,0,1]
	s_nop 0
	v_mov_b32_e32 v4, v9
	v_mov_b32_e32 v11, v5
	v_pk_mul_f32 v[4:5], v[20:21], v[4:5] op_sel:[1,0] op_sel_hi:[0,0]
	v_pk_fma_f32 v[6:7], v[20:21], v[8:9], v[4:5] neg_lo:[0,0,1] neg_hi:[0,0,1]
	v_pk_fma_f32 v[4:5], v[20:21], v[8:9], v[4:5] op_sel_hi:[1,0,1]
	v_pk_add_f32 v[2:3], v[2:3], v[10:11]
	v_mov_b32_e32 v7, v5
	s_waitcnt vmcnt(1) lgkmcnt(0)
	v_pk_mul_f32 v[4:5], v[26:27], v[22:23] op_sel:[1,1] op_sel_hi:[0,1]
	v_pk_add_f32 v[2:3], v[2:3], v[6:7]
	v_pk_fma_f32 v[6:7], v[26:27], v[22:23], v[4:5] neg_lo:[0,0,1] neg_hi:[0,0,1]
	v_pk_fma_f32 v[4:5], v[26:27], v[22:23], v[4:5] op_sel_hi:[1,0,1]
	s_nop 0
	v_mov_b32_e32 v7, v5
	v_pk_add_f32 v[2:3], v[2:3], v[6:7]
	s_waitcnt vmcnt(0)
	v_pk_add_f32 v[2:3], v[36:37], v[2:3] neg_lo:[0,1] neg_hi:[0,1]
	scratch_store_dwordx2 off, v[2:3], off offset:256
	s_and_saveexec_b64 s[0:1], vcc
	s_cbranch_execz .LBB119_287
; %bb.286:
	scratch_load_dwordx2 v[2:3], off, off offset:248
	v_mov_b32_e32 v39, v38
	scratch_store_dwordx2 off, v[38:39], off offset:248
	s_waitcnt vmcnt(1)
	ds_write_b64 v1, v[2:3]
.LBB119_287:
	s_or_b64 exec, exec, s[0:1]
	s_waitcnt lgkmcnt(0)
	; wave barrier
	scratch_load_dwordx4 v[6:9], off, off offset:256
	scratch_load_dwordx4 v[18:21], off, off offset:272
	;; [unrolled: 1-line block ×8, first 2 shown]
	ds_read_b128 v[48:51], v38 offset:704
	ds_read_b128 v[52:55], v38 offset:720
	;; [unrolled: 1-line block ×8, first 2 shown]
	scratch_load_dwordx4 v[80:83], off, off offset:384
	scratch_load_dwordx4 v[26:29], off, off offset:400
	;; [unrolled: 1-line block ×4, first 2 shown]
	scratch_load_dwordx2 v[84:85], off, off offset:248
	v_cmp_lt_u32_e32 vcc, 30, v0
	s_waitcnt vmcnt(12) lgkmcnt(7)
	v_mul_f32_e32 v39, v48, v7
	v_mul_f32_e32 v86, v50, v9
	;; [unrolled: 1-line block ×3, first 2 shown]
	v_fmac_f32_e32 v39, v49, v6
	s_waitcnt vmcnt(8) lgkmcnt(3)
	v_mul_f32_e32 v95, v64, v15
	v_mul_f32_e32 v15, v65, v15
	;; [unrolled: 1-line block ×4, first 2 shown]
	v_fmac_f32_e32 v86, v51, v8
	v_fmac_f32_e32 v95, v65, v14
	v_fma_f32 v6, v48, v6, -v7
	v_fma_f32 v14, v64, v14, -v15
	v_add_f32_e32 v15, 0, v39
	v_mul_f32_e32 v90, v54, v21
	v_fmac_f32_e32 v88, v53, v18
	v_fma_f32 v7, v50, v8, -v9
	v_add_f32_e32 v6, 0, v6
	v_add_f32_e32 v15, v15, v86
	v_mul_f32_e32 v91, v56, v35
	v_fmac_f32_e32 v90, v55, v20
	v_add_f32_e32 v6, v6, v7
	v_add_f32_e32 v7, v15, v88
	v_mul_f32_e32 v92, v58, v37
	v_fmac_f32_e32 v91, v57, v34
	v_add_f32_e32 v7, v7, v90
	v_mul_f32_e32 v93, v60, v41
	v_fmac_f32_e32 v92, v59, v36
	;; [unrolled: 3-line block ×4, first 2 shown]
	v_add_f32_e32 v7, v7, v93
	v_mul_f32_e32 v96, v66, v17
	v_mul_f32_e32 v21, v55, v21
	v_fma_f32 v8, v52, v18, -v19
	v_add_f32_e32 v7, v7, v94
	s_waitcnt vmcnt(7) lgkmcnt(2)
	v_mul_f32_e32 v97, v68, v23
	v_mul_f32_e32 v35, v57, v35
	v_fmac_f32_e32 v96, v67, v16
	v_fma_f32 v9, v54, v20, -v21
	v_add_f32_e32 v6, v6, v8
	v_add_f32_e32 v7, v7, v95
	v_mul_f32_e32 v98, v70, v25
	v_mul_f32_e32 v37, v59, v37
	v_fmac_f32_e32 v97, v69, v22
	v_fma_f32 v18, v56, v34, -v35
	v_add_f32_e32 v6, v6, v9
	v_add_f32_e32 v7, v7, v96
	s_waitcnt vmcnt(6) lgkmcnt(1)
	v_mul_f32_e32 v99, v72, v31
	v_mul_f32_e32 v41, v61, v41
	v_fmac_f32_e32 v98, v71, v24
	v_fma_f32 v19, v58, v36, -v37
	v_add_f32_e32 v6, v6, v18
	v_add_f32_e32 v7, v7, v97
	v_mul_f32_e32 v100, v74, v33
	v_mul_f32_e32 v43, v63, v43
	v_fmac_f32_e32 v99, v73, v30
	v_fma_f32 v20, v60, v40, -v41
	v_add_f32_e32 v6, v6, v19
	v_add_f32_e32 v7, v7, v98
	v_fmac_f32_e32 v100, v75, v32
	v_fma_f32 v21, v62, v42, -v43
	v_add_f32_e32 v6, v6, v20
	v_add_f32_e32 v7, v7, v99
	;; [unrolled: 1-line block ×4, first 2 shown]
	v_mul_f32_e32 v7, v67, v17
	v_add_f32_e32 v6, v6, v14
	v_fma_f32 v7, v66, v16, -v7
	v_add_f32_e32 v6, v6, v7
	v_mul_f32_e32 v7, v69, v23
	v_fma_f32 v7, v68, v22, -v7
	v_add_f32_e32 v6, v6, v7
	v_mul_f32_e32 v7, v71, v25
	;; [unrolled: 3-line block ×4, first 2 shown]
	v_fma_f32 v7, v74, v32, -v7
	v_add_f32_e32 v34, v6, v7
	s_waitcnt vmcnt(5) lgkmcnt(0)
	v_mul_f32_e32 v6, v77, v45
	v_fma_f32 v86, v76, v44, -v6
	v_mul_f32_e32 v6, v79, v47
	v_fma_f32 v88, v78, v46, -v6
	ds_read_b128 v[6:9], v38 offset:832
	ds_read_b128 v[14:17], v38 offset:848
	;; [unrolled: 1-line block ×4, first 2 shown]
	v_mul_f32_e32 v87, v76, v45
	v_mul_f32_e32 v89, v78, v47
	v_fmac_f32_e32 v87, v77, v44
	s_waitcnt vmcnt(4) lgkmcnt(3)
	v_pk_mul_f32 v[32:33], v[6:7], v[80:81] op_sel:[1,1] op_sel_hi:[0,1]
	v_fmac_f32_e32 v89, v79, v46
	v_pk_add_f32 v[30:31], v[34:35], v[86:87]
	v_pk_fma_f32 v[34:35], v[6:7], v[80:81], v[32:33] neg_lo:[0,0,1] neg_hi:[0,0,1]
	v_pk_fma_f32 v[6:7], v[6:7], v[80:81], v[32:33] op_sel_hi:[1,0,1]
	v_pk_add_f32 v[30:31], v[30:31], v[88:89]
	v_mov_b32_e32 v35, v7
	v_pk_add_f32 v[6:7], v[30:31], v[34:35]
	v_mov_b32_e32 v30, v83
	v_pk_mul_f32 v[30:31], v[8:9], v[30:31] op_sel:[1,0] op_sel_hi:[0,0]
	v_pk_fma_f32 v[32:33], v[8:9], v[82:83], v[30:31] neg_lo:[0,0,1] neg_hi:[0,0,1]
	v_pk_fma_f32 v[8:9], v[8:9], v[82:83], v[30:31] op_sel_hi:[1,0,1]
	s_nop 0
	v_mov_b32_e32 v33, v9
	s_waitcnt vmcnt(3) lgkmcnt(2)
	v_pk_mul_f32 v[8:9], v[14:15], v[26:27] op_sel:[1,1] op_sel_hi:[0,1]
	v_pk_fma_f32 v[30:31], v[14:15], v[26:27], v[8:9] neg_lo:[0,0,1] neg_hi:[0,0,1]
	v_pk_fma_f32 v[8:9], v[14:15], v[26:27], v[8:9] op_sel_hi:[1,0,1]
	v_pk_add_f32 v[6:7], v[6:7], v[32:33]
	v_mov_b32_e32 v8, v29
	v_mov_b32_e32 v31, v9
	v_pk_mul_f32 v[8:9], v[16:17], v[8:9] op_sel:[1,0] op_sel_hi:[0,0]
	v_pk_fma_f32 v[14:15], v[16:17], v[28:29], v[8:9] neg_lo:[0,0,1] neg_hi:[0,0,1]
	v_pk_fma_f32 v[8:9], v[16:17], v[28:29], v[8:9] op_sel_hi:[1,0,1]
	v_pk_add_f32 v[6:7], v[6:7], v[30:31]
	v_mov_b32_e32 v15, v9
	s_waitcnt vmcnt(2) lgkmcnt(1)
	v_pk_mul_f32 v[8:9], v[18:19], v[10:11] op_sel:[1,1] op_sel_hi:[0,1]
	v_pk_add_f32 v[6:7], v[6:7], v[14:15]
	v_pk_fma_f32 v[14:15], v[18:19], v[10:11], v[8:9] neg_lo:[0,0,1] neg_hi:[0,0,1]
	v_pk_fma_f32 v[8:9], v[18:19], v[10:11], v[8:9] op_sel_hi:[1,0,1]
	s_nop 0
	v_mov_b32_e32 v8, v13
	v_mov_b32_e32 v15, v9
	v_pk_mul_f32 v[8:9], v[20:21], v[8:9] op_sel:[1,0] op_sel_hi:[0,0]
	v_pk_fma_f32 v[10:11], v[20:21], v[12:13], v[8:9] neg_lo:[0,0,1] neg_hi:[0,0,1]
	v_pk_fma_f32 v[8:9], v[20:21], v[12:13], v[8:9] op_sel_hi:[1,0,1]
	v_pk_add_f32 v[6:7], v[6:7], v[14:15]
	v_mov_b32_e32 v11, v9
	s_waitcnt vmcnt(1) lgkmcnt(0)
	v_pk_mul_f32 v[8:9], v[22:23], v[2:3] op_sel:[1,1] op_sel_hi:[0,1]
	v_pk_add_f32 v[6:7], v[6:7], v[10:11]
	v_pk_fma_f32 v[10:11], v[22:23], v[2:3], v[8:9] neg_lo:[0,0,1] neg_hi:[0,0,1]
	v_pk_fma_f32 v[2:3], v[22:23], v[2:3], v[8:9] op_sel_hi:[1,0,1]
	s_nop 0
	v_mov_b32_e32 v11, v3
	v_pk_add_f32 v[2:3], v[6:7], v[10:11]
	v_mov_b32_e32 v6, v5
	v_pk_mul_f32 v[6:7], v[24:25], v[6:7] op_sel:[1,0] op_sel_hi:[0,0]
	v_pk_fma_f32 v[8:9], v[24:25], v[4:5], v[6:7] neg_lo:[0,0,1] neg_hi:[0,0,1]
	v_pk_fma_f32 v[4:5], v[24:25], v[4:5], v[6:7] op_sel_hi:[1,0,1]
	s_nop 0
	v_mov_b32_e32 v9, v5
	v_pk_add_f32 v[2:3], v[2:3], v[8:9]
	s_waitcnt vmcnt(0)
	v_pk_add_f32 v[2:3], v[84:85], v[2:3] neg_lo:[0,1] neg_hi:[0,1]
	scratch_store_dwordx2 off, v[2:3], off offset:248
	s_and_saveexec_b64 s[0:1], vcc
	s_cbranch_execz .LBB119_289
; %bb.288:
	scratch_load_dwordx2 v[2:3], off, off offset:240
	v_mov_b32_e32 v4, 0
	v_mov_b32_e32 v5, v4
	scratch_store_dwordx2 off, v[4:5], off offset:240
	s_waitcnt vmcnt(1)
	ds_write_b64 v1, v[2:3]
.LBB119_289:
	s_or_b64 exec, exec, s[0:1]
	s_waitcnt lgkmcnt(0)
	; wave barrier
	scratch_load_dwordx4 v[2:5], off, off offset:248
	scratch_load_dwordx4 v[22:25], off, off offset:264
	;; [unrolled: 1-line block ×12, first 2 shown]
	scratch_load_dwordx2 v[50:51], off, off offset:440
	scratch_load_dwordx2 v[56:57], off, off offset:240
	v_mov_b32_e32 v58, 0
	ds_read2_b64 v[52:55], v58 offset0:87 offset1:88
	ds_read2_b64 v[60:63], v58 offset0:89 offset1:90
	;; [unrolled: 1-line block ×10, first 2 shown]
	v_cmp_lt_u32_e32 vcc, 29, v0
	s_waitcnt vmcnt(13) lgkmcnt(9)
	v_mul_f32_e32 v59, v52, v3
	v_mul_f32_e32 v96, v54, v5
	v_mul_f32_e32 v3, v53, v3
	s_waitcnt vmcnt(10) lgkmcnt(6)
	v_mul_f32_e32 v103, v68, v11
	v_mul_f32_e32 v11, v69, v11
	v_fmac_f32_e32 v59, v53, v2
	v_mul_f32_e32 v98, v60, v23
	v_mul_f32_e32 v5, v55, v5
	v_fmac_f32_e32 v96, v55, v4
	v_fmac_f32_e32 v103, v69, v10
	v_fma_f32 v2, v52, v2, -v3
	v_fma_f32 v10, v68, v10, -v11
	v_add_f32_e32 v11, 0, v59
	v_mul_f32_e32 v100, v62, v25
	v_fmac_f32_e32 v98, v61, v22
	v_fma_f32 v3, v54, v4, -v5
	v_add_f32_e32 v2, 0, v2
	v_add_f32_e32 v11, v11, v96
	v_mul_f32_e32 v101, v64, v39
	v_fmac_f32_e32 v100, v63, v24
	v_add_f32_e32 v2, v2, v3
	v_add_f32_e32 v3, v11, v98
	v_mul_f32_e32 v102, v66, v41
	v_fmac_f32_e32 v101, v65, v38
	v_add_f32_e32 v3, v3, v100
	v_fmac_f32_e32 v102, v67, v40
	v_add_f32_e32 v3, v3, v101
	v_mul_f32_e32 v104, v70, v13
	v_add_f32_e32 v3, v3, v102
	s_waitcnt vmcnt(9) lgkmcnt(5)
	v_mul_f32_e32 v105, v72, v15
	v_fmac_f32_e32 v104, v71, v12
	v_add_f32_e32 v3, v3, v103
	v_mul_f32_e32 v106, v74, v17
	v_fmac_f32_e32 v105, v73, v14
	v_add_f32_e32 v3, v3, v104
	s_waitcnt vmcnt(8) lgkmcnt(4)
	v_mul_f32_e32 v107, v76, v27
	v_fmac_f32_e32 v106, v75, v16
	v_add_f32_e32 v3, v3, v105
	v_mul_f32_e32 v108, v78, v29
	v_mul_f32_e32 v23, v61, v23
	v_fmac_f32_e32 v107, v77, v26
	v_add_f32_e32 v3, v3, v106
	s_waitcnt vmcnt(7) lgkmcnt(3)
	v_mul_f32_e32 v109, v80, v31
	v_mul_f32_e32 v25, v63, v25
	v_fmac_f32_e32 v108, v79, v28
	v_fma_f32 v4, v60, v22, -v23
	v_add_f32_e32 v3, v3, v107
	v_mul_f32_e32 v110, v82, v33
	v_mul_f32_e32 v39, v65, v39
	v_fmac_f32_e32 v109, v81, v30
	v_fma_f32 v5, v62, v24, -v25
	v_add_f32_e32 v2, v2, v4
	v_add_f32_e32 v3, v3, v108
	s_waitcnt vmcnt(6) lgkmcnt(2)
	v_mul_f32_e32 v111, v84, v43
	v_mul_f32_e32 v41, v67, v41
	v_fmac_f32_e32 v110, v83, v32
	v_fma_f32 v22, v64, v38, -v39
	v_add_f32_e32 v2, v2, v5
	v_add_f32_e32 v3, v3, v109
	v_fmac_f32_e32 v111, v85, v42
	v_fma_f32 v23, v66, v40, -v41
	v_add_f32_e32 v2, v2, v22
	v_add_f32_e32 v3, v3, v110
	;; [unrolled: 1-line block ×4, first 2 shown]
	v_mul_f32_e32 v3, v71, v13
	v_add_f32_e32 v2, v2, v10
	v_fma_f32 v3, v70, v12, -v3
	v_add_f32_e32 v2, v2, v3
	v_mul_f32_e32 v3, v73, v15
	v_fma_f32 v3, v72, v14, -v3
	v_add_f32_e32 v2, v2, v3
	v_mul_f32_e32 v3, v75, v17
	;; [unrolled: 3-line block ×7, first 2 shown]
	v_fma_f32 v3, v84, v42, -v3
	v_mul_f32_e32 v97, v86, v45
	v_add_f32_e32 v22, v2, v3
	v_mul_f32_e32 v2, v87, v45
	v_fmac_f32_e32 v97, v87, v44
	v_fma_f32 v96, v86, v44, -v2
	v_pk_add_f32 v[16:17], v[22:23], v[96:97]
	s_waitcnt vmcnt(5)
	v_mov_b32_e32 v22, v49
	s_waitcnt lgkmcnt(1)
	v_mul_f32_e32 v99, v88, v47
	v_mul_f32_e32 v2, v89, v47
	v_pk_mul_f32 v[22:23], v[90:91], v[22:23] op_sel:[1,0] op_sel_hi:[0,0]
	v_fmac_f32_e32 v99, v89, v46
	v_fma_f32 v98, v88, v46, -v2
	v_pk_fma_f32 v[24:25], v[90:91], v[48:49], v[22:23] neg_lo:[0,0,1] neg_hi:[0,0,1]
	v_pk_fma_f32 v[22:23], v[90:91], v[48:49], v[22:23] op_sel_hi:[1,0,1]
	v_pk_add_f32 v[16:17], v[16:17], v[98:99]
	v_mov_b32_e32 v25, v23
	s_waitcnt vmcnt(4) lgkmcnt(0)
	v_pk_mul_f32 v[22:23], v[92:93], v[34:35] op_sel:[1,1] op_sel_hi:[0,1]
	v_pk_add_f32 v[16:17], v[16:17], v[24:25]
	v_pk_fma_f32 v[24:25], v[92:93], v[34:35], v[22:23] neg_lo:[0,0,1] neg_hi:[0,0,1]
	v_pk_fma_f32 v[22:23], v[92:93], v[34:35], v[22:23] op_sel_hi:[1,0,1]
	ds_read2_b64 v[2:5], v58 offset0:107 offset1:108
	ds_read2_b64 v[10:13], v58 offset0:109 offset1:110
	ds_read_b64 v[14:15], v58 offset:888
	v_mov_b32_e32 v22, v37
	v_mov_b32_e32 v25, v23
	v_pk_mul_f32 v[22:23], v[94:95], v[22:23] op_sel:[1,0] op_sel_hi:[0,0]
	v_pk_add_f32 v[16:17], v[16:17], v[24:25]
	v_pk_fma_f32 v[24:25], v[94:95], v[36:37], v[22:23] neg_lo:[0,0,1] neg_hi:[0,0,1]
	v_pk_fma_f32 v[22:23], v[94:95], v[36:37], v[22:23] op_sel_hi:[1,0,1]
	s_nop 0
	v_mov_b32_e32 v25, v23
	s_waitcnt vmcnt(3) lgkmcnt(2)
	v_pk_mul_f32 v[22:23], v[2:3], v[18:19] op_sel:[1,1] op_sel_hi:[0,1]
	v_pk_add_f32 v[16:17], v[16:17], v[24:25]
	v_pk_fma_f32 v[24:25], v[2:3], v[18:19], v[22:23] neg_lo:[0,0,1] neg_hi:[0,0,1]
	v_pk_fma_f32 v[2:3], v[2:3], v[18:19], v[22:23] op_sel_hi:[1,0,1]
	s_nop 0
	v_mov_b32_e32 v25, v3
	v_pk_add_f32 v[2:3], v[16:17], v[24:25]
	v_mov_b32_e32 v16, v21
	v_pk_mul_f32 v[16:17], v[4:5], v[16:17] op_sel:[1,0] op_sel_hi:[0,0]
	v_pk_fma_f32 v[18:19], v[4:5], v[20:21], v[16:17] neg_lo:[0,0,1] neg_hi:[0,0,1]
	v_pk_fma_f32 v[4:5], v[4:5], v[20:21], v[16:17] op_sel_hi:[1,0,1]
	s_nop 0
	v_mov_b32_e32 v19, v5
	s_waitcnt vmcnt(2) lgkmcnt(1)
	v_pk_mul_f32 v[4:5], v[10:11], v[6:7] op_sel:[1,1] op_sel_hi:[0,1]
	v_pk_fma_f32 v[16:17], v[10:11], v[6:7], v[4:5] neg_lo:[0,0,1] neg_hi:[0,0,1]
	v_pk_fma_f32 v[4:5], v[10:11], v[6:7], v[4:5] op_sel_hi:[1,0,1]
	v_pk_add_f32 v[2:3], v[2:3], v[18:19]
	v_mov_b32_e32 v4, v9
	v_mov_b32_e32 v17, v5
	v_pk_mul_f32 v[4:5], v[12:13], v[4:5] op_sel:[1,0] op_sel_hi:[0,0]
	v_pk_fma_f32 v[6:7], v[12:13], v[8:9], v[4:5] neg_lo:[0,0,1] neg_hi:[0,0,1]
	v_pk_fma_f32 v[4:5], v[12:13], v[8:9], v[4:5] op_sel_hi:[1,0,1]
	v_pk_add_f32 v[2:3], v[2:3], v[16:17]
	v_mov_b32_e32 v7, v5
	s_waitcnt vmcnt(1) lgkmcnt(0)
	v_pk_mul_f32 v[4:5], v[14:15], v[50:51] op_sel:[1,1] op_sel_hi:[0,1]
	v_pk_add_f32 v[2:3], v[2:3], v[6:7]
	v_pk_fma_f32 v[6:7], v[14:15], v[50:51], v[4:5] neg_lo:[0,0,1] neg_hi:[0,0,1]
	v_pk_fma_f32 v[4:5], v[14:15], v[50:51], v[4:5] op_sel_hi:[1,0,1]
	s_nop 0
	v_mov_b32_e32 v7, v5
	v_pk_add_f32 v[2:3], v[2:3], v[6:7]
	s_waitcnt vmcnt(0)
	v_pk_add_f32 v[2:3], v[56:57], v[2:3] neg_lo:[0,1] neg_hi:[0,1]
	scratch_store_dwordx2 off, v[2:3], off offset:240
	s_and_saveexec_b64 s[0:1], vcc
	s_cbranch_execz .LBB119_291
; %bb.290:
	scratch_load_dwordx2 v[2:3], off, off offset:232
	v_mov_b32_e32 v59, v58
	scratch_store_dwordx2 off, v[58:59], off offset:232
	s_waitcnt vmcnt(1)
	ds_write_b64 v1, v[2:3]
.LBB119_291:
	s_or_b64 exec, exec, s[0:1]
	s_waitcnt lgkmcnt(0)
	; wave barrier
	scratch_load_dwordx4 v[10:13], off, off offset:240
	scratch_load_dwordx4 v[26:29], off, off offset:256
	;; [unrolled: 1-line block ×9, first 2 shown]
	ds_read_b128 v[60:63], v58 offset:688
	ds_read_b128 v[64:67], v58 offset:704
	;; [unrolled: 1-line block ×8, first 2 shown]
	scratch_load_dwordx4 v[50:53], off, off offset:384
	scratch_load_dwordx4 v[34:37], off, off offset:400
	;; [unrolled: 1-line block ×4, first 2 shown]
	ds_read_b128 v[88:91], v58 offset:816
	ds_read_b128 v[92:95], v58 offset:832
	scratch_load_dwordx2 v[96:97], off, off offset:232
	v_cmp_lt_u32_e32 vcc, 28, v0
	s_waitcnt vmcnt(13) lgkmcnt(9)
	v_mul_f32_e32 v59, v60, v11
	v_mul_f32_e32 v98, v62, v13
	v_fmac_f32_e32 v59, v61, v10
	s_waitcnt vmcnt(10) lgkmcnt(6)
	v_mul_f32_e32 v105, v72, v3
	v_mul_f32_e32 v3, v73, v3
	;; [unrolled: 1-line block ×3, first 2 shown]
	v_fmac_f32_e32 v98, v63, v12
	v_fmac_f32_e32 v105, v73, v2
	v_fma_f32 v2, v72, v2, -v3
	v_add_f32_e32 v3, 0, v59
	v_mul_f32_e32 v102, v66, v29
	v_fmac_f32_e32 v100, v65, v26
	v_add_f32_e32 v3, v3, v98
	v_mul_f32_e32 v103, v68, v43
	v_fmac_f32_e32 v102, v67, v28
	;; [unrolled: 3-line block ×3, first 2 shown]
	v_add_f32_e32 v3, v3, v102
	v_fmac_f32_e32 v104, v71, v44
	v_add_f32_e32 v3, v3, v103
	v_mul_f32_e32 v106, v74, v5
	v_add_f32_e32 v3, v3, v104
	s_waitcnt vmcnt(9) lgkmcnt(5)
	v_mul_f32_e32 v107, v76, v15
	v_fmac_f32_e32 v106, v75, v4
	v_add_f32_e32 v3, v3, v105
	v_mul_f32_e32 v108, v78, v17
	v_fmac_f32_e32 v107, v77, v14
	v_add_f32_e32 v3, v3, v106
	s_waitcnt vmcnt(8) lgkmcnt(4)
	v_mul_f32_e32 v109, v80, v19
	v_mul_f32_e32 v11, v61, v11
	v_fmac_f32_e32 v108, v79, v16
	v_add_f32_e32 v3, v3, v107
	v_mul_f32_e32 v110, v82, v21
	v_mul_f32_e32 v13, v63, v13
	v_fmac_f32_e32 v109, v81, v18
	v_fma_f32 v10, v60, v10, -v11
	v_add_f32_e32 v3, v3, v108
	s_waitcnt vmcnt(7) lgkmcnt(3)
	v_mul_f32_e32 v111, v84, v31
	v_mul_f32_e32 v27, v65, v27
	v_fmac_f32_e32 v110, v83, v20
	v_fma_f32 v11, v62, v12, -v13
	v_add_f32_e32 v10, 0, v10
	v_add_f32_e32 v3, v3, v109
	v_mul_f32_e32 v112, v86, v33
	v_mul_f32_e32 v29, v67, v29
	v_fmac_f32_e32 v111, v85, v30
	v_fma_f32 v12, v64, v26, -v27
	v_add_f32_e32 v10, v10, v11
	v_add_f32_e32 v3, v3, v110
	s_waitcnt vmcnt(6) lgkmcnt(2)
	v_mul_f32_e32 v113, v54, v39
	v_mul_f32_e32 v43, v69, v43
	v_fmac_f32_e32 v112, v87, v32
	v_fma_f32 v13, v66, v28, -v29
	v_add_f32_e32 v10, v10, v12
	v_add_f32_e32 v3, v3, v111
	v_mul_f32_e32 v114, v56, v41
	v_mul_f32_e32 v45, v71, v45
	v_fmac_f32_e32 v113, v55, v38
	v_fma_f32 v26, v68, v42, -v43
	v_add_f32_e32 v10, v10, v13
	v_add_f32_e32 v3, v3, v112
	v_fmac_f32_e32 v114, v57, v40
	v_fma_f32 v27, v70, v44, -v45
	v_add_f32_e32 v10, v10, v26
	v_add_f32_e32 v3, v3, v113
	;; [unrolled: 1-line block ×4, first 2 shown]
	v_mul_f32_e32 v3, v75, v5
	v_add_f32_e32 v2, v10, v2
	v_fma_f32 v3, v74, v4, -v3
	v_add_f32_e32 v2, v2, v3
	v_mul_f32_e32 v3, v77, v15
	v_fma_f32 v3, v76, v14, -v3
	v_add_f32_e32 v2, v2, v3
	v_mul_f32_e32 v3, v79, v17
	;; [unrolled: 3-line block ×8, first 2 shown]
	v_fma_f32 v3, v56, v40, -v3
	s_waitcnt vmcnt(5) lgkmcnt(1)
	v_mul_f32_e32 v99, v88, v47
	v_add_f32_e32 v26, v2, v3
	v_mul_f32_e32 v2, v89, v47
	v_fmac_f32_e32 v99, v89, v46
	v_fma_f32 v98, v88, v46, -v2
	s_waitcnt vmcnt(4) lgkmcnt(0)
	v_pk_mul_f32 v[20:21], v[92:93], v[50:51] op_sel:[1,1] op_sel_hi:[0,1]
	v_mul_f32_e32 v101, v90, v49
	v_mul_f32_e32 v2, v91, v49
	v_pk_add_f32 v[18:19], v[26:27], v[98:99]
	v_pk_fma_f32 v[26:27], v[92:93], v[50:51], v[20:21] neg_lo:[0,0,1] neg_hi:[0,0,1]
	v_pk_fma_f32 v[20:21], v[92:93], v[50:51], v[20:21] op_sel_hi:[1,0,1]
	v_fmac_f32_e32 v101, v91, v48
	v_fma_f32 v100, v90, v48, -v2
	ds_read_b128 v[2:5], v58 offset:848
	ds_read_b128 v[10:13], v58 offset:864
	;; [unrolled: 1-line block ×3, first 2 shown]
	v_mov_b32_e32 v20, v53
	v_pk_add_f32 v[18:19], v[18:19], v[100:101]
	v_mov_b32_e32 v27, v21
	v_pk_mul_f32 v[20:21], v[94:95], v[20:21] op_sel:[1,0] op_sel_hi:[0,0]
	v_pk_add_f32 v[18:19], v[18:19], v[26:27]
	v_pk_fma_f32 v[26:27], v[94:95], v[52:53], v[20:21] neg_lo:[0,0,1] neg_hi:[0,0,1]
	v_pk_fma_f32 v[20:21], v[94:95], v[52:53], v[20:21] op_sel_hi:[1,0,1]
	s_nop 0
	v_mov_b32_e32 v27, v21
	s_waitcnt vmcnt(3) lgkmcnt(2)
	v_pk_mul_f32 v[20:21], v[2:3], v[34:35] op_sel:[1,1] op_sel_hi:[0,1]
	v_pk_add_f32 v[18:19], v[18:19], v[26:27]
	v_pk_fma_f32 v[26:27], v[2:3], v[34:35], v[20:21] neg_lo:[0,0,1] neg_hi:[0,0,1]
	v_pk_fma_f32 v[2:3], v[2:3], v[34:35], v[20:21] op_sel_hi:[1,0,1]
	s_nop 0
	v_mov_b32_e32 v27, v3
	v_pk_add_f32 v[2:3], v[18:19], v[26:27]
	v_mov_b32_e32 v18, v37
	v_pk_mul_f32 v[18:19], v[4:5], v[18:19] op_sel:[1,0] op_sel_hi:[0,0]
	v_pk_fma_f32 v[20:21], v[4:5], v[36:37], v[18:19] neg_lo:[0,0,1] neg_hi:[0,0,1]
	v_pk_fma_f32 v[4:5], v[4:5], v[36:37], v[18:19] op_sel_hi:[1,0,1]
	s_nop 0
	v_mov_b32_e32 v21, v5
	s_waitcnt vmcnt(2) lgkmcnt(1)
	v_pk_mul_f32 v[4:5], v[10:11], v[22:23] op_sel:[1,1] op_sel_hi:[0,1]
	v_pk_fma_f32 v[18:19], v[10:11], v[22:23], v[4:5] neg_lo:[0,0,1] neg_hi:[0,0,1]
	v_pk_fma_f32 v[4:5], v[10:11], v[22:23], v[4:5] op_sel_hi:[1,0,1]
	v_pk_add_f32 v[2:3], v[2:3], v[20:21]
	v_mov_b32_e32 v4, v25
	v_mov_b32_e32 v19, v5
	v_pk_mul_f32 v[4:5], v[12:13], v[4:5] op_sel:[1,0] op_sel_hi:[0,0]
	v_pk_fma_f32 v[10:11], v[12:13], v[24:25], v[4:5] neg_lo:[0,0,1] neg_hi:[0,0,1]
	v_pk_fma_f32 v[4:5], v[12:13], v[24:25], v[4:5] op_sel_hi:[1,0,1]
	v_pk_add_f32 v[2:3], v[2:3], v[18:19]
	v_mov_b32_e32 v11, v5
	s_waitcnt vmcnt(1) lgkmcnt(0)
	v_pk_mul_f32 v[4:5], v[14:15], v[6:7] op_sel:[1,1] op_sel_hi:[0,1]
	v_pk_add_f32 v[2:3], v[2:3], v[10:11]
	v_pk_fma_f32 v[10:11], v[14:15], v[6:7], v[4:5] neg_lo:[0,0,1] neg_hi:[0,0,1]
	v_pk_fma_f32 v[4:5], v[14:15], v[6:7], v[4:5] op_sel_hi:[1,0,1]
	s_nop 0
	v_mov_b32_e32 v4, v9
	v_mov_b32_e32 v11, v5
	v_pk_mul_f32 v[4:5], v[16:17], v[4:5] op_sel:[1,0] op_sel_hi:[0,0]
	v_pk_fma_f32 v[6:7], v[16:17], v[8:9], v[4:5] neg_lo:[0,0,1] neg_hi:[0,0,1]
	v_pk_fma_f32 v[4:5], v[16:17], v[8:9], v[4:5] op_sel_hi:[1,0,1]
	v_pk_add_f32 v[2:3], v[2:3], v[10:11]
	v_mov_b32_e32 v7, v5
	v_pk_add_f32 v[2:3], v[2:3], v[6:7]
	s_waitcnt vmcnt(0)
	v_pk_add_f32 v[2:3], v[96:97], v[2:3] neg_lo:[0,1] neg_hi:[0,1]
	scratch_store_dwordx2 off, v[2:3], off offset:232
	s_and_saveexec_b64 s[0:1], vcc
	s_cbranch_execz .LBB119_293
; %bb.292:
	scratch_load_dwordx2 v[2:3], off, off offset:224
	v_mov_b32_e32 v4, 0
	v_mov_b32_e32 v5, v4
	scratch_store_dwordx2 off, v[4:5], off offset:224
	s_waitcnt vmcnt(1)
	ds_write_b64 v1, v[2:3]
.LBB119_293:
	s_or_b64 exec, exec, s[0:1]
	s_waitcnt lgkmcnt(0)
	; wave barrier
	scratch_load_dwordx4 v[10:13], off, off offset:232
	scratch_load_dwordx4 v[30:33], off, off offset:248
	;; [unrolled: 1-line block ×13, first 2 shown]
	scratch_load_dwordx2 v[54:55], off, off offset:440
	scratch_load_dwordx2 v[80:81], off, off offset:224
	v_mov_b32_e32 v82, 0
	ds_read2_b64 v[56:59], v82 offset0:85 offset1:86
	ds_read2_b64 v[60:63], v82 offset0:87 offset1:88
	;; [unrolled: 1-line block ×10, first 2 shown]
	v_cmp_lt_u32_e32 vcc, 27, v0
	s_waitcnt vmcnt(14) lgkmcnt(9)
	v_mul_f32_e32 v83, v56, v11
	v_mul_f32_e32 v100, v58, v13
	s_waitcnt vmcnt(12) lgkmcnt(7)
	v_mul_f32_e32 v105, v64, v3
	v_mul_f32_e32 v3, v65, v3
	v_fmac_f32_e32 v83, v57, v10
	v_mul_f32_e32 v102, v60, v31
	v_fmac_f32_e32 v100, v59, v12
	v_fmac_f32_e32 v105, v65, v2
	v_fma_f32 v2, v64, v2, -v3
	v_add_f32_e32 v3, 0, v83
	v_mul_f32_e32 v104, v62, v33
	v_fmac_f32_e32 v102, v61, v30
	v_add_f32_e32 v3, v3, v100
	v_fmac_f32_e32 v104, v63, v32
	v_add_f32_e32 v3, v3, v102
	v_mul_f32_e32 v106, v66, v5
	v_add_f32_e32 v3, v3, v104
	s_waitcnt vmcnt(11) lgkmcnt(6)
	v_mul_f32_e32 v107, v68, v7
	v_fmac_f32_e32 v106, v67, v4
	v_add_f32_e32 v3, v3, v105
	v_mul_f32_e32 v108, v70, v9
	v_fmac_f32_e32 v107, v69, v6
	v_add_f32_e32 v3, v3, v106
	s_waitcnt vmcnt(10) lgkmcnt(5)
	v_mul_f32_e32 v109, v72, v19
	v_fmac_f32_e32 v108, v71, v8
	v_add_f32_e32 v3, v3, v107
	v_mul_f32_e32 v110, v74, v21
	v_fmac_f32_e32 v109, v73, v18
	;; [unrolled: 7-line block ×3, first 2 shown]
	v_add_f32_e32 v3, v3, v110
	s_waitcnt vmcnt(8) lgkmcnt(3)
	v_mul_f32_e32 v113, v84, v35
	v_mul_f32_e32 v11, v57, v11
	v_fmac_f32_e32 v112, v79, v24
	v_add_f32_e32 v3, v3, v111
	v_mul_f32_e32 v114, v86, v37
	v_mul_f32_e32 v13, v59, v13
	v_fmac_f32_e32 v113, v85, v34
	v_fma_f32 v10, v56, v10, -v11
	v_add_f32_e32 v3, v3, v112
	s_waitcnt vmcnt(7) lgkmcnt(2)
	v_mul_f32_e32 v115, v88, v39
	v_mul_f32_e32 v31, v61, v31
	v_fmac_f32_e32 v114, v87, v36
	v_fma_f32 v11, v58, v12, -v13
	v_add_f32_e32 v10, 0, v10
	v_add_f32_e32 v3, v3, v113
	v_mul_f32_e32 v116, v90, v41
	v_mul_f32_e32 v33, v63, v33
	v_fmac_f32_e32 v115, v89, v38
	v_fma_f32 v12, v60, v30, -v31
	v_add_f32_e32 v10, v10, v11
	v_add_f32_e32 v3, v3, v114
	s_waitcnt vmcnt(6) lgkmcnt(1)
	v_mul_f32_e32 v117, v92, v51
	v_fmac_f32_e32 v116, v91, v40
	v_fma_f32 v13, v62, v32, -v33
	v_add_f32_e32 v10, v10, v12
	v_add_f32_e32 v3, v3, v115
	v_mul_f32_e32 v5, v67, v5
	v_fmac_f32_e32 v117, v93, v50
	v_add_f32_e32 v10, v10, v13
	v_add_f32_e32 v3, v3, v116
	;; [unrolled: 1-line block ×4, first 2 shown]
	v_fma_f32 v3, v66, v4, -v5
	v_add_f32_e32 v2, v2, v3
	v_mul_f32_e32 v3, v69, v7
	v_fma_f32 v3, v68, v6, -v3
	v_add_f32_e32 v2, v2, v3
	v_mul_f32_e32 v3, v71, v9
	;; [unrolled: 3-line block ×12, first 2 shown]
	v_mul_f32_e32 v101, v94, v53
	v_fma_f32 v100, v94, v52, -v2
	s_waitcnt vmcnt(5) lgkmcnt(0)
	v_mul_f32_e32 v2, v97, v47
	v_mov_b32_e32 v22, v49
	v_mul_f32_e32 v103, v96, v47
	v_fmac_f32_e32 v101, v95, v52
	v_fma_f32 v102, v96, v46, -v2
	ds_read2_b64 v[2:5], v82 offset0:105 offset1:106
	ds_read2_b64 v[6:9], v82 offset0:107 offset1:108
	;; [unrolled: 1-line block ×3, first 2 shown]
	ds_read_b64 v[18:19], v82 offset:888
	v_pk_mul_f32 v[22:23], v[98:99], v[22:23] op_sel:[1,0] op_sel_hi:[0,0]
	v_fmac_f32_e32 v103, v97, v46
	v_pk_add_f32 v[20:21], v[30:31], v[100:101]
	v_pk_fma_f32 v[24:25], v[98:99], v[48:49], v[22:23] neg_lo:[0,0,1] neg_hi:[0,0,1]
	v_pk_fma_f32 v[22:23], v[98:99], v[48:49], v[22:23] op_sel_hi:[1,0,1]
	v_pk_add_f32 v[20:21], v[20:21], v[102:103]
	v_mov_b32_e32 v25, v23
	s_waitcnt vmcnt(4) lgkmcnt(3)
	v_pk_mul_f32 v[22:23], v[2:3], v[42:43] op_sel:[1,1] op_sel_hi:[0,1]
	v_pk_add_f32 v[20:21], v[20:21], v[24:25]
	v_pk_fma_f32 v[24:25], v[2:3], v[42:43], v[22:23] neg_lo:[0,0,1] neg_hi:[0,0,1]
	v_pk_fma_f32 v[2:3], v[2:3], v[42:43], v[22:23] op_sel_hi:[1,0,1]
	s_nop 0
	v_mov_b32_e32 v25, v3
	v_pk_add_f32 v[2:3], v[20:21], v[24:25]
	v_mov_b32_e32 v20, v45
	v_pk_mul_f32 v[20:21], v[4:5], v[20:21] op_sel:[1,0] op_sel_hi:[0,0]
	v_pk_fma_f32 v[22:23], v[4:5], v[44:45], v[20:21] neg_lo:[0,0,1] neg_hi:[0,0,1]
	v_pk_fma_f32 v[4:5], v[4:5], v[44:45], v[20:21] op_sel_hi:[1,0,1]
	s_nop 0
	v_mov_b32_e32 v23, v5
	s_waitcnt vmcnt(3) lgkmcnt(2)
	v_pk_mul_f32 v[4:5], v[6:7], v[26:27] op_sel:[1,1] op_sel_hi:[0,1]
	v_pk_fma_f32 v[20:21], v[6:7], v[26:27], v[4:5] neg_lo:[0,0,1] neg_hi:[0,0,1]
	v_pk_fma_f32 v[4:5], v[6:7], v[26:27], v[4:5] op_sel_hi:[1,0,1]
	v_pk_add_f32 v[2:3], v[2:3], v[22:23]
	v_mov_b32_e32 v4, v29
	v_mov_b32_e32 v21, v5
	v_pk_mul_f32 v[4:5], v[8:9], v[4:5] op_sel:[1,0] op_sel_hi:[0,0]
	v_pk_fma_f32 v[6:7], v[8:9], v[28:29], v[4:5] neg_lo:[0,0,1] neg_hi:[0,0,1]
	v_pk_fma_f32 v[4:5], v[8:9], v[28:29], v[4:5] op_sel_hi:[1,0,1]
	v_pk_add_f32 v[2:3], v[2:3], v[20:21]
	v_mov_b32_e32 v7, v5
	s_waitcnt vmcnt(2) lgkmcnt(1)
	v_pk_mul_f32 v[4:5], v[10:11], v[14:15] op_sel:[1,1] op_sel_hi:[0,1]
	v_pk_add_f32 v[2:3], v[2:3], v[6:7]
	v_pk_fma_f32 v[6:7], v[10:11], v[14:15], v[4:5] neg_lo:[0,0,1] neg_hi:[0,0,1]
	v_pk_fma_f32 v[4:5], v[10:11], v[14:15], v[4:5] op_sel_hi:[1,0,1]
	s_nop 0
	v_mov_b32_e32 v4, v17
	v_mov_b32_e32 v7, v5
	v_pk_mul_f32 v[4:5], v[12:13], v[4:5] op_sel:[1,0] op_sel_hi:[0,0]
	v_pk_add_f32 v[2:3], v[2:3], v[6:7]
	v_pk_fma_f32 v[6:7], v[12:13], v[16:17], v[4:5] neg_lo:[0,0,1] neg_hi:[0,0,1]
	v_pk_fma_f32 v[4:5], v[12:13], v[16:17], v[4:5] op_sel_hi:[1,0,1]
	s_nop 0
	v_mov_b32_e32 v7, v5
	s_waitcnt vmcnt(1) lgkmcnt(0)
	v_pk_mul_f32 v[4:5], v[18:19], v[54:55] op_sel:[1,1] op_sel_hi:[0,1]
	v_pk_add_f32 v[2:3], v[2:3], v[6:7]
	v_pk_fma_f32 v[6:7], v[18:19], v[54:55], v[4:5] neg_lo:[0,0,1] neg_hi:[0,0,1]
	v_pk_fma_f32 v[4:5], v[18:19], v[54:55], v[4:5] op_sel_hi:[1,0,1]
	s_nop 0
	v_mov_b32_e32 v7, v5
	v_pk_add_f32 v[2:3], v[2:3], v[6:7]
	s_waitcnt vmcnt(0)
	v_pk_add_f32 v[2:3], v[80:81], v[2:3] neg_lo:[0,1] neg_hi:[0,1]
	scratch_store_dwordx2 off, v[2:3], off offset:224
	s_and_saveexec_b64 s[0:1], vcc
	s_cbranch_execz .LBB119_295
; %bb.294:
	scratch_load_dwordx2 v[2:3], off, off offset:216
	v_mov_b32_e32 v83, v82
	scratch_store_dwordx2 off, v[82:83], off offset:216
	s_waitcnt vmcnt(1)
	ds_write_b64 v1, v[2:3]
.LBB119_295:
	s_or_b64 exec, exec, s[0:1]
	s_waitcnt lgkmcnt(0)
	; wave barrier
	scratch_load_dwordx4 v[18:21], off, off offset:224
	scratch_load_dwordx4 v[34:37], off, off offset:240
	;; [unrolled: 1-line block ×10, first 2 shown]
	ds_read_b128 v[84:87], v82 offset:672
	ds_read_b128 v[88:91], v82 offset:688
	;; [unrolled: 1-line block ×10, first 2 shown]
	scratch_load_dwordx4 v[54:57], off, off offset:384
	scratch_load_dwordx4 v[46:49], off, off offset:400
	;; [unrolled: 1-line block ×4, first 2 shown]
	scratch_load_dwordx2 v[100:101], off, off offset:216
	v_cmp_lt_u32_e32 vcc, 26, v0
	s_waitcnt vmcnt(14) lgkmcnt(9)
	v_mul_f32_e32 v83, v84, v19
	v_mul_f32_e32 v102, v86, v21
	s_waitcnt vmcnt(12) lgkmcnt(7)
	v_mul_f32_e32 v107, v92, v3
	v_mul_f32_e32 v3, v93, v3
	v_fmac_f32_e32 v83, v85, v18
	v_mul_f32_e32 v104, v88, v35
	v_fmac_f32_e32 v102, v87, v20
	v_fmac_f32_e32 v107, v93, v2
	v_fma_f32 v2, v92, v2, -v3
	v_add_f32_e32 v3, 0, v83
	v_mul_f32_e32 v106, v90, v37
	v_fmac_f32_e32 v104, v89, v34
	v_add_f32_e32 v3, v3, v102
	v_fmac_f32_e32 v106, v91, v36
	v_add_f32_e32 v3, v3, v104
	v_mul_f32_e32 v108, v94, v5
	v_add_f32_e32 v3, v3, v106
	s_waitcnt vmcnt(11) lgkmcnt(6)
	v_mul_f32_e32 v109, v96, v7
	v_fmac_f32_e32 v108, v95, v4
	v_add_f32_e32 v3, v3, v107
	v_mul_f32_e32 v110, v98, v9
	v_fmac_f32_e32 v109, v97, v6
	v_add_f32_e32 v3, v3, v108
	s_waitcnt vmcnt(10) lgkmcnt(5)
	v_mul_f32_e32 v111, v78, v11
	v_fmac_f32_e32 v110, v99, v8
	v_add_f32_e32 v3, v3, v109
	v_mul_f32_e32 v112, v80, v13
	v_fmac_f32_e32 v111, v79, v10
	;; [unrolled: 7-line block ×4, first 2 shown]
	v_add_f32_e32 v3, v3, v114
	s_waitcnt vmcnt(7) lgkmcnt(2)
	v_mul_f32_e32 v117, v66, v39
	v_mul_f32_e32 v19, v85, v19
	v_fmac_f32_e32 v116, v73, v28
	v_add_f32_e32 v3, v3, v115
	v_mul_f32_e32 v118, v68, v41
	v_mul_f32_e32 v21, v87, v21
	v_fmac_f32_e32 v117, v67, v38
	v_fma_f32 v18, v84, v18, -v19
	v_add_f32_e32 v3, v3, v116
	s_waitcnt vmcnt(6) lgkmcnt(1)
	v_mul_f32_e32 v119, v62, v43
	v_mul_f32_e32 v35, v89, v35
	v_fmac_f32_e32 v118, v69, v40
	v_fma_f32 v19, v86, v20, -v21
	v_add_f32_e32 v18, 0, v18
	v_add_f32_e32 v3, v3, v117
	v_mul_f32_e32 v120, v64, v45
	v_mul_f32_e32 v37, v91, v37
	v_fmac_f32_e32 v119, v63, v42
	v_fma_f32 v20, v88, v34, -v35
	v_add_f32_e32 v18, v18, v19
	v_add_f32_e32 v3, v3, v118
	v_fmac_f32_e32 v120, v65, v44
	v_fma_f32 v21, v90, v36, -v37
	v_add_f32_e32 v18, v18, v20
	v_add_f32_e32 v3, v3, v119
	v_add_f32_e32 v18, v18, v21
	v_add_f32_e32 v35, v3, v120
	v_mul_f32_e32 v3, v95, v5
	v_add_f32_e32 v2, v18, v2
	v_fma_f32 v3, v94, v4, -v3
	v_add_f32_e32 v2, v2, v3
	v_mul_f32_e32 v3, v97, v7
	v_fma_f32 v3, v96, v6, -v3
	v_add_f32_e32 v2, v2, v3
	v_mul_f32_e32 v3, v99, v9
	v_fma_f32 v3, v98, v8, -v3
	v_add_f32_e32 v2, v2, v3
	v_mul_f32_e32 v3, v79, v11
	v_fma_f32 v3, v78, v10, -v3
	v_add_f32_e32 v2, v2, v3
	v_mul_f32_e32 v3, v81, v13
	v_fma_f32 v3, v80, v12, -v3
	v_add_f32_e32 v2, v2, v3
	v_mul_f32_e32 v3, v75, v23
	v_fma_f32 v3, v74, v22, -v3
	v_add_f32_e32 v2, v2, v3
	v_mul_f32_e32 v3, v77, v25
	v_fma_f32 v3, v76, v24, -v3
	v_add_f32_e32 v2, v2, v3
	v_mul_f32_e32 v3, v71, v27
	v_fma_f32 v3, v70, v26, -v3
	v_add_f32_e32 v2, v2, v3
	v_mul_f32_e32 v3, v73, v29
	v_fma_f32 v3, v72, v28, -v3
	v_add_f32_e32 v2, v2, v3
	v_mul_f32_e32 v3, v67, v39
	v_fma_f32 v3, v66, v38, -v3
	v_add_f32_e32 v2, v2, v3
	v_mul_f32_e32 v3, v69, v41
	v_fma_f32 v3, v68, v40, -v3
	v_add_f32_e32 v2, v2, v3
	v_mul_f32_e32 v3, v63, v43
	v_fma_f32 v3, v62, v42, -v3
	v_add_f32_e32 v2, v2, v3
	v_mul_f32_e32 v3, v65, v45
	v_fma_f32 v3, v64, v44, -v3
	v_add_f32_e32 v34, v2, v3
	s_waitcnt vmcnt(5) lgkmcnt(0)
	v_mul_f32_e32 v2, v59, v51
	v_fma_f32 v102, v58, v50, -v2
	v_mul_f32_e32 v2, v61, v53
	v_fma_f32 v104, v60, v52, -v2
	ds_read_b128 v[2:5], v82 offset:832
	ds_read_b128 v[6:9], v82 offset:848
	ds_read_b128 v[10:13], v82 offset:864
	ds_read_b128 v[18:21], v82 offset:880
	v_mul_f32_e32 v103, v58, v51
	v_mul_f32_e32 v105, v60, v53
	v_fmac_f32_e32 v103, v59, v50
	s_waitcnt vmcnt(4) lgkmcnt(3)
	v_pk_mul_f32 v[24:25], v[2:3], v[54:55] op_sel:[1,1] op_sel_hi:[0,1]
	v_fmac_f32_e32 v105, v61, v52
	v_pk_add_f32 v[22:23], v[34:35], v[102:103]
	v_pk_fma_f32 v[26:27], v[2:3], v[54:55], v[24:25] neg_lo:[0,0,1] neg_hi:[0,0,1]
	v_pk_fma_f32 v[2:3], v[2:3], v[54:55], v[24:25] op_sel_hi:[1,0,1]
	v_pk_add_f32 v[22:23], v[22:23], v[104:105]
	v_mov_b32_e32 v27, v3
	v_pk_add_f32 v[2:3], v[22:23], v[26:27]
	v_mov_b32_e32 v22, v57
	v_pk_mul_f32 v[22:23], v[4:5], v[22:23] op_sel:[1,0] op_sel_hi:[0,0]
	v_pk_fma_f32 v[24:25], v[4:5], v[56:57], v[22:23] neg_lo:[0,0,1] neg_hi:[0,0,1]
	v_pk_fma_f32 v[4:5], v[4:5], v[56:57], v[22:23] op_sel_hi:[1,0,1]
	s_nop 0
	v_mov_b32_e32 v25, v5
	s_waitcnt vmcnt(3) lgkmcnt(2)
	v_pk_mul_f32 v[4:5], v[6:7], v[46:47] op_sel:[1,1] op_sel_hi:[0,1]
	v_pk_fma_f32 v[22:23], v[6:7], v[46:47], v[4:5] neg_lo:[0,0,1] neg_hi:[0,0,1]
	v_pk_fma_f32 v[4:5], v[6:7], v[46:47], v[4:5] op_sel_hi:[1,0,1]
	v_pk_add_f32 v[2:3], v[2:3], v[24:25]
	v_mov_b32_e32 v4, v49
	v_mov_b32_e32 v23, v5
	v_pk_mul_f32 v[4:5], v[8:9], v[4:5] op_sel:[1,0] op_sel_hi:[0,0]
	v_pk_fma_f32 v[6:7], v[8:9], v[48:49], v[4:5] neg_lo:[0,0,1] neg_hi:[0,0,1]
	v_pk_fma_f32 v[4:5], v[8:9], v[48:49], v[4:5] op_sel_hi:[1,0,1]
	v_pk_add_f32 v[2:3], v[2:3], v[22:23]
	v_mov_b32_e32 v7, v5
	s_waitcnt vmcnt(2) lgkmcnt(1)
	v_pk_mul_f32 v[4:5], v[10:11], v[30:31] op_sel:[1,1] op_sel_hi:[0,1]
	v_pk_add_f32 v[2:3], v[2:3], v[6:7]
	v_pk_fma_f32 v[6:7], v[10:11], v[30:31], v[4:5] neg_lo:[0,0,1] neg_hi:[0,0,1]
	v_pk_fma_f32 v[4:5], v[10:11], v[30:31], v[4:5] op_sel_hi:[1,0,1]
	s_nop 0
	v_mov_b32_e32 v4, v33
	v_mov_b32_e32 v7, v5
	v_pk_mul_f32 v[4:5], v[12:13], v[4:5] op_sel:[1,0] op_sel_hi:[0,0]
	v_pk_add_f32 v[2:3], v[2:3], v[6:7]
	v_pk_fma_f32 v[6:7], v[12:13], v[32:33], v[4:5] neg_lo:[0,0,1] neg_hi:[0,0,1]
	v_pk_fma_f32 v[4:5], v[12:13], v[32:33], v[4:5] op_sel_hi:[1,0,1]
	s_nop 0
	v_mov_b32_e32 v7, v5
	s_waitcnt vmcnt(1) lgkmcnt(0)
	v_pk_mul_f32 v[4:5], v[18:19], v[14:15] op_sel:[1,1] op_sel_hi:[0,1]
	v_pk_add_f32 v[2:3], v[2:3], v[6:7]
	v_pk_fma_f32 v[6:7], v[18:19], v[14:15], v[4:5] neg_lo:[0,0,1] neg_hi:[0,0,1]
	v_pk_fma_f32 v[4:5], v[18:19], v[14:15], v[4:5] op_sel_hi:[1,0,1]
	s_nop 0
	v_mov_b32_e32 v4, v17
	v_mov_b32_e32 v7, v5
	v_pk_mul_f32 v[4:5], v[20:21], v[4:5] op_sel:[1,0] op_sel_hi:[0,0]
	v_pk_add_f32 v[2:3], v[2:3], v[6:7]
	v_pk_fma_f32 v[6:7], v[20:21], v[16:17], v[4:5] neg_lo:[0,0,1] neg_hi:[0,0,1]
	v_pk_fma_f32 v[4:5], v[20:21], v[16:17], v[4:5] op_sel_hi:[1,0,1]
	s_nop 0
	v_mov_b32_e32 v7, v5
	v_pk_add_f32 v[2:3], v[2:3], v[6:7]
	s_waitcnt vmcnt(0)
	v_pk_add_f32 v[2:3], v[100:101], v[2:3] neg_lo:[0,1] neg_hi:[0,1]
	scratch_store_dwordx2 off, v[2:3], off offset:216
	s_and_saveexec_b64 s[0:1], vcc
	s_cbranch_execz .LBB119_297
; %bb.296:
	scratch_load_dwordx2 v[2:3], off, off offset:208
	v_mov_b32_e32 v4, 0
	v_mov_b32_e32 v5, v4
	scratch_store_dwordx2 off, v[4:5], off offset:208
	s_waitcnt vmcnt(1)
	ds_write_b64 v1, v[2:3]
.LBB119_297:
	s_or_b64 exec, exec, s[0:1]
	s_waitcnt lgkmcnt(0)
	; wave barrier
	scratch_load_dwordx4 v[18:21], off, off offset:216
	scratch_load_dwordx4 v[2:5], off, off offset:232
	;; [unrolled: 1-line block ×14, first 2 shown]
	scratch_load_dwordx2 v[58:59], off, off offset:440
	scratch_load_dwordx2 v[100:101], off, off offset:208
	v_mov_b32_e32 v102, 0
	ds_read2_b64 v[60:63], v102 offset0:83 offset1:84
	ds_read2_b64 v[64:67], v102 offset0:85 offset1:86
	;; [unrolled: 1-line block ×12, first 2 shown]
	v_cmp_lt_u32_e32 vcc, 25, v0
	s_waitcnt vmcnt(15) lgkmcnt(11)
	v_mul_f32_e32 v103, v60, v19
	v_mul_f32_e32 v112, v62, v21
	s_waitcnt vmcnt(14) lgkmcnt(10)
	v_mul_f32_e32 v114, v64, v3
	v_mul_f32_e32 v3, v65, v3
	v_fmac_f32_e32 v103, v61, v18
	v_fmac_f32_e32 v112, v63, v20
	;; [unrolled: 1-line block ×3, first 2 shown]
	v_fma_f32 v2, v64, v2, -v3
	v_add_f32_e32 v3, 0, v103
	v_mul_f32_e32 v116, v66, v5
	v_add_f32_e32 v3, v3, v112
	s_waitcnt vmcnt(13) lgkmcnt(9)
	v_mul_f32_e32 v117, v68, v7
	v_fmac_f32_e32 v116, v67, v4
	v_add_f32_e32 v3, v3, v114
	v_mul_f32_e32 v118, v70, v9
	v_fmac_f32_e32 v117, v69, v6
	v_add_f32_e32 v3, v3, v116
	s_waitcnt vmcnt(12) lgkmcnt(8)
	v_mul_f32_e32 v119, v72, v11
	v_fmac_f32_e32 v118, v71, v8
	v_add_f32_e32 v3, v3, v117
	v_mul_f32_e32 v120, v74, v13
	v_fmac_f32_e32 v119, v73, v10
	;; [unrolled: 7-line block ×6, first 2 shown]
	v_add_f32_e32 v3, v3, v126
	s_waitcnt vmcnt(7) lgkmcnt(3)
	v_mul_f32_e32 v129, v92, v43
	v_fmac_f32_e32 v128, v91, v40
	v_add_f32_e32 v3, v3, v127
	v_mul_f32_e32 v130, v94, v45
	v_mul_f32_e32 v19, v61, v19
	v_fmac_f32_e32 v129, v93, v42
	v_add_f32_e32 v3, v3, v128
	s_waitcnt vmcnt(6) lgkmcnt(2)
	v_mul_f32_e32 v131, v96, v51
	v_mul_f32_e32 v21, v63, v21
	v_fmac_f32_e32 v130, v95, v44
	v_fma_f32 v18, v60, v18, -v19
	v_add_f32_e32 v3, v3, v129
	v_fmac_f32_e32 v131, v97, v50
	v_fma_f32 v19, v62, v20, -v21
	v_add_f32_e32 v18, 0, v18
	v_add_f32_e32 v3, v3, v130
	;; [unrolled: 1-line block ×4, first 2 shown]
	v_mul_f32_e32 v3, v67, v5
	v_add_f32_e32 v2, v18, v2
	v_fma_f32 v3, v66, v4, -v3
	v_add_f32_e32 v2, v2, v3
	v_mul_f32_e32 v3, v69, v7
	v_fma_f32 v3, v68, v6, -v3
	v_add_f32_e32 v2, v2, v3
	v_mul_f32_e32 v3, v71, v9
	;; [unrolled: 3-line block ×15, first 2 shown]
	v_fma_f32 v3, v96, v50, -v3
	v_mul_f32_e32 v113, v98, v53
	v_add_f32_e32 v18, v2, v3
	v_mul_f32_e32 v2, v99, v53
	s_waitcnt vmcnt(5)
	v_mov_b32_e32 v14, v57
	s_waitcnt lgkmcnt(1)
	v_mul_f32_e32 v115, v104, v55
	v_fmac_f32_e32 v113, v99, v52
	v_fma_f32 v112, v98, v52, -v2
	v_mul_f32_e32 v2, v105, v55
	v_pk_mul_f32 v[14:15], v[106:107], v[14:15] op_sel:[1,0] op_sel_hi:[0,0]
	v_fmac_f32_e32 v115, v105, v54
	v_fma_f32 v114, v104, v54, -v2
	v_pk_add_f32 v[12:13], v[18:19], v[112:113]
	v_pk_fma_f32 v[16:17], v[106:107], v[56:57], v[14:15] neg_lo:[0,0,1] neg_hi:[0,0,1]
	v_pk_fma_f32 v[14:15], v[106:107], v[56:57], v[14:15] op_sel_hi:[1,0,1]
	v_pk_add_f32 v[12:13], v[12:13], v[114:115]
	v_mov_b32_e32 v17, v15
	s_waitcnt vmcnt(4) lgkmcnt(0)
	v_pk_mul_f32 v[14:15], v[108:109], v[46:47] op_sel:[1,1] op_sel_hi:[0,1]
	v_pk_add_f32 v[12:13], v[12:13], v[16:17]
	v_pk_fma_f32 v[16:17], v[108:109], v[46:47], v[14:15] neg_lo:[0,0,1] neg_hi:[0,0,1]
	v_pk_fma_f32 v[14:15], v[108:109], v[46:47], v[14:15] op_sel_hi:[1,0,1]
	ds_read2_b64 v[2:5], v102 offset0:107 offset1:108
	ds_read2_b64 v[6:9], v102 offset0:109 offset1:110
	ds_read_b64 v[10:11], v102 offset:888
	v_mov_b32_e32 v14, v49
	v_mov_b32_e32 v17, v15
	v_pk_mul_f32 v[14:15], v[110:111], v[14:15] op_sel:[1,0] op_sel_hi:[0,0]
	v_pk_add_f32 v[12:13], v[12:13], v[16:17]
	v_pk_fma_f32 v[16:17], v[110:111], v[48:49], v[14:15] neg_lo:[0,0,1] neg_hi:[0,0,1]
	v_pk_fma_f32 v[14:15], v[110:111], v[48:49], v[14:15] op_sel_hi:[1,0,1]
	s_nop 0
	v_mov_b32_e32 v17, v15
	s_waitcnt vmcnt(3) lgkmcnt(2)
	v_pk_mul_f32 v[14:15], v[2:3], v[34:35] op_sel:[1,1] op_sel_hi:[0,1]
	v_pk_add_f32 v[12:13], v[12:13], v[16:17]
	v_pk_fma_f32 v[16:17], v[2:3], v[34:35], v[14:15] neg_lo:[0,0,1] neg_hi:[0,0,1]
	v_pk_fma_f32 v[2:3], v[2:3], v[34:35], v[14:15] op_sel_hi:[1,0,1]
	s_nop 0
	v_mov_b32_e32 v17, v3
	v_pk_add_f32 v[2:3], v[12:13], v[16:17]
	v_mov_b32_e32 v12, v37
	v_pk_mul_f32 v[12:13], v[4:5], v[12:13] op_sel:[1,0] op_sel_hi:[0,0]
	v_pk_fma_f32 v[14:15], v[4:5], v[36:37], v[12:13] neg_lo:[0,0,1] neg_hi:[0,0,1]
	v_pk_fma_f32 v[4:5], v[4:5], v[36:37], v[12:13] op_sel_hi:[1,0,1]
	s_nop 0
	v_mov_b32_e32 v15, v5
	s_waitcnt vmcnt(2) lgkmcnt(1)
	v_pk_mul_f32 v[4:5], v[6:7], v[22:23] op_sel:[1,1] op_sel_hi:[0,1]
	v_pk_fma_f32 v[12:13], v[6:7], v[22:23], v[4:5] neg_lo:[0,0,1] neg_hi:[0,0,1]
	v_pk_fma_f32 v[4:5], v[6:7], v[22:23], v[4:5] op_sel_hi:[1,0,1]
	v_pk_add_f32 v[2:3], v[2:3], v[14:15]
	v_mov_b32_e32 v4, v25
	v_mov_b32_e32 v13, v5
	v_pk_mul_f32 v[4:5], v[8:9], v[4:5] op_sel:[1,0] op_sel_hi:[0,0]
	v_pk_fma_f32 v[6:7], v[8:9], v[24:25], v[4:5] neg_lo:[0,0,1] neg_hi:[0,0,1]
	v_pk_fma_f32 v[4:5], v[8:9], v[24:25], v[4:5] op_sel_hi:[1,0,1]
	v_pk_add_f32 v[2:3], v[2:3], v[12:13]
	v_mov_b32_e32 v7, v5
	s_waitcnt vmcnt(1) lgkmcnt(0)
	v_pk_mul_f32 v[4:5], v[10:11], v[58:59] op_sel:[1,1] op_sel_hi:[0,1]
	v_pk_add_f32 v[2:3], v[2:3], v[6:7]
	v_pk_fma_f32 v[6:7], v[10:11], v[58:59], v[4:5] neg_lo:[0,0,1] neg_hi:[0,0,1]
	v_pk_fma_f32 v[4:5], v[10:11], v[58:59], v[4:5] op_sel_hi:[1,0,1]
	s_nop 0
	v_mov_b32_e32 v7, v5
	v_pk_add_f32 v[2:3], v[2:3], v[6:7]
	s_waitcnt vmcnt(0)
	v_pk_add_f32 v[2:3], v[100:101], v[2:3] neg_lo:[0,1] neg_hi:[0,1]
	scratch_store_dwordx2 off, v[2:3], off offset:208
	s_and_saveexec_b64 s[0:1], vcc
	s_cbranch_execz .LBB119_299
; %bb.298:
	scratch_load_dwordx2 v[2:3], off, off offset:200
	v_mov_b32_e32 v103, v102
	scratch_store_dwordx2 off, v[102:103], off offset:200
	s_waitcnt vmcnt(1)
	ds_write_b64 v1, v[2:3]
.LBB119_299:
	s_or_b64 exec, exec, s[0:1]
	s_waitcnt lgkmcnt(0)
	; wave barrier
	scratch_load_dwordx4 v[22:25], off, off offset:208
	scratch_load_dwordx4 v[2:5], off, off offset:224
	;; [unrolled: 1-line block ×11, first 2 shown]
	ds_read_b128 v[104:107], v102 offset:656
	ds_read_b128 v[98:101], v102 offset:672
	;; [unrolled: 1-line block ×10, first 2 shown]
	scratch_load_dwordx4 v[58:61], off, off offset:384
	scratch_load_dwordx4 v[50:53], off, off offset:400
	scratch_load_dwordx4 v[38:41], off, off offset:416
	scratch_load_dwordx4 v[26:29], off, off offset:432
	ds_read_b128 v[78:81], v102 offset:816
	ds_read_b128 v[108:111], v102 offset:832
	scratch_load_dwordx2 v[112:113], off, off offset:200
	v_cmp_lt_u32_e32 vcc, 24, v0
	s_waitcnt vmcnt(15) lgkmcnt(11)
	v_mul_f32_e32 v103, v104, v23
	v_mul_f32_e32 v114, v106, v25
	s_waitcnt vmcnt(14) lgkmcnt(10)
	v_mul_f32_e32 v116, v98, v3
	v_mul_f32_e32 v3, v99, v3
	v_fmac_f32_e32 v103, v105, v22
	v_fmac_f32_e32 v114, v107, v24
	;; [unrolled: 1-line block ×3, first 2 shown]
	v_fma_f32 v2, v98, v2, -v3
	v_add_f32_e32 v3, 0, v103
	v_mul_f32_e32 v118, v100, v5
	v_add_f32_e32 v3, v3, v114
	s_waitcnt vmcnt(13) lgkmcnt(9)
	v_mul_f32_e32 v119, v94, v7
	v_fmac_f32_e32 v118, v101, v4
	v_add_f32_e32 v3, v3, v116
	v_mul_f32_e32 v120, v96, v9
	v_fmac_f32_e32 v119, v95, v6
	v_add_f32_e32 v3, v3, v118
	s_waitcnt vmcnt(12) lgkmcnt(8)
	v_mul_f32_e32 v121, v90, v11
	v_fmac_f32_e32 v120, v97, v8
	v_add_f32_e32 v3, v3, v119
	v_mul_f32_e32 v122, v92, v13
	v_fmac_f32_e32 v121, v91, v10
	;; [unrolled: 7-line block ×7, first 2 shown]
	v_add_f32_e32 v3, v3, v130
	s_waitcnt vmcnt(6) lgkmcnt(2)
	v_mul_f32_e32 v133, v62, v47
	v_mul_f32_e32 v23, v105, v23
	v_fmac_f32_e32 v132, v69, v44
	v_add_f32_e32 v3, v3, v131
	v_mul_f32_e32 v134, v64, v49
	v_mul_f32_e32 v25, v107, v25
	v_fmac_f32_e32 v133, v63, v46
	v_fma_f32 v22, v104, v22, -v23
	v_add_f32_e32 v3, v3, v132
	v_fmac_f32_e32 v134, v65, v48
	v_fma_f32 v23, v106, v24, -v25
	v_add_f32_e32 v22, 0, v22
	v_add_f32_e32 v3, v3, v133
	;; [unrolled: 1-line block ×4, first 2 shown]
	v_mul_f32_e32 v3, v101, v5
	v_add_f32_e32 v2, v22, v2
	v_fma_f32 v3, v100, v4, -v3
	v_add_f32_e32 v2, v2, v3
	v_mul_f32_e32 v3, v95, v7
	v_fma_f32 v3, v94, v6, -v3
	v_add_f32_e32 v2, v2, v3
	v_mul_f32_e32 v3, v97, v9
	;; [unrolled: 3-line block ×16, first 2 shown]
	v_fma_f32 v3, v64, v48, -v3
	s_waitcnt vmcnt(5) lgkmcnt(1)
	v_mul_f32_e32 v115, v78, v55
	v_add_f32_e32 v22, v2, v3
	v_mul_f32_e32 v2, v79, v55
	s_waitcnt vmcnt(4) lgkmcnt(0)
	v_pk_mul_f32 v[16:17], v[108:109], v[58:59] op_sel:[1,1] op_sel_hi:[0,1]
	v_mul_f32_e32 v117, v80, v57
	v_fmac_f32_e32 v115, v79, v54
	v_fma_f32 v114, v78, v54, -v2
	v_mul_f32_e32 v2, v81, v57
	v_pk_fma_f32 v[18:19], v[108:109], v[58:59], v[16:17] neg_lo:[0,0,1] neg_hi:[0,0,1]
	v_pk_fma_f32 v[16:17], v[108:109], v[58:59], v[16:17] op_sel_hi:[1,0,1]
	v_fmac_f32_e32 v117, v81, v56
	v_fma_f32 v116, v80, v56, -v2
	ds_read_b128 v[2:5], v102 offset:848
	ds_read_b128 v[6:9], v102 offset:864
	;; [unrolled: 1-line block ×3, first 2 shown]
	v_pk_add_f32 v[14:15], v[22:23], v[114:115]
	v_mov_b32_e32 v16, v61
	v_pk_add_f32 v[14:15], v[14:15], v[116:117]
	v_mov_b32_e32 v19, v17
	v_pk_mul_f32 v[16:17], v[110:111], v[16:17] op_sel:[1,0] op_sel_hi:[0,0]
	v_pk_add_f32 v[14:15], v[14:15], v[18:19]
	v_pk_fma_f32 v[18:19], v[110:111], v[60:61], v[16:17] neg_lo:[0,0,1] neg_hi:[0,0,1]
	v_pk_fma_f32 v[16:17], v[110:111], v[60:61], v[16:17] op_sel_hi:[1,0,1]
	s_nop 0
	v_mov_b32_e32 v19, v17
	s_waitcnt vmcnt(3) lgkmcnt(2)
	v_pk_mul_f32 v[16:17], v[2:3], v[50:51] op_sel:[1,1] op_sel_hi:[0,1]
	v_pk_add_f32 v[14:15], v[14:15], v[18:19]
	v_pk_fma_f32 v[18:19], v[2:3], v[50:51], v[16:17] neg_lo:[0,0,1] neg_hi:[0,0,1]
	v_pk_fma_f32 v[2:3], v[2:3], v[50:51], v[16:17] op_sel_hi:[1,0,1]
	s_nop 0
	v_mov_b32_e32 v19, v3
	v_pk_add_f32 v[2:3], v[14:15], v[18:19]
	v_mov_b32_e32 v14, v53
	v_pk_mul_f32 v[14:15], v[4:5], v[14:15] op_sel:[1,0] op_sel_hi:[0,0]
	v_pk_fma_f32 v[16:17], v[4:5], v[52:53], v[14:15] neg_lo:[0,0,1] neg_hi:[0,0,1]
	v_pk_fma_f32 v[4:5], v[4:5], v[52:53], v[14:15] op_sel_hi:[1,0,1]
	s_nop 0
	v_mov_b32_e32 v17, v5
	s_waitcnt vmcnt(2) lgkmcnt(1)
	v_pk_mul_f32 v[4:5], v[6:7], v[38:39] op_sel:[1,1] op_sel_hi:[0,1]
	v_pk_fma_f32 v[14:15], v[6:7], v[38:39], v[4:5] neg_lo:[0,0,1] neg_hi:[0,0,1]
	v_pk_fma_f32 v[4:5], v[6:7], v[38:39], v[4:5] op_sel_hi:[1,0,1]
	v_pk_add_f32 v[2:3], v[2:3], v[16:17]
	v_mov_b32_e32 v4, v41
	v_mov_b32_e32 v15, v5
	v_pk_mul_f32 v[4:5], v[8:9], v[4:5] op_sel:[1,0] op_sel_hi:[0,0]
	v_pk_fma_f32 v[6:7], v[8:9], v[40:41], v[4:5] neg_lo:[0,0,1] neg_hi:[0,0,1]
	v_pk_fma_f32 v[4:5], v[8:9], v[40:41], v[4:5] op_sel_hi:[1,0,1]
	v_pk_add_f32 v[2:3], v[2:3], v[14:15]
	v_mov_b32_e32 v7, v5
	s_waitcnt vmcnt(1) lgkmcnt(0)
	v_pk_mul_f32 v[4:5], v[10:11], v[26:27] op_sel:[1,1] op_sel_hi:[0,1]
	v_pk_add_f32 v[2:3], v[2:3], v[6:7]
	v_pk_fma_f32 v[6:7], v[10:11], v[26:27], v[4:5] neg_lo:[0,0,1] neg_hi:[0,0,1]
	v_pk_fma_f32 v[4:5], v[10:11], v[26:27], v[4:5] op_sel_hi:[1,0,1]
	s_nop 0
	v_mov_b32_e32 v4, v29
	v_mov_b32_e32 v7, v5
	v_pk_mul_f32 v[4:5], v[12:13], v[4:5] op_sel:[1,0] op_sel_hi:[0,0]
	v_pk_add_f32 v[2:3], v[2:3], v[6:7]
	v_pk_fma_f32 v[6:7], v[12:13], v[28:29], v[4:5] neg_lo:[0,0,1] neg_hi:[0,0,1]
	v_pk_fma_f32 v[4:5], v[12:13], v[28:29], v[4:5] op_sel_hi:[1,0,1]
	s_nop 0
	v_mov_b32_e32 v7, v5
	v_pk_add_f32 v[2:3], v[2:3], v[6:7]
	s_waitcnt vmcnt(0)
	v_pk_add_f32 v[2:3], v[112:113], v[2:3] neg_lo:[0,1] neg_hi:[0,1]
	scratch_store_dwordx2 off, v[2:3], off offset:200
	s_and_saveexec_b64 s[0:1], vcc
	s_cbranch_execz .LBB119_301
; %bb.300:
	scratch_load_dwordx2 v[2:3], off, off offset:192
	v_mov_b32_e32 v4, 0
	v_mov_b32_e32 v5, v4
	scratch_store_dwordx2 off, v[4:5], off offset:192
	s_waitcnt vmcnt(1)
	ds_write_b64 v1, v[2:3]
.LBB119_301:
	s_or_b64 exec, exec, s[0:1]
	s_waitcnt lgkmcnt(0)
	; wave barrier
	scratch_load_dwordx4 v[2:5], off, off offset:200
	scratch_load_dwordx4 v[6:9], off, off offset:216
	;; [unrolled: 1-line block ×15, first 2 shown]
	scratch_load_dwordx2 v[62:63], off, off offset:440
	scratch_load_dwordx2 v[112:113], off, off offset:192
	v_mov_b32_e32 v114, 0
	ds_read2_b64 v[64:67], v114 offset0:81 offset1:82
	ds_read2_b64 v[68:71], v114 offset0:83 offset1:84
	;; [unrolled: 1-line block ×12, first 2 shown]
	v_cmp_lt_u32_e32 vcc, 23, v0
	s_waitcnt vmcnt(16) lgkmcnt(11)
	v_mul_f32_e32 v115, v64, v3
	v_mul_f32_e32 v116, v66, v5
	;; [unrolled: 1-line block ×3, first 2 shown]
	v_fmac_f32_e32 v115, v65, v2
	s_waitcnt vmcnt(15) lgkmcnt(10)
	v_mul_f32_e32 v118, v68, v7
	v_fmac_f32_e32 v116, v67, v4
	v_fma_f32 v2, v64, v2, -v3
	v_add_f32_e32 v3, 0, v115
	v_mul_f32_e32 v120, v70, v9
	v_fmac_f32_e32 v118, v69, v6
	v_add_f32_e32 v3, v3, v116
	s_waitcnt vmcnt(14) lgkmcnt(9)
	v_mul_f32_e32 v121, v72, v11
	v_fmac_f32_e32 v120, v71, v8
	v_add_f32_e32 v3, v3, v118
	v_mul_f32_e32 v122, v74, v13
	v_fmac_f32_e32 v121, v73, v10
	v_add_f32_e32 v3, v3, v120
	s_waitcnt vmcnt(13) lgkmcnt(8)
	v_mul_f32_e32 v123, v76, v15
	v_fmac_f32_e32 v122, v75, v12
	;; [unrolled: 7-line block ×9, first 2 shown]
	v_add_f32_e32 v3, v3, v135
	v_mul_f32_e32 v5, v67, v5
	v_fmac_f32_e32 v137, v105, v58
	v_add_f32_e32 v3, v3, v136
	v_add_f32_e32 v2, 0, v2
	;; [unrolled: 1-line block ×3, first 2 shown]
	v_fma_f32 v3, v66, v4, -v5
	v_add_f32_e32 v2, v2, v3
	v_mul_f32_e32 v3, v69, v7
	v_fma_f32 v3, v68, v6, -v3
	v_add_f32_e32 v2, v2, v3
	v_mul_f32_e32 v3, v71, v9
	;; [unrolled: 3-line block ×20, first 2 shown]
	v_mul_f32_e32 v117, v106, v61
	v_fma_f32 v116, v106, v60, -v2
	s_waitcnt vmcnt(5) lgkmcnt(0)
	v_mul_f32_e32 v2, v109, v55
	v_mov_b32_e32 v18, v57
	v_mul_f32_e32 v119, v108, v55
	v_fmac_f32_e32 v117, v107, v60
	v_fma_f32 v118, v108, v54, -v2
	ds_read2_b64 v[2:5], v114 offset0:105 offset1:106
	ds_read2_b64 v[6:9], v114 offset0:107 offset1:108
	;; [unrolled: 1-line block ×3, first 2 shown]
	ds_read_b64 v[14:15], v114 offset:888
	v_pk_mul_f32 v[18:19], v[110:111], v[18:19] op_sel:[1,0] op_sel_hi:[0,0]
	v_fmac_f32_e32 v119, v109, v54
	v_pk_add_f32 v[16:17], v[64:65], v[116:117]
	v_pk_fma_f32 v[20:21], v[110:111], v[56:57], v[18:19] neg_lo:[0,0,1] neg_hi:[0,0,1]
	v_pk_fma_f32 v[18:19], v[110:111], v[56:57], v[18:19] op_sel_hi:[1,0,1]
	v_pk_add_f32 v[16:17], v[16:17], v[118:119]
	v_mov_b32_e32 v21, v19
	s_waitcnt vmcnt(4) lgkmcnt(3)
	v_pk_mul_f32 v[18:19], v[2:3], v[50:51] op_sel:[1,1] op_sel_hi:[0,1]
	v_pk_add_f32 v[16:17], v[16:17], v[20:21]
	v_pk_fma_f32 v[20:21], v[2:3], v[50:51], v[18:19] neg_lo:[0,0,1] neg_hi:[0,0,1]
	v_pk_fma_f32 v[2:3], v[2:3], v[50:51], v[18:19] op_sel_hi:[1,0,1]
	s_nop 0
	v_mov_b32_e32 v21, v3
	v_pk_add_f32 v[2:3], v[16:17], v[20:21]
	v_mov_b32_e32 v16, v53
	v_pk_mul_f32 v[16:17], v[4:5], v[16:17] op_sel:[1,0] op_sel_hi:[0,0]
	v_pk_fma_f32 v[18:19], v[4:5], v[52:53], v[16:17] neg_lo:[0,0,1] neg_hi:[0,0,1]
	v_pk_fma_f32 v[4:5], v[4:5], v[52:53], v[16:17] op_sel_hi:[1,0,1]
	s_nop 0
	v_mov_b32_e32 v19, v5
	s_waitcnt vmcnt(3) lgkmcnt(2)
	v_pk_mul_f32 v[4:5], v[6:7], v[38:39] op_sel:[1,1] op_sel_hi:[0,1]
	v_pk_fma_f32 v[16:17], v[6:7], v[38:39], v[4:5] neg_lo:[0,0,1] neg_hi:[0,0,1]
	v_pk_fma_f32 v[4:5], v[6:7], v[38:39], v[4:5] op_sel_hi:[1,0,1]
	v_pk_add_f32 v[2:3], v[2:3], v[18:19]
	v_mov_b32_e32 v4, v41
	v_mov_b32_e32 v17, v5
	v_pk_mul_f32 v[4:5], v[8:9], v[4:5] op_sel:[1,0] op_sel_hi:[0,0]
	v_pk_fma_f32 v[6:7], v[8:9], v[40:41], v[4:5] neg_lo:[0,0,1] neg_hi:[0,0,1]
	v_pk_fma_f32 v[4:5], v[8:9], v[40:41], v[4:5] op_sel_hi:[1,0,1]
	v_pk_add_f32 v[2:3], v[2:3], v[16:17]
	v_mov_b32_e32 v7, v5
	s_waitcnt vmcnt(2) lgkmcnt(1)
	v_pk_mul_f32 v[4:5], v[10:11], v[26:27] op_sel:[1,1] op_sel_hi:[0,1]
	v_pk_add_f32 v[2:3], v[2:3], v[6:7]
	v_pk_fma_f32 v[6:7], v[10:11], v[26:27], v[4:5] neg_lo:[0,0,1] neg_hi:[0,0,1]
	v_pk_fma_f32 v[4:5], v[10:11], v[26:27], v[4:5] op_sel_hi:[1,0,1]
	s_nop 0
	v_mov_b32_e32 v4, v29
	v_mov_b32_e32 v7, v5
	v_pk_mul_f32 v[4:5], v[12:13], v[4:5] op_sel:[1,0] op_sel_hi:[0,0]
	v_pk_add_f32 v[2:3], v[2:3], v[6:7]
	v_pk_fma_f32 v[6:7], v[12:13], v[28:29], v[4:5] neg_lo:[0,0,1] neg_hi:[0,0,1]
	v_pk_fma_f32 v[4:5], v[12:13], v[28:29], v[4:5] op_sel_hi:[1,0,1]
	s_nop 0
	v_mov_b32_e32 v7, v5
	s_waitcnt vmcnt(1) lgkmcnt(0)
	v_pk_mul_f32 v[4:5], v[14:15], v[62:63] op_sel:[1,1] op_sel_hi:[0,1]
	v_pk_add_f32 v[2:3], v[2:3], v[6:7]
	v_pk_fma_f32 v[6:7], v[14:15], v[62:63], v[4:5] neg_lo:[0,0,1] neg_hi:[0,0,1]
	v_pk_fma_f32 v[4:5], v[14:15], v[62:63], v[4:5] op_sel_hi:[1,0,1]
	s_nop 0
	v_mov_b32_e32 v7, v5
	v_pk_add_f32 v[2:3], v[2:3], v[6:7]
	s_waitcnt vmcnt(0)
	v_pk_add_f32 v[2:3], v[112:113], v[2:3] neg_lo:[0,1] neg_hi:[0,1]
	scratch_store_dwordx2 off, v[2:3], off offset:192
	s_and_saveexec_b64 s[0:1], vcc
	s_cbranch_execz .LBB119_303
; %bb.302:
	scratch_load_dwordx2 v[2:3], off, off offset:184
	v_mov_b32_e32 v115, v114
	scratch_store_dwordx2 off, v[114:115], off offset:184
	s_waitcnt vmcnt(1)
	ds_write_b64 v1, v[2:3]
.LBB119_303:
	s_or_b64 exec, exec, s[0:1]
	s_waitcnt lgkmcnt(0)
	; wave barrier
	scratch_load_dwordx4 v[2:5], off, off offset:192
	scratch_load_dwordx4 v[6:9], off, off offset:208
	;; [unrolled: 1-line block ×12, first 2 shown]
	ds_read_b128 v[110:113], v114 offset:640
	ds_read_b128 v[106:109], v114 offset:656
	;; [unrolled: 1-line block ×12, first 2 shown]
	scratch_load_dwordx4 v[62:65], off, off offset:384
	scratch_load_dwordx4 v[54:57], off, off offset:400
	;; [unrolled: 1-line block ×4, first 2 shown]
	scratch_load_dwordx2 v[116:117], off, off offset:184
	v_cmp_lt_u32_e32 vcc, 22, v0
	s_waitcnt vmcnt(16) lgkmcnt(11)
	v_mul_f32_e32 v115, v110, v3
	v_mul_f32_e32 v118, v112, v5
	v_mul_f32_e32 v3, v111, v3
	v_fmac_f32_e32 v115, v111, v2
	s_waitcnt vmcnt(15) lgkmcnt(10)
	v_mul_f32_e32 v120, v106, v7
	v_fmac_f32_e32 v118, v113, v4
	v_fma_f32 v2, v110, v2, -v3
	v_add_f32_e32 v3, 0, v115
	v_mul_f32_e32 v122, v108, v9
	v_fmac_f32_e32 v120, v107, v6
	v_add_f32_e32 v3, v3, v118
	s_waitcnt vmcnt(14) lgkmcnt(9)
	v_mul_f32_e32 v123, v102, v11
	v_fmac_f32_e32 v122, v109, v8
	v_add_f32_e32 v3, v3, v120
	v_mul_f32_e32 v124, v104, v13
	v_fmac_f32_e32 v123, v103, v10
	v_add_f32_e32 v3, v3, v122
	s_waitcnt vmcnt(13) lgkmcnt(8)
	v_mul_f32_e32 v125, v98, v15
	v_fmac_f32_e32 v124, v105, v12
	v_add_f32_e32 v3, v3, v123
	v_mul_f32_e32 v126, v100, v17
	v_fmac_f32_e32 v125, v99, v14
	v_add_f32_e32 v3, v3, v124
	s_waitcnt vmcnt(12) lgkmcnt(7)
	v_mul_f32_e32 v127, v94, v19
	v_fmac_f32_e32 v126, v101, v16
	v_add_f32_e32 v3, v3, v125
	v_mul_f32_e32 v128, v96, v21
	v_fmac_f32_e32 v127, v95, v18
	v_add_f32_e32 v3, v3, v126
	s_waitcnt vmcnt(11) lgkmcnt(6)
	v_mul_f32_e32 v129, v90, v23
	v_fmac_f32_e32 v128, v97, v20
	v_add_f32_e32 v3, v3, v127
	v_mul_f32_e32 v130, v92, v25
	v_fmac_f32_e32 v129, v91, v22
	v_add_f32_e32 v3, v3, v128
	s_waitcnt vmcnt(10) lgkmcnt(5)
	v_mul_f32_e32 v131, v86, v27
	v_fmac_f32_e32 v130, v93, v24
	v_add_f32_e32 v3, v3, v129
	v_mul_f32_e32 v132, v88, v29
	v_fmac_f32_e32 v131, v87, v26
	v_add_f32_e32 v3, v3, v130
	s_waitcnt vmcnt(9) lgkmcnt(4)
	v_mul_f32_e32 v133, v82, v31
	v_fmac_f32_e32 v132, v89, v28
	v_add_f32_e32 v3, v3, v131
	v_mul_f32_e32 v134, v84, v33
	v_fmac_f32_e32 v133, v83, v30
	v_add_f32_e32 v3, v3, v132
	s_waitcnt vmcnt(8) lgkmcnt(3)
	v_mul_f32_e32 v135, v78, v39
	v_fmac_f32_e32 v134, v85, v32
	v_add_f32_e32 v3, v3, v133
	v_mul_f32_e32 v136, v80, v41
	v_fmac_f32_e32 v135, v79, v38
	v_add_f32_e32 v3, v3, v134
	s_waitcnt vmcnt(7) lgkmcnt(2)
	v_mul_f32_e32 v137, v74, v47
	v_fmac_f32_e32 v136, v81, v40
	v_add_f32_e32 v3, v3, v135
	v_mul_f32_e32 v138, v76, v49
	v_fmac_f32_e32 v137, v75, v46
	v_add_f32_e32 v3, v3, v136
	s_waitcnt vmcnt(6) lgkmcnt(1)
	v_mul_f32_e32 v139, v70, v51
	v_fmac_f32_e32 v138, v77, v48
	v_add_f32_e32 v3, v3, v137
	v_mul_f32_e32 v140, v72, v53
	v_fmac_f32_e32 v139, v71, v50
	v_add_f32_e32 v3, v3, v138
	v_fmac_f32_e32 v140, v73, v52
	v_add_f32_e32 v3, v3, v139
	v_add_f32_e32 v111, v3, v140
	v_mul_f32_e32 v3, v113, v5
	v_add_f32_e32 v2, 0, v2
	v_fma_f32 v3, v112, v4, -v3
	v_add_f32_e32 v2, v2, v3
	v_mul_f32_e32 v3, v107, v7
	v_fma_f32 v3, v106, v6, -v3
	v_add_f32_e32 v2, v2, v3
	v_mul_f32_e32 v3, v109, v9
	;; [unrolled: 3-line block ×20, first 2 shown]
	v_fma_f32 v3, v72, v52, -v3
	v_add_f32_e32 v110, v2, v3
	s_waitcnt vmcnt(5) lgkmcnt(0)
	v_mul_f32_e32 v2, v67, v59
	v_fma_f32 v118, v66, v58, -v2
	v_mul_f32_e32 v2, v69, v61
	v_fma_f32 v120, v68, v60, -v2
	ds_read_b128 v[2:5], v114 offset:832
	ds_read_b128 v[6:9], v114 offset:848
	;; [unrolled: 1-line block ×4, first 2 shown]
	v_mul_f32_e32 v119, v66, v59
	v_mul_f32_e32 v121, v68, v61
	v_fmac_f32_e32 v119, v67, v58
	s_waitcnt vmcnt(4) lgkmcnt(3)
	v_pk_mul_f32 v[20:21], v[2:3], v[62:63] op_sel:[1,1] op_sel_hi:[0,1]
	v_fmac_f32_e32 v121, v69, v60
	v_pk_add_f32 v[18:19], v[110:111], v[118:119]
	v_pk_fma_f32 v[22:23], v[2:3], v[62:63], v[20:21] neg_lo:[0,0,1] neg_hi:[0,0,1]
	v_pk_fma_f32 v[2:3], v[2:3], v[62:63], v[20:21] op_sel_hi:[1,0,1]
	v_pk_add_f32 v[18:19], v[18:19], v[120:121]
	v_mov_b32_e32 v23, v3
	v_pk_add_f32 v[2:3], v[18:19], v[22:23]
	v_mov_b32_e32 v18, v65
	v_pk_mul_f32 v[18:19], v[4:5], v[18:19] op_sel:[1,0] op_sel_hi:[0,0]
	v_pk_fma_f32 v[20:21], v[4:5], v[64:65], v[18:19] neg_lo:[0,0,1] neg_hi:[0,0,1]
	v_pk_fma_f32 v[4:5], v[4:5], v[64:65], v[18:19] op_sel_hi:[1,0,1]
	s_nop 0
	v_mov_b32_e32 v21, v5
	s_waitcnt vmcnt(3) lgkmcnt(2)
	v_pk_mul_f32 v[4:5], v[6:7], v[54:55] op_sel:[1,1] op_sel_hi:[0,1]
	v_pk_fma_f32 v[18:19], v[6:7], v[54:55], v[4:5] neg_lo:[0,0,1] neg_hi:[0,0,1]
	v_pk_fma_f32 v[4:5], v[6:7], v[54:55], v[4:5] op_sel_hi:[1,0,1]
	v_pk_add_f32 v[2:3], v[2:3], v[20:21]
	v_mov_b32_e32 v4, v57
	v_mov_b32_e32 v19, v5
	v_pk_mul_f32 v[4:5], v[8:9], v[4:5] op_sel:[1,0] op_sel_hi:[0,0]
	v_pk_fma_f32 v[6:7], v[8:9], v[56:57], v[4:5] neg_lo:[0,0,1] neg_hi:[0,0,1]
	v_pk_fma_f32 v[4:5], v[8:9], v[56:57], v[4:5] op_sel_hi:[1,0,1]
	v_pk_add_f32 v[2:3], v[2:3], v[18:19]
	v_mov_b32_e32 v7, v5
	s_waitcnt vmcnt(2) lgkmcnt(1)
	v_pk_mul_f32 v[4:5], v[10:11], v[42:43] op_sel:[1,1] op_sel_hi:[0,1]
	v_pk_add_f32 v[2:3], v[2:3], v[6:7]
	v_pk_fma_f32 v[6:7], v[10:11], v[42:43], v[4:5] neg_lo:[0,0,1] neg_hi:[0,0,1]
	v_pk_fma_f32 v[4:5], v[10:11], v[42:43], v[4:5] op_sel_hi:[1,0,1]
	s_nop 0
	v_mov_b32_e32 v4, v45
	v_mov_b32_e32 v7, v5
	v_pk_mul_f32 v[4:5], v[12:13], v[4:5] op_sel:[1,0] op_sel_hi:[0,0]
	v_pk_add_f32 v[2:3], v[2:3], v[6:7]
	v_pk_fma_f32 v[6:7], v[12:13], v[44:45], v[4:5] neg_lo:[0,0,1] neg_hi:[0,0,1]
	v_pk_fma_f32 v[4:5], v[12:13], v[44:45], v[4:5] op_sel_hi:[1,0,1]
	s_nop 0
	v_mov_b32_e32 v7, v5
	s_waitcnt vmcnt(1) lgkmcnt(0)
	v_pk_mul_f32 v[4:5], v[14:15], v[34:35] op_sel:[1,1] op_sel_hi:[0,1]
	v_pk_add_f32 v[2:3], v[2:3], v[6:7]
	v_pk_fma_f32 v[6:7], v[14:15], v[34:35], v[4:5] neg_lo:[0,0,1] neg_hi:[0,0,1]
	v_pk_fma_f32 v[4:5], v[14:15], v[34:35], v[4:5] op_sel_hi:[1,0,1]
	s_nop 0
	v_mov_b32_e32 v4, v37
	v_mov_b32_e32 v7, v5
	v_pk_mul_f32 v[4:5], v[16:17], v[4:5] op_sel:[1,0] op_sel_hi:[0,0]
	v_pk_add_f32 v[2:3], v[2:3], v[6:7]
	v_pk_fma_f32 v[6:7], v[16:17], v[36:37], v[4:5] neg_lo:[0,0,1] neg_hi:[0,0,1]
	v_pk_fma_f32 v[4:5], v[16:17], v[36:37], v[4:5] op_sel_hi:[1,0,1]
	s_nop 0
	v_mov_b32_e32 v7, v5
	v_pk_add_f32 v[2:3], v[2:3], v[6:7]
	s_waitcnt vmcnt(0)
	v_pk_add_f32 v[2:3], v[116:117], v[2:3] neg_lo:[0,1] neg_hi:[0,1]
	scratch_store_dwordx2 off, v[2:3], off offset:184
	s_and_saveexec_b64 s[0:1], vcc
	s_cbranch_execz .LBB119_305
; %bb.304:
	scratch_load_dwordx2 v[2:3], off, off offset:176
	v_mov_b32_e32 v4, 0
	v_mov_b32_e32 v5, v4
	scratch_store_dwordx2 off, v[4:5], off offset:176
	s_waitcnt vmcnt(1)
	ds_write_b64 v1, v[2:3]
.LBB119_305:
	s_or_b64 exec, exec, s[0:1]
	s_waitcnt lgkmcnt(0)
	; wave barrier
	scratch_load_dwordx4 v[2:5], off, off offset:184
	scratch_load_dwordx4 v[6:9], off, off offset:200
	;; [unrolled: 1-line block ×13, first 2 shown]
	v_mov_b32_e32 v106, 0
	scratch_load_dwordx2 v[124:125], off, off offset:176
	ds_read2_b64 v[54:57], v106 offset0:79 offset1:80
	ds_read2_b64 v[58:61], v106 offset0:81 offset1:82
	;; [unrolled: 1-line block ×14, first 2 shown]
	v_cmp_lt_u32_e32 vcc, 21, v0
	s_waitcnt vmcnt(13) lgkmcnt(13)
	v_mul_f32_e32 v107, v54, v3
	v_mul_f32_e32 v112, v56, v5
	v_fmac_f32_e32 v107, v55, v2
	s_waitcnt vmcnt(12) lgkmcnt(12)
	v_mul_f32_e32 v113, v58, v7
	v_fmac_f32_e32 v112, v57, v4
	v_add_f32_e32 v107, 0, v107
	v_mul_f32_e32 v114, v60, v9
	v_fmac_f32_e32 v113, v59, v6
	v_add_f32_e32 v107, v107, v112
	s_waitcnt vmcnt(11) lgkmcnt(11)
	v_mul_f32_e32 v115, v62, v11
	v_fmac_f32_e32 v114, v61, v8
	v_add_f32_e32 v107, v107, v113
	v_mul_f32_e32 v116, v64, v13
	v_fmac_f32_e32 v115, v63, v10
	v_add_f32_e32 v107, v107, v114
	;; [unrolled: 7-line block ×8, first 2 shown]
	s_waitcnt vmcnt(4) lgkmcnt(4)
	v_mul_f32_e32 v133, v90, v39
	v_fmac_f32_e32 v132, v89, v36
	v_add_f32_e32 v107, v107, v131
	v_fmac_f32_e32 v133, v91, v38
	v_add_f32_e32 v107, v107, v132
	v_add_f32_e32 v107, v107, v133
	scratch_load_dwordx4 v[112:115], off, off offset:392
	scratch_load_dwordx4 v[116:119], off, off offset:408
	;; [unrolled: 1-line block ×3, first 2 shown]
	scratch_load_dwordx2 v[132:133], off, off offset:440
	v_mul_f32_e32 v3, v55, v3
	v_fma_f32 v2, v54, v2, -v3
	v_mul_f32_e32 v3, v57, v5
	v_add_f32_e32 v2, 0, v2
	v_fma_f32 v3, v56, v4, -v3
	v_add_f32_e32 v2, v2, v3
	v_mul_f32_e32 v3, v59, v7
	v_fma_f32 v3, v58, v6, -v3
	v_add_f32_e32 v2, v2, v3
	v_mul_f32_e32 v3, v61, v9
	;; [unrolled: 3-line block ×18, first 2 shown]
	v_fma_f32 v3, v92, v40, -v3
	v_add_f32_e32 v2, v2, v3
	s_waitcnt vmcnt(7) lgkmcnt(3)
	v_mul_f32_e32 v3, v95, v43
	v_fma_f32 v3, v94, v42, -v3
	v_mul_f32_e32 v134, v92, v41
	v_add_f32_e32 v2, v2, v3
	v_mul_f32_e32 v3, v97, v45
	v_mul_f32_e32 v135, v94, v43
	v_fmac_f32_e32 v134, v93, v40
	v_fma_f32 v3, v96, v44, -v3
	v_mul_f32_e32 v136, v96, v45
	v_fmac_f32_e32 v135, v95, v42
	v_add_f32_e32 v107, v107, v134
	v_add_f32_e32 v2, v2, v3
	s_waitcnt vmcnt(6) lgkmcnt(2)
	v_mul_f32_e32 v3, v99, v47
	v_mul_f32_e32 v137, v98, v47
	v_fmac_f32_e32 v136, v97, v44
	v_add_f32_e32 v107, v107, v135
	v_fma_f32 v3, v98, v46, -v3
	v_mul_f32_e32 v127, v100, v49
	v_fmac_f32_e32 v137, v99, v46
	v_add_f32_e32 v107, v107, v136
	v_add_f32_e32 v130, v2, v3
	v_mul_f32_e32 v2, v101, v49
	s_waitcnt vmcnt(5)
	v_mov_b32_e32 v14, v53
	s_waitcnt lgkmcnt(1)
	v_mul_f32_e32 v129, v102, v51
	v_fmac_f32_e32 v127, v101, v48
	v_add_f32_e32 v131, v107, v137
	v_fma_f32 v126, v100, v48, -v2
	v_mul_f32_e32 v2, v103, v51
	v_pk_mul_f32 v[14:15], v[104:105], v[14:15] op_sel:[1,0] op_sel_hi:[0,0]
	v_fmac_f32_e32 v129, v103, v50
	v_fma_f32 v128, v102, v50, -v2
	v_pk_add_f32 v[12:13], v[130:131], v[126:127]
	v_pk_fma_f32 v[16:17], v[104:105], v[52:53], v[14:15] neg_lo:[0,0,1] neg_hi:[0,0,1]
	v_pk_fma_f32 v[14:15], v[104:105], v[52:53], v[14:15] op_sel_hi:[1,0,1]
	v_pk_add_f32 v[12:13], v[12:13], v[128:129]
	v_mov_b32_e32 v17, v15
	s_waitcnt vmcnt(3) lgkmcnt(0)
	v_pk_mul_f32 v[14:15], v[108:109], v[112:113] op_sel:[1,1] op_sel_hi:[0,1]
	v_pk_add_f32 v[12:13], v[12:13], v[16:17]
	v_pk_fma_f32 v[16:17], v[108:109], v[112:113], v[14:15] neg_lo:[0,0,1] neg_hi:[0,0,1]
	v_pk_fma_f32 v[14:15], v[108:109], v[112:113], v[14:15] op_sel_hi:[1,0,1]
	ds_read2_b64 v[2:5], v106 offset0:107 offset1:108
	ds_read2_b64 v[6:9], v106 offset0:109 offset1:110
	ds_read_b64 v[10:11], v106 offset:888
	v_mov_b32_e32 v14, v115
	v_mov_b32_e32 v17, v15
	v_pk_mul_f32 v[14:15], v[110:111], v[14:15] op_sel:[1,0] op_sel_hi:[0,0]
	v_pk_add_f32 v[12:13], v[12:13], v[16:17]
	v_pk_fma_f32 v[16:17], v[110:111], v[114:115], v[14:15] neg_lo:[0,0,1] neg_hi:[0,0,1]
	v_pk_fma_f32 v[14:15], v[110:111], v[114:115], v[14:15] op_sel_hi:[1,0,1]
	s_nop 0
	v_mov_b32_e32 v17, v15
	s_waitcnt vmcnt(2) lgkmcnt(2)
	v_pk_mul_f32 v[14:15], v[2:3], v[116:117] op_sel:[1,1] op_sel_hi:[0,1]
	v_pk_add_f32 v[12:13], v[12:13], v[16:17]
	v_pk_fma_f32 v[16:17], v[2:3], v[116:117], v[14:15] neg_lo:[0,0,1] neg_hi:[0,0,1]
	v_pk_fma_f32 v[2:3], v[2:3], v[116:117], v[14:15] op_sel_hi:[1,0,1]
	s_nop 0
	v_mov_b32_e32 v17, v3
	v_pk_add_f32 v[2:3], v[12:13], v[16:17]
	v_mov_b32_e32 v12, v119
	v_pk_mul_f32 v[12:13], v[4:5], v[12:13] op_sel:[1,0] op_sel_hi:[0,0]
	v_pk_fma_f32 v[14:15], v[4:5], v[118:119], v[12:13] neg_lo:[0,0,1] neg_hi:[0,0,1]
	v_pk_fma_f32 v[4:5], v[4:5], v[118:119], v[12:13] op_sel_hi:[1,0,1]
	s_nop 0
	v_mov_b32_e32 v15, v5
	s_waitcnt vmcnt(1) lgkmcnt(1)
	v_pk_mul_f32 v[4:5], v[6:7], v[120:121] op_sel:[1,1] op_sel_hi:[0,1]
	v_pk_fma_f32 v[12:13], v[6:7], v[120:121], v[4:5] neg_lo:[0,0,1] neg_hi:[0,0,1]
	v_pk_fma_f32 v[4:5], v[6:7], v[120:121], v[4:5] op_sel_hi:[1,0,1]
	v_pk_add_f32 v[2:3], v[2:3], v[14:15]
	v_mov_b32_e32 v4, v123
	v_mov_b32_e32 v13, v5
	v_pk_mul_f32 v[4:5], v[8:9], v[4:5] op_sel:[1,0] op_sel_hi:[0,0]
	v_pk_fma_f32 v[6:7], v[8:9], v[122:123], v[4:5] neg_lo:[0,0,1] neg_hi:[0,0,1]
	v_pk_fma_f32 v[4:5], v[8:9], v[122:123], v[4:5] op_sel_hi:[1,0,1]
	v_pk_add_f32 v[2:3], v[2:3], v[12:13]
	v_mov_b32_e32 v7, v5
	s_waitcnt vmcnt(0) lgkmcnt(0)
	v_pk_mul_f32 v[4:5], v[10:11], v[132:133] op_sel:[1,1] op_sel_hi:[0,1]
	v_pk_add_f32 v[2:3], v[2:3], v[6:7]
	v_pk_fma_f32 v[6:7], v[10:11], v[132:133], v[4:5] neg_lo:[0,0,1] neg_hi:[0,0,1]
	v_pk_fma_f32 v[4:5], v[10:11], v[132:133], v[4:5] op_sel_hi:[1,0,1]
	s_nop 0
	v_mov_b32_e32 v7, v5
	v_pk_add_f32 v[2:3], v[2:3], v[6:7]
	s_nop 0
	v_pk_add_f32 v[2:3], v[124:125], v[2:3] neg_lo:[0,1] neg_hi:[0,1]
	scratch_store_dwordx2 off, v[2:3], off offset:176
	s_and_saveexec_b64 s[0:1], vcc
	s_cbranch_execz .LBB119_307
; %bb.306:
	scratch_load_dwordx2 v[2:3], off, off offset:168
	v_mov_b32_e32 v107, v106
	scratch_store_dwordx2 off, v[106:107], off offset:168
	s_waitcnt vmcnt(1)
	ds_write_b64 v1, v[2:3]
.LBB119_307:
	s_or_b64 exec, exec, s[0:1]
	s_waitcnt lgkmcnt(0)
	; wave barrier
	scratch_load_dwordx4 v[2:5], off, off offset:176
	scratch_load_dwordx4 v[6:9], off, off offset:192
	scratch_load_dwordx4 v[10:13], off, off offset:208
	scratch_load_dwordx4 v[14:17], off, off offset:224
	scratch_load_dwordx4 v[18:21], off, off offset:240
	scratch_load_dwordx4 v[22:25], off, off offset:256
	scratch_load_dwordx4 v[26:29], off, off offset:272
	scratch_load_dwordx4 v[30:33], off, off offset:288
	scratch_load_dwordx4 v[34:37], off, off offset:304
	scratch_load_dwordx4 v[38:41], off, off offset:320
	scratch_load_dwordx4 v[42:45], off, off offset:336
	scratch_load_dwordx4 v[46:49], off, off offset:352
	scratch_load_dwordx4 v[50:53], off, off offset:368
	ds_read_b128 v[102:105], v106 offset:624
	ds_read_b128 v[98:101], v106 offset:640
	;; [unrolled: 1-line block ×14, first 2 shown]
	scratch_load_dwordx2 v[128:129], off, off offset:168
	v_cmp_lt_u32_e32 vcc, 20, v0
	s_waitcnt vmcnt(13) lgkmcnt(13)
	v_mul_f32_e32 v107, v102, v3
	v_mul_f32_e32 v112, v104, v5
	v_fmac_f32_e32 v107, v103, v2
	s_waitcnt vmcnt(12) lgkmcnt(12)
	v_mul_f32_e32 v113, v98, v7
	v_fmac_f32_e32 v112, v105, v4
	v_add_f32_e32 v107, 0, v107
	v_mul_f32_e32 v114, v100, v9
	v_fmac_f32_e32 v113, v99, v6
	v_add_f32_e32 v107, v107, v112
	s_waitcnt vmcnt(11) lgkmcnt(11)
	v_mul_f32_e32 v115, v94, v11
	v_fmac_f32_e32 v114, v101, v8
	v_add_f32_e32 v107, v107, v113
	v_mul_f32_e32 v116, v96, v13
	v_fmac_f32_e32 v115, v95, v10
	v_add_f32_e32 v107, v107, v114
	;; [unrolled: 7-line block ×7, first 2 shown]
	s_waitcnt vmcnt(5) lgkmcnt(5)
	v_mul_f32_e32 v127, v70, v35
	v_fmac_f32_e32 v126, v77, v32
	v_add_f32_e32 v107, v107, v125
	v_fmac_f32_e32 v127, v71, v34
	v_add_f32_e32 v107, v107, v126
	v_add_f32_e32 v107, v107, v127
	scratch_load_dwordx4 v[112:115], off, off offset:384
	scratch_load_dwordx4 v[116:119], off, off offset:400
	;; [unrolled: 1-line block ×4, first 2 shown]
	v_mul_f32_e32 v3, v103, v3
	v_fma_f32 v2, v102, v2, -v3
	v_mul_f32_e32 v3, v105, v5
	v_add_f32_e32 v2, 0, v2
	v_fma_f32 v3, v104, v4, -v3
	v_add_f32_e32 v2, v2, v3
	v_mul_f32_e32 v3, v99, v7
	v_fma_f32 v3, v98, v6, -v3
	v_add_f32_e32 v2, v2, v3
	v_mul_f32_e32 v3, v101, v9
	;; [unrolled: 3-line block ×16, first 2 shown]
	v_fma_f32 v3, v72, v36, -v3
	v_add_f32_e32 v2, v2, v3
	s_waitcnt vmcnt(8) lgkmcnt(4)
	v_mul_f32_e32 v3, v67, v39
	v_fma_f32 v3, v66, v38, -v3
	v_add_f32_e32 v2, v2, v3
	v_mul_f32_e32 v3, v69, v41
	v_fma_f32 v3, v68, v40, -v3
	v_add_f32_e32 v2, v2, v3
	s_waitcnt vmcnt(7) lgkmcnt(3)
	v_mul_f32_e32 v3, v63, v43
	v_mul_f32_e32 v130, v72, v37
	v_fma_f32 v3, v62, v42, -v3
	v_mul_f32_e32 v132, v66, v39
	v_fmac_f32_e32 v130, v73, v36
	v_add_f32_e32 v2, v2, v3
	v_mul_f32_e32 v3, v65, v45
	v_mul_f32_e32 v134, v68, v41
	v_fmac_f32_e32 v132, v67, v38
	v_add_f32_e32 v107, v107, v130
	v_fma_f32 v3, v64, v44, -v3
	v_mul_f32_e32 v135, v62, v43
	v_fmac_f32_e32 v134, v69, v40
	v_add_f32_e32 v107, v107, v132
	v_add_f32_e32 v2, v2, v3
	s_waitcnt vmcnt(6) lgkmcnt(2)
	v_mul_f32_e32 v3, v59, v47
	v_mul_f32_e32 v136, v64, v45
	v_fmac_f32_e32 v135, v63, v42
	v_add_f32_e32 v107, v107, v134
	v_fma_f32 v3, v58, v46, -v3
	v_mul_f32_e32 v137, v58, v47
	v_fmac_f32_e32 v136, v65, v44
	v_add_f32_e32 v107, v107, v135
	v_add_f32_e32 v2, v2, v3
	v_mul_f32_e32 v3, v61, v49
	v_mul_f32_e32 v138, v60, v49
	v_fmac_f32_e32 v137, v59, v46
	v_add_f32_e32 v107, v107, v136
	v_fma_f32 v3, v60, v48, -v3
	s_waitcnt vmcnt(5) lgkmcnt(1)
	v_mul_f32_e32 v131, v54, v51
	v_fmac_f32_e32 v138, v61, v48
	v_add_f32_e32 v107, v107, v137
	v_add_f32_e32 v134, v2, v3
	v_mul_f32_e32 v2, v55, v51
	s_waitcnt vmcnt(3) lgkmcnt(0)
	v_pk_mul_f32 v[16:17], v[108:109], v[112:113] op_sel:[1,1] op_sel_hi:[0,1]
	v_mul_f32_e32 v133, v56, v53
	v_fmac_f32_e32 v131, v55, v50
	v_add_f32_e32 v135, v107, v138
	v_fma_f32 v130, v54, v50, -v2
	v_mul_f32_e32 v2, v57, v53
	v_pk_fma_f32 v[18:19], v[108:109], v[112:113], v[16:17] neg_lo:[0,0,1] neg_hi:[0,0,1]
	v_pk_fma_f32 v[16:17], v[108:109], v[112:113], v[16:17] op_sel_hi:[1,0,1]
	v_fmac_f32_e32 v133, v57, v52
	v_fma_f32 v132, v56, v52, -v2
	ds_read_b128 v[2:5], v106 offset:848
	ds_read_b128 v[6:9], v106 offset:864
	;; [unrolled: 1-line block ×3, first 2 shown]
	v_pk_add_f32 v[14:15], v[134:135], v[130:131]
	v_mov_b32_e32 v16, v115
	v_pk_add_f32 v[14:15], v[14:15], v[132:133]
	v_mov_b32_e32 v19, v17
	v_pk_mul_f32 v[16:17], v[110:111], v[16:17] op_sel:[1,0] op_sel_hi:[0,0]
	v_pk_add_f32 v[14:15], v[14:15], v[18:19]
	v_pk_fma_f32 v[18:19], v[110:111], v[114:115], v[16:17] neg_lo:[0,0,1] neg_hi:[0,0,1]
	v_pk_fma_f32 v[16:17], v[110:111], v[114:115], v[16:17] op_sel_hi:[1,0,1]
	s_nop 0
	v_mov_b32_e32 v19, v17
	s_waitcnt vmcnt(2) lgkmcnt(2)
	v_pk_mul_f32 v[16:17], v[2:3], v[116:117] op_sel:[1,1] op_sel_hi:[0,1]
	v_pk_add_f32 v[14:15], v[14:15], v[18:19]
	v_pk_fma_f32 v[18:19], v[2:3], v[116:117], v[16:17] neg_lo:[0,0,1] neg_hi:[0,0,1]
	v_pk_fma_f32 v[2:3], v[2:3], v[116:117], v[16:17] op_sel_hi:[1,0,1]
	s_nop 0
	v_mov_b32_e32 v19, v3
	v_pk_add_f32 v[2:3], v[14:15], v[18:19]
	v_mov_b32_e32 v14, v119
	v_pk_mul_f32 v[14:15], v[4:5], v[14:15] op_sel:[1,0] op_sel_hi:[0,0]
	v_pk_fma_f32 v[16:17], v[4:5], v[118:119], v[14:15] neg_lo:[0,0,1] neg_hi:[0,0,1]
	v_pk_fma_f32 v[4:5], v[4:5], v[118:119], v[14:15] op_sel_hi:[1,0,1]
	s_nop 0
	v_mov_b32_e32 v17, v5
	s_waitcnt vmcnt(1) lgkmcnt(1)
	v_pk_mul_f32 v[4:5], v[6:7], v[120:121] op_sel:[1,1] op_sel_hi:[0,1]
	v_pk_fma_f32 v[14:15], v[6:7], v[120:121], v[4:5] neg_lo:[0,0,1] neg_hi:[0,0,1]
	v_pk_fma_f32 v[4:5], v[6:7], v[120:121], v[4:5] op_sel_hi:[1,0,1]
	v_pk_add_f32 v[2:3], v[2:3], v[16:17]
	v_mov_b32_e32 v4, v123
	v_mov_b32_e32 v15, v5
	v_pk_mul_f32 v[4:5], v[8:9], v[4:5] op_sel:[1,0] op_sel_hi:[0,0]
	v_pk_fma_f32 v[6:7], v[8:9], v[122:123], v[4:5] neg_lo:[0,0,1] neg_hi:[0,0,1]
	v_pk_fma_f32 v[4:5], v[8:9], v[122:123], v[4:5] op_sel_hi:[1,0,1]
	v_pk_add_f32 v[2:3], v[2:3], v[14:15]
	v_mov_b32_e32 v7, v5
	s_waitcnt vmcnt(0) lgkmcnt(0)
	v_pk_mul_f32 v[4:5], v[10:11], v[124:125] op_sel:[1,1] op_sel_hi:[0,1]
	v_pk_add_f32 v[2:3], v[2:3], v[6:7]
	v_pk_fma_f32 v[6:7], v[10:11], v[124:125], v[4:5] neg_lo:[0,0,1] neg_hi:[0,0,1]
	v_pk_fma_f32 v[4:5], v[10:11], v[124:125], v[4:5] op_sel_hi:[1,0,1]
	s_nop 0
	v_mov_b32_e32 v4, v127
	v_mov_b32_e32 v7, v5
	v_pk_mul_f32 v[4:5], v[12:13], v[4:5] op_sel:[1,0] op_sel_hi:[0,0]
	v_pk_add_f32 v[2:3], v[2:3], v[6:7]
	v_pk_fma_f32 v[6:7], v[12:13], v[126:127], v[4:5] neg_lo:[0,0,1] neg_hi:[0,0,1]
	v_pk_fma_f32 v[4:5], v[12:13], v[126:127], v[4:5] op_sel_hi:[1,0,1]
	s_nop 0
	v_mov_b32_e32 v7, v5
	v_pk_add_f32 v[2:3], v[2:3], v[6:7]
	s_nop 0
	v_pk_add_f32 v[2:3], v[128:129], v[2:3] neg_lo:[0,1] neg_hi:[0,1]
	scratch_store_dwordx2 off, v[2:3], off offset:168
	s_and_saveexec_b64 s[0:1], vcc
	s_cbranch_execz .LBB119_309
; %bb.308:
	scratch_load_dwordx2 v[2:3], off, off offset:160
	v_mov_b32_e32 v4, 0
	v_mov_b32_e32 v5, v4
	scratch_store_dwordx2 off, v[4:5], off offset:160
	s_waitcnt vmcnt(1)
	ds_write_b64 v1, v[2:3]
.LBB119_309:
	s_or_b64 exec, exec, s[0:1]
	s_waitcnt lgkmcnt(0)
	; wave barrier
	scratch_load_dwordx4 v[2:5], off, off offset:168
	scratch_load_dwordx4 v[6:9], off, off offset:184
	;; [unrolled: 1-line block ×13, first 2 shown]
	v_mov_b32_e32 v114, 0
	scratch_load_dwordx4 v[54:57], off, off offset:376
	scratch_load_dwordx2 v[128:129], off, off offset:160
	ds_read2_b64 v[58:61], v114 offset0:77 offset1:78
	ds_read2_b64 v[62:65], v114 offset0:79 offset1:80
	;; [unrolled: 1-line block ×14, first 2 shown]
	v_cmp_lt_u32_e32 vcc, 19, v0
	s_waitcnt vmcnt(14) lgkmcnt(13)
	v_mul_f32_e32 v115, v58, v3
	v_mul_f32_e32 v116, v60, v5
	v_fmac_f32_e32 v115, v59, v2
	s_waitcnt vmcnt(13) lgkmcnt(12)
	v_mul_f32_e32 v117, v62, v7
	v_fmac_f32_e32 v116, v61, v4
	v_add_f32_e32 v115, 0, v115
	v_mul_f32_e32 v118, v64, v9
	v_fmac_f32_e32 v117, v63, v6
	v_add_f32_e32 v115, v115, v116
	s_waitcnt vmcnt(12) lgkmcnt(11)
	v_mul_f32_e32 v119, v66, v11
	v_fmac_f32_e32 v118, v65, v8
	v_add_f32_e32 v115, v115, v117
	v_mul_f32_e32 v120, v68, v13
	v_fmac_f32_e32 v119, v67, v10
	v_add_f32_e32 v115, v115, v118
	;; [unrolled: 7-line block ×6, first 2 shown]
	s_waitcnt vmcnt(7) lgkmcnt(6)
	v_mul_f32_e32 v131, v86, v31
	v_fmac_f32_e32 v130, v85, v28
	v_add_f32_e32 v115, v115, v127
	scratch_load_dwordx4 v[116:119], off, off offset:392
	v_mul_f32_e32 v132, v88, v33
	v_fmac_f32_e32 v131, v87, v30
	v_add_f32_e32 v115, v115, v130
	s_waitcnt vmcnt(7) lgkmcnt(5)
	v_mul_f32_e32 v133, v90, v35
	v_fmac_f32_e32 v132, v89, v32
	v_add_f32_e32 v115, v115, v131
	v_mul_f32_e32 v134, v92, v37
	v_fmac_f32_e32 v133, v91, v34
	v_add_f32_e32 v115, v115, v132
	s_waitcnt vmcnt(6) lgkmcnt(4)
	v_mul_f32_e32 v135, v94, v39
	v_fmac_f32_e32 v134, v93, v36
	v_add_f32_e32 v115, v115, v133
	;; [unrolled: 7-line block ×3, first 2 shown]
	v_fmac_f32_e32 v137, v99, v42
	v_add_f32_e32 v115, v115, v136
	v_add_f32_e32 v115, v115, v137
	scratch_load_dwordx4 v[120:123], off, off offset:408
	scratch_load_dwordx4 v[124:127], off, off offset:424
	scratch_load_dwordx2 v[136:137], off, off offset:440
	v_mul_f32_e32 v3, v59, v3
	v_fma_f32 v2, v58, v2, -v3
	v_mul_f32_e32 v3, v61, v5
	v_add_f32_e32 v2, 0, v2
	v_fma_f32 v3, v60, v4, -v3
	v_add_f32_e32 v2, v2, v3
	v_mul_f32_e32 v3, v63, v7
	v_fma_f32 v3, v62, v6, -v3
	v_add_f32_e32 v2, v2, v3
	v_mul_f32_e32 v3, v65, v9
	;; [unrolled: 3-line block ×20, first 2 shown]
	v_fma_f32 v3, v100, v44, -v3
	v_add_f32_e32 v2, v2, v3
	s_waitcnt vmcnt(7) lgkmcnt(2)
	v_mul_f32_e32 v3, v103, v47
	v_fma_f32 v3, v102, v46, -v3
	v_add_f32_e32 v2, v2, v3
	v_mul_f32_e32 v3, v105, v49
	v_mul_f32_e32 v138, v100, v45
	v_fma_f32 v3, v104, v48, -v3
	v_mul_f32_e32 v139, v102, v47
	v_fmac_f32_e32 v138, v101, v44
	v_add_f32_e32 v2, v2, v3
	s_waitcnt vmcnt(6) lgkmcnt(1)
	v_mul_f32_e32 v3, v107, v51
	v_mul_f32_e32 v140, v104, v49
	v_fmac_f32_e32 v139, v103, v46
	v_add_f32_e32 v115, v115, v138
	v_fma_f32 v3, v106, v50, -v3
	v_mul_f32_e32 v141, v106, v51
	v_fmac_f32_e32 v140, v105, v48
	v_add_f32_e32 v115, v115, v139
	v_add_f32_e32 v130, v2, v3
	v_mul_f32_e32 v2, v109, v53
	v_fmac_f32_e32 v141, v107, v50
	v_add_f32_e32 v115, v115, v140
	v_mul_f32_e32 v133, v108, v53
	v_fma_f32 v132, v108, v52, -v2
	s_waitcnt vmcnt(5) lgkmcnt(0)
	v_mul_f32_e32 v2, v111, v55
	v_mov_b32_e32 v18, v57
	v_add_f32_e32 v131, v115, v141
	v_fmac_f32_e32 v133, v109, v52
	v_mul_f32_e32 v135, v110, v55
	v_fma_f32 v134, v110, v54, -v2
	ds_read2_b64 v[2:5], v114 offset0:105 offset1:106
	ds_read2_b64 v[6:9], v114 offset0:107 offset1:108
	;; [unrolled: 1-line block ×3, first 2 shown]
	ds_read_b64 v[14:15], v114 offset:888
	v_pk_mul_f32 v[18:19], v[112:113], v[18:19] op_sel:[1,0] op_sel_hi:[0,0]
	v_fmac_f32_e32 v135, v111, v54
	v_pk_add_f32 v[16:17], v[130:131], v[132:133]
	v_pk_fma_f32 v[20:21], v[112:113], v[56:57], v[18:19] neg_lo:[0,0,1] neg_hi:[0,0,1]
	v_pk_fma_f32 v[18:19], v[112:113], v[56:57], v[18:19] op_sel_hi:[1,0,1]
	v_pk_add_f32 v[16:17], v[16:17], v[134:135]
	v_mov_b32_e32 v21, v19
	s_waitcnt vmcnt(3) lgkmcnt(3)
	v_pk_mul_f32 v[18:19], v[2:3], v[116:117] op_sel:[1,1] op_sel_hi:[0,1]
	v_pk_add_f32 v[16:17], v[16:17], v[20:21]
	v_pk_fma_f32 v[20:21], v[2:3], v[116:117], v[18:19] neg_lo:[0,0,1] neg_hi:[0,0,1]
	v_pk_fma_f32 v[2:3], v[2:3], v[116:117], v[18:19] op_sel_hi:[1,0,1]
	s_nop 0
	v_mov_b32_e32 v21, v3
	v_pk_add_f32 v[2:3], v[16:17], v[20:21]
	v_mov_b32_e32 v16, v119
	v_pk_mul_f32 v[16:17], v[4:5], v[16:17] op_sel:[1,0] op_sel_hi:[0,0]
	v_pk_fma_f32 v[18:19], v[4:5], v[118:119], v[16:17] neg_lo:[0,0,1] neg_hi:[0,0,1]
	v_pk_fma_f32 v[4:5], v[4:5], v[118:119], v[16:17] op_sel_hi:[1,0,1]
	s_nop 0
	v_mov_b32_e32 v19, v5
	s_waitcnt vmcnt(2) lgkmcnt(2)
	v_pk_mul_f32 v[4:5], v[6:7], v[120:121] op_sel:[1,1] op_sel_hi:[0,1]
	v_pk_fma_f32 v[16:17], v[6:7], v[120:121], v[4:5] neg_lo:[0,0,1] neg_hi:[0,0,1]
	v_pk_fma_f32 v[4:5], v[6:7], v[120:121], v[4:5] op_sel_hi:[1,0,1]
	v_pk_add_f32 v[2:3], v[2:3], v[18:19]
	v_mov_b32_e32 v4, v123
	v_mov_b32_e32 v17, v5
	v_pk_mul_f32 v[4:5], v[8:9], v[4:5] op_sel:[1,0] op_sel_hi:[0,0]
	v_pk_fma_f32 v[6:7], v[8:9], v[122:123], v[4:5] neg_lo:[0,0,1] neg_hi:[0,0,1]
	v_pk_fma_f32 v[4:5], v[8:9], v[122:123], v[4:5] op_sel_hi:[1,0,1]
	v_pk_add_f32 v[2:3], v[2:3], v[16:17]
	v_mov_b32_e32 v7, v5
	s_waitcnt vmcnt(1) lgkmcnt(1)
	v_pk_mul_f32 v[4:5], v[10:11], v[124:125] op_sel:[1,1] op_sel_hi:[0,1]
	v_pk_add_f32 v[2:3], v[2:3], v[6:7]
	v_pk_fma_f32 v[6:7], v[10:11], v[124:125], v[4:5] neg_lo:[0,0,1] neg_hi:[0,0,1]
	v_pk_fma_f32 v[4:5], v[10:11], v[124:125], v[4:5] op_sel_hi:[1,0,1]
	s_nop 0
	v_mov_b32_e32 v4, v127
	v_mov_b32_e32 v7, v5
	v_pk_mul_f32 v[4:5], v[12:13], v[4:5] op_sel:[1,0] op_sel_hi:[0,0]
	v_pk_add_f32 v[2:3], v[2:3], v[6:7]
	v_pk_fma_f32 v[6:7], v[12:13], v[126:127], v[4:5] neg_lo:[0,0,1] neg_hi:[0,0,1]
	v_pk_fma_f32 v[4:5], v[12:13], v[126:127], v[4:5] op_sel_hi:[1,0,1]
	s_nop 0
	v_mov_b32_e32 v7, v5
	s_waitcnt vmcnt(0) lgkmcnt(0)
	v_pk_mul_f32 v[4:5], v[14:15], v[136:137] op_sel:[1,1] op_sel_hi:[0,1]
	v_pk_add_f32 v[2:3], v[2:3], v[6:7]
	v_pk_fma_f32 v[6:7], v[14:15], v[136:137], v[4:5] neg_lo:[0,0,1] neg_hi:[0,0,1]
	v_pk_fma_f32 v[4:5], v[14:15], v[136:137], v[4:5] op_sel_hi:[1,0,1]
	s_nop 0
	v_mov_b32_e32 v7, v5
	v_pk_add_f32 v[2:3], v[2:3], v[6:7]
	s_nop 0
	v_pk_add_f32 v[2:3], v[128:129], v[2:3] neg_lo:[0,1] neg_hi:[0,1]
	scratch_store_dwordx2 off, v[2:3], off offset:160
	s_and_saveexec_b64 s[0:1], vcc
	s_cbranch_execz .LBB119_311
; %bb.310:
	scratch_load_dwordx2 v[2:3], off, off offset:152
	v_mov_b32_e32 v115, v114
	scratch_store_dwordx2 off, v[114:115], off offset:152
	s_waitcnt vmcnt(1)
	ds_write_b64 v1, v[2:3]
.LBB119_311:
	s_or_b64 exec, exec, s[0:1]
	s_waitcnt lgkmcnt(0)
	; wave barrier
	scratch_load_dwordx4 v[2:5], off, off offset:160
	scratch_load_dwordx4 v[6:9], off, off offset:176
	;; [unrolled: 1-line block ×13, first 2 shown]
	ds_read_b128 v[110:113], v114 offset:608
	ds_read_b128 v[106:109], v114 offset:624
	;; [unrolled: 1-line block ×14, first 2 shown]
	scratch_load_dwordx4 v[66:69], off, off offset:368
	scratch_load_dwordx2 v[132:133], off, off offset:152
	v_cmp_lt_u32_e32 vcc, 18, v0
	s_waitcnt vmcnt(14) lgkmcnt(13)
	v_mul_f32_e32 v115, v110, v3
	v_mul_f32_e32 v116, v112, v5
	v_fmac_f32_e32 v115, v111, v2
	s_waitcnt vmcnt(13) lgkmcnt(12)
	v_mul_f32_e32 v117, v106, v7
	v_fmac_f32_e32 v116, v113, v4
	v_add_f32_e32 v115, 0, v115
	v_mul_f32_e32 v118, v108, v9
	v_fmac_f32_e32 v117, v107, v6
	v_add_f32_e32 v115, v115, v116
	s_waitcnt vmcnt(12) lgkmcnt(11)
	v_mul_f32_e32 v119, v102, v11
	v_fmac_f32_e32 v118, v109, v8
	v_add_f32_e32 v115, v115, v117
	v_mul_f32_e32 v120, v104, v13
	v_fmac_f32_e32 v119, v103, v10
	v_add_f32_e32 v115, v115, v118
	;; [unrolled: 7-line block ×4, first 2 shown]
	s_waitcnt vmcnt(9) lgkmcnt(8)
	v_mul_f32_e32 v125, v90, v23
	v_fmac_f32_e32 v124, v97, v20
	v_add_f32_e32 v115, v115, v123
	scratch_load_dwordx4 v[116:119], off, off offset:384
	v_mul_f32_e32 v126, v92, v25
	v_fmac_f32_e32 v125, v91, v22
	v_add_f32_e32 v115, v115, v124
	s_waitcnt vmcnt(9) lgkmcnt(7)
	v_mul_f32_e32 v127, v86, v27
	v_fmac_f32_e32 v126, v93, v24
	v_add_f32_e32 v115, v115, v125
	v_mul_f32_e32 v128, v88, v29
	v_fmac_f32_e32 v127, v87, v26
	v_add_f32_e32 v115, v115, v126
	s_waitcnt vmcnt(8) lgkmcnt(6)
	v_mul_f32_e32 v129, v82, v31
	v_fmac_f32_e32 v128, v89, v28
	v_add_f32_e32 v115, v115, v127
	;; [unrolled: 7-line block ×3, first 2 shown]
	v_fmac_f32_e32 v131, v79, v34
	v_add_f32_e32 v115, v115, v130
	v_add_f32_e32 v115, v115, v131
	scratch_load_dwordx4 v[120:123], off, off offset:400
	scratch_load_dwordx4 v[124:127], off, off offset:416
	;; [unrolled: 1-line block ×3, first 2 shown]
	v_mul_f32_e32 v3, v111, v3
	v_fma_f32 v2, v110, v2, -v3
	v_mul_f32_e32 v3, v113, v5
	v_add_f32_e32 v2, 0, v2
	v_fma_f32 v3, v112, v4, -v3
	v_add_f32_e32 v2, v2, v3
	v_mul_f32_e32 v3, v107, v7
	v_fma_f32 v3, v106, v6, -v3
	v_add_f32_e32 v2, v2, v3
	v_mul_f32_e32 v3, v109, v9
	;; [unrolled: 3-line block ×16, first 2 shown]
	v_fma_f32 v3, v80, v36, -v3
	v_add_f32_e32 v2, v2, v3
	s_waitcnt vmcnt(9) lgkmcnt(4)
	v_mul_f32_e32 v3, v75, v39
	v_fma_f32 v3, v74, v38, -v3
	v_add_f32_e32 v2, v2, v3
	v_mul_f32_e32 v3, v77, v41
	v_fma_f32 v3, v76, v40, -v3
	v_add_f32_e32 v2, v2, v3
	s_waitcnt vmcnt(8) lgkmcnt(3)
	v_mul_f32_e32 v3, v71, v43
	v_fma_f32 v3, v70, v42, -v3
	v_add_f32_e32 v2, v2, v3
	v_mul_f32_e32 v3, v73, v45
	v_fma_f32 v3, v72, v44, -v3
	v_add_f32_e32 v2, v2, v3
	s_waitcnt vmcnt(7) lgkmcnt(2)
	v_mul_f32_e32 v3, v63, v47
	v_fma_f32 v3, v62, v46, -v3
	v_mul_f32_e32 v134, v80, v37
	v_add_f32_e32 v2, v2, v3
	v_mul_f32_e32 v3, v65, v49
	v_mul_f32_e32 v135, v74, v39
	v_fmac_f32_e32 v134, v81, v36
	v_fma_f32 v3, v64, v48, -v3
	v_mul_f32_e32 v136, v76, v41
	v_fmac_f32_e32 v135, v75, v38
	v_add_f32_e32 v115, v115, v134
	v_add_f32_e32 v2, v2, v3
	s_waitcnt vmcnt(6) lgkmcnt(1)
	v_mul_f32_e32 v3, v55, v51
	v_mul_f32_e32 v137, v70, v43
	v_fmac_f32_e32 v136, v77, v40
	v_add_f32_e32 v115, v115, v135
	v_fma_f32 v3, v54, v50, -v3
	v_mul_f32_e32 v138, v72, v45
	v_fmac_f32_e32 v137, v71, v42
	v_add_f32_e32 v115, v115, v136
	v_add_f32_e32 v2, v2, v3
	v_mul_f32_e32 v3, v57, v53
	v_mul_f32_e32 v139, v62, v47
	v_fmac_f32_e32 v138, v73, v44
	v_add_f32_e32 v115, v115, v137
	v_fma_f32 v3, v56, v52, -v3
	v_mul_f32_e32 v140, v64, v49
	v_fmac_f32_e32 v139, v63, v46
	v_add_f32_e32 v115, v115, v138
	v_add_f32_e32 v134, v2, v3
	s_waitcnt vmcnt(5) lgkmcnt(0)
	v_mul_f32_e32 v2, v59, v67
	v_mul_f32_e32 v141, v54, v51
	v_fmac_f32_e32 v140, v65, v48
	v_add_f32_e32 v115, v115, v139
	v_fma_f32 v136, v58, v66, -v2
	v_mul_f32_e32 v2, v61, v69
	v_mul_f32_e32 v142, v56, v53
	v_fmac_f32_e32 v141, v55, v50
	v_add_f32_e32 v115, v115, v140
	v_fma_f32 v138, v60, v68, -v2
	ds_read_b128 v[2:5], v114 offset:832
	ds_read_b128 v[6:9], v114 offset:848
	;; [unrolled: 1-line block ×4, first 2 shown]
	v_add_f32_e32 v115, v115, v141
	v_fmac_f32_e32 v142, v57, v52
	v_mul_f32_e32 v137, v58, v67
	v_add_f32_e32 v135, v115, v142
	v_fmac_f32_e32 v137, v59, v66
	v_mul_f32_e32 v139, v60, v69
	s_waitcnt vmcnt(3) lgkmcnt(3)
	v_pk_mul_f32 v[20:21], v[2:3], v[116:117] op_sel:[1,1] op_sel_hi:[0,1]
	v_fmac_f32_e32 v139, v61, v68
	v_pk_add_f32 v[18:19], v[134:135], v[136:137]
	v_pk_fma_f32 v[22:23], v[2:3], v[116:117], v[20:21] neg_lo:[0,0,1] neg_hi:[0,0,1]
	v_pk_fma_f32 v[2:3], v[2:3], v[116:117], v[20:21] op_sel_hi:[1,0,1]
	v_pk_add_f32 v[18:19], v[18:19], v[138:139]
	v_mov_b32_e32 v23, v3
	v_pk_add_f32 v[2:3], v[18:19], v[22:23]
	v_mov_b32_e32 v18, v119
	v_pk_mul_f32 v[18:19], v[4:5], v[18:19] op_sel:[1,0] op_sel_hi:[0,0]
	v_pk_fma_f32 v[20:21], v[4:5], v[118:119], v[18:19] neg_lo:[0,0,1] neg_hi:[0,0,1]
	v_pk_fma_f32 v[4:5], v[4:5], v[118:119], v[18:19] op_sel_hi:[1,0,1]
	s_nop 0
	v_mov_b32_e32 v21, v5
	s_waitcnt vmcnt(2) lgkmcnt(2)
	v_pk_mul_f32 v[4:5], v[6:7], v[120:121] op_sel:[1,1] op_sel_hi:[0,1]
	v_pk_fma_f32 v[18:19], v[6:7], v[120:121], v[4:5] neg_lo:[0,0,1] neg_hi:[0,0,1]
	v_pk_fma_f32 v[4:5], v[6:7], v[120:121], v[4:5] op_sel_hi:[1,0,1]
	v_pk_add_f32 v[2:3], v[2:3], v[20:21]
	v_mov_b32_e32 v4, v123
	v_mov_b32_e32 v19, v5
	v_pk_mul_f32 v[4:5], v[8:9], v[4:5] op_sel:[1,0] op_sel_hi:[0,0]
	v_pk_fma_f32 v[6:7], v[8:9], v[122:123], v[4:5] neg_lo:[0,0,1] neg_hi:[0,0,1]
	v_pk_fma_f32 v[4:5], v[8:9], v[122:123], v[4:5] op_sel_hi:[1,0,1]
	v_pk_add_f32 v[2:3], v[2:3], v[18:19]
	v_mov_b32_e32 v7, v5
	s_waitcnt vmcnt(1) lgkmcnt(1)
	v_pk_mul_f32 v[4:5], v[10:11], v[124:125] op_sel:[1,1] op_sel_hi:[0,1]
	v_pk_add_f32 v[2:3], v[2:3], v[6:7]
	v_pk_fma_f32 v[6:7], v[10:11], v[124:125], v[4:5] neg_lo:[0,0,1] neg_hi:[0,0,1]
	v_pk_fma_f32 v[4:5], v[10:11], v[124:125], v[4:5] op_sel_hi:[1,0,1]
	s_nop 0
	v_mov_b32_e32 v4, v127
	v_mov_b32_e32 v7, v5
	v_pk_mul_f32 v[4:5], v[12:13], v[4:5] op_sel:[1,0] op_sel_hi:[0,0]
	v_pk_add_f32 v[2:3], v[2:3], v[6:7]
	v_pk_fma_f32 v[6:7], v[12:13], v[126:127], v[4:5] neg_lo:[0,0,1] neg_hi:[0,0,1]
	v_pk_fma_f32 v[4:5], v[12:13], v[126:127], v[4:5] op_sel_hi:[1,0,1]
	s_nop 0
	v_mov_b32_e32 v7, v5
	s_waitcnt vmcnt(0) lgkmcnt(0)
	v_pk_mul_f32 v[4:5], v[14:15], v[128:129] op_sel:[1,1] op_sel_hi:[0,1]
	v_pk_add_f32 v[2:3], v[2:3], v[6:7]
	v_pk_fma_f32 v[6:7], v[14:15], v[128:129], v[4:5] neg_lo:[0,0,1] neg_hi:[0,0,1]
	v_pk_fma_f32 v[4:5], v[14:15], v[128:129], v[4:5] op_sel_hi:[1,0,1]
	s_nop 0
	v_mov_b32_e32 v4, v131
	v_mov_b32_e32 v7, v5
	v_pk_mul_f32 v[4:5], v[16:17], v[4:5] op_sel:[1,0] op_sel_hi:[0,0]
	v_pk_add_f32 v[2:3], v[2:3], v[6:7]
	v_pk_fma_f32 v[6:7], v[16:17], v[130:131], v[4:5] neg_lo:[0,0,1] neg_hi:[0,0,1]
	v_pk_fma_f32 v[4:5], v[16:17], v[130:131], v[4:5] op_sel_hi:[1,0,1]
	s_nop 0
	v_mov_b32_e32 v7, v5
	v_pk_add_f32 v[2:3], v[2:3], v[6:7]
	s_nop 0
	v_pk_add_f32 v[2:3], v[132:133], v[2:3] neg_lo:[0,1] neg_hi:[0,1]
	scratch_store_dwordx2 off, v[2:3], off offset:152
	s_and_saveexec_b64 s[0:1], vcc
	s_cbranch_execz .LBB119_313
; %bb.312:
	scratch_load_dwordx2 v[2:3], off, off offset:144
	v_mov_b32_e32 v4, 0
	v_mov_b32_e32 v5, v4
	scratch_store_dwordx2 off, v[4:5], off offset:144
	s_waitcnt vmcnt(1)
	ds_write_b64 v1, v[2:3]
.LBB119_313:
	s_or_b64 exec, exec, s[0:1]
	s_waitcnt lgkmcnt(0)
	; wave barrier
	scratch_load_dwordx4 v[6:9], off, off offset:152
	scratch_load_dwordx4 v[14:17], off, off offset:168
	;; [unrolled: 1-line block ×10, first 2 shown]
	v_mov_b32_e32 v86, 0
	ds_read2_b64 v[2:5], v86 offset0:75 offset1:76
	scratch_load_dwordx4 v[88:91], off, off offset:312
	scratch_load_dwordx4 v[96:99], off, off offset:328
	;; [unrolled: 1-line block ×5, first 2 shown]
	v_cmp_lt_u32_e32 vcc, 17, v0
	s_waitcnt vmcnt(14) lgkmcnt(0)
	v_mul_f32_e32 v10, v2, v7
	v_fmac_f32_e32 v10, v3, v6
	v_mul_f32_e32 v11, v4, v9
	v_add_f32_e32 v10, 0, v10
	v_fmac_f32_e32 v11, v5, v8
	v_add_f32_e32 v18, v10, v11
	ds_read2_b64 v[10:13], v86 offset0:77 offset1:78
	v_mul_f32_e32 v3, v3, v7
	v_fma_f32 v2, v2, v6, -v3
	v_mul_f32_e32 v3, v5, v9
	v_add_f32_e32 v2, 0, v2
	s_waitcnt vmcnt(13) lgkmcnt(0)
	v_mul_f32_e32 v19, v10, v15
	v_fmac_f32_e32 v19, v11, v14
	v_add_f32_e32 v18, v18, v19
	v_mul_f32_e32 v19, v12, v17
	v_fmac_f32_e32 v19, v13, v16
	v_add_f32_e32 v26, v18, v19
	ds_read2_b64 v[18:21], v86 offset0:79 offset1:80
	v_fma_f32 v3, v4, v8, -v3
	v_add_f32_e32 v2, v2, v3
	v_mul_f32_e32 v3, v11, v15
	v_fma_f32 v3, v10, v14, -v3
	s_waitcnt vmcnt(12) lgkmcnt(0)
	v_mul_f32_e32 v27, v18, v23
	v_fmac_f32_e32 v27, v19, v22
	v_add_f32_e32 v26, v26, v27
	v_mul_f32_e32 v27, v20, v25
	v_fmac_f32_e32 v27, v21, v24
	v_add_f32_e32 v34, v26, v27
	ds_read2_b64 v[26:29], v86 offset0:81 offset1:82
	v_add_f32_e32 v2, v2, v3
	v_mul_f32_e32 v3, v13, v17
	v_fma_f32 v3, v12, v16, -v3
	v_add_f32_e32 v2, v2, v3
	s_waitcnt vmcnt(11) lgkmcnt(0)
	v_mul_f32_e32 v35, v26, v31
	v_fmac_f32_e32 v35, v27, v30
	v_add_f32_e32 v34, v34, v35
	v_mul_f32_e32 v35, v28, v33
	v_fmac_f32_e32 v35, v29, v32
	v_add_f32_e32 v42, v34, v35
	ds_read2_b64 v[34:37], v86 offset0:83 offset1:84
	v_mul_f32_e32 v3, v19, v23
	v_fma_f32 v3, v18, v22, -v3
	v_add_f32_e32 v2, v2, v3
	v_mul_f32_e32 v3, v21, v25
	s_waitcnt vmcnt(10) lgkmcnt(0)
	v_mul_f32_e32 v43, v34, v39
	v_fmac_f32_e32 v43, v35, v38
	v_add_f32_e32 v42, v42, v43
	v_mul_f32_e32 v43, v36, v41
	v_fmac_f32_e32 v43, v37, v40
	v_add_f32_e32 v50, v42, v43
	ds_read2_b64 v[42:45], v86 offset0:85 offset1:86
	v_fma_f32 v3, v20, v24, -v3
	v_add_f32_e32 v2, v2, v3
	v_mul_f32_e32 v3, v27, v31
	v_fma_f32 v3, v26, v30, -v3
	s_waitcnt vmcnt(9) lgkmcnt(0)
	v_mul_f32_e32 v51, v42, v47
	v_fmac_f32_e32 v51, v43, v46
	v_add_f32_e32 v50, v50, v51
	v_mul_f32_e32 v51, v44, v49
	v_fmac_f32_e32 v51, v45, v48
	v_add_f32_e32 v58, v50, v51
	ds_read2_b64 v[50:53], v86 offset0:87 offset1:88
	v_add_f32_e32 v2, v2, v3
	v_mul_f32_e32 v3, v29, v33
	v_fma_f32 v3, v28, v32, -v3
	v_add_f32_e32 v2, v2, v3
	s_waitcnt vmcnt(8) lgkmcnt(0)
	v_mul_f32_e32 v59, v50, v55
	v_fmac_f32_e32 v59, v51, v54
	v_add_f32_e32 v58, v58, v59
	v_mul_f32_e32 v59, v52, v57
	v_fmac_f32_e32 v59, v53, v56
	v_add_f32_e32 v66, v58, v59
	ds_read2_b64 v[58:61], v86 offset0:89 offset1:90
	v_mul_f32_e32 v3, v35, v39
	v_fma_f32 v3, v34, v38, -v3
	v_add_f32_e32 v2, v2, v3
	v_mul_f32_e32 v3, v37, v41
	;; [unrolled: 36-line block ×4, first 2 shown]
	s_waitcnt vmcnt(1) lgkmcnt(0)
	v_mul_f32_e32 v116, v108, v113
	v_fmac_f32_e32 v116, v109, v112
	v_add_f32_e32 v137, v87, v116
	ds_read2_b64 v[116:119], v86 offset0:103 offset1:104
	scratch_load_dwordx4 v[124:127], off, off offset:392
	scratch_load_dwordx4 v[128:131], off, off offset:408
	;; [unrolled: 1-line block ×3, first 2 shown]
	scratch_load_dwordx2 v[142:143], off, off offset:440
	v_fma_f32 v3, v68, v72, -v3
	v_add_f32_e32 v2, v2, v3
	v_mul_f32_e32 v3, v75, v79
	v_fma_f32 v3, v74, v78, -v3
	v_add_f32_e32 v2, v2, v3
	v_mul_f32_e32 v3, v77, v81
	v_fma_f32 v3, v76, v80, -v3
	v_add_f32_e32 v2, v2, v3
	v_mul_f32_e32 v3, v83, v89
	v_fma_f32 v3, v82, v88, -v3
	v_add_f32_e32 v2, v2, v3
	v_mul_f32_e32 v3, v85, v91
	v_fma_f32 v3, v84, v90, -v3
	v_add_f32_e32 v2, v2, v3
	v_mul_f32_e32 v3, v93, v97
	v_fma_f32 v3, v92, v96, -v3
	v_add_f32_e32 v2, v2, v3
	v_mul_f32_e32 v3, v95, v99
	v_fma_f32 v3, v94, v98, -v3
	v_add_f32_e32 v2, v2, v3
	v_mul_f32_e32 v3, v101, v105
	v_fma_f32 v3, v100, v104, -v3
	v_add_f32_e32 v2, v2, v3
	v_mul_f32_e32 v3, v103, v107
	v_fma_f32 v3, v102, v106, -v3
	v_add_f32_e32 v2, v2, v3
	v_mul_f32_e32 v3, v109, v113
	v_fma_f32 v3, v108, v112, -v3
	v_add_f32_e32 v136, v2, v3
	v_mul_f32_e32 v2, v111, v115
	v_mul_f32_e32 v139, v110, v115
	v_fma_f32 v138, v110, v114, -v2
	s_waitcnt vmcnt(4) lgkmcnt(0)
	v_mul_f32_e32 v2, v117, v121
	v_mov_b32_e32 v18, v123
	v_fmac_f32_e32 v139, v111, v114
	v_mul_f32_e32 v141, v116, v121
	v_fma_f32 v140, v116, v120, -v2
	ds_read2_b64 v[2:5], v86 offset0:105 offset1:106
	ds_read2_b64 v[6:9], v86 offset0:107 offset1:108
	;; [unrolled: 1-line block ×3, first 2 shown]
	ds_read_b64 v[14:15], v86 offset:888
	v_pk_mul_f32 v[18:19], v[118:119], v[18:19] op_sel:[1,0] op_sel_hi:[0,0]
	v_fmac_f32_e32 v141, v117, v120
	v_pk_add_f32 v[16:17], v[136:137], v[138:139]
	v_pk_fma_f32 v[20:21], v[118:119], v[122:123], v[18:19] neg_lo:[0,0,1] neg_hi:[0,0,1]
	v_pk_fma_f32 v[18:19], v[118:119], v[122:123], v[18:19] op_sel_hi:[1,0,1]
	v_pk_add_f32 v[16:17], v[16:17], v[140:141]
	v_mov_b32_e32 v21, v19
	v_pk_add_f32 v[16:17], v[16:17], v[20:21]
	s_waitcnt vmcnt(3) lgkmcnt(3)
	v_pk_mul_f32 v[18:19], v[2:3], v[124:125] op_sel:[1,1] op_sel_hi:[0,1]
	v_pk_fma_f32 v[20:21], v[2:3], v[124:125], v[18:19] neg_lo:[0,0,1] neg_hi:[0,0,1]
	v_pk_fma_f32 v[2:3], v[2:3], v[124:125], v[18:19] op_sel_hi:[1,0,1]
	s_nop 0
	v_mov_b32_e32 v21, v3
	v_pk_add_f32 v[2:3], v[16:17], v[20:21]
	v_mov_b32_e32 v16, v127
	v_pk_mul_f32 v[16:17], v[4:5], v[16:17] op_sel:[1,0] op_sel_hi:[0,0]
	v_pk_fma_f32 v[18:19], v[4:5], v[126:127], v[16:17] neg_lo:[0,0,1] neg_hi:[0,0,1]
	v_pk_fma_f32 v[4:5], v[4:5], v[126:127], v[16:17] op_sel_hi:[1,0,1]
	s_nop 0
	v_mov_b32_e32 v19, v5
	s_waitcnt vmcnt(2) lgkmcnt(2)
	v_pk_mul_f32 v[4:5], v[6:7], v[128:129] op_sel:[1,1] op_sel_hi:[0,1]
	v_pk_fma_f32 v[16:17], v[6:7], v[128:129], v[4:5] neg_lo:[0,0,1] neg_hi:[0,0,1]
	v_pk_fma_f32 v[4:5], v[6:7], v[128:129], v[4:5] op_sel_hi:[1,0,1]
	v_pk_add_f32 v[2:3], v[2:3], v[18:19]
	v_mov_b32_e32 v4, v131
	v_mov_b32_e32 v17, v5
	v_pk_mul_f32 v[4:5], v[8:9], v[4:5] op_sel:[1,0] op_sel_hi:[0,0]
	v_pk_fma_f32 v[6:7], v[8:9], v[130:131], v[4:5] neg_lo:[0,0,1] neg_hi:[0,0,1]
	v_pk_fma_f32 v[4:5], v[8:9], v[130:131], v[4:5] op_sel_hi:[1,0,1]
	v_pk_add_f32 v[2:3], v[2:3], v[16:17]
	v_mov_b32_e32 v7, v5
	s_waitcnt vmcnt(1) lgkmcnt(1)
	v_pk_mul_f32 v[4:5], v[10:11], v[132:133] op_sel:[1,1] op_sel_hi:[0,1]
	v_pk_add_f32 v[2:3], v[2:3], v[6:7]
	v_pk_fma_f32 v[6:7], v[10:11], v[132:133], v[4:5] neg_lo:[0,0,1] neg_hi:[0,0,1]
	v_pk_fma_f32 v[4:5], v[10:11], v[132:133], v[4:5] op_sel_hi:[1,0,1]
	s_nop 0
	v_mov_b32_e32 v4, v135
	v_mov_b32_e32 v7, v5
	v_pk_mul_f32 v[4:5], v[12:13], v[4:5] op_sel:[1,0] op_sel_hi:[0,0]
	v_pk_add_f32 v[2:3], v[2:3], v[6:7]
	v_pk_fma_f32 v[6:7], v[12:13], v[134:135], v[4:5] neg_lo:[0,0,1] neg_hi:[0,0,1]
	v_pk_fma_f32 v[4:5], v[12:13], v[134:135], v[4:5] op_sel_hi:[1,0,1]
	s_nop 0
	v_mov_b32_e32 v7, v5
	s_waitcnt vmcnt(0) lgkmcnt(0)
	v_pk_mul_f32 v[4:5], v[14:15], v[142:143] op_sel:[1,1] op_sel_hi:[0,1]
	v_pk_add_f32 v[2:3], v[2:3], v[6:7]
	v_pk_fma_f32 v[6:7], v[14:15], v[142:143], v[4:5] neg_lo:[0,0,1] neg_hi:[0,0,1]
	v_pk_fma_f32 v[4:5], v[14:15], v[142:143], v[4:5] op_sel_hi:[1,0,1]
	s_nop 0
	v_mov_b32_e32 v7, v5
	scratch_load_dwordx2 v[4:5], off, off offset:144
	v_pk_add_f32 v[2:3], v[2:3], v[6:7]
	s_waitcnt vmcnt(0)
	v_pk_add_f32 v[2:3], v[4:5], v[2:3] neg_lo:[0,1] neg_hi:[0,1]
	scratch_store_dwordx2 off, v[2:3], off offset:144
	s_and_saveexec_b64 s[0:1], vcc
	s_cbranch_execz .LBB119_315
; %bb.314:
	scratch_load_dwordx2 v[2:3], off, off offset:136
	v_mov_b32_e32 v87, v86
	scratch_store_dwordx2 off, v[86:87], off offset:136
	s_waitcnt vmcnt(1)
	ds_write_b64 v1, v[2:3]
.LBB119_315:
	s_or_b64 exec, exec, s[0:1]
	s_waitcnt lgkmcnt(0)
	; wave barrier
	ds_read_b128 v[14:17], v86 offset:592
	ds_read_b128 v[10:13], v86 offset:608
	;; [unrolled: 1-line block ×4, first 2 shown]
	scratch_load_dwordx4 v[18:21], off, off offset:144
	scratch_load_dwordx4 v[38:41], off, off offset:208
	;; [unrolled: 1-line block ×9, first 2 shown]
	v_cmp_lt_u32_e32 vcc, 16, v0
	scratch_load_dwordx4 v[46:49], off, off offset:224
	scratch_load_dwordx4 v[54:57], off, off offset:240
	;; [unrolled: 1-line block ×3, first 2 shown]
	s_waitcnt vmcnt(11) lgkmcnt(3)
	v_mul_f32_e32 v22, v14, v19
	v_fmac_f32_e32 v22, v15, v18
	v_mul_f32_e32 v23, v16, v21
	v_add_f32_e32 v22, 0, v22
	v_fmac_f32_e32 v23, v17, v20
	v_add_f32_e32 v26, v22, v23
	scratch_load_dwordx4 v[22:25], off, off offset:160
	v_mul_f32_e32 v15, v15, v19
	v_fma_f32 v14, v14, v18, -v15
	v_mul_f32_e32 v15, v17, v21
	v_add_f32_e32 v14, 0, v14
	v_fma_f32 v15, v16, v20, -v15
	v_add_f32_e32 v14, v14, v15
	s_waitcnt vmcnt(0) lgkmcnt(2)
	v_mul_f32_e32 v27, v10, v23
	v_fmac_f32_e32 v27, v11, v22
	v_add_f32_e32 v26, v26, v27
	v_mul_f32_e32 v27, v12, v25
	v_fmac_f32_e32 v27, v13, v24
	v_add_f32_e32 v30, v26, v27
	scratch_load_dwordx4 v[26:29], off, off offset:176
	v_mul_f32_e32 v11, v11, v23
	v_fma_f32 v10, v10, v22, -v11
	v_mul_f32_e32 v11, v13, v25
	v_add_f32_e32 v10, v14, v10
	v_fma_f32 v11, v12, v24, -v11
	v_add_f32_e32 v10, v10, v11
	s_waitcnt vmcnt(0) lgkmcnt(1)
	v_mul_f32_e32 v31, v6, v27
	v_fmac_f32_e32 v31, v7, v26
	v_add_f32_e32 v30, v30, v31
	v_mul_f32_e32 v31, v8, v29
	;; [unrolled: 14-line block ×3, first 2 shown]
	v_fmac_f32_e32 v35, v5, v32
	v_add_f32_e32 v42, v34, v35
	ds_read_b128 v[34:37], v86 offset:656
	v_mul_f32_e32 v3, v3, v31
	v_fma_f32 v2, v2, v30, -v3
	v_mul_f32_e32 v3, v5, v33
	v_add_f32_e32 v2, v6, v2
	s_waitcnt lgkmcnt(0)
	v_mul_f32_e32 v43, v34, v39
	v_fmac_f32_e32 v43, v35, v38
	v_add_f32_e32 v42, v42, v43
	v_mul_f32_e32 v43, v36, v41
	v_fmac_f32_e32 v43, v37, v40
	v_add_f32_e32 v50, v42, v43
	ds_read_b128 v[42:45], v86 offset:672
	v_fma_f32 v3, v4, v32, -v3
	v_add_f32_e32 v2, v2, v3
	v_mul_f32_e32 v3, v35, v39
	v_fma_f32 v3, v34, v38, -v3
	s_waitcnt lgkmcnt(0)
	v_mul_f32_e32 v51, v42, v47
	v_fmac_f32_e32 v51, v43, v46
	v_add_f32_e32 v50, v50, v51
	v_mul_f32_e32 v51, v44, v49
	v_fmac_f32_e32 v51, v45, v48
	v_add_f32_e32 v58, v50, v51
	ds_read_b128 v[50:53], v86 offset:688
	v_add_f32_e32 v2, v2, v3
	v_mul_f32_e32 v3, v37, v41
	v_fma_f32 v3, v36, v40, -v3
	v_add_f32_e32 v2, v2, v3
	s_waitcnt lgkmcnt(0)
	v_mul_f32_e32 v59, v50, v55
	v_fmac_f32_e32 v59, v51, v54
	v_add_f32_e32 v58, v58, v59
	v_mul_f32_e32 v59, v52, v57
	v_fmac_f32_e32 v59, v53, v56
	v_add_f32_e32 v66, v58, v59
	ds_read_b128 v[58:61], v86 offset:704
	v_mul_f32_e32 v3, v43, v47
	v_fma_f32 v3, v42, v46, -v3
	v_add_f32_e32 v2, v2, v3
	v_mul_f32_e32 v3, v45, v49
	s_waitcnt lgkmcnt(0)
	v_mul_f32_e32 v67, v58, v63
	v_fmac_f32_e32 v67, v59, v62
	v_add_f32_e32 v66, v66, v67
	v_mul_f32_e32 v67, v60, v65
	v_fmac_f32_e32 v67, v61, v64
	v_add_f32_e32 v74, v66, v67
	ds_read_b128 v[66:69], v86 offset:720
	v_fma_f32 v3, v44, v48, -v3
	v_add_f32_e32 v2, v2, v3
	v_mul_f32_e32 v3, v51, v55
	v_fma_f32 v3, v50, v54, -v3
	s_waitcnt lgkmcnt(0)
	v_mul_f32_e32 v75, v66, v71
	v_fmac_f32_e32 v75, v67, v70
	v_add_f32_e32 v74, v74, v75
	v_mul_f32_e32 v75, v68, v73
	v_fmac_f32_e32 v75, v69, v72
	v_add_f32_e32 v82, v74, v75
	ds_read_b128 v[74:77], v86 offset:736
	v_add_f32_e32 v2, v2, v3
	v_mul_f32_e32 v3, v53, v57
	v_fma_f32 v3, v52, v56, -v3
	v_add_f32_e32 v2, v2, v3
	s_waitcnt lgkmcnt(0)
	v_mul_f32_e32 v83, v74, v79
	v_fmac_f32_e32 v83, v75, v78
	v_add_f32_e32 v82, v82, v83
	v_mul_f32_e32 v83, v76, v81
	v_fmac_f32_e32 v83, v77, v80
	v_add_f32_e32 v87, v82, v83
	ds_read_b128 v[82:85], v86 offset:752
	v_mul_f32_e32 v3, v59, v63
	v_fma_f32 v3, v58, v62, -v3
	v_add_f32_e32 v2, v2, v3
	v_mul_f32_e32 v3, v61, v65
	;; [unrolled: 36-line block ×3, first 2 shown]
	s_waitcnt lgkmcnt(0)
	v_mul_f32_e32 v116, v108, v113
	v_fmac_f32_e32 v116, v109, v112
	v_add_f32_e32 v87, v87, v116
	v_mul_f32_e32 v116, v110, v115
	v_fmac_f32_e32 v116, v111, v114
	v_add_f32_e32 v141, v87, v116
	ds_read_b128 v[116:119], v86 offset:816
	scratch_load_dwordx4 v[124:127], off, off offset:384
	scratch_load_dwordx4 v[128:131], off, off offset:400
	;; [unrolled: 1-line block ×4, first 2 shown]
	v_fma_f32 v3, v76, v80, -v3
	v_add_f32_e32 v2, v2, v3
	v_mul_f32_e32 v3, v83, v89
	v_fma_f32 v3, v82, v88, -v3
	v_add_f32_e32 v2, v2, v3
	v_mul_f32_e32 v3, v85, v91
	;; [unrolled: 3-line block ×8, first 2 shown]
	v_fma_f32 v3, v110, v114, -v3
	v_add_f32_e32 v140, v2, v3
	s_waitcnt lgkmcnt(0)
	v_mul_f32_e32 v2, v117, v121
	v_fma_f32 v142, v116, v120, -v2
	v_mul_f32_e32 v2, v119, v123
	v_fma_f32 v144, v118, v122, -v2
	ds_read_b128 v[2:5], v86 offset:832
	ds_read_b128 v[6:9], v86 offset:848
	;; [unrolled: 1-line block ×4, first 2 shown]
	v_mul_f32_e32 v143, v116, v121
	v_fmac_f32_e32 v143, v117, v120
	v_mul_f32_e32 v145, v118, v123
	v_fmac_f32_e32 v145, v119, v122
	v_pk_add_f32 v[18:19], v[140:141], v[142:143]
	s_waitcnt vmcnt(3) lgkmcnt(3)
	v_pk_mul_f32 v[20:21], v[2:3], v[124:125] op_sel:[1,1] op_sel_hi:[0,1]
	v_pk_fma_f32 v[22:23], v[2:3], v[124:125], v[20:21] neg_lo:[0,0,1] neg_hi:[0,0,1]
	v_pk_fma_f32 v[2:3], v[2:3], v[124:125], v[20:21] op_sel_hi:[1,0,1]
	v_pk_add_f32 v[18:19], v[18:19], v[144:145]
	v_mov_b32_e32 v23, v3
	v_pk_add_f32 v[2:3], v[18:19], v[22:23]
	v_mov_b32_e32 v18, v127
	v_pk_mul_f32 v[18:19], v[4:5], v[18:19] op_sel:[1,0] op_sel_hi:[0,0]
	v_pk_fma_f32 v[20:21], v[4:5], v[126:127], v[18:19] neg_lo:[0,0,1] neg_hi:[0,0,1]
	v_pk_fma_f32 v[4:5], v[4:5], v[126:127], v[18:19] op_sel_hi:[1,0,1]
	s_nop 0
	v_mov_b32_e32 v21, v5
	s_waitcnt vmcnt(2) lgkmcnt(2)
	v_pk_mul_f32 v[4:5], v[6:7], v[128:129] op_sel:[1,1] op_sel_hi:[0,1]
	v_pk_fma_f32 v[18:19], v[6:7], v[128:129], v[4:5] neg_lo:[0,0,1] neg_hi:[0,0,1]
	v_pk_fma_f32 v[4:5], v[6:7], v[128:129], v[4:5] op_sel_hi:[1,0,1]
	v_pk_add_f32 v[2:3], v[2:3], v[20:21]
	v_mov_b32_e32 v4, v131
	v_mov_b32_e32 v19, v5
	v_pk_mul_f32 v[4:5], v[8:9], v[4:5] op_sel:[1,0] op_sel_hi:[0,0]
	v_pk_fma_f32 v[6:7], v[8:9], v[130:131], v[4:5] neg_lo:[0,0,1] neg_hi:[0,0,1]
	v_pk_fma_f32 v[4:5], v[8:9], v[130:131], v[4:5] op_sel_hi:[1,0,1]
	v_pk_add_f32 v[2:3], v[2:3], v[18:19]
	v_mov_b32_e32 v7, v5
	s_waitcnt vmcnt(1) lgkmcnt(1)
	v_pk_mul_f32 v[4:5], v[10:11], v[132:133] op_sel:[1,1] op_sel_hi:[0,1]
	v_pk_add_f32 v[2:3], v[2:3], v[6:7]
	v_pk_fma_f32 v[6:7], v[10:11], v[132:133], v[4:5] neg_lo:[0,0,1] neg_hi:[0,0,1]
	v_pk_fma_f32 v[4:5], v[10:11], v[132:133], v[4:5] op_sel_hi:[1,0,1]
	s_nop 0
	v_mov_b32_e32 v4, v135
	v_mov_b32_e32 v7, v5
	v_pk_mul_f32 v[4:5], v[12:13], v[4:5] op_sel:[1,0] op_sel_hi:[0,0]
	v_pk_add_f32 v[2:3], v[2:3], v[6:7]
	v_pk_fma_f32 v[6:7], v[12:13], v[134:135], v[4:5] neg_lo:[0,0,1] neg_hi:[0,0,1]
	v_pk_fma_f32 v[4:5], v[12:13], v[134:135], v[4:5] op_sel_hi:[1,0,1]
	s_nop 0
	v_mov_b32_e32 v7, v5
	s_waitcnt vmcnt(0) lgkmcnt(0)
	v_pk_mul_f32 v[4:5], v[14:15], v[136:137] op_sel:[1,1] op_sel_hi:[0,1]
	v_pk_add_f32 v[2:3], v[2:3], v[6:7]
	v_pk_fma_f32 v[6:7], v[14:15], v[136:137], v[4:5] neg_lo:[0,0,1] neg_hi:[0,0,1]
	v_pk_fma_f32 v[4:5], v[14:15], v[136:137], v[4:5] op_sel_hi:[1,0,1]
	s_nop 0
	v_mov_b32_e32 v4, v139
	v_mov_b32_e32 v7, v5
	v_pk_mul_f32 v[4:5], v[16:17], v[4:5] op_sel:[1,0] op_sel_hi:[0,0]
	v_pk_add_f32 v[2:3], v[2:3], v[6:7]
	v_pk_fma_f32 v[6:7], v[16:17], v[138:139], v[4:5] neg_lo:[0,0,1] neg_hi:[0,0,1]
	v_pk_fma_f32 v[4:5], v[16:17], v[138:139], v[4:5] op_sel_hi:[1,0,1]
	s_nop 0
	v_mov_b32_e32 v7, v5
	scratch_load_dwordx2 v[4:5], off, off offset:136
	v_pk_add_f32 v[2:3], v[2:3], v[6:7]
	s_waitcnt vmcnt(0)
	v_pk_add_f32 v[2:3], v[4:5], v[2:3] neg_lo:[0,1] neg_hi:[0,1]
	scratch_store_dwordx2 off, v[2:3], off offset:136
	s_and_saveexec_b64 s[0:1], vcc
	s_cbranch_execz .LBB119_317
; %bb.316:
	scratch_load_dwordx2 v[2:3], off, off offset:128
	v_mov_b32_e32 v4, 0
	v_mov_b32_e32 v5, v4
	scratch_store_dwordx2 off, v[4:5], off offset:128
	s_waitcnt vmcnt(1)
	ds_write_b64 v1, v[2:3]
.LBB119_317:
	s_or_b64 exec, exec, s[0:1]
	s_waitcnt lgkmcnt(0)
	; wave barrier
	scratch_load_dwordx4 v[6:9], off, off offset:136
	scratch_load_dwordx4 v[14:17], off, off offset:152
	;; [unrolled: 1-line block ×10, first 2 shown]
	v_mov_b32_e32 v94, 0
	ds_read2_b64 v[2:5], v94 offset0:73 offset1:74
	scratch_load_dwordx4 v[86:89], off, off offset:296
	scratch_load_dwordx4 v[96:99], off, off offset:312
	;; [unrolled: 1-line block ×6, first 2 shown]
	v_cmp_lt_u32_e32 vcc, 15, v0
	s_waitcnt vmcnt(15) lgkmcnt(0)
	v_mul_f32_e32 v10, v2, v7
	v_fmac_f32_e32 v10, v3, v6
	v_mul_f32_e32 v11, v4, v9
	v_add_f32_e32 v10, 0, v10
	v_fmac_f32_e32 v11, v5, v8
	v_add_f32_e32 v18, v10, v11
	ds_read2_b64 v[10:13], v94 offset0:75 offset1:76
	v_mul_f32_e32 v3, v3, v7
	v_fma_f32 v2, v2, v6, -v3
	v_mul_f32_e32 v3, v5, v9
	v_add_f32_e32 v2, 0, v2
	s_waitcnt vmcnt(14) lgkmcnt(0)
	v_mul_f32_e32 v19, v10, v15
	v_fmac_f32_e32 v19, v11, v14
	v_add_f32_e32 v18, v18, v19
	v_mul_f32_e32 v19, v12, v17
	v_fmac_f32_e32 v19, v13, v16
	v_add_f32_e32 v26, v18, v19
	ds_read2_b64 v[18:21], v94 offset0:77 offset1:78
	v_fma_f32 v3, v4, v8, -v3
	v_add_f32_e32 v2, v2, v3
	v_mul_f32_e32 v3, v11, v15
	v_fma_f32 v3, v10, v14, -v3
	s_waitcnt vmcnt(13) lgkmcnt(0)
	v_mul_f32_e32 v27, v18, v23
	v_fmac_f32_e32 v27, v19, v22
	v_add_f32_e32 v26, v26, v27
	v_mul_f32_e32 v27, v20, v25
	v_fmac_f32_e32 v27, v21, v24
	v_add_f32_e32 v34, v26, v27
	ds_read2_b64 v[26:29], v94 offset0:79 offset1:80
	v_add_f32_e32 v2, v2, v3
	v_mul_f32_e32 v3, v13, v17
	v_fma_f32 v3, v12, v16, -v3
	v_add_f32_e32 v2, v2, v3
	s_waitcnt vmcnt(12) lgkmcnt(0)
	v_mul_f32_e32 v35, v26, v31
	v_fmac_f32_e32 v35, v27, v30
	v_add_f32_e32 v34, v34, v35
	v_mul_f32_e32 v35, v28, v33
	v_fmac_f32_e32 v35, v29, v32
	v_add_f32_e32 v42, v34, v35
	ds_read2_b64 v[34:37], v94 offset0:81 offset1:82
	v_mul_f32_e32 v3, v19, v23
	v_fma_f32 v3, v18, v22, -v3
	v_add_f32_e32 v2, v2, v3
	v_mul_f32_e32 v3, v21, v25
	s_waitcnt vmcnt(11) lgkmcnt(0)
	v_mul_f32_e32 v43, v34, v39
	v_fmac_f32_e32 v43, v35, v38
	v_add_f32_e32 v42, v42, v43
	v_mul_f32_e32 v43, v36, v41
	v_fmac_f32_e32 v43, v37, v40
	v_add_f32_e32 v50, v42, v43
	ds_read2_b64 v[42:45], v94 offset0:83 offset1:84
	v_fma_f32 v3, v20, v24, -v3
	v_add_f32_e32 v2, v2, v3
	v_mul_f32_e32 v3, v27, v31
	v_fma_f32 v3, v26, v30, -v3
	s_waitcnt vmcnt(10) lgkmcnt(0)
	v_mul_f32_e32 v51, v42, v47
	v_fmac_f32_e32 v51, v43, v46
	v_add_f32_e32 v50, v50, v51
	v_mul_f32_e32 v51, v44, v49
	v_fmac_f32_e32 v51, v45, v48
	v_add_f32_e32 v58, v50, v51
	ds_read2_b64 v[50:53], v94 offset0:85 offset1:86
	v_add_f32_e32 v2, v2, v3
	v_mul_f32_e32 v3, v29, v33
	v_fma_f32 v3, v28, v32, -v3
	v_add_f32_e32 v2, v2, v3
	s_waitcnt vmcnt(9) lgkmcnt(0)
	v_mul_f32_e32 v59, v50, v55
	v_fmac_f32_e32 v59, v51, v54
	v_add_f32_e32 v58, v58, v59
	v_mul_f32_e32 v59, v52, v57
	v_fmac_f32_e32 v59, v53, v56
	v_add_f32_e32 v66, v58, v59
	ds_read2_b64 v[58:61], v94 offset0:87 offset1:88
	v_mul_f32_e32 v3, v35, v39
	v_fma_f32 v3, v34, v38, -v3
	v_add_f32_e32 v2, v2, v3
	v_mul_f32_e32 v3, v37, v41
	;; [unrolled: 36-line block ×4, first 2 shown]
	s_waitcnt vmcnt(2) lgkmcnt(0)
	v_mul_f32_e32 v116, v108, v113
	v_fmac_f32_e32 v116, v109, v112
	v_add_f32_e32 v95, v95, v116
	v_mul_f32_e32 v116, v110, v115
	v_fmac_f32_e32 v116, v111, v114
	v_add_f32_e32 v95, v95, v116
	ds_read2_b64 v[116:119], v94 offset0:101 offset1:102
	v_fma_f32 v3, v68, v72, -v3
	v_add_f32_e32 v2, v2, v3
	v_mul_f32_e32 v3, v75, v79
	v_fma_f32 v3, v74, v78, -v3
	s_waitcnt vmcnt(1) lgkmcnt(0)
	v_mul_f32_e32 v124, v116, v121
	v_fmac_f32_e32 v124, v117, v120
	v_add_f32_e32 v145, v95, v124
	ds_read2_b64 v[124:127], v94 offset0:103 offset1:104
	scratch_load_dwordx4 v[132:135], off, off offset:392
	scratch_load_dwordx4 v[136:139], off, off offset:408
	;; [unrolled: 1-line block ×3, first 2 shown]
	scratch_load_dwordx2 v[158:159], off, off offset:440
	v_add_f32_e32 v2, v2, v3
	v_mul_f32_e32 v3, v77, v81
	v_fma_f32 v3, v76, v80, -v3
	v_add_f32_e32 v2, v2, v3
	v_mul_f32_e32 v3, v83, v87
	v_fma_f32 v3, v82, v86, -v3
	;; [unrolled: 3-line block ×10, first 2 shown]
	v_add_f32_e32 v144, v2, v3
	v_mul_f32_e32 v2, v119, v123
	v_mul_f32_e32 v147, v118, v123
	v_fma_f32 v146, v118, v122, -v2
	s_waitcnt vmcnt(4) lgkmcnt(0)
	v_mul_f32_e32 v2, v125, v129
	v_mov_b32_e32 v18, v131
	v_fmac_f32_e32 v147, v119, v122
	v_mul_f32_e32 v149, v124, v129
	v_fma_f32 v148, v124, v128, -v2
	ds_read2_b64 v[2:5], v94 offset0:105 offset1:106
	ds_read2_b64 v[6:9], v94 offset0:107 offset1:108
	;; [unrolled: 1-line block ×3, first 2 shown]
	ds_read_b64 v[14:15], v94 offset:888
	v_pk_mul_f32 v[18:19], v[126:127], v[18:19] op_sel:[1,0] op_sel_hi:[0,0]
	v_fmac_f32_e32 v149, v125, v128
	v_pk_add_f32 v[16:17], v[144:145], v[146:147]
	v_pk_fma_f32 v[20:21], v[126:127], v[130:131], v[18:19] neg_lo:[0,0,1] neg_hi:[0,0,1]
	v_pk_fma_f32 v[18:19], v[126:127], v[130:131], v[18:19] op_sel_hi:[1,0,1]
	v_pk_add_f32 v[16:17], v[16:17], v[148:149]
	v_mov_b32_e32 v21, v19
	v_pk_add_f32 v[16:17], v[16:17], v[20:21]
	s_waitcnt vmcnt(3) lgkmcnt(3)
	v_pk_mul_f32 v[18:19], v[2:3], v[132:133] op_sel:[1,1] op_sel_hi:[0,1]
	v_pk_fma_f32 v[20:21], v[2:3], v[132:133], v[18:19] neg_lo:[0,0,1] neg_hi:[0,0,1]
	v_pk_fma_f32 v[2:3], v[2:3], v[132:133], v[18:19] op_sel_hi:[1,0,1]
	s_nop 0
	v_mov_b32_e32 v21, v3
	v_pk_add_f32 v[2:3], v[16:17], v[20:21]
	v_mov_b32_e32 v16, v135
	v_pk_mul_f32 v[16:17], v[4:5], v[16:17] op_sel:[1,0] op_sel_hi:[0,0]
	v_pk_fma_f32 v[18:19], v[4:5], v[134:135], v[16:17] neg_lo:[0,0,1] neg_hi:[0,0,1]
	v_pk_fma_f32 v[4:5], v[4:5], v[134:135], v[16:17] op_sel_hi:[1,0,1]
	s_nop 0
	v_mov_b32_e32 v19, v5
	s_waitcnt vmcnt(2) lgkmcnt(2)
	v_pk_mul_f32 v[4:5], v[6:7], v[136:137] op_sel:[1,1] op_sel_hi:[0,1]
	v_pk_fma_f32 v[16:17], v[6:7], v[136:137], v[4:5] neg_lo:[0,0,1] neg_hi:[0,0,1]
	v_pk_fma_f32 v[4:5], v[6:7], v[136:137], v[4:5] op_sel_hi:[1,0,1]
	v_pk_add_f32 v[2:3], v[2:3], v[18:19]
	v_mov_b32_e32 v4, v139
	v_mov_b32_e32 v17, v5
	v_pk_mul_f32 v[4:5], v[8:9], v[4:5] op_sel:[1,0] op_sel_hi:[0,0]
	v_pk_fma_f32 v[6:7], v[8:9], v[138:139], v[4:5] neg_lo:[0,0,1] neg_hi:[0,0,1]
	v_pk_fma_f32 v[4:5], v[8:9], v[138:139], v[4:5] op_sel_hi:[1,0,1]
	v_pk_add_f32 v[2:3], v[2:3], v[16:17]
	v_mov_b32_e32 v7, v5
	s_waitcnt vmcnt(1) lgkmcnt(1)
	v_pk_mul_f32 v[4:5], v[10:11], v[140:141] op_sel:[1,1] op_sel_hi:[0,1]
	v_pk_add_f32 v[2:3], v[2:3], v[6:7]
	v_pk_fma_f32 v[6:7], v[10:11], v[140:141], v[4:5] neg_lo:[0,0,1] neg_hi:[0,0,1]
	v_pk_fma_f32 v[4:5], v[10:11], v[140:141], v[4:5] op_sel_hi:[1,0,1]
	s_nop 0
	v_mov_b32_e32 v4, v143
	v_mov_b32_e32 v7, v5
	v_pk_mul_f32 v[4:5], v[12:13], v[4:5] op_sel:[1,0] op_sel_hi:[0,0]
	v_pk_add_f32 v[2:3], v[2:3], v[6:7]
	v_pk_fma_f32 v[6:7], v[12:13], v[142:143], v[4:5] neg_lo:[0,0,1] neg_hi:[0,0,1]
	v_pk_fma_f32 v[4:5], v[12:13], v[142:143], v[4:5] op_sel_hi:[1,0,1]
	s_nop 0
	v_mov_b32_e32 v7, v5
	s_waitcnt vmcnt(0) lgkmcnt(0)
	v_pk_mul_f32 v[4:5], v[14:15], v[158:159] op_sel:[1,1] op_sel_hi:[0,1]
	v_pk_add_f32 v[2:3], v[2:3], v[6:7]
	v_pk_fma_f32 v[6:7], v[14:15], v[158:159], v[4:5] neg_lo:[0,0,1] neg_hi:[0,0,1]
	v_pk_fma_f32 v[4:5], v[14:15], v[158:159], v[4:5] op_sel_hi:[1,0,1]
	s_nop 0
	v_mov_b32_e32 v7, v5
	scratch_load_dwordx2 v[4:5], off, off offset:128
	v_pk_add_f32 v[2:3], v[2:3], v[6:7]
	s_waitcnt vmcnt(0)
	v_pk_add_f32 v[2:3], v[4:5], v[2:3] neg_lo:[0,1] neg_hi:[0,1]
	scratch_store_dwordx2 off, v[2:3], off offset:128
	s_and_saveexec_b64 s[0:1], vcc
	s_cbranch_execz .LBB119_319
; %bb.318:
	scratch_load_dwordx2 v[2:3], off, off offset:120
	v_mov_b32_e32 v95, v94
	scratch_store_dwordx2 off, v[94:95], off offset:120
	s_waitcnt vmcnt(1)
	ds_write_b64 v1, v[2:3]
.LBB119_319:
	s_or_b64 exec, exec, s[0:1]
	s_waitcnt lgkmcnt(0)
	; wave barrier
	ds_read_b128 v[14:17], v94 offset:576
	ds_read_b128 v[10:13], v94 offset:592
	;; [unrolled: 1-line block ×4, first 2 shown]
	scratch_load_dwordx4 v[18:21], off, off offset:128
	scratch_load_dwordx4 v[38:41], off, off offset:192
	;; [unrolled: 1-line block ×10, first 2 shown]
	v_cmp_lt_u32_e32 vcc, 14, v0
	scratch_load_dwordx4 v[46:49], off, off offset:208
	scratch_load_dwordx4 v[54:57], off, off offset:224
	scratch_load_dwordx4 v[62:65], off, off offset:240
	s_waitcnt vmcnt(12) lgkmcnt(3)
	v_mul_f32_e32 v22, v14, v19
	v_fmac_f32_e32 v22, v15, v18
	v_mul_f32_e32 v23, v16, v21
	v_add_f32_e32 v22, 0, v22
	v_fmac_f32_e32 v23, v17, v20
	v_add_f32_e32 v26, v22, v23
	scratch_load_dwordx4 v[22:25], off, off offset:144
	v_mul_f32_e32 v15, v15, v19
	v_fma_f32 v14, v14, v18, -v15
	v_mul_f32_e32 v15, v17, v21
	v_add_f32_e32 v14, 0, v14
	v_fma_f32 v15, v16, v20, -v15
	v_add_f32_e32 v14, v14, v15
	s_waitcnt vmcnt(0) lgkmcnt(2)
	v_mul_f32_e32 v27, v10, v23
	v_fmac_f32_e32 v27, v11, v22
	v_add_f32_e32 v26, v26, v27
	v_mul_f32_e32 v27, v12, v25
	v_fmac_f32_e32 v27, v13, v24
	v_add_f32_e32 v30, v26, v27
	scratch_load_dwordx4 v[26:29], off, off offset:160
	v_mul_f32_e32 v11, v11, v23
	v_fma_f32 v10, v10, v22, -v11
	v_mul_f32_e32 v11, v13, v25
	v_add_f32_e32 v10, v14, v10
	v_fma_f32 v11, v12, v24, -v11
	v_add_f32_e32 v10, v10, v11
	s_waitcnt vmcnt(0) lgkmcnt(1)
	v_mul_f32_e32 v31, v6, v27
	v_fmac_f32_e32 v31, v7, v26
	v_add_f32_e32 v30, v30, v31
	v_mul_f32_e32 v31, v8, v29
	;; [unrolled: 14-line block ×3, first 2 shown]
	v_fmac_f32_e32 v35, v5, v32
	v_add_f32_e32 v42, v34, v35
	ds_read_b128 v[34:37], v94 offset:640
	v_mul_f32_e32 v3, v3, v31
	v_fma_f32 v2, v2, v30, -v3
	v_mul_f32_e32 v3, v5, v33
	v_add_f32_e32 v2, v6, v2
	s_waitcnt lgkmcnt(0)
	v_mul_f32_e32 v43, v34, v39
	v_fmac_f32_e32 v43, v35, v38
	v_add_f32_e32 v42, v42, v43
	v_mul_f32_e32 v43, v36, v41
	v_fmac_f32_e32 v43, v37, v40
	v_add_f32_e32 v50, v42, v43
	ds_read_b128 v[42:45], v94 offset:656
	v_fma_f32 v3, v4, v32, -v3
	v_add_f32_e32 v2, v2, v3
	v_mul_f32_e32 v3, v35, v39
	v_fma_f32 v3, v34, v38, -v3
	s_waitcnt lgkmcnt(0)
	v_mul_f32_e32 v51, v42, v47
	v_fmac_f32_e32 v51, v43, v46
	v_add_f32_e32 v50, v50, v51
	v_mul_f32_e32 v51, v44, v49
	v_fmac_f32_e32 v51, v45, v48
	v_add_f32_e32 v58, v50, v51
	ds_read_b128 v[50:53], v94 offset:672
	v_add_f32_e32 v2, v2, v3
	v_mul_f32_e32 v3, v37, v41
	v_fma_f32 v3, v36, v40, -v3
	v_add_f32_e32 v2, v2, v3
	s_waitcnt lgkmcnt(0)
	v_mul_f32_e32 v59, v50, v55
	v_fmac_f32_e32 v59, v51, v54
	v_add_f32_e32 v58, v58, v59
	v_mul_f32_e32 v59, v52, v57
	v_fmac_f32_e32 v59, v53, v56
	v_add_f32_e32 v66, v58, v59
	ds_read_b128 v[58:61], v94 offset:688
	v_mul_f32_e32 v3, v43, v47
	v_fma_f32 v3, v42, v46, -v3
	v_add_f32_e32 v2, v2, v3
	v_mul_f32_e32 v3, v45, v49
	s_waitcnt lgkmcnt(0)
	v_mul_f32_e32 v67, v58, v63
	v_fmac_f32_e32 v67, v59, v62
	v_add_f32_e32 v66, v66, v67
	v_mul_f32_e32 v67, v60, v65
	v_fmac_f32_e32 v67, v61, v64
	v_add_f32_e32 v74, v66, v67
	ds_read_b128 v[66:69], v94 offset:704
	v_fma_f32 v3, v44, v48, -v3
	v_add_f32_e32 v2, v2, v3
	v_mul_f32_e32 v3, v51, v55
	v_fma_f32 v3, v50, v54, -v3
	s_waitcnt lgkmcnt(0)
	v_mul_f32_e32 v75, v66, v71
	v_fmac_f32_e32 v75, v67, v70
	v_add_f32_e32 v74, v74, v75
	v_mul_f32_e32 v75, v68, v73
	v_fmac_f32_e32 v75, v69, v72
	v_add_f32_e32 v82, v74, v75
	ds_read_b128 v[74:77], v94 offset:720
	v_add_f32_e32 v2, v2, v3
	v_mul_f32_e32 v3, v53, v57
	v_fma_f32 v3, v52, v56, -v3
	v_add_f32_e32 v2, v2, v3
	s_waitcnt lgkmcnt(0)
	v_mul_f32_e32 v83, v74, v79
	v_fmac_f32_e32 v83, v75, v78
	v_add_f32_e32 v82, v82, v83
	v_mul_f32_e32 v83, v76, v81
	v_fmac_f32_e32 v83, v77, v80
	v_add_f32_e32 v90, v82, v83
	ds_read_b128 v[82:85], v94 offset:736
	v_mul_f32_e32 v3, v59, v63
	v_fma_f32 v3, v58, v62, -v3
	v_add_f32_e32 v2, v2, v3
	v_mul_f32_e32 v3, v61, v65
	;; [unrolled: 36-line block ×3, first 2 shown]
	s_waitcnt lgkmcnt(0)
	v_mul_f32_e32 v116, v108, v113
	v_fmac_f32_e32 v116, v109, v112
	v_add_f32_e32 v95, v95, v116
	v_mul_f32_e32 v116, v110, v115
	v_fmac_f32_e32 v116, v111, v114
	v_add_f32_e32 v95, v95, v116
	ds_read_b128 v[116:119], v94 offset:800
	v_fma_f32 v3, v76, v80, -v3
	v_add_f32_e32 v2, v2, v3
	v_mul_f32_e32 v3, v83, v87
	v_fma_f32 v3, v82, v86, -v3
	s_waitcnt lgkmcnt(0)
	v_mul_f32_e32 v124, v116, v121
	v_fmac_f32_e32 v124, v117, v120
	v_add_f32_e32 v95, v95, v124
	v_mul_f32_e32 v124, v118, v123
	v_fmac_f32_e32 v124, v119, v122
	v_add_f32_e32 v149, v95, v124
	ds_read_b128 v[124:127], v94 offset:816
	scratch_load_dwordx4 v[132:135], off, off offset:384
	scratch_load_dwordx4 v[136:139], off, off offset:400
	;; [unrolled: 1-line block ×4, first 2 shown]
	v_add_f32_e32 v2, v2, v3
	v_mul_f32_e32 v3, v85, v89
	v_fma_f32 v3, v84, v88, -v3
	v_add_f32_e32 v2, v2, v3
	v_mul_f32_e32 v3, v91, v97
	v_fma_f32 v3, v90, v96, -v3
	;; [unrolled: 3-line block ×9, first 2 shown]
	v_add_f32_e32 v148, v2, v3
	s_waitcnt lgkmcnt(0)
	v_mul_f32_e32 v2, v125, v129
	v_fma_f32 v158, v124, v128, -v2
	v_mul_f32_e32 v2, v127, v131
	v_fma_f32 v160, v126, v130, -v2
	ds_read_b128 v[2:5], v94 offset:832
	ds_read_b128 v[6:9], v94 offset:848
	;; [unrolled: 1-line block ×4, first 2 shown]
	v_mul_f32_e32 v159, v124, v129
	v_fmac_f32_e32 v159, v125, v128
	v_mul_f32_e32 v161, v126, v131
	v_fmac_f32_e32 v161, v127, v130
	v_pk_add_f32 v[18:19], v[148:149], v[158:159]
	s_waitcnt vmcnt(3) lgkmcnt(3)
	v_pk_mul_f32 v[20:21], v[2:3], v[132:133] op_sel:[1,1] op_sel_hi:[0,1]
	v_pk_fma_f32 v[22:23], v[2:3], v[132:133], v[20:21] neg_lo:[0,0,1] neg_hi:[0,0,1]
	v_pk_fma_f32 v[2:3], v[2:3], v[132:133], v[20:21] op_sel_hi:[1,0,1]
	v_pk_add_f32 v[18:19], v[18:19], v[160:161]
	v_mov_b32_e32 v23, v3
	v_pk_add_f32 v[2:3], v[18:19], v[22:23]
	v_mov_b32_e32 v18, v135
	v_pk_mul_f32 v[18:19], v[4:5], v[18:19] op_sel:[1,0] op_sel_hi:[0,0]
	v_pk_fma_f32 v[20:21], v[4:5], v[134:135], v[18:19] neg_lo:[0,0,1] neg_hi:[0,0,1]
	v_pk_fma_f32 v[4:5], v[4:5], v[134:135], v[18:19] op_sel_hi:[1,0,1]
	s_nop 0
	v_mov_b32_e32 v21, v5
	s_waitcnt vmcnt(2) lgkmcnt(2)
	v_pk_mul_f32 v[4:5], v[6:7], v[136:137] op_sel:[1,1] op_sel_hi:[0,1]
	v_pk_fma_f32 v[18:19], v[6:7], v[136:137], v[4:5] neg_lo:[0,0,1] neg_hi:[0,0,1]
	v_pk_fma_f32 v[4:5], v[6:7], v[136:137], v[4:5] op_sel_hi:[1,0,1]
	v_pk_add_f32 v[2:3], v[2:3], v[20:21]
	v_mov_b32_e32 v4, v139
	v_mov_b32_e32 v19, v5
	v_pk_mul_f32 v[4:5], v[8:9], v[4:5] op_sel:[1,0] op_sel_hi:[0,0]
	v_pk_fma_f32 v[6:7], v[8:9], v[138:139], v[4:5] neg_lo:[0,0,1] neg_hi:[0,0,1]
	v_pk_fma_f32 v[4:5], v[8:9], v[138:139], v[4:5] op_sel_hi:[1,0,1]
	v_pk_add_f32 v[2:3], v[2:3], v[18:19]
	v_mov_b32_e32 v7, v5
	s_waitcnt vmcnt(1) lgkmcnt(1)
	v_pk_mul_f32 v[4:5], v[10:11], v[140:141] op_sel:[1,1] op_sel_hi:[0,1]
	v_pk_add_f32 v[2:3], v[2:3], v[6:7]
	v_pk_fma_f32 v[6:7], v[10:11], v[140:141], v[4:5] neg_lo:[0,0,1] neg_hi:[0,0,1]
	v_pk_fma_f32 v[4:5], v[10:11], v[140:141], v[4:5] op_sel_hi:[1,0,1]
	s_nop 0
	v_mov_b32_e32 v4, v143
	v_mov_b32_e32 v7, v5
	v_pk_mul_f32 v[4:5], v[12:13], v[4:5] op_sel:[1,0] op_sel_hi:[0,0]
	v_pk_add_f32 v[2:3], v[2:3], v[6:7]
	v_pk_fma_f32 v[6:7], v[12:13], v[142:143], v[4:5] neg_lo:[0,0,1] neg_hi:[0,0,1]
	v_pk_fma_f32 v[4:5], v[12:13], v[142:143], v[4:5] op_sel_hi:[1,0,1]
	s_nop 0
	v_mov_b32_e32 v7, v5
	s_waitcnt vmcnt(0) lgkmcnt(0)
	v_pk_mul_f32 v[4:5], v[14:15], v[144:145] op_sel:[1,1] op_sel_hi:[0,1]
	v_pk_add_f32 v[2:3], v[2:3], v[6:7]
	v_pk_fma_f32 v[6:7], v[14:15], v[144:145], v[4:5] neg_lo:[0,0,1] neg_hi:[0,0,1]
	v_pk_fma_f32 v[4:5], v[14:15], v[144:145], v[4:5] op_sel_hi:[1,0,1]
	s_nop 0
	v_mov_b32_e32 v4, v147
	v_mov_b32_e32 v7, v5
	v_pk_mul_f32 v[4:5], v[16:17], v[4:5] op_sel:[1,0] op_sel_hi:[0,0]
	v_pk_add_f32 v[2:3], v[2:3], v[6:7]
	v_pk_fma_f32 v[6:7], v[16:17], v[146:147], v[4:5] neg_lo:[0,0,1] neg_hi:[0,0,1]
	v_pk_fma_f32 v[4:5], v[16:17], v[146:147], v[4:5] op_sel_hi:[1,0,1]
	s_nop 0
	v_mov_b32_e32 v7, v5
	scratch_load_dwordx2 v[4:5], off, off offset:120
	v_pk_add_f32 v[2:3], v[2:3], v[6:7]
	s_waitcnt vmcnt(0)
	v_pk_add_f32 v[2:3], v[4:5], v[2:3] neg_lo:[0,1] neg_hi:[0,1]
	scratch_store_dwordx2 off, v[2:3], off offset:120
	s_and_saveexec_b64 s[0:1], vcc
	s_cbranch_execz .LBB119_321
; %bb.320:
	scratch_load_dwordx2 v[2:3], off, off offset:112
	v_mov_b32_e32 v4, 0
	v_mov_b32_e32 v5, v4
	scratch_store_dwordx2 off, v[4:5], off offset:112
	s_waitcnt vmcnt(1)
	ds_write_b64 v1, v[2:3]
.LBB119_321:
	s_or_b64 exec, exec, s[0:1]
	s_waitcnt lgkmcnt(0)
	; wave barrier
	scratch_load_dwordx4 v[6:9], off, off offset:120
	scratch_load_dwordx4 v[14:17], off, off offset:136
	;; [unrolled: 1-line block ×10, first 2 shown]
	v_mov_b32_e32 v102, 0
	ds_read2_b64 v[2:5], v102 offset0:71 offset1:72
	scratch_load_dwordx4 v[86:89], off, off offset:280
	scratch_load_dwordx4 v[94:97], off, off offset:296
	;; [unrolled: 1-line block ×7, first 2 shown]
	v_cmp_lt_u32_e32 vcc, 13, v0
	s_waitcnt vmcnt(16) lgkmcnt(0)
	v_mul_f32_e32 v10, v2, v7
	v_fmac_f32_e32 v10, v3, v6
	v_mul_f32_e32 v11, v4, v9
	v_add_f32_e32 v10, 0, v10
	v_fmac_f32_e32 v11, v5, v8
	v_add_f32_e32 v18, v10, v11
	ds_read2_b64 v[10:13], v102 offset0:73 offset1:74
	v_mul_f32_e32 v3, v3, v7
	v_fma_f32 v2, v2, v6, -v3
	v_mul_f32_e32 v3, v5, v9
	v_add_f32_e32 v2, 0, v2
	s_waitcnt vmcnt(15) lgkmcnt(0)
	v_mul_f32_e32 v19, v10, v15
	v_fmac_f32_e32 v19, v11, v14
	v_add_f32_e32 v18, v18, v19
	v_mul_f32_e32 v19, v12, v17
	v_fmac_f32_e32 v19, v13, v16
	v_add_f32_e32 v26, v18, v19
	ds_read2_b64 v[18:21], v102 offset0:75 offset1:76
	v_fma_f32 v3, v4, v8, -v3
	v_add_f32_e32 v2, v2, v3
	v_mul_f32_e32 v3, v11, v15
	v_fma_f32 v3, v10, v14, -v3
	s_waitcnt vmcnt(14) lgkmcnt(0)
	v_mul_f32_e32 v27, v18, v23
	v_fmac_f32_e32 v27, v19, v22
	v_add_f32_e32 v26, v26, v27
	v_mul_f32_e32 v27, v20, v25
	v_fmac_f32_e32 v27, v21, v24
	v_add_f32_e32 v34, v26, v27
	ds_read2_b64 v[26:29], v102 offset0:77 offset1:78
	v_add_f32_e32 v2, v2, v3
	v_mul_f32_e32 v3, v13, v17
	v_fma_f32 v3, v12, v16, -v3
	v_add_f32_e32 v2, v2, v3
	s_waitcnt vmcnt(13) lgkmcnt(0)
	v_mul_f32_e32 v35, v26, v31
	v_fmac_f32_e32 v35, v27, v30
	v_add_f32_e32 v34, v34, v35
	v_mul_f32_e32 v35, v28, v33
	v_fmac_f32_e32 v35, v29, v32
	v_add_f32_e32 v42, v34, v35
	ds_read2_b64 v[34:37], v102 offset0:79 offset1:80
	v_mul_f32_e32 v3, v19, v23
	v_fma_f32 v3, v18, v22, -v3
	v_add_f32_e32 v2, v2, v3
	v_mul_f32_e32 v3, v21, v25
	s_waitcnt vmcnt(12) lgkmcnt(0)
	v_mul_f32_e32 v43, v34, v39
	v_fmac_f32_e32 v43, v35, v38
	v_add_f32_e32 v42, v42, v43
	v_mul_f32_e32 v43, v36, v41
	v_fmac_f32_e32 v43, v37, v40
	v_add_f32_e32 v50, v42, v43
	ds_read2_b64 v[42:45], v102 offset0:81 offset1:82
	v_fma_f32 v3, v20, v24, -v3
	v_add_f32_e32 v2, v2, v3
	v_mul_f32_e32 v3, v27, v31
	v_fma_f32 v3, v26, v30, -v3
	s_waitcnt vmcnt(11) lgkmcnt(0)
	v_mul_f32_e32 v51, v42, v47
	v_fmac_f32_e32 v51, v43, v46
	v_add_f32_e32 v50, v50, v51
	v_mul_f32_e32 v51, v44, v49
	v_fmac_f32_e32 v51, v45, v48
	v_add_f32_e32 v58, v50, v51
	ds_read2_b64 v[50:53], v102 offset0:83 offset1:84
	v_add_f32_e32 v2, v2, v3
	v_mul_f32_e32 v3, v29, v33
	v_fma_f32 v3, v28, v32, -v3
	v_add_f32_e32 v2, v2, v3
	s_waitcnt vmcnt(10) lgkmcnt(0)
	v_mul_f32_e32 v59, v50, v55
	v_fmac_f32_e32 v59, v51, v54
	v_add_f32_e32 v58, v58, v59
	v_mul_f32_e32 v59, v52, v57
	v_fmac_f32_e32 v59, v53, v56
	v_add_f32_e32 v66, v58, v59
	ds_read2_b64 v[58:61], v102 offset0:85 offset1:86
	v_mul_f32_e32 v3, v35, v39
	v_fma_f32 v3, v34, v38, -v3
	v_add_f32_e32 v2, v2, v3
	v_mul_f32_e32 v3, v37, v41
	;; [unrolled: 36-line block ×4, first 2 shown]
	s_waitcnt vmcnt(3) lgkmcnt(0)
	v_mul_f32_e32 v116, v108, v113
	v_fmac_f32_e32 v116, v109, v112
	v_add_f32_e32 v103, v103, v116
	v_mul_f32_e32 v116, v110, v115
	v_fmac_f32_e32 v116, v111, v114
	v_add_f32_e32 v103, v103, v116
	ds_read2_b64 v[116:119], v102 offset0:99 offset1:100
	v_fma_f32 v3, v68, v72, -v3
	v_add_f32_e32 v2, v2, v3
	v_mul_f32_e32 v3, v75, v79
	v_fma_f32 v3, v74, v78, -v3
	s_waitcnt vmcnt(2) lgkmcnt(0)
	v_mul_f32_e32 v124, v116, v121
	v_fmac_f32_e32 v124, v117, v120
	v_add_f32_e32 v103, v103, v124
	v_mul_f32_e32 v124, v118, v123
	v_fmac_f32_e32 v124, v119, v122
	v_add_f32_e32 v103, v103, v124
	ds_read2_b64 v[124:127], v102 offset0:101 offset1:102
	v_add_f32_e32 v2, v2, v3
	v_mul_f32_e32 v3, v77, v81
	v_fma_f32 v3, v76, v80, -v3
	v_add_f32_e32 v2, v2, v3
	s_waitcnt vmcnt(1) lgkmcnt(0)
	v_mul_f32_e32 v132, v124, v129
	v_fmac_f32_e32 v132, v125, v128
	v_add_f32_e32 v149, v103, v132
	ds_read2_b64 v[132:135], v102 offset0:103 offset1:104
	scratch_load_dwordx4 v[140:143], off, off offset:392
	scratch_load_dwordx4 v[144:147], off, off offset:408
	;; [unrolled: 1-line block ×3, first 2 shown]
	scratch_load_dwordx2 v[166:167], off, off offset:440
	v_mul_f32_e32 v3, v83, v87
	v_fma_f32 v3, v82, v86, -v3
	v_add_f32_e32 v2, v2, v3
	v_mul_f32_e32 v3, v85, v89
	v_fma_f32 v3, v84, v88, -v3
	v_add_f32_e32 v2, v2, v3
	;; [unrolled: 3-line block ×11, first 2 shown]
	v_mul_f32_e32 v2, v127, v131
	v_mul_f32_e32 v163, v126, v131
	v_fma_f32 v162, v126, v130, -v2
	s_waitcnt vmcnt(4) lgkmcnt(0)
	v_mul_f32_e32 v2, v133, v137
	v_mov_b32_e32 v18, v139
	v_fmac_f32_e32 v163, v127, v130
	v_mul_f32_e32 v165, v132, v137
	v_fma_f32 v164, v132, v136, -v2
	ds_read2_b64 v[2:5], v102 offset0:105 offset1:106
	ds_read2_b64 v[6:9], v102 offset0:107 offset1:108
	;; [unrolled: 1-line block ×3, first 2 shown]
	ds_read_b64 v[14:15], v102 offset:888
	v_pk_mul_f32 v[18:19], v[134:135], v[18:19] op_sel:[1,0] op_sel_hi:[0,0]
	v_fmac_f32_e32 v165, v133, v136
	v_pk_add_f32 v[16:17], v[148:149], v[162:163]
	v_pk_fma_f32 v[20:21], v[134:135], v[138:139], v[18:19] neg_lo:[0,0,1] neg_hi:[0,0,1]
	v_pk_fma_f32 v[18:19], v[134:135], v[138:139], v[18:19] op_sel_hi:[1,0,1]
	v_pk_add_f32 v[16:17], v[16:17], v[164:165]
	v_mov_b32_e32 v21, v19
	v_pk_add_f32 v[16:17], v[16:17], v[20:21]
	s_waitcnt vmcnt(3) lgkmcnt(3)
	v_pk_mul_f32 v[18:19], v[2:3], v[140:141] op_sel:[1,1] op_sel_hi:[0,1]
	v_pk_fma_f32 v[20:21], v[2:3], v[140:141], v[18:19] neg_lo:[0,0,1] neg_hi:[0,0,1]
	v_pk_fma_f32 v[2:3], v[2:3], v[140:141], v[18:19] op_sel_hi:[1,0,1]
	s_nop 0
	v_mov_b32_e32 v21, v3
	v_pk_add_f32 v[2:3], v[16:17], v[20:21]
	v_mov_b32_e32 v16, v143
	v_pk_mul_f32 v[16:17], v[4:5], v[16:17] op_sel:[1,0] op_sel_hi:[0,0]
	v_pk_fma_f32 v[18:19], v[4:5], v[142:143], v[16:17] neg_lo:[0,0,1] neg_hi:[0,0,1]
	v_pk_fma_f32 v[4:5], v[4:5], v[142:143], v[16:17] op_sel_hi:[1,0,1]
	s_nop 0
	v_mov_b32_e32 v19, v5
	s_waitcnt vmcnt(2) lgkmcnt(2)
	v_pk_mul_f32 v[4:5], v[6:7], v[144:145] op_sel:[1,1] op_sel_hi:[0,1]
	v_pk_fma_f32 v[16:17], v[6:7], v[144:145], v[4:5] neg_lo:[0,0,1] neg_hi:[0,0,1]
	v_pk_fma_f32 v[4:5], v[6:7], v[144:145], v[4:5] op_sel_hi:[1,0,1]
	v_pk_add_f32 v[2:3], v[2:3], v[18:19]
	v_mov_b32_e32 v4, v147
	v_mov_b32_e32 v17, v5
	v_pk_mul_f32 v[4:5], v[8:9], v[4:5] op_sel:[1,0] op_sel_hi:[0,0]
	v_pk_fma_f32 v[6:7], v[8:9], v[146:147], v[4:5] neg_lo:[0,0,1] neg_hi:[0,0,1]
	v_pk_fma_f32 v[4:5], v[8:9], v[146:147], v[4:5] op_sel_hi:[1,0,1]
	v_pk_add_f32 v[2:3], v[2:3], v[16:17]
	v_mov_b32_e32 v7, v5
	s_waitcnt vmcnt(1) lgkmcnt(1)
	v_pk_mul_f32 v[4:5], v[10:11], v[158:159] op_sel:[1,1] op_sel_hi:[0,1]
	v_pk_add_f32 v[2:3], v[2:3], v[6:7]
	v_pk_fma_f32 v[6:7], v[10:11], v[158:159], v[4:5] neg_lo:[0,0,1] neg_hi:[0,0,1]
	v_pk_fma_f32 v[4:5], v[10:11], v[158:159], v[4:5] op_sel_hi:[1,0,1]
	s_nop 0
	v_mov_b32_e32 v4, v161
	v_mov_b32_e32 v7, v5
	v_pk_mul_f32 v[4:5], v[12:13], v[4:5] op_sel:[1,0] op_sel_hi:[0,0]
	v_pk_add_f32 v[2:3], v[2:3], v[6:7]
	v_pk_fma_f32 v[6:7], v[12:13], v[160:161], v[4:5] neg_lo:[0,0,1] neg_hi:[0,0,1]
	v_pk_fma_f32 v[4:5], v[12:13], v[160:161], v[4:5] op_sel_hi:[1,0,1]
	s_nop 0
	v_mov_b32_e32 v7, v5
	s_waitcnt vmcnt(0) lgkmcnt(0)
	v_pk_mul_f32 v[4:5], v[14:15], v[166:167] op_sel:[1,1] op_sel_hi:[0,1]
	v_pk_add_f32 v[2:3], v[2:3], v[6:7]
	v_pk_fma_f32 v[6:7], v[14:15], v[166:167], v[4:5] neg_lo:[0,0,1] neg_hi:[0,0,1]
	v_pk_fma_f32 v[4:5], v[14:15], v[166:167], v[4:5] op_sel_hi:[1,0,1]
	s_nop 0
	v_mov_b32_e32 v7, v5
	scratch_load_dwordx2 v[4:5], off, off offset:112
	v_pk_add_f32 v[2:3], v[2:3], v[6:7]
	s_waitcnt vmcnt(0)
	v_pk_add_f32 v[2:3], v[4:5], v[2:3] neg_lo:[0,1] neg_hi:[0,1]
	scratch_store_dwordx2 off, v[2:3], off offset:112
	s_and_saveexec_b64 s[0:1], vcc
	s_cbranch_execz .LBB119_323
; %bb.322:
	scratch_load_dwordx2 v[2:3], off, off offset:104
	v_mov_b32_e32 v103, v102
	scratch_store_dwordx2 off, v[102:103], off offset:104
	s_waitcnt vmcnt(1)
	ds_write_b64 v1, v[2:3]
.LBB119_323:
	s_or_b64 exec, exec, s[0:1]
	s_waitcnt lgkmcnt(0)
	; wave barrier
	ds_read_b128 v[14:17], v102 offset:560
	ds_read_b128 v[10:13], v102 offset:576
	;; [unrolled: 1-line block ×4, first 2 shown]
	scratch_load_dwordx4 v[18:21], off, off offset:112
	scratch_load_dwordx4 v[38:41], off, off offset:176
	;; [unrolled: 1-line block ×11, first 2 shown]
	v_cmp_lt_u32_e32 vcc, 12, v0
	scratch_load_dwordx4 v[46:49], off, off offset:192
	scratch_load_dwordx4 v[54:57], off, off offset:208
	;; [unrolled: 1-line block ×3, first 2 shown]
	s_waitcnt vmcnt(13) lgkmcnt(3)
	v_mul_f32_e32 v22, v14, v19
	v_fmac_f32_e32 v22, v15, v18
	v_mul_f32_e32 v23, v16, v21
	v_add_f32_e32 v22, 0, v22
	v_fmac_f32_e32 v23, v17, v20
	v_add_f32_e32 v26, v22, v23
	scratch_load_dwordx4 v[22:25], off, off offset:128
	v_mul_f32_e32 v15, v15, v19
	v_fma_f32 v14, v14, v18, -v15
	v_mul_f32_e32 v15, v17, v21
	v_add_f32_e32 v14, 0, v14
	v_fma_f32 v15, v16, v20, -v15
	v_add_f32_e32 v14, v14, v15
	s_waitcnt vmcnt(0) lgkmcnt(2)
	v_mul_f32_e32 v27, v10, v23
	v_fmac_f32_e32 v27, v11, v22
	v_add_f32_e32 v26, v26, v27
	v_mul_f32_e32 v27, v12, v25
	v_fmac_f32_e32 v27, v13, v24
	v_add_f32_e32 v30, v26, v27
	scratch_load_dwordx4 v[26:29], off, off offset:144
	v_mul_f32_e32 v11, v11, v23
	v_fma_f32 v10, v10, v22, -v11
	v_mul_f32_e32 v11, v13, v25
	v_add_f32_e32 v10, v14, v10
	v_fma_f32 v11, v12, v24, -v11
	v_add_f32_e32 v10, v10, v11
	s_waitcnt vmcnt(0) lgkmcnt(1)
	v_mul_f32_e32 v31, v6, v27
	v_fmac_f32_e32 v31, v7, v26
	v_add_f32_e32 v30, v30, v31
	v_mul_f32_e32 v31, v8, v29
	;; [unrolled: 14-line block ×3, first 2 shown]
	v_fmac_f32_e32 v35, v5, v32
	v_add_f32_e32 v42, v34, v35
	ds_read_b128 v[34:37], v102 offset:624
	v_mul_f32_e32 v3, v3, v31
	v_fma_f32 v2, v2, v30, -v3
	v_mul_f32_e32 v3, v5, v33
	v_add_f32_e32 v2, v6, v2
	s_waitcnt lgkmcnt(0)
	v_mul_f32_e32 v43, v34, v39
	v_fmac_f32_e32 v43, v35, v38
	v_add_f32_e32 v42, v42, v43
	v_mul_f32_e32 v43, v36, v41
	v_fmac_f32_e32 v43, v37, v40
	v_add_f32_e32 v50, v42, v43
	ds_read_b128 v[42:45], v102 offset:640
	v_fma_f32 v3, v4, v32, -v3
	v_add_f32_e32 v2, v2, v3
	v_mul_f32_e32 v3, v35, v39
	v_fma_f32 v3, v34, v38, -v3
	s_waitcnt lgkmcnt(0)
	v_mul_f32_e32 v51, v42, v47
	v_fmac_f32_e32 v51, v43, v46
	v_add_f32_e32 v50, v50, v51
	v_mul_f32_e32 v51, v44, v49
	v_fmac_f32_e32 v51, v45, v48
	v_add_f32_e32 v58, v50, v51
	ds_read_b128 v[50:53], v102 offset:656
	v_add_f32_e32 v2, v2, v3
	v_mul_f32_e32 v3, v37, v41
	v_fma_f32 v3, v36, v40, -v3
	v_add_f32_e32 v2, v2, v3
	s_waitcnt lgkmcnt(0)
	v_mul_f32_e32 v59, v50, v55
	v_fmac_f32_e32 v59, v51, v54
	v_add_f32_e32 v58, v58, v59
	v_mul_f32_e32 v59, v52, v57
	v_fmac_f32_e32 v59, v53, v56
	v_add_f32_e32 v66, v58, v59
	ds_read_b128 v[58:61], v102 offset:672
	v_mul_f32_e32 v3, v43, v47
	v_fma_f32 v3, v42, v46, -v3
	v_add_f32_e32 v2, v2, v3
	v_mul_f32_e32 v3, v45, v49
	s_waitcnt lgkmcnt(0)
	v_mul_f32_e32 v67, v58, v63
	v_fmac_f32_e32 v67, v59, v62
	v_add_f32_e32 v66, v66, v67
	v_mul_f32_e32 v67, v60, v65
	v_fmac_f32_e32 v67, v61, v64
	v_add_f32_e32 v74, v66, v67
	ds_read_b128 v[66:69], v102 offset:688
	v_fma_f32 v3, v44, v48, -v3
	v_add_f32_e32 v2, v2, v3
	v_mul_f32_e32 v3, v51, v55
	v_fma_f32 v3, v50, v54, -v3
	s_waitcnt lgkmcnt(0)
	v_mul_f32_e32 v75, v66, v71
	v_fmac_f32_e32 v75, v67, v70
	v_add_f32_e32 v74, v74, v75
	v_mul_f32_e32 v75, v68, v73
	v_fmac_f32_e32 v75, v69, v72
	v_add_f32_e32 v82, v74, v75
	ds_read_b128 v[74:77], v102 offset:704
	v_add_f32_e32 v2, v2, v3
	v_mul_f32_e32 v3, v53, v57
	v_fma_f32 v3, v52, v56, -v3
	v_add_f32_e32 v2, v2, v3
	s_waitcnt lgkmcnt(0)
	v_mul_f32_e32 v83, v74, v79
	v_fmac_f32_e32 v83, v75, v78
	v_add_f32_e32 v82, v82, v83
	v_mul_f32_e32 v83, v76, v81
	v_fmac_f32_e32 v83, v77, v80
	v_add_f32_e32 v90, v82, v83
	ds_read_b128 v[82:85], v102 offset:720
	v_mul_f32_e32 v3, v59, v63
	v_fma_f32 v3, v58, v62, -v3
	v_add_f32_e32 v2, v2, v3
	v_mul_f32_e32 v3, v61, v65
	;; [unrolled: 36-line block ×3, first 2 shown]
	s_waitcnt lgkmcnt(0)
	v_mul_f32_e32 v116, v108, v113
	v_fmac_f32_e32 v116, v109, v112
	v_add_f32_e32 v103, v103, v116
	v_mul_f32_e32 v116, v110, v115
	v_fmac_f32_e32 v116, v111, v114
	v_add_f32_e32 v103, v103, v116
	ds_read_b128 v[116:119], v102 offset:784
	v_fma_f32 v3, v76, v80, -v3
	v_add_f32_e32 v2, v2, v3
	v_mul_f32_e32 v3, v83, v87
	v_fma_f32 v3, v82, v86, -v3
	s_waitcnt lgkmcnt(0)
	v_mul_f32_e32 v124, v116, v121
	v_fmac_f32_e32 v124, v117, v120
	v_add_f32_e32 v103, v103, v124
	v_mul_f32_e32 v124, v118, v123
	v_fmac_f32_e32 v124, v119, v122
	v_add_f32_e32 v103, v103, v124
	ds_read_b128 v[124:127], v102 offset:800
	v_add_f32_e32 v2, v2, v3
	v_mul_f32_e32 v3, v85, v89
	v_fma_f32 v3, v84, v88, -v3
	v_add_f32_e32 v2, v2, v3
	s_waitcnt lgkmcnt(0)
	v_mul_f32_e32 v132, v124, v129
	v_fmac_f32_e32 v132, v125, v128
	v_add_f32_e32 v103, v103, v132
	v_mul_f32_e32 v132, v126, v131
	v_fmac_f32_e32 v132, v127, v130
	v_add_f32_e32 v149, v103, v132
	ds_read_b128 v[132:135], v102 offset:816
	scratch_load_dwordx4 v[140:143], off, off offset:384
	scratch_load_dwordx4 v[144:147], off, off offset:400
	;; [unrolled: 1-line block ×4, first 2 shown]
	v_mul_f32_e32 v3, v91, v95
	v_fma_f32 v3, v90, v94, -v3
	v_add_f32_e32 v2, v2, v3
	v_mul_f32_e32 v3, v93, v97
	v_fma_f32 v3, v92, v96, -v3
	v_add_f32_e32 v2, v2, v3
	;; [unrolled: 3-line block ×10, first 2 shown]
	s_waitcnt lgkmcnt(0)
	v_mul_f32_e32 v2, v133, v137
	v_fma_f32 v166, v132, v136, -v2
	v_mul_f32_e32 v2, v135, v139
	v_fma_f32 v168, v134, v138, -v2
	ds_read_b128 v[2:5], v102 offset:832
	ds_read_b128 v[6:9], v102 offset:848
	;; [unrolled: 1-line block ×4, first 2 shown]
	v_mul_f32_e32 v167, v132, v137
	v_fmac_f32_e32 v167, v133, v136
	v_mul_f32_e32 v169, v134, v139
	v_fmac_f32_e32 v169, v135, v138
	v_pk_add_f32 v[18:19], v[148:149], v[166:167]
	s_waitcnt vmcnt(3) lgkmcnt(3)
	v_pk_mul_f32 v[20:21], v[2:3], v[140:141] op_sel:[1,1] op_sel_hi:[0,1]
	v_pk_fma_f32 v[22:23], v[2:3], v[140:141], v[20:21] neg_lo:[0,0,1] neg_hi:[0,0,1]
	v_pk_fma_f32 v[2:3], v[2:3], v[140:141], v[20:21] op_sel_hi:[1,0,1]
	v_pk_add_f32 v[18:19], v[18:19], v[168:169]
	v_mov_b32_e32 v23, v3
	v_pk_add_f32 v[2:3], v[18:19], v[22:23]
	v_mov_b32_e32 v18, v143
	v_pk_mul_f32 v[18:19], v[4:5], v[18:19] op_sel:[1,0] op_sel_hi:[0,0]
	v_pk_fma_f32 v[20:21], v[4:5], v[142:143], v[18:19] neg_lo:[0,0,1] neg_hi:[0,0,1]
	v_pk_fma_f32 v[4:5], v[4:5], v[142:143], v[18:19] op_sel_hi:[1,0,1]
	s_nop 0
	v_mov_b32_e32 v21, v5
	s_waitcnt vmcnt(2) lgkmcnt(2)
	v_pk_mul_f32 v[4:5], v[6:7], v[144:145] op_sel:[1,1] op_sel_hi:[0,1]
	v_pk_fma_f32 v[18:19], v[6:7], v[144:145], v[4:5] neg_lo:[0,0,1] neg_hi:[0,0,1]
	v_pk_fma_f32 v[4:5], v[6:7], v[144:145], v[4:5] op_sel_hi:[1,0,1]
	v_pk_add_f32 v[2:3], v[2:3], v[20:21]
	v_mov_b32_e32 v4, v147
	v_mov_b32_e32 v19, v5
	v_pk_mul_f32 v[4:5], v[8:9], v[4:5] op_sel:[1,0] op_sel_hi:[0,0]
	v_pk_fma_f32 v[6:7], v[8:9], v[146:147], v[4:5] neg_lo:[0,0,1] neg_hi:[0,0,1]
	v_pk_fma_f32 v[4:5], v[8:9], v[146:147], v[4:5] op_sel_hi:[1,0,1]
	v_pk_add_f32 v[2:3], v[2:3], v[18:19]
	v_mov_b32_e32 v7, v5
	s_waitcnt vmcnt(1) lgkmcnt(1)
	v_pk_mul_f32 v[4:5], v[10:11], v[158:159] op_sel:[1,1] op_sel_hi:[0,1]
	v_pk_add_f32 v[2:3], v[2:3], v[6:7]
	v_pk_fma_f32 v[6:7], v[10:11], v[158:159], v[4:5] neg_lo:[0,0,1] neg_hi:[0,0,1]
	v_pk_fma_f32 v[4:5], v[10:11], v[158:159], v[4:5] op_sel_hi:[1,0,1]
	s_nop 0
	v_mov_b32_e32 v4, v161
	v_mov_b32_e32 v7, v5
	v_pk_mul_f32 v[4:5], v[12:13], v[4:5] op_sel:[1,0] op_sel_hi:[0,0]
	v_pk_add_f32 v[2:3], v[2:3], v[6:7]
	v_pk_fma_f32 v[6:7], v[12:13], v[160:161], v[4:5] neg_lo:[0,0,1] neg_hi:[0,0,1]
	v_pk_fma_f32 v[4:5], v[12:13], v[160:161], v[4:5] op_sel_hi:[1,0,1]
	s_nop 0
	v_mov_b32_e32 v7, v5
	s_waitcnt vmcnt(0) lgkmcnt(0)
	v_pk_mul_f32 v[4:5], v[14:15], v[162:163] op_sel:[1,1] op_sel_hi:[0,1]
	v_pk_add_f32 v[2:3], v[2:3], v[6:7]
	v_pk_fma_f32 v[6:7], v[14:15], v[162:163], v[4:5] neg_lo:[0,0,1] neg_hi:[0,0,1]
	v_pk_fma_f32 v[4:5], v[14:15], v[162:163], v[4:5] op_sel_hi:[1,0,1]
	s_nop 0
	v_mov_b32_e32 v4, v165
	v_mov_b32_e32 v7, v5
	v_pk_mul_f32 v[4:5], v[16:17], v[4:5] op_sel:[1,0] op_sel_hi:[0,0]
	v_pk_add_f32 v[2:3], v[2:3], v[6:7]
	v_pk_fma_f32 v[6:7], v[16:17], v[164:165], v[4:5] neg_lo:[0,0,1] neg_hi:[0,0,1]
	v_pk_fma_f32 v[4:5], v[16:17], v[164:165], v[4:5] op_sel_hi:[1,0,1]
	s_nop 0
	v_mov_b32_e32 v7, v5
	scratch_load_dwordx2 v[4:5], off, off offset:104
	v_pk_add_f32 v[2:3], v[2:3], v[6:7]
	s_waitcnt vmcnt(0)
	v_pk_add_f32 v[2:3], v[4:5], v[2:3] neg_lo:[0,1] neg_hi:[0,1]
	scratch_store_dwordx2 off, v[2:3], off offset:104
	s_and_saveexec_b64 s[0:1], vcc
	s_cbranch_execz .LBB119_325
; %bb.324:
	scratch_load_dwordx2 v[2:3], off, off offset:96
	v_mov_b32_e32 v4, 0
	v_mov_b32_e32 v5, v4
	scratch_store_dwordx2 off, v[4:5], off offset:96
	s_waitcnt vmcnt(1)
	ds_write_b64 v1, v[2:3]
.LBB119_325:
	s_or_b64 exec, exec, s[0:1]
	s_waitcnt lgkmcnt(0)
	; wave barrier
	scratch_load_dwordx4 v[6:9], off, off offset:104
	scratch_load_dwordx4 v[14:17], off, off offset:120
	;; [unrolled: 1-line block ×10, first 2 shown]
	v_mov_b32_e32 v102, 0
	ds_read2_b64 v[2:5], v102 offset0:69 offset1:70
	scratch_load_dwordx4 v[86:89], off, off offset:264
	scratch_load_dwordx4 v[94:97], off, off offset:280
	;; [unrolled: 1-line block ×8, first 2 shown]
	v_cmp_lt_u32_e32 vcc, 11, v0
	s_waitcnt vmcnt(17) lgkmcnt(0)
	v_mul_f32_e32 v10, v2, v7
	v_fmac_f32_e32 v10, v3, v6
	v_mul_f32_e32 v11, v4, v9
	v_add_f32_e32 v10, 0, v10
	v_fmac_f32_e32 v11, v5, v8
	v_add_f32_e32 v18, v10, v11
	ds_read2_b64 v[10:13], v102 offset0:71 offset1:72
	v_mul_f32_e32 v3, v3, v7
	v_fma_f32 v2, v2, v6, -v3
	v_mul_f32_e32 v3, v5, v9
	v_add_f32_e32 v2, 0, v2
	s_waitcnt vmcnt(16) lgkmcnt(0)
	v_mul_f32_e32 v19, v10, v15
	v_fmac_f32_e32 v19, v11, v14
	v_add_f32_e32 v18, v18, v19
	v_mul_f32_e32 v19, v12, v17
	v_fmac_f32_e32 v19, v13, v16
	v_add_f32_e32 v26, v18, v19
	ds_read2_b64 v[18:21], v102 offset0:73 offset1:74
	v_fma_f32 v3, v4, v8, -v3
	v_add_f32_e32 v2, v2, v3
	v_mul_f32_e32 v3, v11, v15
	v_fma_f32 v3, v10, v14, -v3
	s_waitcnt vmcnt(15) lgkmcnt(0)
	v_mul_f32_e32 v27, v18, v23
	v_fmac_f32_e32 v27, v19, v22
	v_add_f32_e32 v26, v26, v27
	v_mul_f32_e32 v27, v20, v25
	v_fmac_f32_e32 v27, v21, v24
	v_add_f32_e32 v34, v26, v27
	ds_read2_b64 v[26:29], v102 offset0:75 offset1:76
	v_add_f32_e32 v2, v2, v3
	v_mul_f32_e32 v3, v13, v17
	v_fma_f32 v3, v12, v16, -v3
	v_add_f32_e32 v2, v2, v3
	s_waitcnt vmcnt(14) lgkmcnt(0)
	v_mul_f32_e32 v35, v26, v31
	v_fmac_f32_e32 v35, v27, v30
	v_add_f32_e32 v34, v34, v35
	v_mul_f32_e32 v35, v28, v33
	v_fmac_f32_e32 v35, v29, v32
	v_add_f32_e32 v42, v34, v35
	ds_read2_b64 v[34:37], v102 offset0:77 offset1:78
	v_mul_f32_e32 v3, v19, v23
	v_fma_f32 v3, v18, v22, -v3
	v_add_f32_e32 v2, v2, v3
	v_mul_f32_e32 v3, v21, v25
	s_waitcnt vmcnt(13) lgkmcnt(0)
	v_mul_f32_e32 v43, v34, v39
	v_fmac_f32_e32 v43, v35, v38
	v_add_f32_e32 v42, v42, v43
	v_mul_f32_e32 v43, v36, v41
	v_fmac_f32_e32 v43, v37, v40
	v_add_f32_e32 v50, v42, v43
	ds_read2_b64 v[42:45], v102 offset0:79 offset1:80
	v_fma_f32 v3, v20, v24, -v3
	v_add_f32_e32 v2, v2, v3
	v_mul_f32_e32 v3, v27, v31
	v_fma_f32 v3, v26, v30, -v3
	s_waitcnt vmcnt(12) lgkmcnt(0)
	v_mul_f32_e32 v51, v42, v47
	v_fmac_f32_e32 v51, v43, v46
	v_add_f32_e32 v50, v50, v51
	v_mul_f32_e32 v51, v44, v49
	v_fmac_f32_e32 v51, v45, v48
	v_add_f32_e32 v58, v50, v51
	ds_read2_b64 v[50:53], v102 offset0:81 offset1:82
	v_add_f32_e32 v2, v2, v3
	v_mul_f32_e32 v3, v29, v33
	v_fma_f32 v3, v28, v32, -v3
	v_add_f32_e32 v2, v2, v3
	s_waitcnt vmcnt(11) lgkmcnt(0)
	v_mul_f32_e32 v59, v50, v55
	v_fmac_f32_e32 v59, v51, v54
	v_add_f32_e32 v58, v58, v59
	v_mul_f32_e32 v59, v52, v57
	v_fmac_f32_e32 v59, v53, v56
	v_add_f32_e32 v66, v58, v59
	ds_read2_b64 v[58:61], v102 offset0:83 offset1:84
	v_mul_f32_e32 v3, v35, v39
	v_fma_f32 v3, v34, v38, -v3
	v_add_f32_e32 v2, v2, v3
	v_mul_f32_e32 v3, v37, v41
	;; [unrolled: 36-line block ×5, first 2 shown]
	s_waitcnt vmcnt(1) lgkmcnt(0)
	v_mul_f32_e32 v140, v132, v137
	v_fmac_f32_e32 v140, v133, v136
	v_add_f32_e32 v149, v103, v140
	ds_read2_b64 v[140:143], v102 offset0:103 offset1:104
	scratch_load_dwordx4 v[158:161], off, off offset:392
	scratch_load_dwordx4 v[162:165], off, off offset:408
	;; [unrolled: 1-line block ×3, first 2 shown]
	scratch_load_dwordx2 v[174:175], off, off offset:440
	v_fma_f32 v3, v84, v88, -v3
	v_add_f32_e32 v2, v2, v3
	v_mul_f32_e32 v3, v91, v95
	v_fma_f32 v3, v90, v94, -v3
	v_add_f32_e32 v2, v2, v3
	v_mul_f32_e32 v3, v93, v97
	;; [unrolled: 3-line block ×12, first 2 shown]
	v_mul_f32_e32 v171, v134, v139
	v_fma_f32 v170, v134, v138, -v2
	s_waitcnt vmcnt(4) lgkmcnt(0)
	v_mul_f32_e32 v2, v141, v145
	v_mov_b32_e32 v18, v147
	v_fmac_f32_e32 v171, v135, v138
	v_mul_f32_e32 v173, v140, v145
	v_fma_f32 v172, v140, v144, -v2
	ds_read2_b64 v[2:5], v102 offset0:105 offset1:106
	ds_read2_b64 v[6:9], v102 offset0:107 offset1:108
	;; [unrolled: 1-line block ×3, first 2 shown]
	ds_read_b64 v[14:15], v102 offset:888
	v_pk_mul_f32 v[18:19], v[142:143], v[18:19] op_sel:[1,0] op_sel_hi:[0,0]
	v_fmac_f32_e32 v173, v141, v144
	v_pk_add_f32 v[16:17], v[148:149], v[170:171]
	v_pk_fma_f32 v[20:21], v[142:143], v[146:147], v[18:19] neg_lo:[0,0,1] neg_hi:[0,0,1]
	v_pk_fma_f32 v[18:19], v[142:143], v[146:147], v[18:19] op_sel_hi:[1,0,1]
	v_pk_add_f32 v[16:17], v[16:17], v[172:173]
	v_mov_b32_e32 v21, v19
	v_pk_add_f32 v[16:17], v[16:17], v[20:21]
	s_waitcnt vmcnt(3) lgkmcnt(3)
	v_pk_mul_f32 v[18:19], v[2:3], v[158:159] op_sel:[1,1] op_sel_hi:[0,1]
	v_pk_fma_f32 v[20:21], v[2:3], v[158:159], v[18:19] neg_lo:[0,0,1] neg_hi:[0,0,1]
	v_pk_fma_f32 v[2:3], v[2:3], v[158:159], v[18:19] op_sel_hi:[1,0,1]
	s_nop 0
	v_mov_b32_e32 v21, v3
	v_pk_add_f32 v[2:3], v[16:17], v[20:21]
	v_mov_b32_e32 v16, v161
	v_pk_mul_f32 v[16:17], v[4:5], v[16:17] op_sel:[1,0] op_sel_hi:[0,0]
	v_pk_fma_f32 v[18:19], v[4:5], v[160:161], v[16:17] neg_lo:[0,0,1] neg_hi:[0,0,1]
	v_pk_fma_f32 v[4:5], v[4:5], v[160:161], v[16:17] op_sel_hi:[1,0,1]
	s_nop 0
	v_mov_b32_e32 v19, v5
	s_waitcnt vmcnt(2) lgkmcnt(2)
	v_pk_mul_f32 v[4:5], v[6:7], v[162:163] op_sel:[1,1] op_sel_hi:[0,1]
	v_pk_fma_f32 v[16:17], v[6:7], v[162:163], v[4:5] neg_lo:[0,0,1] neg_hi:[0,0,1]
	v_pk_fma_f32 v[4:5], v[6:7], v[162:163], v[4:5] op_sel_hi:[1,0,1]
	v_pk_add_f32 v[2:3], v[2:3], v[18:19]
	v_mov_b32_e32 v4, v165
	v_mov_b32_e32 v17, v5
	v_pk_mul_f32 v[4:5], v[8:9], v[4:5] op_sel:[1,0] op_sel_hi:[0,0]
	v_pk_fma_f32 v[6:7], v[8:9], v[164:165], v[4:5] neg_lo:[0,0,1] neg_hi:[0,0,1]
	v_pk_fma_f32 v[4:5], v[8:9], v[164:165], v[4:5] op_sel_hi:[1,0,1]
	v_pk_add_f32 v[2:3], v[2:3], v[16:17]
	v_mov_b32_e32 v7, v5
	s_waitcnt vmcnt(1) lgkmcnt(1)
	v_pk_mul_f32 v[4:5], v[10:11], v[166:167] op_sel:[1,1] op_sel_hi:[0,1]
	v_pk_add_f32 v[2:3], v[2:3], v[6:7]
	v_pk_fma_f32 v[6:7], v[10:11], v[166:167], v[4:5] neg_lo:[0,0,1] neg_hi:[0,0,1]
	v_pk_fma_f32 v[4:5], v[10:11], v[166:167], v[4:5] op_sel_hi:[1,0,1]
	s_nop 0
	v_mov_b32_e32 v4, v169
	v_mov_b32_e32 v7, v5
	v_pk_mul_f32 v[4:5], v[12:13], v[4:5] op_sel:[1,0] op_sel_hi:[0,0]
	v_pk_add_f32 v[2:3], v[2:3], v[6:7]
	v_pk_fma_f32 v[6:7], v[12:13], v[168:169], v[4:5] neg_lo:[0,0,1] neg_hi:[0,0,1]
	v_pk_fma_f32 v[4:5], v[12:13], v[168:169], v[4:5] op_sel_hi:[1,0,1]
	s_nop 0
	v_mov_b32_e32 v7, v5
	s_waitcnt vmcnt(0) lgkmcnt(0)
	v_pk_mul_f32 v[4:5], v[14:15], v[174:175] op_sel:[1,1] op_sel_hi:[0,1]
	v_pk_add_f32 v[2:3], v[2:3], v[6:7]
	v_pk_fma_f32 v[6:7], v[14:15], v[174:175], v[4:5] neg_lo:[0,0,1] neg_hi:[0,0,1]
	v_pk_fma_f32 v[4:5], v[14:15], v[174:175], v[4:5] op_sel_hi:[1,0,1]
	s_nop 0
	v_mov_b32_e32 v7, v5
	scratch_load_dwordx2 v[4:5], off, off offset:96
	v_pk_add_f32 v[2:3], v[2:3], v[6:7]
	s_waitcnt vmcnt(0)
	v_pk_add_f32 v[2:3], v[4:5], v[2:3] neg_lo:[0,1] neg_hi:[0,1]
	scratch_store_dwordx2 off, v[2:3], off offset:96
	s_and_saveexec_b64 s[0:1], vcc
	s_cbranch_execz .LBB119_327
; %bb.326:
	scratch_load_dwordx2 v[2:3], off, off offset:88
	v_mov_b32_e32 v103, v102
	scratch_store_dwordx2 off, v[102:103], off offset:88
	s_waitcnt vmcnt(1)
	ds_write_b64 v1, v[2:3]
.LBB119_327:
	s_or_b64 exec, exec, s[0:1]
	s_waitcnt lgkmcnt(0)
	; wave barrier
	ds_read_b128 v[14:17], v102 offset:544
	ds_read_b128 v[10:13], v102 offset:560
	;; [unrolled: 1-line block ×4, first 2 shown]
	scratch_load_dwordx4 v[18:21], off, off offset:96
	scratch_load_dwordx4 v[38:41], off, off offset:160
	;; [unrolled: 1-line block ×12, first 2 shown]
	v_cmp_lt_u32_e32 vcc, 10, v0
	scratch_load_dwordx4 v[46:49], off, off offset:176
	scratch_load_dwordx4 v[54:57], off, off offset:192
	;; [unrolled: 1-line block ×3, first 2 shown]
	s_waitcnt vmcnt(14) lgkmcnt(3)
	v_mul_f32_e32 v22, v14, v19
	v_fmac_f32_e32 v22, v15, v18
	v_mul_f32_e32 v23, v16, v21
	v_add_f32_e32 v22, 0, v22
	v_fmac_f32_e32 v23, v17, v20
	v_add_f32_e32 v26, v22, v23
	scratch_load_dwordx4 v[22:25], off, off offset:112
	v_mul_f32_e32 v15, v15, v19
	v_fma_f32 v14, v14, v18, -v15
	v_mul_f32_e32 v15, v17, v21
	v_add_f32_e32 v14, 0, v14
	v_fma_f32 v15, v16, v20, -v15
	v_add_f32_e32 v14, v14, v15
	s_waitcnt vmcnt(0) lgkmcnt(2)
	v_mul_f32_e32 v27, v10, v23
	v_fmac_f32_e32 v27, v11, v22
	v_add_f32_e32 v26, v26, v27
	v_mul_f32_e32 v27, v12, v25
	v_fmac_f32_e32 v27, v13, v24
	v_add_f32_e32 v30, v26, v27
	scratch_load_dwordx4 v[26:29], off, off offset:128
	v_mul_f32_e32 v11, v11, v23
	v_fma_f32 v10, v10, v22, -v11
	v_mul_f32_e32 v11, v13, v25
	v_add_f32_e32 v10, v14, v10
	v_fma_f32 v11, v12, v24, -v11
	v_add_f32_e32 v10, v10, v11
	s_waitcnt vmcnt(0) lgkmcnt(1)
	v_mul_f32_e32 v31, v6, v27
	v_fmac_f32_e32 v31, v7, v26
	v_add_f32_e32 v30, v30, v31
	v_mul_f32_e32 v31, v8, v29
	;; [unrolled: 14-line block ×3, first 2 shown]
	v_fmac_f32_e32 v35, v5, v32
	v_add_f32_e32 v42, v34, v35
	ds_read_b128 v[34:37], v102 offset:608
	v_mul_f32_e32 v3, v3, v31
	v_fma_f32 v2, v2, v30, -v3
	v_mul_f32_e32 v3, v5, v33
	v_add_f32_e32 v2, v6, v2
	s_waitcnt lgkmcnt(0)
	v_mul_f32_e32 v43, v34, v39
	v_fmac_f32_e32 v43, v35, v38
	v_add_f32_e32 v42, v42, v43
	v_mul_f32_e32 v43, v36, v41
	v_fmac_f32_e32 v43, v37, v40
	v_add_f32_e32 v50, v42, v43
	ds_read_b128 v[42:45], v102 offset:624
	v_fma_f32 v3, v4, v32, -v3
	v_add_f32_e32 v2, v2, v3
	v_mul_f32_e32 v3, v35, v39
	v_fma_f32 v3, v34, v38, -v3
	s_waitcnt lgkmcnt(0)
	v_mul_f32_e32 v51, v42, v47
	v_fmac_f32_e32 v51, v43, v46
	v_add_f32_e32 v50, v50, v51
	v_mul_f32_e32 v51, v44, v49
	v_fmac_f32_e32 v51, v45, v48
	v_add_f32_e32 v58, v50, v51
	ds_read_b128 v[50:53], v102 offset:640
	v_add_f32_e32 v2, v2, v3
	v_mul_f32_e32 v3, v37, v41
	v_fma_f32 v3, v36, v40, -v3
	v_add_f32_e32 v2, v2, v3
	s_waitcnt lgkmcnt(0)
	v_mul_f32_e32 v59, v50, v55
	v_fmac_f32_e32 v59, v51, v54
	v_add_f32_e32 v58, v58, v59
	v_mul_f32_e32 v59, v52, v57
	v_fmac_f32_e32 v59, v53, v56
	v_add_f32_e32 v66, v58, v59
	ds_read_b128 v[58:61], v102 offset:656
	v_mul_f32_e32 v3, v43, v47
	v_fma_f32 v3, v42, v46, -v3
	v_add_f32_e32 v2, v2, v3
	v_mul_f32_e32 v3, v45, v49
	s_waitcnt lgkmcnt(0)
	v_mul_f32_e32 v67, v58, v63
	v_fmac_f32_e32 v67, v59, v62
	v_add_f32_e32 v66, v66, v67
	v_mul_f32_e32 v67, v60, v65
	v_fmac_f32_e32 v67, v61, v64
	v_add_f32_e32 v74, v66, v67
	ds_read_b128 v[66:69], v102 offset:672
	v_fma_f32 v3, v44, v48, -v3
	v_add_f32_e32 v2, v2, v3
	v_mul_f32_e32 v3, v51, v55
	v_fma_f32 v3, v50, v54, -v3
	s_waitcnt lgkmcnt(0)
	v_mul_f32_e32 v75, v66, v71
	v_fmac_f32_e32 v75, v67, v70
	v_add_f32_e32 v74, v74, v75
	v_mul_f32_e32 v75, v68, v73
	v_fmac_f32_e32 v75, v69, v72
	v_add_f32_e32 v82, v74, v75
	ds_read_b128 v[74:77], v102 offset:688
	v_add_f32_e32 v2, v2, v3
	v_mul_f32_e32 v3, v53, v57
	v_fma_f32 v3, v52, v56, -v3
	v_add_f32_e32 v2, v2, v3
	s_waitcnt lgkmcnt(0)
	v_mul_f32_e32 v83, v74, v79
	v_fmac_f32_e32 v83, v75, v78
	v_add_f32_e32 v82, v82, v83
	v_mul_f32_e32 v83, v76, v81
	v_fmac_f32_e32 v83, v77, v80
	v_add_f32_e32 v90, v82, v83
	ds_read_b128 v[82:85], v102 offset:704
	v_mul_f32_e32 v3, v59, v63
	v_fma_f32 v3, v58, v62, -v3
	v_add_f32_e32 v2, v2, v3
	v_mul_f32_e32 v3, v61, v65
	s_waitcnt lgkmcnt(0)
	v_mul_f32_e32 v91, v82, v87
	v_fmac_f32_e32 v91, v83, v86
	v_add_f32_e32 v90, v90, v91
	v_mul_f32_e32 v91, v84, v89
	v_fmac_f32_e32 v91, v85, v88
	v_add_f32_e32 v98, v90, v91
	ds_read_b128 v[90:93], v102 offset:720
	v_fma_f32 v3, v60, v64, -v3
	v_add_f32_e32 v2, v2, v3
	v_mul_f32_e32 v3, v67, v71
	v_fma_f32 v3, v66, v70, -v3
	s_waitcnt lgkmcnt(0)
	v_mul_f32_e32 v99, v90, v95
	v_fmac_f32_e32 v99, v91, v94
	v_add_f32_e32 v98, v98, v99
	v_mul_f32_e32 v99, v92, v97
	v_fmac_f32_e32 v99, v93, v96
	v_add_f32_e32 v103, v98, v99
	ds_read_b128 v[98:101], v102 offset:736
	v_add_f32_e32 v2, v2, v3
	v_mul_f32_e32 v3, v69, v73
	v_fma_f32 v3, v68, v72, -v3
	v_add_f32_e32 v2, v2, v3
	s_waitcnt lgkmcnt(0)
	v_mul_f32_e32 v108, v98, v105
	v_fmac_f32_e32 v108, v99, v104
	v_add_f32_e32 v103, v103, v108
	v_mul_f32_e32 v108, v100, v107
	v_fmac_f32_e32 v108, v101, v106
	v_add_f32_e32 v103, v103, v108
	ds_read_b128 v[108:111], v102 offset:752
	v_mul_f32_e32 v3, v75, v79
	v_fma_f32 v3, v74, v78, -v3
	v_add_f32_e32 v2, v2, v3
	v_mul_f32_e32 v3, v77, v81
	s_waitcnt lgkmcnt(0)
	v_mul_f32_e32 v116, v108, v113
	v_fmac_f32_e32 v116, v109, v112
	v_add_f32_e32 v103, v103, v116
	v_mul_f32_e32 v116, v110, v115
	v_fmac_f32_e32 v116, v111, v114
	v_add_f32_e32 v103, v103, v116
	ds_read_b128 v[116:119], v102 offset:768
	v_fma_f32 v3, v76, v80, -v3
	v_add_f32_e32 v2, v2, v3
	v_mul_f32_e32 v3, v83, v87
	v_fma_f32 v3, v82, v86, -v3
	s_waitcnt lgkmcnt(0)
	v_mul_f32_e32 v124, v116, v121
	v_fmac_f32_e32 v124, v117, v120
	v_add_f32_e32 v103, v103, v124
	v_mul_f32_e32 v124, v118, v123
	v_fmac_f32_e32 v124, v119, v122
	v_add_f32_e32 v103, v103, v124
	ds_read_b128 v[124:127], v102 offset:784
	v_add_f32_e32 v2, v2, v3
	v_mul_f32_e32 v3, v85, v89
	v_fma_f32 v3, v84, v88, -v3
	v_add_f32_e32 v2, v2, v3
	s_waitcnt lgkmcnt(0)
	v_mul_f32_e32 v132, v124, v129
	v_fmac_f32_e32 v132, v125, v128
	v_add_f32_e32 v103, v103, v132
	v_mul_f32_e32 v132, v126, v131
	v_fmac_f32_e32 v132, v127, v130
	v_add_f32_e32 v103, v103, v132
	ds_read_b128 v[132:135], v102 offset:800
	v_mul_f32_e32 v3, v91, v95
	v_fma_f32 v3, v90, v94, -v3
	v_add_f32_e32 v2, v2, v3
	v_mul_f32_e32 v3, v93, v97
	s_waitcnt lgkmcnt(0)
	v_mul_f32_e32 v140, v132, v137
	v_fmac_f32_e32 v140, v133, v136
	v_add_f32_e32 v103, v103, v140
	v_mul_f32_e32 v140, v134, v139
	v_fmac_f32_e32 v140, v135, v138
	v_add_f32_e32 v149, v103, v140
	ds_read_b128 v[140:143], v102 offset:816
	scratch_load_dwordx4 v[158:161], off, off offset:384
	scratch_load_dwordx4 v[162:165], off, off offset:400
	;; [unrolled: 1-line block ×4, first 2 shown]
	v_fma_f32 v3, v92, v96, -v3
	v_add_f32_e32 v2, v2, v3
	v_mul_f32_e32 v3, v99, v105
	v_fma_f32 v3, v98, v104, -v3
	v_add_f32_e32 v2, v2, v3
	v_mul_f32_e32 v3, v101, v107
	;; [unrolled: 3-line block ×10, first 2 shown]
	v_fma_f32 v3, v134, v138, -v3
	v_add_f32_e32 v148, v2, v3
	s_waitcnt lgkmcnt(0)
	v_mul_f32_e32 v2, v141, v145
	v_fma_f32 v174, v140, v144, -v2
	v_mul_f32_e32 v2, v143, v147
	v_fma_f32 v176, v142, v146, -v2
	ds_read_b128 v[2:5], v102 offset:832
	ds_read_b128 v[6:9], v102 offset:848
	;; [unrolled: 1-line block ×4, first 2 shown]
	v_mul_f32_e32 v175, v140, v145
	v_fmac_f32_e32 v175, v141, v144
	v_mul_f32_e32 v177, v142, v147
	v_fmac_f32_e32 v177, v143, v146
	v_pk_add_f32 v[18:19], v[148:149], v[174:175]
	s_waitcnt vmcnt(3) lgkmcnt(3)
	v_pk_mul_f32 v[20:21], v[2:3], v[158:159] op_sel:[1,1] op_sel_hi:[0,1]
	v_pk_fma_f32 v[22:23], v[2:3], v[158:159], v[20:21] neg_lo:[0,0,1] neg_hi:[0,0,1]
	v_pk_fma_f32 v[2:3], v[2:3], v[158:159], v[20:21] op_sel_hi:[1,0,1]
	v_pk_add_f32 v[18:19], v[18:19], v[176:177]
	v_mov_b32_e32 v23, v3
	v_pk_add_f32 v[2:3], v[18:19], v[22:23]
	v_mov_b32_e32 v18, v161
	v_pk_mul_f32 v[18:19], v[4:5], v[18:19] op_sel:[1,0] op_sel_hi:[0,0]
	v_pk_fma_f32 v[20:21], v[4:5], v[160:161], v[18:19] neg_lo:[0,0,1] neg_hi:[0,0,1]
	v_pk_fma_f32 v[4:5], v[4:5], v[160:161], v[18:19] op_sel_hi:[1,0,1]
	s_nop 0
	v_mov_b32_e32 v21, v5
	s_waitcnt vmcnt(2) lgkmcnt(2)
	v_pk_mul_f32 v[4:5], v[6:7], v[162:163] op_sel:[1,1] op_sel_hi:[0,1]
	v_pk_fma_f32 v[18:19], v[6:7], v[162:163], v[4:5] neg_lo:[0,0,1] neg_hi:[0,0,1]
	v_pk_fma_f32 v[4:5], v[6:7], v[162:163], v[4:5] op_sel_hi:[1,0,1]
	v_pk_add_f32 v[2:3], v[2:3], v[20:21]
	v_mov_b32_e32 v4, v165
	v_mov_b32_e32 v19, v5
	v_pk_mul_f32 v[4:5], v[8:9], v[4:5] op_sel:[1,0] op_sel_hi:[0,0]
	v_pk_fma_f32 v[6:7], v[8:9], v[164:165], v[4:5] neg_lo:[0,0,1] neg_hi:[0,0,1]
	v_pk_fma_f32 v[4:5], v[8:9], v[164:165], v[4:5] op_sel_hi:[1,0,1]
	v_pk_add_f32 v[2:3], v[2:3], v[18:19]
	v_mov_b32_e32 v7, v5
	s_waitcnt vmcnt(1) lgkmcnt(1)
	v_pk_mul_f32 v[4:5], v[10:11], v[166:167] op_sel:[1,1] op_sel_hi:[0,1]
	v_pk_add_f32 v[2:3], v[2:3], v[6:7]
	v_pk_fma_f32 v[6:7], v[10:11], v[166:167], v[4:5] neg_lo:[0,0,1] neg_hi:[0,0,1]
	v_pk_fma_f32 v[4:5], v[10:11], v[166:167], v[4:5] op_sel_hi:[1,0,1]
	s_nop 0
	v_mov_b32_e32 v4, v169
	v_mov_b32_e32 v7, v5
	v_pk_mul_f32 v[4:5], v[12:13], v[4:5] op_sel:[1,0] op_sel_hi:[0,0]
	v_pk_add_f32 v[2:3], v[2:3], v[6:7]
	v_pk_fma_f32 v[6:7], v[12:13], v[168:169], v[4:5] neg_lo:[0,0,1] neg_hi:[0,0,1]
	v_pk_fma_f32 v[4:5], v[12:13], v[168:169], v[4:5] op_sel_hi:[1,0,1]
	s_nop 0
	v_mov_b32_e32 v7, v5
	s_waitcnt vmcnt(0) lgkmcnt(0)
	v_pk_mul_f32 v[4:5], v[14:15], v[170:171] op_sel:[1,1] op_sel_hi:[0,1]
	v_pk_add_f32 v[2:3], v[2:3], v[6:7]
	v_pk_fma_f32 v[6:7], v[14:15], v[170:171], v[4:5] neg_lo:[0,0,1] neg_hi:[0,0,1]
	v_pk_fma_f32 v[4:5], v[14:15], v[170:171], v[4:5] op_sel_hi:[1,0,1]
	s_nop 0
	v_mov_b32_e32 v4, v173
	v_mov_b32_e32 v7, v5
	v_pk_mul_f32 v[4:5], v[16:17], v[4:5] op_sel:[1,0] op_sel_hi:[0,0]
	v_pk_add_f32 v[2:3], v[2:3], v[6:7]
	v_pk_fma_f32 v[6:7], v[16:17], v[172:173], v[4:5] neg_lo:[0,0,1] neg_hi:[0,0,1]
	v_pk_fma_f32 v[4:5], v[16:17], v[172:173], v[4:5] op_sel_hi:[1,0,1]
	s_nop 0
	v_mov_b32_e32 v7, v5
	scratch_load_dwordx2 v[4:5], off, off offset:88
	v_pk_add_f32 v[2:3], v[2:3], v[6:7]
	s_waitcnt vmcnt(0)
	v_pk_add_f32 v[2:3], v[4:5], v[2:3] neg_lo:[0,1] neg_hi:[0,1]
	scratch_store_dwordx2 off, v[2:3], off offset:88
	s_and_saveexec_b64 s[0:1], vcc
	s_cbranch_execz .LBB119_329
; %bb.328:
	scratch_load_dwordx2 v[2:3], off, off offset:80
	v_mov_b32_e32 v4, 0
	v_mov_b32_e32 v5, v4
	scratch_store_dwordx2 off, v[4:5], off offset:80
	s_waitcnt vmcnt(1)
	ds_write_b64 v1, v[2:3]
.LBB119_329:
	s_or_b64 exec, exec, s[0:1]
	s_waitcnt lgkmcnt(0)
	; wave barrier
	scratch_load_dwordx4 v[6:9], off, off offset:88
	scratch_load_dwordx4 v[14:17], off, off offset:104
	;; [unrolled: 1-line block ×10, first 2 shown]
	v_mov_b32_e32 v110, 0
	ds_read2_b64 v[2:5], v110 offset0:67 offset1:68
	ds_read2_b64 v[158:161], v110 offset0:103 offset1:104
	scratch_load_dwordx4 v[86:89], off, off offset:248
	scratch_load_dwordx4 v[94:97], off, off offset:264
	;; [unrolled: 1-line block ×9, first 2 shown]
	v_cmp_lt_u32_e32 vcc, 9, v0
	s_waitcnt vmcnt(18) lgkmcnt(1)
	v_mul_f32_e32 v10, v2, v7
	v_fmac_f32_e32 v10, v3, v6
	v_mul_f32_e32 v11, v4, v9
	v_add_f32_e32 v10, 0, v10
	v_fmac_f32_e32 v11, v5, v8
	v_add_f32_e32 v18, v10, v11
	ds_read2_b64 v[10:13], v110 offset0:69 offset1:70
	v_mul_f32_e32 v3, v3, v7
	v_fma_f32 v2, v2, v6, -v3
	v_mul_f32_e32 v3, v5, v9
	v_add_f32_e32 v2, 0, v2
	s_waitcnt vmcnt(17) lgkmcnt(0)
	v_mul_f32_e32 v19, v10, v15
	v_fmac_f32_e32 v19, v11, v14
	v_add_f32_e32 v18, v18, v19
	v_mul_f32_e32 v19, v12, v17
	v_fmac_f32_e32 v19, v13, v16
	v_add_f32_e32 v26, v18, v19
	ds_read2_b64 v[18:21], v110 offset0:71 offset1:72
	v_fma_f32 v3, v4, v8, -v3
	v_add_f32_e32 v2, v2, v3
	v_mul_f32_e32 v3, v11, v15
	v_fma_f32 v3, v10, v14, -v3
	s_waitcnt vmcnt(16) lgkmcnt(0)
	v_mul_f32_e32 v27, v18, v23
	v_fmac_f32_e32 v27, v19, v22
	v_add_f32_e32 v26, v26, v27
	v_mul_f32_e32 v27, v20, v25
	v_fmac_f32_e32 v27, v21, v24
	v_add_f32_e32 v34, v26, v27
	ds_read2_b64 v[26:29], v110 offset0:73 offset1:74
	v_add_f32_e32 v2, v2, v3
	v_mul_f32_e32 v3, v13, v17
	v_fma_f32 v3, v12, v16, -v3
	v_add_f32_e32 v2, v2, v3
	s_waitcnt vmcnt(15) lgkmcnt(0)
	v_mul_f32_e32 v35, v26, v31
	v_fmac_f32_e32 v35, v27, v30
	v_add_f32_e32 v34, v34, v35
	v_mul_f32_e32 v35, v28, v33
	v_fmac_f32_e32 v35, v29, v32
	v_add_f32_e32 v42, v34, v35
	ds_read2_b64 v[34:37], v110 offset0:75 offset1:76
	v_mul_f32_e32 v3, v19, v23
	v_fma_f32 v3, v18, v22, -v3
	v_add_f32_e32 v2, v2, v3
	v_mul_f32_e32 v3, v21, v25
	s_waitcnt vmcnt(14) lgkmcnt(0)
	v_mul_f32_e32 v43, v34, v39
	v_fmac_f32_e32 v43, v35, v38
	v_add_f32_e32 v42, v42, v43
	v_mul_f32_e32 v43, v36, v41
	v_fmac_f32_e32 v43, v37, v40
	v_add_f32_e32 v50, v42, v43
	ds_read2_b64 v[42:45], v110 offset0:77 offset1:78
	v_fma_f32 v3, v20, v24, -v3
	v_add_f32_e32 v2, v2, v3
	v_mul_f32_e32 v3, v27, v31
	v_fma_f32 v3, v26, v30, -v3
	s_waitcnt vmcnt(13) lgkmcnt(0)
	v_mul_f32_e32 v51, v42, v47
	v_fmac_f32_e32 v51, v43, v46
	v_add_f32_e32 v50, v50, v51
	v_mul_f32_e32 v51, v44, v49
	v_fmac_f32_e32 v51, v45, v48
	v_add_f32_e32 v58, v50, v51
	ds_read2_b64 v[50:53], v110 offset0:79 offset1:80
	v_add_f32_e32 v2, v2, v3
	v_mul_f32_e32 v3, v29, v33
	v_fma_f32 v3, v28, v32, -v3
	v_add_f32_e32 v2, v2, v3
	s_waitcnt vmcnt(12) lgkmcnt(0)
	v_mul_f32_e32 v59, v50, v55
	v_fmac_f32_e32 v59, v51, v54
	v_add_f32_e32 v58, v58, v59
	v_mul_f32_e32 v59, v52, v57
	v_fmac_f32_e32 v59, v53, v56
	v_add_f32_e32 v66, v58, v59
	ds_read2_b64 v[58:61], v110 offset0:81 offset1:82
	v_mul_f32_e32 v3, v35, v39
	v_fma_f32 v3, v34, v38, -v3
	v_add_f32_e32 v2, v2, v3
	v_mul_f32_e32 v3, v37, v41
	;; [unrolled: 36-line block ×5, first 2 shown]
	s_waitcnt vmcnt(2) lgkmcnt(0)
	v_mul_f32_e32 v140, v132, v137
	v_fmac_f32_e32 v140, v133, v136
	v_add_f32_e32 v111, v111, v140
	v_mul_f32_e32 v140, v134, v139
	v_fmac_f32_e32 v140, v135, v138
	v_add_f32_e32 v111, v111, v140
	ds_read2_b64 v[140:143], v110 offset0:101 offset1:102
	scratch_load_dwordx4 v[166:169], off, off offset:392
	scratch_load_dwordx4 v[170:173], off, off offset:408
	;; [unrolled: 1-line block ×3, first 2 shown]
	scratch_load_dwordx2 v[182:183], off, off offset:440
	v_fma_f32 v3, v84, v88, -v3
	v_add_f32_e32 v2, v2, v3
	v_mul_f32_e32 v3, v91, v95
	v_fma_f32 v3, v90, v94, -v3
	v_add_f32_e32 v2, v2, v3
	v_mul_f32_e32 v3, v93, v97
	;; [unrolled: 3-line block ×12, first 2 shown]
	v_fma_f32 v3, v134, v138, -v3
	s_waitcnt vmcnt(5) lgkmcnt(0)
	v_mul_f32_e32 v148, v140, v145
	v_add_f32_e32 v2, v2, v3
	v_mul_f32_e32 v3, v141, v145
	v_fmac_f32_e32 v148, v141, v144
	v_fma_f32 v3, v140, v144, -v3
	v_add_f32_e32 v149, v111, v148
	v_add_f32_e32 v148, v2, v3
	v_mul_f32_e32 v2, v143, v147
	v_mul_f32_e32 v179, v142, v147
	v_fma_f32 v178, v142, v146, -v2
	s_waitcnt vmcnt(4)
	v_mul_f32_e32 v2, v159, v163
	v_mov_b32_e32 v18, v165
	v_fmac_f32_e32 v179, v143, v146
	v_mul_f32_e32 v181, v158, v163
	v_fma_f32 v180, v158, v162, -v2
	ds_read2_b64 v[2:5], v110 offset0:105 offset1:106
	ds_read2_b64 v[6:9], v110 offset0:107 offset1:108
	;; [unrolled: 1-line block ×3, first 2 shown]
	ds_read_b64 v[14:15], v110 offset:888
	v_pk_mul_f32 v[18:19], v[160:161], v[18:19] op_sel:[1,0] op_sel_hi:[0,0]
	v_fmac_f32_e32 v181, v159, v162
	v_pk_add_f32 v[16:17], v[148:149], v[178:179]
	v_pk_fma_f32 v[20:21], v[160:161], v[164:165], v[18:19] neg_lo:[0,0,1] neg_hi:[0,0,1]
	v_pk_fma_f32 v[18:19], v[160:161], v[164:165], v[18:19] op_sel_hi:[1,0,1]
	v_pk_add_f32 v[16:17], v[16:17], v[180:181]
	v_mov_b32_e32 v21, v19
	v_pk_add_f32 v[16:17], v[16:17], v[20:21]
	s_waitcnt vmcnt(3) lgkmcnt(3)
	v_pk_mul_f32 v[18:19], v[2:3], v[166:167] op_sel:[1,1] op_sel_hi:[0,1]
	v_pk_fma_f32 v[20:21], v[2:3], v[166:167], v[18:19] neg_lo:[0,0,1] neg_hi:[0,0,1]
	v_pk_fma_f32 v[2:3], v[2:3], v[166:167], v[18:19] op_sel_hi:[1,0,1]
	s_nop 0
	v_mov_b32_e32 v21, v3
	v_pk_add_f32 v[2:3], v[16:17], v[20:21]
	v_mov_b32_e32 v16, v169
	v_pk_mul_f32 v[16:17], v[4:5], v[16:17] op_sel:[1,0] op_sel_hi:[0,0]
	v_pk_fma_f32 v[18:19], v[4:5], v[168:169], v[16:17] neg_lo:[0,0,1] neg_hi:[0,0,1]
	v_pk_fma_f32 v[4:5], v[4:5], v[168:169], v[16:17] op_sel_hi:[1,0,1]
	s_nop 0
	v_mov_b32_e32 v19, v5
	s_waitcnt vmcnt(2) lgkmcnt(2)
	v_pk_mul_f32 v[4:5], v[6:7], v[170:171] op_sel:[1,1] op_sel_hi:[0,1]
	v_pk_fma_f32 v[16:17], v[6:7], v[170:171], v[4:5] neg_lo:[0,0,1] neg_hi:[0,0,1]
	v_pk_fma_f32 v[4:5], v[6:7], v[170:171], v[4:5] op_sel_hi:[1,0,1]
	v_pk_add_f32 v[2:3], v[2:3], v[18:19]
	v_mov_b32_e32 v4, v173
	v_mov_b32_e32 v17, v5
	v_pk_mul_f32 v[4:5], v[8:9], v[4:5] op_sel:[1,0] op_sel_hi:[0,0]
	v_pk_fma_f32 v[6:7], v[8:9], v[172:173], v[4:5] neg_lo:[0,0,1] neg_hi:[0,0,1]
	v_pk_fma_f32 v[4:5], v[8:9], v[172:173], v[4:5] op_sel_hi:[1,0,1]
	v_pk_add_f32 v[2:3], v[2:3], v[16:17]
	v_mov_b32_e32 v7, v5
	s_waitcnt vmcnt(1) lgkmcnt(1)
	v_pk_mul_f32 v[4:5], v[10:11], v[174:175] op_sel:[1,1] op_sel_hi:[0,1]
	v_pk_add_f32 v[2:3], v[2:3], v[6:7]
	v_pk_fma_f32 v[6:7], v[10:11], v[174:175], v[4:5] neg_lo:[0,0,1] neg_hi:[0,0,1]
	v_pk_fma_f32 v[4:5], v[10:11], v[174:175], v[4:5] op_sel_hi:[1,0,1]
	s_nop 0
	v_mov_b32_e32 v4, v177
	v_mov_b32_e32 v7, v5
	v_pk_mul_f32 v[4:5], v[12:13], v[4:5] op_sel:[1,0] op_sel_hi:[0,0]
	v_pk_add_f32 v[2:3], v[2:3], v[6:7]
	v_pk_fma_f32 v[6:7], v[12:13], v[176:177], v[4:5] neg_lo:[0,0,1] neg_hi:[0,0,1]
	v_pk_fma_f32 v[4:5], v[12:13], v[176:177], v[4:5] op_sel_hi:[1,0,1]
	s_nop 0
	v_mov_b32_e32 v7, v5
	s_waitcnt vmcnt(0) lgkmcnt(0)
	v_pk_mul_f32 v[4:5], v[14:15], v[182:183] op_sel:[1,1] op_sel_hi:[0,1]
	v_pk_add_f32 v[2:3], v[2:3], v[6:7]
	v_pk_fma_f32 v[6:7], v[14:15], v[182:183], v[4:5] neg_lo:[0,0,1] neg_hi:[0,0,1]
	v_pk_fma_f32 v[4:5], v[14:15], v[182:183], v[4:5] op_sel_hi:[1,0,1]
	s_nop 0
	v_mov_b32_e32 v7, v5
	scratch_load_dwordx2 v[4:5], off, off offset:80
	v_pk_add_f32 v[2:3], v[2:3], v[6:7]
	s_waitcnt vmcnt(0)
	v_pk_add_f32 v[2:3], v[4:5], v[2:3] neg_lo:[0,1] neg_hi:[0,1]
	scratch_store_dwordx2 off, v[2:3], off offset:80
	s_and_saveexec_b64 s[0:1], vcc
	s_cbranch_execz .LBB119_331
; %bb.330:
	scratch_load_dwordx2 v[2:3], off, off offset:72
	v_mov_b32_e32 v111, v110
	scratch_store_dwordx2 off, v[110:111], off offset:72
	s_waitcnt vmcnt(1)
	ds_write_b64 v1, v[2:3]
.LBB119_331:
	s_or_b64 exec, exec, s[0:1]
	s_waitcnt lgkmcnt(0)
	; wave barrier
	ds_read_b128 v[14:17], v110 offset:528
	ds_read_b128 v[10:13], v110 offset:544
	;; [unrolled: 1-line block ×4, first 2 shown]
	scratch_load_dwordx4 v[18:21], off, off offset:80
	scratch_load_dwordx4 v[38:41], off, off offset:144
	;; [unrolled: 1-line block ×13, first 2 shown]
	v_cmp_lt_u32_e32 vcc, 8, v0
	scratch_load_dwordx4 v[46:49], off, off offset:160
	scratch_load_dwordx4 v[54:57], off, off offset:176
	;; [unrolled: 1-line block ×3, first 2 shown]
	ds_read_b128 v[158:161], v110 offset:816
	s_waitcnt vmcnt(15) lgkmcnt(4)
	v_mul_f32_e32 v22, v14, v19
	v_fmac_f32_e32 v22, v15, v18
	v_mul_f32_e32 v23, v16, v21
	v_add_f32_e32 v22, 0, v22
	v_fmac_f32_e32 v23, v17, v20
	v_add_f32_e32 v26, v22, v23
	scratch_load_dwordx4 v[22:25], off, off offset:96
	v_mul_f32_e32 v15, v15, v19
	v_fma_f32 v14, v14, v18, -v15
	v_mul_f32_e32 v15, v17, v21
	v_add_f32_e32 v14, 0, v14
	v_fma_f32 v15, v16, v20, -v15
	v_add_f32_e32 v14, v14, v15
	s_waitcnt vmcnt(4) lgkmcnt(0)
	v_mul_f32_e32 v183, v158, v163
	v_mul_f32_e32 v185, v160, v165
	v_fmac_f32_e32 v183, v159, v162
	v_fmac_f32_e32 v185, v161, v164
	s_waitcnt vmcnt(0)
	v_mul_f32_e32 v27, v10, v23
	v_fmac_f32_e32 v27, v11, v22
	v_add_f32_e32 v26, v26, v27
	v_mul_f32_e32 v27, v12, v25
	v_fmac_f32_e32 v27, v13, v24
	v_add_f32_e32 v30, v26, v27
	scratch_load_dwordx4 v[26:29], off, off offset:112
	v_mul_f32_e32 v11, v11, v23
	v_fma_f32 v10, v10, v22, -v11
	v_mul_f32_e32 v11, v13, v25
	v_add_f32_e32 v10, v14, v10
	v_fma_f32 v11, v12, v24, -v11
	v_add_f32_e32 v10, v10, v11
	s_waitcnt vmcnt(0)
	v_mul_f32_e32 v31, v6, v27
	v_fmac_f32_e32 v31, v7, v26
	v_add_f32_e32 v30, v30, v31
	v_mul_f32_e32 v31, v8, v29
	v_fmac_f32_e32 v31, v9, v28
	v_add_f32_e32 v34, v30, v31
	scratch_load_dwordx4 v[30:33], off, off offset:128
	v_mul_f32_e32 v7, v7, v27
	v_fma_f32 v6, v6, v26, -v7
	v_mul_f32_e32 v7, v9, v29
	v_add_f32_e32 v6, v10, v6
	v_fma_f32 v7, v8, v28, -v7
	v_add_f32_e32 v6, v6, v7
	s_waitcnt vmcnt(0)
	v_mul_f32_e32 v35, v2, v31
	v_fmac_f32_e32 v35, v3, v30
	v_add_f32_e32 v34, v34, v35
	v_mul_f32_e32 v35, v4, v33
	v_fmac_f32_e32 v35, v5, v32
	v_add_f32_e32 v42, v34, v35
	ds_read_b128 v[34:37], v110 offset:592
	v_mul_f32_e32 v3, v3, v31
	v_fma_f32 v2, v2, v30, -v3
	v_mul_f32_e32 v3, v5, v33
	v_add_f32_e32 v2, v6, v2
	s_waitcnt lgkmcnt(0)
	v_mul_f32_e32 v43, v34, v39
	v_fmac_f32_e32 v43, v35, v38
	v_add_f32_e32 v42, v42, v43
	v_mul_f32_e32 v43, v36, v41
	v_fmac_f32_e32 v43, v37, v40
	v_add_f32_e32 v50, v42, v43
	ds_read_b128 v[42:45], v110 offset:608
	v_fma_f32 v3, v4, v32, -v3
	v_add_f32_e32 v2, v2, v3
	v_mul_f32_e32 v3, v35, v39
	v_fma_f32 v3, v34, v38, -v3
	s_waitcnt lgkmcnt(0)
	v_mul_f32_e32 v51, v42, v47
	v_fmac_f32_e32 v51, v43, v46
	v_add_f32_e32 v50, v50, v51
	v_mul_f32_e32 v51, v44, v49
	v_fmac_f32_e32 v51, v45, v48
	v_add_f32_e32 v58, v50, v51
	ds_read_b128 v[50:53], v110 offset:624
	v_add_f32_e32 v2, v2, v3
	v_mul_f32_e32 v3, v37, v41
	v_fma_f32 v3, v36, v40, -v3
	v_add_f32_e32 v2, v2, v3
	s_waitcnt lgkmcnt(0)
	v_mul_f32_e32 v59, v50, v55
	v_fmac_f32_e32 v59, v51, v54
	v_add_f32_e32 v58, v58, v59
	v_mul_f32_e32 v59, v52, v57
	v_fmac_f32_e32 v59, v53, v56
	v_add_f32_e32 v66, v58, v59
	ds_read_b128 v[58:61], v110 offset:640
	v_mul_f32_e32 v3, v43, v47
	v_fma_f32 v3, v42, v46, -v3
	v_add_f32_e32 v2, v2, v3
	v_mul_f32_e32 v3, v45, v49
	s_waitcnt lgkmcnt(0)
	v_mul_f32_e32 v67, v58, v63
	v_fmac_f32_e32 v67, v59, v62
	v_add_f32_e32 v66, v66, v67
	v_mul_f32_e32 v67, v60, v65
	v_fmac_f32_e32 v67, v61, v64
	v_add_f32_e32 v74, v66, v67
	ds_read_b128 v[66:69], v110 offset:656
	v_fma_f32 v3, v44, v48, -v3
	v_add_f32_e32 v2, v2, v3
	v_mul_f32_e32 v3, v51, v55
	v_fma_f32 v3, v50, v54, -v3
	s_waitcnt lgkmcnt(0)
	v_mul_f32_e32 v75, v66, v71
	v_fmac_f32_e32 v75, v67, v70
	v_add_f32_e32 v74, v74, v75
	v_mul_f32_e32 v75, v68, v73
	v_fmac_f32_e32 v75, v69, v72
	v_add_f32_e32 v82, v74, v75
	ds_read_b128 v[74:77], v110 offset:672
	v_add_f32_e32 v2, v2, v3
	v_mul_f32_e32 v3, v53, v57
	v_fma_f32 v3, v52, v56, -v3
	v_add_f32_e32 v2, v2, v3
	s_waitcnt lgkmcnt(0)
	v_mul_f32_e32 v83, v74, v79
	v_fmac_f32_e32 v83, v75, v78
	v_add_f32_e32 v82, v82, v83
	v_mul_f32_e32 v83, v76, v81
	v_fmac_f32_e32 v83, v77, v80
	v_add_f32_e32 v90, v82, v83
	ds_read_b128 v[82:85], v110 offset:688
	v_mul_f32_e32 v3, v59, v63
	v_fma_f32 v3, v58, v62, -v3
	v_add_f32_e32 v2, v2, v3
	v_mul_f32_e32 v3, v61, v65
	;; [unrolled: 36-line block ×4, first 2 shown]
	s_waitcnt lgkmcnt(0)
	v_mul_f32_e32 v140, v132, v137
	v_fmac_f32_e32 v140, v133, v136
	v_add_f32_e32 v111, v111, v140
	v_mul_f32_e32 v140, v134, v139
	v_fmac_f32_e32 v140, v135, v138
	v_add_f32_e32 v111, v111, v140
	ds_read_b128 v[140:143], v110 offset:800
	scratch_load_dwordx4 v[166:169], off, off offset:384
	scratch_load_dwordx4 v[170:173], off, off offset:400
	scratch_load_dwordx4 v[174:177], off, off offset:416
	scratch_load_dwordx4 v[178:181], off, off offset:432
	v_fma_f32 v3, v92, v96, -v3
	v_add_f32_e32 v2, v2, v3
	v_mul_f32_e32 v3, v99, v103
	v_fma_f32 v3, v98, v102, -v3
	v_add_f32_e32 v2, v2, v3
	v_mul_f32_e32 v3, v101, v105
	;; [unrolled: 3-line block ×10, first 2 shown]
	v_fma_f32 v3, v134, v138, -v3
	s_waitcnt lgkmcnt(0)
	v_mul_f32_e32 v148, v140, v145
	v_add_f32_e32 v2, v2, v3
	v_mul_f32_e32 v3, v141, v145
	v_fmac_f32_e32 v148, v141, v144
	v_fma_f32 v3, v140, v144, -v3
	v_add_f32_e32 v111, v111, v148
	v_mul_f32_e32 v148, v142, v147
	v_add_f32_e32 v2, v2, v3
	v_mul_f32_e32 v3, v143, v147
	v_fmac_f32_e32 v148, v143, v146
	v_fma_f32 v3, v142, v146, -v3
	v_add_f32_e32 v149, v111, v148
	v_add_f32_e32 v148, v2, v3
	v_mul_f32_e32 v2, v159, v163
	v_fma_f32 v182, v158, v162, -v2
	v_mul_f32_e32 v2, v161, v165
	v_fma_f32 v184, v160, v164, -v2
	ds_read_b128 v[2:5], v110 offset:832
	ds_read_b128 v[6:9], v110 offset:848
	;; [unrolled: 1-line block ×4, first 2 shown]
	v_pk_add_f32 v[18:19], v[148:149], v[182:183]
	s_waitcnt vmcnt(3) lgkmcnt(3)
	v_pk_mul_f32 v[20:21], v[2:3], v[166:167] op_sel:[1,1] op_sel_hi:[0,1]
	v_pk_fma_f32 v[22:23], v[2:3], v[166:167], v[20:21] neg_lo:[0,0,1] neg_hi:[0,0,1]
	v_pk_fma_f32 v[2:3], v[2:3], v[166:167], v[20:21] op_sel_hi:[1,0,1]
	v_pk_add_f32 v[18:19], v[18:19], v[184:185]
	v_mov_b32_e32 v23, v3
	v_pk_add_f32 v[2:3], v[18:19], v[22:23]
	v_mov_b32_e32 v18, v169
	v_pk_mul_f32 v[18:19], v[4:5], v[18:19] op_sel:[1,0] op_sel_hi:[0,0]
	v_pk_fma_f32 v[20:21], v[4:5], v[168:169], v[18:19] neg_lo:[0,0,1] neg_hi:[0,0,1]
	v_pk_fma_f32 v[4:5], v[4:5], v[168:169], v[18:19] op_sel_hi:[1,0,1]
	s_nop 0
	v_mov_b32_e32 v21, v5
	s_waitcnt vmcnt(2) lgkmcnt(2)
	v_pk_mul_f32 v[4:5], v[6:7], v[170:171] op_sel:[1,1] op_sel_hi:[0,1]
	v_pk_fma_f32 v[18:19], v[6:7], v[170:171], v[4:5] neg_lo:[0,0,1] neg_hi:[0,0,1]
	v_pk_fma_f32 v[4:5], v[6:7], v[170:171], v[4:5] op_sel_hi:[1,0,1]
	v_pk_add_f32 v[2:3], v[2:3], v[20:21]
	v_mov_b32_e32 v4, v173
	v_mov_b32_e32 v19, v5
	v_pk_mul_f32 v[4:5], v[8:9], v[4:5] op_sel:[1,0] op_sel_hi:[0,0]
	v_pk_fma_f32 v[6:7], v[8:9], v[172:173], v[4:5] neg_lo:[0,0,1] neg_hi:[0,0,1]
	v_pk_fma_f32 v[4:5], v[8:9], v[172:173], v[4:5] op_sel_hi:[1,0,1]
	v_pk_add_f32 v[2:3], v[2:3], v[18:19]
	v_mov_b32_e32 v7, v5
	s_waitcnt vmcnt(1) lgkmcnt(1)
	v_pk_mul_f32 v[4:5], v[10:11], v[174:175] op_sel:[1,1] op_sel_hi:[0,1]
	v_pk_add_f32 v[2:3], v[2:3], v[6:7]
	v_pk_fma_f32 v[6:7], v[10:11], v[174:175], v[4:5] neg_lo:[0,0,1] neg_hi:[0,0,1]
	v_pk_fma_f32 v[4:5], v[10:11], v[174:175], v[4:5] op_sel_hi:[1,0,1]
	s_nop 0
	v_mov_b32_e32 v4, v177
	v_mov_b32_e32 v7, v5
	v_pk_mul_f32 v[4:5], v[12:13], v[4:5] op_sel:[1,0] op_sel_hi:[0,0]
	v_pk_add_f32 v[2:3], v[2:3], v[6:7]
	v_pk_fma_f32 v[6:7], v[12:13], v[176:177], v[4:5] neg_lo:[0,0,1] neg_hi:[0,0,1]
	v_pk_fma_f32 v[4:5], v[12:13], v[176:177], v[4:5] op_sel_hi:[1,0,1]
	s_nop 0
	v_mov_b32_e32 v7, v5
	s_waitcnt vmcnt(0) lgkmcnt(0)
	v_pk_mul_f32 v[4:5], v[14:15], v[178:179] op_sel:[1,1] op_sel_hi:[0,1]
	v_pk_add_f32 v[2:3], v[2:3], v[6:7]
	v_pk_fma_f32 v[6:7], v[14:15], v[178:179], v[4:5] neg_lo:[0,0,1] neg_hi:[0,0,1]
	v_pk_fma_f32 v[4:5], v[14:15], v[178:179], v[4:5] op_sel_hi:[1,0,1]
	s_nop 0
	v_mov_b32_e32 v4, v181
	v_mov_b32_e32 v7, v5
	v_pk_mul_f32 v[4:5], v[16:17], v[4:5] op_sel:[1,0] op_sel_hi:[0,0]
	v_pk_add_f32 v[2:3], v[2:3], v[6:7]
	v_pk_fma_f32 v[6:7], v[16:17], v[180:181], v[4:5] neg_lo:[0,0,1] neg_hi:[0,0,1]
	v_pk_fma_f32 v[4:5], v[16:17], v[180:181], v[4:5] op_sel_hi:[1,0,1]
	s_nop 0
	v_mov_b32_e32 v7, v5
	scratch_load_dwordx2 v[4:5], off, off offset:72
	v_pk_add_f32 v[2:3], v[2:3], v[6:7]
	s_waitcnt vmcnt(0)
	v_pk_add_f32 v[2:3], v[4:5], v[2:3] neg_lo:[0,1] neg_hi:[0,1]
	scratch_store_dwordx2 off, v[2:3], off offset:72
	s_and_saveexec_b64 s[0:1], vcc
	s_cbranch_execz .LBB119_333
; %bb.332:
	scratch_load_dwordx2 v[2:3], off, off offset:64
	v_mov_b32_e32 v4, 0
	v_mov_b32_e32 v5, v4
	scratch_store_dwordx2 off, v[4:5], off offset:64
	s_waitcnt vmcnt(1)
	ds_write_b64 v1, v[2:3]
.LBB119_333:
	s_or_b64 exec, exec, s[0:1]
	s_waitcnt lgkmcnt(0)
	; wave barrier
	scratch_load_dwordx4 v[6:9], off, off offset:72
	scratch_load_dwordx4 v[14:17], off, off offset:88
	;; [unrolled: 1-line block ×10, first 2 shown]
	v_mov_b32_e32 v118, 0
	ds_read2_b64 v[2:5], v118 offset0:65 offset1:66
	ds_read2_b64 v[158:161], v118 offset0:101 offset1:102
	scratch_load_dwordx4 v[86:89], off, off offset:232
	scratch_load_dwordx4 v[94:97], off, off offset:248
	;; [unrolled: 1-line block ×10, first 2 shown]
	v_cmp_lt_u32_e32 vcc, 7, v0
	ds_read2_b64 v[166:169], v118 offset0:103 offset1:104
	s_waitcnt vmcnt(19) lgkmcnt(2)
	v_mul_f32_e32 v10, v2, v7
	v_fmac_f32_e32 v10, v3, v6
	v_mul_f32_e32 v11, v4, v9
	v_add_f32_e32 v10, 0, v10
	v_fmac_f32_e32 v11, v5, v8
	v_add_f32_e32 v18, v10, v11
	ds_read2_b64 v[10:13], v118 offset0:67 offset1:68
	v_mul_f32_e32 v3, v3, v7
	v_fma_f32 v2, v2, v6, -v3
	v_mul_f32_e32 v3, v5, v9
	v_add_f32_e32 v2, 0, v2
	s_waitcnt vmcnt(18) lgkmcnt(0)
	v_mul_f32_e32 v19, v10, v15
	v_fmac_f32_e32 v19, v11, v14
	v_add_f32_e32 v18, v18, v19
	v_mul_f32_e32 v19, v12, v17
	v_fmac_f32_e32 v19, v13, v16
	v_add_f32_e32 v26, v18, v19
	ds_read2_b64 v[18:21], v118 offset0:69 offset1:70
	v_fma_f32 v3, v4, v8, -v3
	v_add_f32_e32 v2, v2, v3
	v_mul_f32_e32 v3, v11, v15
	v_fma_f32 v3, v10, v14, -v3
	s_waitcnt vmcnt(17) lgkmcnt(0)
	v_mul_f32_e32 v27, v18, v23
	v_fmac_f32_e32 v27, v19, v22
	v_add_f32_e32 v26, v26, v27
	v_mul_f32_e32 v27, v20, v25
	v_fmac_f32_e32 v27, v21, v24
	v_add_f32_e32 v34, v26, v27
	ds_read2_b64 v[26:29], v118 offset0:71 offset1:72
	v_add_f32_e32 v2, v2, v3
	v_mul_f32_e32 v3, v13, v17
	v_fma_f32 v3, v12, v16, -v3
	v_add_f32_e32 v2, v2, v3
	s_waitcnt vmcnt(16) lgkmcnt(0)
	v_mul_f32_e32 v35, v26, v31
	v_fmac_f32_e32 v35, v27, v30
	v_add_f32_e32 v34, v34, v35
	v_mul_f32_e32 v35, v28, v33
	v_fmac_f32_e32 v35, v29, v32
	v_add_f32_e32 v42, v34, v35
	ds_read2_b64 v[34:37], v118 offset0:73 offset1:74
	v_mul_f32_e32 v3, v19, v23
	v_fma_f32 v3, v18, v22, -v3
	v_add_f32_e32 v2, v2, v3
	v_mul_f32_e32 v3, v21, v25
	s_waitcnt vmcnt(15) lgkmcnt(0)
	v_mul_f32_e32 v43, v34, v39
	v_fmac_f32_e32 v43, v35, v38
	v_add_f32_e32 v42, v42, v43
	v_mul_f32_e32 v43, v36, v41
	v_fmac_f32_e32 v43, v37, v40
	v_add_f32_e32 v50, v42, v43
	ds_read2_b64 v[42:45], v118 offset0:75 offset1:76
	v_fma_f32 v3, v20, v24, -v3
	v_add_f32_e32 v2, v2, v3
	v_mul_f32_e32 v3, v27, v31
	v_fma_f32 v3, v26, v30, -v3
	s_waitcnt vmcnt(14) lgkmcnt(0)
	v_mul_f32_e32 v51, v42, v47
	v_fmac_f32_e32 v51, v43, v46
	v_add_f32_e32 v50, v50, v51
	v_mul_f32_e32 v51, v44, v49
	v_fmac_f32_e32 v51, v45, v48
	v_add_f32_e32 v58, v50, v51
	ds_read2_b64 v[50:53], v118 offset0:77 offset1:78
	v_add_f32_e32 v2, v2, v3
	v_mul_f32_e32 v3, v29, v33
	v_fma_f32 v3, v28, v32, -v3
	v_add_f32_e32 v2, v2, v3
	s_waitcnt vmcnt(13) lgkmcnt(0)
	v_mul_f32_e32 v59, v50, v55
	v_fmac_f32_e32 v59, v51, v54
	v_add_f32_e32 v58, v58, v59
	v_mul_f32_e32 v59, v52, v57
	v_fmac_f32_e32 v59, v53, v56
	v_add_f32_e32 v66, v58, v59
	ds_read2_b64 v[58:61], v118 offset0:79 offset1:80
	v_mul_f32_e32 v3, v35, v39
	v_fma_f32 v3, v34, v38, -v3
	v_add_f32_e32 v2, v2, v3
	v_mul_f32_e32 v3, v37, v41
	;; [unrolled: 36-line block ×5, first 2 shown]
	s_waitcnt vmcnt(3) lgkmcnt(0)
	v_mul_f32_e32 v140, v132, v137
	v_fmac_f32_e32 v140, v133, v136
	v_add_f32_e32 v119, v119, v140
	v_mul_f32_e32 v140, v134, v139
	v_fmac_f32_e32 v140, v135, v138
	v_add_f32_e32 v119, v119, v140
	ds_read2_b64 v[140:143], v118 offset0:99 offset1:100
	scratch_load_dwordx4 v[174:177], off, off offset:392
	scratch_load_dwordx4 v[178:181], off, off offset:408
	scratch_load_dwordx4 v[182:185], off, off offset:424
	scratch_load_dwordx2 v[190:191], off, off offset:440
	v_fma_f32 v3, v84, v88, -v3
	v_add_f32_e32 v2, v2, v3
	v_mul_f32_e32 v3, v91, v95
	v_fma_f32 v3, v90, v94, -v3
	v_add_f32_e32 v2, v2, v3
	v_mul_f32_e32 v3, v93, v97
	v_fma_f32 v3, v92, v96, -v3
	v_add_f32_e32 v2, v2, v3
	v_mul_f32_e32 v3, v99, v103
	v_fma_f32 v3, v98, v102, -v3
	v_add_f32_e32 v2, v2, v3
	v_mul_f32_e32 v3, v101, v105
	v_fma_f32 v3, v100, v104, -v3
	v_add_f32_e32 v2, v2, v3
	v_mul_f32_e32 v3, v107, v111
	v_fma_f32 v3, v106, v110, -v3
	v_add_f32_e32 v2, v2, v3
	v_mul_f32_e32 v3, v109, v113
	v_fma_f32 v3, v108, v112, -v3
	v_add_f32_e32 v2, v2, v3
	v_mul_f32_e32 v3, v115, v121
	v_fma_f32 v3, v114, v120, -v3
	v_add_f32_e32 v2, v2, v3
	v_mul_f32_e32 v3, v117, v123
	v_fma_f32 v3, v116, v122, -v3
	v_add_f32_e32 v2, v2, v3
	v_mul_f32_e32 v3, v125, v129
	v_fma_f32 v3, v124, v128, -v3
	v_add_f32_e32 v2, v2, v3
	v_mul_f32_e32 v3, v127, v131
	v_fma_f32 v3, v126, v130, -v3
	v_add_f32_e32 v2, v2, v3
	v_mul_f32_e32 v3, v133, v137
	v_fma_f32 v3, v132, v136, -v3
	v_add_f32_e32 v2, v2, v3
	v_mul_f32_e32 v3, v135, v139
	v_fma_f32 v3, v134, v138, -v3
	s_waitcnt vmcnt(6) lgkmcnt(0)
	v_mul_f32_e32 v148, v140, v145
	v_add_f32_e32 v2, v2, v3
	v_mul_f32_e32 v3, v141, v145
	v_fmac_f32_e32 v148, v141, v144
	v_fma_f32 v3, v140, v144, -v3
	v_add_f32_e32 v119, v119, v148
	v_mul_f32_e32 v148, v142, v147
	v_add_f32_e32 v2, v2, v3
	v_mul_f32_e32 v3, v143, v147
	v_fmac_f32_e32 v148, v143, v146
	v_fma_f32 v3, v142, v146, -v3
	v_add_f32_e32 v119, v119, v148
	s_waitcnt vmcnt(5)
	v_mul_f32_e32 v148, v158, v163
	v_add_f32_e32 v2, v2, v3
	v_mul_f32_e32 v3, v159, v163
	v_fmac_f32_e32 v148, v159, v162
	v_fma_f32 v3, v158, v162, -v3
	v_add_f32_e32 v149, v119, v148
	v_add_f32_e32 v148, v2, v3
	v_mul_f32_e32 v2, v161, v165
	v_mul_f32_e32 v187, v160, v165
	v_fma_f32 v186, v160, v164, -v2
	s_waitcnt vmcnt(4)
	v_mul_f32_e32 v2, v167, v171
	v_mov_b32_e32 v18, v173
	v_fmac_f32_e32 v187, v161, v164
	v_mul_f32_e32 v189, v166, v171
	v_fma_f32 v188, v166, v170, -v2
	ds_read2_b64 v[2:5], v118 offset0:105 offset1:106
	ds_read2_b64 v[6:9], v118 offset0:107 offset1:108
	;; [unrolled: 1-line block ×3, first 2 shown]
	ds_read_b64 v[14:15], v118 offset:888
	v_pk_mul_f32 v[18:19], v[168:169], v[18:19] op_sel:[1,0] op_sel_hi:[0,0]
	v_fmac_f32_e32 v189, v167, v170
	v_pk_add_f32 v[16:17], v[148:149], v[186:187]
	v_pk_fma_f32 v[20:21], v[168:169], v[172:173], v[18:19] neg_lo:[0,0,1] neg_hi:[0,0,1]
	v_pk_fma_f32 v[18:19], v[168:169], v[172:173], v[18:19] op_sel_hi:[1,0,1]
	v_pk_add_f32 v[16:17], v[16:17], v[188:189]
	v_mov_b32_e32 v21, v19
	v_pk_add_f32 v[16:17], v[16:17], v[20:21]
	s_waitcnt vmcnt(3) lgkmcnt(3)
	v_pk_mul_f32 v[18:19], v[2:3], v[174:175] op_sel:[1,1] op_sel_hi:[0,1]
	v_pk_fma_f32 v[20:21], v[2:3], v[174:175], v[18:19] neg_lo:[0,0,1] neg_hi:[0,0,1]
	v_pk_fma_f32 v[2:3], v[2:3], v[174:175], v[18:19] op_sel_hi:[1,0,1]
	s_nop 0
	v_mov_b32_e32 v21, v3
	v_pk_add_f32 v[2:3], v[16:17], v[20:21]
	v_mov_b32_e32 v16, v177
	v_pk_mul_f32 v[16:17], v[4:5], v[16:17] op_sel:[1,0] op_sel_hi:[0,0]
	v_pk_fma_f32 v[18:19], v[4:5], v[176:177], v[16:17] neg_lo:[0,0,1] neg_hi:[0,0,1]
	v_pk_fma_f32 v[4:5], v[4:5], v[176:177], v[16:17] op_sel_hi:[1,0,1]
	s_nop 0
	v_mov_b32_e32 v19, v5
	s_waitcnt vmcnt(2) lgkmcnt(2)
	v_pk_mul_f32 v[4:5], v[6:7], v[178:179] op_sel:[1,1] op_sel_hi:[0,1]
	v_pk_fma_f32 v[16:17], v[6:7], v[178:179], v[4:5] neg_lo:[0,0,1] neg_hi:[0,0,1]
	v_pk_fma_f32 v[4:5], v[6:7], v[178:179], v[4:5] op_sel_hi:[1,0,1]
	v_pk_add_f32 v[2:3], v[2:3], v[18:19]
	v_mov_b32_e32 v4, v181
	v_mov_b32_e32 v17, v5
	v_pk_mul_f32 v[4:5], v[8:9], v[4:5] op_sel:[1,0] op_sel_hi:[0,0]
	v_pk_fma_f32 v[6:7], v[8:9], v[180:181], v[4:5] neg_lo:[0,0,1] neg_hi:[0,0,1]
	v_pk_fma_f32 v[4:5], v[8:9], v[180:181], v[4:5] op_sel_hi:[1,0,1]
	v_pk_add_f32 v[2:3], v[2:3], v[16:17]
	v_mov_b32_e32 v7, v5
	s_waitcnt vmcnt(1) lgkmcnt(1)
	v_pk_mul_f32 v[4:5], v[10:11], v[182:183] op_sel:[1,1] op_sel_hi:[0,1]
	v_pk_add_f32 v[2:3], v[2:3], v[6:7]
	v_pk_fma_f32 v[6:7], v[10:11], v[182:183], v[4:5] neg_lo:[0,0,1] neg_hi:[0,0,1]
	v_pk_fma_f32 v[4:5], v[10:11], v[182:183], v[4:5] op_sel_hi:[1,0,1]
	s_nop 0
	v_mov_b32_e32 v4, v185
	v_mov_b32_e32 v7, v5
	v_pk_mul_f32 v[4:5], v[12:13], v[4:5] op_sel:[1,0] op_sel_hi:[0,0]
	v_pk_add_f32 v[2:3], v[2:3], v[6:7]
	v_pk_fma_f32 v[6:7], v[12:13], v[184:185], v[4:5] neg_lo:[0,0,1] neg_hi:[0,0,1]
	v_pk_fma_f32 v[4:5], v[12:13], v[184:185], v[4:5] op_sel_hi:[1,0,1]
	s_nop 0
	v_mov_b32_e32 v7, v5
	s_waitcnt vmcnt(0) lgkmcnt(0)
	v_pk_mul_f32 v[4:5], v[14:15], v[190:191] op_sel:[1,1] op_sel_hi:[0,1]
	v_pk_add_f32 v[2:3], v[2:3], v[6:7]
	v_pk_fma_f32 v[6:7], v[14:15], v[190:191], v[4:5] neg_lo:[0,0,1] neg_hi:[0,0,1]
	v_pk_fma_f32 v[4:5], v[14:15], v[190:191], v[4:5] op_sel_hi:[1,0,1]
	s_nop 0
	v_mov_b32_e32 v7, v5
	scratch_load_dwordx2 v[4:5], off, off offset:64
	v_pk_add_f32 v[2:3], v[2:3], v[6:7]
	s_waitcnt vmcnt(0)
	v_pk_add_f32 v[2:3], v[4:5], v[2:3] neg_lo:[0,1] neg_hi:[0,1]
	scratch_store_dwordx2 off, v[2:3], off offset:64
	s_and_saveexec_b64 s[0:1], vcc
	s_cbranch_execz .LBB119_335
; %bb.334:
	scratch_load_dwordx2 v[2:3], off, off offset:56
	v_mov_b32_e32 v119, v118
	scratch_store_dwordx2 off, v[118:119], off offset:56
	s_waitcnt vmcnt(1)
	ds_write_b64 v1, v[2:3]
.LBB119_335:
	s_or_b64 exec, exec, s[0:1]
	s_waitcnt lgkmcnt(0)
	; wave barrier
	ds_read_b128 v[14:17], v118 offset:512
	ds_read_b128 v[10:13], v118 offset:528
	ds_read_b128 v[6:9], v118 offset:544
	ds_read_b128 v[2:5], v118 offset:560
	scratch_load_dwordx4 v[18:21], off, off offset:64
	scratch_load_dwordx4 v[38:41], off, off offset:128
	scratch_load_dwordx4 v[70:73], off, off offset:192
	scratch_load_dwordx4 v[78:81], off, off offset:208
	scratch_load_dwordx4 v[86:89], off, off offset:224
	scratch_load_dwordx4 v[94:97], off, off offset:240
	scratch_load_dwordx4 v[102:105], off, off offset:256
	scratch_load_dwordx4 v[110:113], off, off offset:272
	scratch_load_dwordx4 v[120:123], off, off offset:288
	scratch_load_dwordx4 v[128:131], off, off offset:304
	scratch_load_dwordx4 v[136:139], off, off offset:320
	scratch_load_dwordx4 v[144:147], off, off offset:336
	scratch_load_dwordx4 v[162:165], off, off offset:352
	scratch_load_dwordx4 v[170:173], off, off offset:368
	v_cmp_lt_u32_e32 vcc, 6, v0
	scratch_load_dwordx4 v[46:49], off, off offset:144
	scratch_load_dwordx4 v[54:57], off, off offset:160
	;; [unrolled: 1-line block ×3, first 2 shown]
	ds_read_b128 v[158:161], v118 offset:800
	ds_read_b128 v[166:169], v118 offset:816
	s_waitcnt vmcnt(16) lgkmcnt(5)
	v_mul_f32_e32 v22, v14, v19
	v_fmac_f32_e32 v22, v15, v18
	v_mul_f32_e32 v23, v16, v21
	v_add_f32_e32 v22, 0, v22
	v_fmac_f32_e32 v23, v17, v20
	v_add_f32_e32 v26, v22, v23
	scratch_load_dwordx4 v[22:25], off, off offset:80
	v_mul_f32_e32 v15, v15, v19
	v_fma_f32 v14, v14, v18, -v15
	v_mul_f32_e32 v15, v17, v21
	v_add_f32_e32 v14, 0, v14
	v_fma_f32 v15, v16, v20, -v15
	v_add_f32_e32 v14, v14, v15
	s_waitcnt vmcnt(4) lgkmcnt(0)
	v_mul_f32_e32 v191, v166, v171
	v_mul_f32_e32 v193, v168, v173
	v_fmac_f32_e32 v191, v167, v170
	v_fmac_f32_e32 v193, v169, v172
	s_waitcnt vmcnt(0)
	v_mul_f32_e32 v27, v10, v23
	v_fmac_f32_e32 v27, v11, v22
	v_add_f32_e32 v26, v26, v27
	v_mul_f32_e32 v27, v12, v25
	v_fmac_f32_e32 v27, v13, v24
	v_add_f32_e32 v30, v26, v27
	scratch_load_dwordx4 v[26:29], off, off offset:96
	v_mul_f32_e32 v11, v11, v23
	v_fma_f32 v10, v10, v22, -v11
	v_mul_f32_e32 v11, v13, v25
	v_add_f32_e32 v10, v14, v10
	v_fma_f32 v11, v12, v24, -v11
	v_add_f32_e32 v10, v10, v11
	s_waitcnt vmcnt(0)
	v_mul_f32_e32 v31, v6, v27
	v_fmac_f32_e32 v31, v7, v26
	v_add_f32_e32 v30, v30, v31
	v_mul_f32_e32 v31, v8, v29
	v_fmac_f32_e32 v31, v9, v28
	v_add_f32_e32 v34, v30, v31
	scratch_load_dwordx4 v[30:33], off, off offset:112
	v_mul_f32_e32 v7, v7, v27
	v_fma_f32 v6, v6, v26, -v7
	v_mul_f32_e32 v7, v9, v29
	v_add_f32_e32 v6, v10, v6
	v_fma_f32 v7, v8, v28, -v7
	v_add_f32_e32 v6, v6, v7
	s_waitcnt vmcnt(0)
	v_mul_f32_e32 v35, v2, v31
	v_fmac_f32_e32 v35, v3, v30
	v_add_f32_e32 v34, v34, v35
	v_mul_f32_e32 v35, v4, v33
	v_fmac_f32_e32 v35, v5, v32
	v_add_f32_e32 v42, v34, v35
	ds_read_b128 v[34:37], v118 offset:576
	v_mul_f32_e32 v3, v3, v31
	v_fma_f32 v2, v2, v30, -v3
	v_mul_f32_e32 v3, v5, v33
	v_add_f32_e32 v2, v6, v2
	s_waitcnt lgkmcnt(0)
	v_mul_f32_e32 v43, v34, v39
	v_fmac_f32_e32 v43, v35, v38
	v_add_f32_e32 v42, v42, v43
	v_mul_f32_e32 v43, v36, v41
	v_fmac_f32_e32 v43, v37, v40
	v_add_f32_e32 v50, v42, v43
	ds_read_b128 v[42:45], v118 offset:592
	v_fma_f32 v3, v4, v32, -v3
	v_add_f32_e32 v2, v2, v3
	v_mul_f32_e32 v3, v35, v39
	v_fma_f32 v3, v34, v38, -v3
	s_waitcnt lgkmcnt(0)
	v_mul_f32_e32 v51, v42, v47
	v_fmac_f32_e32 v51, v43, v46
	v_add_f32_e32 v50, v50, v51
	v_mul_f32_e32 v51, v44, v49
	v_fmac_f32_e32 v51, v45, v48
	v_add_f32_e32 v58, v50, v51
	ds_read_b128 v[50:53], v118 offset:608
	v_add_f32_e32 v2, v2, v3
	v_mul_f32_e32 v3, v37, v41
	v_fma_f32 v3, v36, v40, -v3
	v_add_f32_e32 v2, v2, v3
	s_waitcnt lgkmcnt(0)
	v_mul_f32_e32 v59, v50, v55
	v_fmac_f32_e32 v59, v51, v54
	v_add_f32_e32 v58, v58, v59
	v_mul_f32_e32 v59, v52, v57
	v_fmac_f32_e32 v59, v53, v56
	v_add_f32_e32 v66, v58, v59
	ds_read_b128 v[58:61], v118 offset:624
	v_mul_f32_e32 v3, v43, v47
	v_fma_f32 v3, v42, v46, -v3
	v_add_f32_e32 v2, v2, v3
	v_mul_f32_e32 v3, v45, v49
	s_waitcnt lgkmcnt(0)
	v_mul_f32_e32 v67, v58, v63
	v_fmac_f32_e32 v67, v59, v62
	v_add_f32_e32 v66, v66, v67
	v_mul_f32_e32 v67, v60, v65
	v_fmac_f32_e32 v67, v61, v64
	v_add_f32_e32 v74, v66, v67
	ds_read_b128 v[66:69], v118 offset:640
	v_fma_f32 v3, v44, v48, -v3
	v_add_f32_e32 v2, v2, v3
	v_mul_f32_e32 v3, v51, v55
	v_fma_f32 v3, v50, v54, -v3
	s_waitcnt lgkmcnt(0)
	v_mul_f32_e32 v75, v66, v71
	v_fmac_f32_e32 v75, v67, v70
	v_add_f32_e32 v74, v74, v75
	v_mul_f32_e32 v75, v68, v73
	v_fmac_f32_e32 v75, v69, v72
	v_add_f32_e32 v82, v74, v75
	ds_read_b128 v[74:77], v118 offset:656
	v_add_f32_e32 v2, v2, v3
	v_mul_f32_e32 v3, v53, v57
	v_fma_f32 v3, v52, v56, -v3
	v_add_f32_e32 v2, v2, v3
	s_waitcnt lgkmcnt(0)
	v_mul_f32_e32 v83, v74, v79
	v_fmac_f32_e32 v83, v75, v78
	v_add_f32_e32 v82, v82, v83
	v_mul_f32_e32 v83, v76, v81
	v_fmac_f32_e32 v83, v77, v80
	v_add_f32_e32 v90, v82, v83
	ds_read_b128 v[82:85], v118 offset:672
	v_mul_f32_e32 v3, v59, v63
	v_fma_f32 v3, v58, v62, -v3
	v_add_f32_e32 v2, v2, v3
	v_mul_f32_e32 v3, v61, v65
	;; [unrolled: 36-line block ×4, first 2 shown]
	s_waitcnt lgkmcnt(0)
	v_mul_f32_e32 v140, v132, v137
	v_fmac_f32_e32 v140, v133, v136
	v_add_f32_e32 v119, v119, v140
	v_mul_f32_e32 v140, v134, v139
	v_fmac_f32_e32 v140, v135, v138
	v_add_f32_e32 v119, v119, v140
	ds_read_b128 v[140:143], v118 offset:784
	scratch_load_dwordx4 v[174:177], off, off offset:384
	scratch_load_dwordx4 v[178:181], off, off offset:400
	;; [unrolled: 1-line block ×4, first 2 shown]
	v_fma_f32 v3, v92, v96, -v3
	v_add_f32_e32 v2, v2, v3
	v_mul_f32_e32 v3, v99, v103
	v_fma_f32 v3, v98, v102, -v3
	v_add_f32_e32 v2, v2, v3
	v_mul_f32_e32 v3, v101, v105
	;; [unrolled: 3-line block ×10, first 2 shown]
	v_fma_f32 v3, v134, v138, -v3
	s_waitcnt lgkmcnt(0)
	v_mul_f32_e32 v148, v140, v145
	v_add_f32_e32 v2, v2, v3
	v_mul_f32_e32 v3, v141, v145
	v_fmac_f32_e32 v148, v141, v144
	v_fma_f32 v3, v140, v144, -v3
	v_add_f32_e32 v119, v119, v148
	v_mul_f32_e32 v148, v142, v147
	v_add_f32_e32 v2, v2, v3
	v_mul_f32_e32 v3, v143, v147
	v_fmac_f32_e32 v148, v143, v146
	v_fma_f32 v3, v142, v146, -v3
	v_add_f32_e32 v119, v119, v148
	;; [unrolled: 6-line block ×4, first 2 shown]
	v_add_f32_e32 v148, v2, v3
	v_mul_f32_e32 v2, v167, v171
	v_fma_f32 v190, v166, v170, -v2
	v_mul_f32_e32 v2, v169, v173
	v_fma_f32 v192, v168, v172, -v2
	ds_read_b128 v[2:5], v118 offset:832
	ds_read_b128 v[6:9], v118 offset:848
	;; [unrolled: 1-line block ×4, first 2 shown]
	v_pk_add_f32 v[18:19], v[148:149], v[190:191]
	s_waitcnt vmcnt(3) lgkmcnt(3)
	v_pk_mul_f32 v[20:21], v[2:3], v[174:175] op_sel:[1,1] op_sel_hi:[0,1]
	v_pk_fma_f32 v[22:23], v[2:3], v[174:175], v[20:21] neg_lo:[0,0,1] neg_hi:[0,0,1]
	v_pk_fma_f32 v[2:3], v[2:3], v[174:175], v[20:21] op_sel_hi:[1,0,1]
	v_pk_add_f32 v[18:19], v[18:19], v[192:193]
	v_mov_b32_e32 v23, v3
	v_pk_add_f32 v[2:3], v[18:19], v[22:23]
	v_mov_b32_e32 v18, v177
	v_pk_mul_f32 v[18:19], v[4:5], v[18:19] op_sel:[1,0] op_sel_hi:[0,0]
	v_pk_fma_f32 v[20:21], v[4:5], v[176:177], v[18:19] neg_lo:[0,0,1] neg_hi:[0,0,1]
	v_pk_fma_f32 v[4:5], v[4:5], v[176:177], v[18:19] op_sel_hi:[1,0,1]
	s_nop 0
	v_mov_b32_e32 v21, v5
	s_waitcnt vmcnt(2) lgkmcnt(2)
	v_pk_mul_f32 v[4:5], v[6:7], v[178:179] op_sel:[1,1] op_sel_hi:[0,1]
	v_pk_fma_f32 v[18:19], v[6:7], v[178:179], v[4:5] neg_lo:[0,0,1] neg_hi:[0,0,1]
	v_pk_fma_f32 v[4:5], v[6:7], v[178:179], v[4:5] op_sel_hi:[1,0,1]
	v_pk_add_f32 v[2:3], v[2:3], v[20:21]
	v_mov_b32_e32 v4, v181
	v_mov_b32_e32 v19, v5
	v_pk_mul_f32 v[4:5], v[8:9], v[4:5] op_sel:[1,0] op_sel_hi:[0,0]
	v_pk_fma_f32 v[6:7], v[8:9], v[180:181], v[4:5] neg_lo:[0,0,1] neg_hi:[0,0,1]
	v_pk_fma_f32 v[4:5], v[8:9], v[180:181], v[4:5] op_sel_hi:[1,0,1]
	v_pk_add_f32 v[2:3], v[2:3], v[18:19]
	v_mov_b32_e32 v7, v5
	s_waitcnt vmcnt(1) lgkmcnt(1)
	v_pk_mul_f32 v[4:5], v[10:11], v[182:183] op_sel:[1,1] op_sel_hi:[0,1]
	v_pk_add_f32 v[2:3], v[2:3], v[6:7]
	v_pk_fma_f32 v[6:7], v[10:11], v[182:183], v[4:5] neg_lo:[0,0,1] neg_hi:[0,0,1]
	v_pk_fma_f32 v[4:5], v[10:11], v[182:183], v[4:5] op_sel_hi:[1,0,1]
	s_nop 0
	v_mov_b32_e32 v4, v185
	v_mov_b32_e32 v7, v5
	v_pk_mul_f32 v[4:5], v[12:13], v[4:5] op_sel:[1,0] op_sel_hi:[0,0]
	v_pk_add_f32 v[2:3], v[2:3], v[6:7]
	v_pk_fma_f32 v[6:7], v[12:13], v[184:185], v[4:5] neg_lo:[0,0,1] neg_hi:[0,0,1]
	v_pk_fma_f32 v[4:5], v[12:13], v[184:185], v[4:5] op_sel_hi:[1,0,1]
	s_nop 0
	v_mov_b32_e32 v7, v5
	s_waitcnt vmcnt(0) lgkmcnt(0)
	v_pk_mul_f32 v[4:5], v[14:15], v[186:187] op_sel:[1,1] op_sel_hi:[0,1]
	v_pk_add_f32 v[2:3], v[2:3], v[6:7]
	v_pk_fma_f32 v[6:7], v[14:15], v[186:187], v[4:5] neg_lo:[0,0,1] neg_hi:[0,0,1]
	v_pk_fma_f32 v[4:5], v[14:15], v[186:187], v[4:5] op_sel_hi:[1,0,1]
	s_nop 0
	v_mov_b32_e32 v4, v189
	v_mov_b32_e32 v7, v5
	v_pk_mul_f32 v[4:5], v[16:17], v[4:5] op_sel:[1,0] op_sel_hi:[0,0]
	v_pk_add_f32 v[2:3], v[2:3], v[6:7]
	v_pk_fma_f32 v[6:7], v[16:17], v[188:189], v[4:5] neg_lo:[0,0,1] neg_hi:[0,0,1]
	v_pk_fma_f32 v[4:5], v[16:17], v[188:189], v[4:5] op_sel_hi:[1,0,1]
	s_nop 0
	v_mov_b32_e32 v7, v5
	scratch_load_dwordx2 v[4:5], off, off offset:56
	v_pk_add_f32 v[2:3], v[2:3], v[6:7]
	s_waitcnt vmcnt(0)
	v_pk_add_f32 v[2:3], v[4:5], v[2:3] neg_lo:[0,1] neg_hi:[0,1]
	scratch_store_dwordx2 off, v[2:3], off offset:56
	s_and_saveexec_b64 s[0:1], vcc
	s_cbranch_execz .LBB119_337
; %bb.336:
	scratch_load_dwordx2 v[2:3], off, off offset:48
	v_mov_b32_e32 v4, 0
	v_mov_b32_e32 v5, v4
	scratch_store_dwordx2 off, v[4:5], off offset:48
	s_waitcnt vmcnt(1)
	ds_write_b64 v1, v[2:3]
.LBB119_337:
	s_or_b64 exec, exec, s[0:1]
	s_waitcnt lgkmcnt(0)
	; wave barrier
	scratch_load_dwordx4 v[6:9], off, off offset:56
	scratch_load_dwordx4 v[14:17], off, off offset:72
	;; [unrolled: 1-line block ×10, first 2 shown]
	v_mov_b32_e32 v134, 0
	ds_read2_b64 v[2:5], v134 offset0:63 offset1:64
	ds_read2_b64 v[158:161], v134 offset0:99 offset1:100
	scratch_load_dwordx4 v[86:89], off, off offset:216
	scratch_load_dwordx4 v[94:97], off, off offset:232
	;; [unrolled: 1-line block ×11, first 2 shown]
	v_cmp_lt_u32_e32 vcc, 5, v0
	ds_read2_b64 v[166:169], v134 offset0:101 offset1:102
	ds_read2_b64 v[174:177], v134 offset0:103 offset1:104
	s_waitcnt vmcnt(20) lgkmcnt(3)
	v_mul_f32_e32 v10, v2, v7
	v_fmac_f32_e32 v10, v3, v6
	v_mul_f32_e32 v11, v4, v9
	v_add_f32_e32 v10, 0, v10
	v_fmac_f32_e32 v11, v5, v8
	v_add_f32_e32 v18, v10, v11
	ds_read2_b64 v[10:13], v134 offset0:65 offset1:66
	v_mul_f32_e32 v3, v3, v7
	v_fma_f32 v2, v2, v6, -v3
	v_mul_f32_e32 v3, v5, v9
	v_add_f32_e32 v2, 0, v2
	s_waitcnt vmcnt(19) lgkmcnt(0)
	v_mul_f32_e32 v19, v10, v15
	v_fmac_f32_e32 v19, v11, v14
	v_add_f32_e32 v18, v18, v19
	v_mul_f32_e32 v19, v12, v17
	v_fmac_f32_e32 v19, v13, v16
	v_add_f32_e32 v26, v18, v19
	ds_read2_b64 v[18:21], v134 offset0:67 offset1:68
	v_fma_f32 v3, v4, v8, -v3
	v_add_f32_e32 v2, v2, v3
	v_mul_f32_e32 v3, v11, v15
	v_fma_f32 v3, v10, v14, -v3
	s_waitcnt vmcnt(18) lgkmcnt(0)
	v_mul_f32_e32 v27, v18, v23
	v_fmac_f32_e32 v27, v19, v22
	v_add_f32_e32 v26, v26, v27
	v_mul_f32_e32 v27, v20, v25
	v_fmac_f32_e32 v27, v21, v24
	v_add_f32_e32 v34, v26, v27
	ds_read2_b64 v[26:29], v134 offset0:69 offset1:70
	v_add_f32_e32 v2, v2, v3
	v_mul_f32_e32 v3, v13, v17
	v_fma_f32 v3, v12, v16, -v3
	v_add_f32_e32 v2, v2, v3
	s_waitcnt vmcnt(17) lgkmcnt(0)
	v_mul_f32_e32 v35, v26, v31
	v_fmac_f32_e32 v35, v27, v30
	v_add_f32_e32 v34, v34, v35
	v_mul_f32_e32 v35, v28, v33
	v_fmac_f32_e32 v35, v29, v32
	v_add_f32_e32 v42, v34, v35
	ds_read2_b64 v[34:37], v134 offset0:71 offset1:72
	v_mul_f32_e32 v3, v19, v23
	v_fma_f32 v3, v18, v22, -v3
	v_add_f32_e32 v2, v2, v3
	v_mul_f32_e32 v3, v21, v25
	s_waitcnt vmcnt(16) lgkmcnt(0)
	v_mul_f32_e32 v43, v34, v39
	v_fmac_f32_e32 v43, v35, v38
	v_add_f32_e32 v42, v42, v43
	v_mul_f32_e32 v43, v36, v41
	v_fmac_f32_e32 v43, v37, v40
	v_add_f32_e32 v50, v42, v43
	ds_read2_b64 v[42:45], v134 offset0:73 offset1:74
	v_fma_f32 v3, v20, v24, -v3
	v_add_f32_e32 v2, v2, v3
	v_mul_f32_e32 v3, v27, v31
	v_fma_f32 v3, v26, v30, -v3
	s_waitcnt vmcnt(15) lgkmcnt(0)
	v_mul_f32_e32 v51, v42, v47
	v_fmac_f32_e32 v51, v43, v46
	v_add_f32_e32 v50, v50, v51
	v_mul_f32_e32 v51, v44, v49
	v_fmac_f32_e32 v51, v45, v48
	v_add_f32_e32 v58, v50, v51
	ds_read2_b64 v[50:53], v134 offset0:75 offset1:76
	v_add_f32_e32 v2, v2, v3
	v_mul_f32_e32 v3, v29, v33
	v_fma_f32 v3, v28, v32, -v3
	v_add_f32_e32 v2, v2, v3
	s_waitcnt vmcnt(14) lgkmcnt(0)
	v_mul_f32_e32 v59, v50, v55
	v_fmac_f32_e32 v59, v51, v54
	v_add_f32_e32 v58, v58, v59
	v_mul_f32_e32 v59, v52, v57
	v_fmac_f32_e32 v59, v53, v56
	v_add_f32_e32 v66, v58, v59
	ds_read2_b64 v[58:61], v134 offset0:77 offset1:78
	v_mul_f32_e32 v3, v35, v39
	v_fma_f32 v3, v34, v38, -v3
	v_add_f32_e32 v2, v2, v3
	v_mul_f32_e32 v3, v37, v41
	;; [unrolled: 36-line block ×5, first 2 shown]
	s_waitcnt vmcnt(4) lgkmcnt(0)
	v_mul_f32_e32 v140, v130, v137
	v_fmac_f32_e32 v140, v131, v136
	v_add_f32_e32 v135, v135, v140
	v_mul_f32_e32 v140, v132, v139
	v_fmac_f32_e32 v140, v133, v138
	v_add_f32_e32 v135, v135, v140
	ds_read2_b64 v[140:143], v134 offset0:97 offset1:98
	scratch_load_dwordx4 v[182:185], off, off offset:392
	scratch_load_dwordx4 v[186:189], off, off offset:408
	;; [unrolled: 1-line block ×3, first 2 shown]
	scratch_load_dwordx2 v[198:199], off, off offset:440
	v_fma_f32 v3, v84, v88, -v3
	v_add_f32_e32 v2, v2, v3
	v_mul_f32_e32 v3, v91, v95
	v_fma_f32 v3, v90, v94, -v3
	v_add_f32_e32 v2, v2, v3
	v_mul_f32_e32 v3, v93, v97
	;; [unrolled: 3-line block ×12, first 2 shown]
	v_fma_f32 v3, v132, v138, -v3
	s_waitcnt vmcnt(7) lgkmcnt(0)
	v_mul_f32_e32 v148, v140, v145
	v_add_f32_e32 v2, v2, v3
	v_mul_f32_e32 v3, v141, v145
	v_fmac_f32_e32 v148, v141, v144
	v_fma_f32 v3, v140, v144, -v3
	v_add_f32_e32 v135, v135, v148
	v_mul_f32_e32 v148, v142, v147
	v_add_f32_e32 v2, v2, v3
	v_mul_f32_e32 v3, v143, v147
	v_fmac_f32_e32 v148, v143, v146
	v_fma_f32 v3, v142, v146, -v3
	v_add_f32_e32 v135, v135, v148
	s_waitcnt vmcnt(6)
	v_mul_f32_e32 v148, v158, v163
	v_add_f32_e32 v2, v2, v3
	v_mul_f32_e32 v3, v159, v163
	v_fmac_f32_e32 v148, v159, v162
	v_fma_f32 v3, v158, v162, -v3
	v_add_f32_e32 v135, v135, v148
	v_mul_f32_e32 v148, v160, v165
	v_add_f32_e32 v2, v2, v3
	v_mul_f32_e32 v3, v161, v165
	v_fmac_f32_e32 v148, v161, v164
	v_fma_f32 v3, v160, v164, -v3
	v_add_f32_e32 v135, v135, v148
	s_waitcnt vmcnt(5)
	v_mul_f32_e32 v148, v166, v171
	v_add_f32_e32 v2, v2, v3
	v_mul_f32_e32 v3, v167, v171
	v_fmac_f32_e32 v148, v167, v170
	v_fma_f32 v3, v166, v170, -v3
	v_add_f32_e32 v149, v135, v148
	v_add_f32_e32 v148, v2, v3
	v_mul_f32_e32 v2, v169, v173
	v_mul_f32_e32 v195, v168, v173
	v_fma_f32 v194, v168, v172, -v2
	s_waitcnt vmcnt(4)
	v_mul_f32_e32 v2, v175, v179
	v_mov_b32_e32 v18, v181
	v_fmac_f32_e32 v195, v169, v172
	v_mul_f32_e32 v197, v174, v179
	v_fma_f32 v196, v174, v178, -v2
	ds_read2_b64 v[2:5], v134 offset0:105 offset1:106
	ds_read2_b64 v[6:9], v134 offset0:107 offset1:108
	;; [unrolled: 1-line block ×3, first 2 shown]
	ds_read_b64 v[14:15], v134 offset:888
	v_pk_mul_f32 v[18:19], v[176:177], v[18:19] op_sel:[1,0] op_sel_hi:[0,0]
	v_fmac_f32_e32 v197, v175, v178
	v_pk_add_f32 v[16:17], v[148:149], v[194:195]
	v_pk_fma_f32 v[20:21], v[176:177], v[180:181], v[18:19] neg_lo:[0,0,1] neg_hi:[0,0,1]
	v_pk_fma_f32 v[18:19], v[176:177], v[180:181], v[18:19] op_sel_hi:[1,0,1]
	v_pk_add_f32 v[16:17], v[16:17], v[196:197]
	v_mov_b32_e32 v21, v19
	s_waitcnt vmcnt(3) lgkmcnt(3)
	v_pk_mul_f32 v[18:19], v[2:3], v[182:183] op_sel:[1,1] op_sel_hi:[0,1]
	v_pk_add_f32 v[16:17], v[16:17], v[20:21]
	v_pk_fma_f32 v[20:21], v[2:3], v[182:183], v[18:19] neg_lo:[0,0,1] neg_hi:[0,0,1]
	v_pk_fma_f32 v[2:3], v[2:3], v[182:183], v[18:19] op_sel_hi:[1,0,1]
	s_nop 0
	v_mov_b32_e32 v21, v3
	v_pk_add_f32 v[2:3], v[16:17], v[20:21]
	v_mov_b32_e32 v16, v185
	v_pk_mul_f32 v[16:17], v[4:5], v[16:17] op_sel:[1,0] op_sel_hi:[0,0]
	v_pk_fma_f32 v[18:19], v[4:5], v[184:185], v[16:17] neg_lo:[0,0,1] neg_hi:[0,0,1]
	v_pk_fma_f32 v[4:5], v[4:5], v[184:185], v[16:17] op_sel_hi:[1,0,1]
	s_nop 0
	v_mov_b32_e32 v19, v5
	s_waitcnt vmcnt(2) lgkmcnt(2)
	v_pk_mul_f32 v[4:5], v[6:7], v[186:187] op_sel:[1,1] op_sel_hi:[0,1]
	v_pk_fma_f32 v[16:17], v[6:7], v[186:187], v[4:5] neg_lo:[0,0,1] neg_hi:[0,0,1]
	v_pk_fma_f32 v[4:5], v[6:7], v[186:187], v[4:5] op_sel_hi:[1,0,1]
	v_pk_add_f32 v[2:3], v[2:3], v[18:19]
	v_mov_b32_e32 v4, v189
	v_mov_b32_e32 v17, v5
	v_pk_mul_f32 v[4:5], v[8:9], v[4:5] op_sel:[1,0] op_sel_hi:[0,0]
	v_pk_fma_f32 v[6:7], v[8:9], v[188:189], v[4:5] neg_lo:[0,0,1] neg_hi:[0,0,1]
	v_pk_fma_f32 v[4:5], v[8:9], v[188:189], v[4:5] op_sel_hi:[1,0,1]
	v_pk_add_f32 v[2:3], v[2:3], v[16:17]
	v_mov_b32_e32 v7, v5
	s_waitcnt vmcnt(1) lgkmcnt(1)
	v_pk_mul_f32 v[4:5], v[10:11], v[190:191] op_sel:[1,1] op_sel_hi:[0,1]
	v_pk_add_f32 v[2:3], v[2:3], v[6:7]
	v_pk_fma_f32 v[6:7], v[10:11], v[190:191], v[4:5] neg_lo:[0,0,1] neg_hi:[0,0,1]
	v_pk_fma_f32 v[4:5], v[10:11], v[190:191], v[4:5] op_sel_hi:[1,0,1]
	s_nop 0
	v_mov_b32_e32 v4, v193
	v_mov_b32_e32 v7, v5
	v_pk_mul_f32 v[4:5], v[12:13], v[4:5] op_sel:[1,0] op_sel_hi:[0,0]
	v_pk_add_f32 v[2:3], v[2:3], v[6:7]
	v_pk_fma_f32 v[6:7], v[12:13], v[192:193], v[4:5] neg_lo:[0,0,1] neg_hi:[0,0,1]
	v_pk_fma_f32 v[4:5], v[12:13], v[192:193], v[4:5] op_sel_hi:[1,0,1]
	s_nop 0
	v_mov_b32_e32 v7, v5
	s_waitcnt vmcnt(0) lgkmcnt(0)
	v_pk_mul_f32 v[4:5], v[14:15], v[198:199] op_sel:[1,1] op_sel_hi:[0,1]
	v_pk_add_f32 v[2:3], v[2:3], v[6:7]
	v_pk_fma_f32 v[6:7], v[14:15], v[198:199], v[4:5] neg_lo:[0,0,1] neg_hi:[0,0,1]
	v_pk_fma_f32 v[4:5], v[14:15], v[198:199], v[4:5] op_sel_hi:[1,0,1]
	s_nop 0
	v_mov_b32_e32 v7, v5
	scratch_load_dwordx2 v[4:5], off, off offset:48
	v_pk_add_f32 v[2:3], v[2:3], v[6:7]
	s_waitcnt vmcnt(0)
	v_pk_add_f32 v[2:3], v[4:5], v[2:3] neg_lo:[0,1] neg_hi:[0,1]
	scratch_store_dwordx2 off, v[2:3], off offset:48
	s_and_saveexec_b64 s[0:1], vcc
	s_cbranch_execz .LBB119_339
; %bb.338:
	scratch_load_dwordx2 v[2:3], off, off offset:40
	v_mov_b32_e32 v135, v134
	scratch_store_dwordx2 off, v[134:135], off offset:40
	s_waitcnt vmcnt(1)
	ds_write_b64 v1, v[2:3]
.LBB119_339:
	s_or_b64 exec, exec, s[0:1]
	s_waitcnt lgkmcnt(0)
	; wave barrier
	ds_read_b128 v[14:17], v134 offset:496
	ds_read_b128 v[10:13], v134 offset:512
	;; [unrolled: 1-line block ×4, first 2 shown]
	scratch_load_dwordx4 v[18:21], off, off offset:48
	scratch_load_dwordx4 v[38:41], off, off offset:112
	;; [unrolled: 1-line block ×15, first 2 shown]
	v_cmp_lt_u32_e32 vcc, 4, v0
	scratch_load_dwordx4 v[46:49], off, off offset:128
	scratch_load_dwordx4 v[54:57], off, off offset:144
	;; [unrolled: 1-line block ×3, first 2 shown]
	ds_read_b128 v[158:161], v134 offset:784
	ds_read_b128 v[166:169], v134 offset:800
	;; [unrolled: 1-line block ×3, first 2 shown]
	s_waitcnt vmcnt(17) lgkmcnt(6)
	v_mul_f32_e32 v22, v14, v19
	v_fmac_f32_e32 v22, v15, v18
	v_mul_f32_e32 v23, v16, v21
	v_add_f32_e32 v22, 0, v22
	v_fmac_f32_e32 v23, v17, v20
	v_add_f32_e32 v26, v22, v23
	scratch_load_dwordx4 v[22:25], off, off offset:64
	v_mul_f32_e32 v15, v15, v19
	v_fma_f32 v14, v14, v18, -v15
	v_mul_f32_e32 v15, v17, v21
	v_add_f32_e32 v14, 0, v14
	v_fma_f32 v15, v16, v20, -v15
	v_add_f32_e32 v14, v14, v15
	s_waitcnt vmcnt(4) lgkmcnt(0)
	v_mul_f32_e32 v199, v174, v179
	v_mul_f32_e32 v201, v176, v181
	v_fmac_f32_e32 v199, v175, v178
	v_fmac_f32_e32 v201, v177, v180
	s_waitcnt vmcnt(0)
	v_mul_f32_e32 v27, v10, v23
	v_fmac_f32_e32 v27, v11, v22
	v_add_f32_e32 v26, v26, v27
	v_mul_f32_e32 v27, v12, v25
	v_fmac_f32_e32 v27, v13, v24
	v_add_f32_e32 v30, v26, v27
	scratch_load_dwordx4 v[26:29], off, off offset:80
	v_mul_f32_e32 v11, v11, v23
	v_fma_f32 v10, v10, v22, -v11
	v_mul_f32_e32 v11, v13, v25
	v_add_f32_e32 v10, v14, v10
	v_fma_f32 v11, v12, v24, -v11
	v_add_f32_e32 v10, v10, v11
	s_waitcnt vmcnt(0)
	v_mul_f32_e32 v31, v6, v27
	v_fmac_f32_e32 v31, v7, v26
	v_add_f32_e32 v30, v30, v31
	v_mul_f32_e32 v31, v8, v29
	v_fmac_f32_e32 v31, v9, v28
	v_add_f32_e32 v34, v30, v31
	scratch_load_dwordx4 v[30:33], off, off offset:96
	v_mul_f32_e32 v7, v7, v27
	v_fma_f32 v6, v6, v26, -v7
	v_mul_f32_e32 v7, v9, v29
	v_add_f32_e32 v6, v10, v6
	v_fma_f32 v7, v8, v28, -v7
	v_add_f32_e32 v6, v6, v7
	s_waitcnt vmcnt(0)
	v_mul_f32_e32 v35, v2, v31
	v_fmac_f32_e32 v35, v3, v30
	v_add_f32_e32 v34, v34, v35
	v_mul_f32_e32 v35, v4, v33
	v_fmac_f32_e32 v35, v5, v32
	v_add_f32_e32 v42, v34, v35
	ds_read_b128 v[34:37], v134 offset:560
	v_mul_f32_e32 v3, v3, v31
	v_fma_f32 v2, v2, v30, -v3
	v_mul_f32_e32 v3, v5, v33
	v_add_f32_e32 v2, v6, v2
	s_waitcnt lgkmcnt(0)
	v_mul_f32_e32 v43, v34, v39
	v_fmac_f32_e32 v43, v35, v38
	v_add_f32_e32 v42, v42, v43
	v_mul_f32_e32 v43, v36, v41
	v_fmac_f32_e32 v43, v37, v40
	v_add_f32_e32 v50, v42, v43
	ds_read_b128 v[42:45], v134 offset:576
	v_fma_f32 v3, v4, v32, -v3
	v_add_f32_e32 v2, v2, v3
	v_mul_f32_e32 v3, v35, v39
	v_fma_f32 v3, v34, v38, -v3
	s_waitcnt lgkmcnt(0)
	v_mul_f32_e32 v51, v42, v47
	v_fmac_f32_e32 v51, v43, v46
	v_add_f32_e32 v50, v50, v51
	v_mul_f32_e32 v51, v44, v49
	v_fmac_f32_e32 v51, v45, v48
	v_add_f32_e32 v58, v50, v51
	ds_read_b128 v[50:53], v134 offset:592
	v_add_f32_e32 v2, v2, v3
	v_mul_f32_e32 v3, v37, v41
	v_fma_f32 v3, v36, v40, -v3
	v_add_f32_e32 v2, v2, v3
	s_waitcnt lgkmcnt(0)
	v_mul_f32_e32 v59, v50, v55
	v_fmac_f32_e32 v59, v51, v54
	v_add_f32_e32 v58, v58, v59
	v_mul_f32_e32 v59, v52, v57
	v_fmac_f32_e32 v59, v53, v56
	v_add_f32_e32 v66, v58, v59
	ds_read_b128 v[58:61], v134 offset:608
	v_mul_f32_e32 v3, v43, v47
	v_fma_f32 v3, v42, v46, -v3
	v_add_f32_e32 v2, v2, v3
	v_mul_f32_e32 v3, v45, v49
	s_waitcnt lgkmcnt(0)
	v_mul_f32_e32 v67, v58, v63
	v_fmac_f32_e32 v67, v59, v62
	v_add_f32_e32 v66, v66, v67
	v_mul_f32_e32 v67, v60, v65
	v_fmac_f32_e32 v67, v61, v64
	v_add_f32_e32 v74, v66, v67
	ds_read_b128 v[66:69], v134 offset:624
	v_fma_f32 v3, v44, v48, -v3
	v_add_f32_e32 v2, v2, v3
	v_mul_f32_e32 v3, v51, v55
	v_fma_f32 v3, v50, v54, -v3
	s_waitcnt lgkmcnt(0)
	v_mul_f32_e32 v75, v66, v71
	v_fmac_f32_e32 v75, v67, v70
	v_add_f32_e32 v74, v74, v75
	v_mul_f32_e32 v75, v68, v73
	v_fmac_f32_e32 v75, v69, v72
	v_add_f32_e32 v82, v74, v75
	ds_read_b128 v[74:77], v134 offset:640
	v_add_f32_e32 v2, v2, v3
	v_mul_f32_e32 v3, v53, v57
	v_fma_f32 v3, v52, v56, -v3
	v_add_f32_e32 v2, v2, v3
	s_waitcnt lgkmcnt(0)
	v_mul_f32_e32 v83, v74, v79
	v_fmac_f32_e32 v83, v75, v78
	v_add_f32_e32 v82, v82, v83
	v_mul_f32_e32 v83, v76, v81
	v_fmac_f32_e32 v83, v77, v80
	v_add_f32_e32 v90, v82, v83
	ds_read_b128 v[82:85], v134 offset:656
	v_mul_f32_e32 v3, v59, v63
	v_fma_f32 v3, v58, v62, -v3
	v_add_f32_e32 v2, v2, v3
	v_mul_f32_e32 v3, v61, v65
	;; [unrolled: 36-line block ×4, first 2 shown]
	s_waitcnt lgkmcnt(0)
	v_mul_f32_e32 v140, v130, v137
	v_fmac_f32_e32 v140, v131, v136
	v_add_f32_e32 v135, v135, v140
	v_mul_f32_e32 v140, v132, v139
	v_fmac_f32_e32 v140, v133, v138
	v_add_f32_e32 v135, v135, v140
	ds_read_b128 v[140:143], v134 offset:768
	scratch_load_dwordx4 v[182:185], off, off offset:384
	scratch_load_dwordx4 v[186:189], off, off offset:400
	scratch_load_dwordx4 v[190:193], off, off offset:416
	scratch_load_dwordx4 v[194:197], off, off offset:432
	v_fma_f32 v3, v92, v96, -v3
	v_add_f32_e32 v2, v2, v3
	v_mul_f32_e32 v3, v99, v103
	v_fma_f32 v3, v98, v102, -v3
	v_add_f32_e32 v2, v2, v3
	v_mul_f32_e32 v3, v101, v105
	;; [unrolled: 3-line block ×10, first 2 shown]
	v_fma_f32 v3, v132, v138, -v3
	s_waitcnt lgkmcnt(0)
	v_mul_f32_e32 v148, v140, v145
	v_add_f32_e32 v2, v2, v3
	v_mul_f32_e32 v3, v141, v145
	v_fmac_f32_e32 v148, v141, v144
	v_fma_f32 v3, v140, v144, -v3
	v_add_f32_e32 v135, v135, v148
	v_mul_f32_e32 v148, v142, v147
	v_add_f32_e32 v2, v2, v3
	v_mul_f32_e32 v3, v143, v147
	v_fmac_f32_e32 v148, v143, v146
	v_fma_f32 v3, v142, v146, -v3
	v_add_f32_e32 v135, v135, v148
	;; [unrolled: 6-line block ×6, first 2 shown]
	v_add_f32_e32 v148, v2, v3
	v_mul_f32_e32 v2, v175, v179
	v_fma_f32 v198, v174, v178, -v2
	v_mul_f32_e32 v2, v177, v181
	v_fma_f32 v200, v176, v180, -v2
	ds_read_b128 v[2:5], v134 offset:832
	ds_read_b128 v[6:9], v134 offset:848
	;; [unrolled: 1-line block ×4, first 2 shown]
	v_pk_add_f32 v[18:19], v[148:149], v[198:199]
	s_waitcnt vmcnt(3) lgkmcnt(3)
	v_pk_mul_f32 v[20:21], v[2:3], v[182:183] op_sel:[1,1] op_sel_hi:[0,1]
	v_pk_fma_f32 v[22:23], v[2:3], v[182:183], v[20:21] neg_lo:[0,0,1] neg_hi:[0,0,1]
	v_pk_fma_f32 v[2:3], v[2:3], v[182:183], v[20:21] op_sel_hi:[1,0,1]
	v_pk_add_f32 v[18:19], v[18:19], v[200:201]
	v_mov_b32_e32 v23, v3
	v_pk_add_f32 v[2:3], v[18:19], v[22:23]
	v_mov_b32_e32 v18, v185
	v_pk_mul_f32 v[18:19], v[4:5], v[18:19] op_sel:[1,0] op_sel_hi:[0,0]
	v_pk_fma_f32 v[20:21], v[4:5], v[184:185], v[18:19] neg_lo:[0,0,1] neg_hi:[0,0,1]
	v_pk_fma_f32 v[4:5], v[4:5], v[184:185], v[18:19] op_sel_hi:[1,0,1]
	s_nop 0
	v_mov_b32_e32 v21, v5
	s_waitcnt vmcnt(2) lgkmcnt(2)
	v_pk_mul_f32 v[4:5], v[6:7], v[186:187] op_sel:[1,1] op_sel_hi:[0,1]
	v_pk_fma_f32 v[18:19], v[6:7], v[186:187], v[4:5] neg_lo:[0,0,1] neg_hi:[0,0,1]
	v_pk_fma_f32 v[4:5], v[6:7], v[186:187], v[4:5] op_sel_hi:[1,0,1]
	v_pk_add_f32 v[2:3], v[2:3], v[20:21]
	v_mov_b32_e32 v4, v189
	v_mov_b32_e32 v19, v5
	v_pk_mul_f32 v[4:5], v[8:9], v[4:5] op_sel:[1,0] op_sel_hi:[0,0]
	v_pk_fma_f32 v[6:7], v[8:9], v[188:189], v[4:5] neg_lo:[0,0,1] neg_hi:[0,0,1]
	v_pk_fma_f32 v[4:5], v[8:9], v[188:189], v[4:5] op_sel_hi:[1,0,1]
	v_pk_add_f32 v[2:3], v[2:3], v[18:19]
	v_mov_b32_e32 v7, v5
	s_waitcnt vmcnt(1) lgkmcnt(1)
	v_pk_mul_f32 v[4:5], v[10:11], v[190:191] op_sel:[1,1] op_sel_hi:[0,1]
	v_pk_add_f32 v[2:3], v[2:3], v[6:7]
	v_pk_fma_f32 v[6:7], v[10:11], v[190:191], v[4:5] neg_lo:[0,0,1] neg_hi:[0,0,1]
	v_pk_fma_f32 v[4:5], v[10:11], v[190:191], v[4:5] op_sel_hi:[1,0,1]
	s_nop 0
	v_mov_b32_e32 v4, v193
	v_mov_b32_e32 v7, v5
	v_pk_mul_f32 v[4:5], v[12:13], v[4:5] op_sel:[1,0] op_sel_hi:[0,0]
	v_pk_add_f32 v[2:3], v[2:3], v[6:7]
	v_pk_fma_f32 v[6:7], v[12:13], v[192:193], v[4:5] neg_lo:[0,0,1] neg_hi:[0,0,1]
	v_pk_fma_f32 v[4:5], v[12:13], v[192:193], v[4:5] op_sel_hi:[1,0,1]
	s_nop 0
	v_mov_b32_e32 v7, v5
	s_waitcnt vmcnt(0) lgkmcnt(0)
	v_pk_mul_f32 v[4:5], v[14:15], v[194:195] op_sel:[1,1] op_sel_hi:[0,1]
	v_pk_add_f32 v[2:3], v[2:3], v[6:7]
	v_pk_fma_f32 v[6:7], v[14:15], v[194:195], v[4:5] neg_lo:[0,0,1] neg_hi:[0,0,1]
	v_pk_fma_f32 v[4:5], v[14:15], v[194:195], v[4:5] op_sel_hi:[1,0,1]
	s_nop 0
	v_mov_b32_e32 v4, v197
	v_mov_b32_e32 v7, v5
	v_pk_mul_f32 v[4:5], v[16:17], v[4:5] op_sel:[1,0] op_sel_hi:[0,0]
	v_pk_add_f32 v[2:3], v[2:3], v[6:7]
	v_pk_fma_f32 v[6:7], v[16:17], v[196:197], v[4:5] neg_lo:[0,0,1] neg_hi:[0,0,1]
	v_pk_fma_f32 v[4:5], v[16:17], v[196:197], v[4:5] op_sel_hi:[1,0,1]
	s_nop 0
	v_mov_b32_e32 v7, v5
	scratch_load_dwordx2 v[4:5], off, off offset:40
	v_pk_add_f32 v[2:3], v[2:3], v[6:7]
	s_waitcnt vmcnt(0)
	v_pk_add_f32 v[2:3], v[4:5], v[2:3] neg_lo:[0,1] neg_hi:[0,1]
	scratch_store_dwordx2 off, v[2:3], off offset:40
	s_and_saveexec_b64 s[0:1], vcc
	s_cbranch_execz .LBB119_341
; %bb.340:
	scratch_load_dwordx2 v[2:3], off, off offset:32
	v_mov_b32_e32 v4, 0
	v_mov_b32_e32 v5, v4
	scratch_store_dwordx2 off, v[4:5], off offset:32
	s_waitcnt vmcnt(1)
	ds_write_b64 v1, v[2:3]
.LBB119_341:
	s_or_b64 exec, exec, s[0:1]
	s_waitcnt lgkmcnt(0)
	; wave barrier
	scratch_load_dwordx4 v[6:9], off, off offset:40
	scratch_load_dwordx4 v[14:17], off, off offset:56
	;; [unrolled: 1-line block ×10, first 2 shown]
	v_mov_b32_e32 v142, 0
	ds_read2_b64 v[2:5], v142 offset0:61 offset1:62
	ds_read2_b64 v[158:161], v142 offset0:97 offset1:98
	scratch_load_dwordx4 v[86:89], off, off offset:200
	scratch_load_dwordx4 v[94:97], off, off offset:216
	;; [unrolled: 1-line block ×12, first 2 shown]
	v_cmp_lt_u32_e32 vcc, 3, v0
	ds_read2_b64 v[166:169], v142 offset0:99 offset1:100
	ds_read2_b64 v[174:177], v142 offset0:101 offset1:102
	;; [unrolled: 1-line block ×3, first 2 shown]
	s_waitcnt vmcnt(21) lgkmcnt(4)
	v_mul_f32_e32 v10, v2, v7
	v_fmac_f32_e32 v10, v3, v6
	v_mul_f32_e32 v11, v4, v9
	v_add_f32_e32 v10, 0, v10
	v_fmac_f32_e32 v11, v5, v8
	v_add_f32_e32 v18, v10, v11
	ds_read2_b64 v[10:13], v142 offset0:63 offset1:64
	v_mul_f32_e32 v3, v3, v7
	v_fma_f32 v2, v2, v6, -v3
	v_mul_f32_e32 v3, v5, v9
	v_add_f32_e32 v2, 0, v2
	s_waitcnt vmcnt(20) lgkmcnt(0)
	v_mul_f32_e32 v19, v10, v15
	v_fmac_f32_e32 v19, v11, v14
	v_add_f32_e32 v18, v18, v19
	v_mul_f32_e32 v19, v12, v17
	v_fmac_f32_e32 v19, v13, v16
	v_add_f32_e32 v26, v18, v19
	ds_read2_b64 v[18:21], v142 offset0:65 offset1:66
	v_fma_f32 v3, v4, v8, -v3
	v_add_f32_e32 v2, v2, v3
	v_mul_f32_e32 v3, v11, v15
	v_fma_f32 v3, v10, v14, -v3
	s_waitcnt vmcnt(19) lgkmcnt(0)
	v_mul_f32_e32 v27, v18, v23
	v_fmac_f32_e32 v27, v19, v22
	v_add_f32_e32 v26, v26, v27
	v_mul_f32_e32 v27, v20, v25
	v_fmac_f32_e32 v27, v21, v24
	v_add_f32_e32 v34, v26, v27
	ds_read2_b64 v[26:29], v142 offset0:67 offset1:68
	v_add_f32_e32 v2, v2, v3
	v_mul_f32_e32 v3, v13, v17
	v_fma_f32 v3, v12, v16, -v3
	v_add_f32_e32 v2, v2, v3
	s_waitcnt vmcnt(18) lgkmcnt(0)
	v_mul_f32_e32 v35, v26, v31
	v_fmac_f32_e32 v35, v27, v30
	v_add_f32_e32 v34, v34, v35
	v_mul_f32_e32 v35, v28, v33
	v_fmac_f32_e32 v35, v29, v32
	v_add_f32_e32 v42, v34, v35
	ds_read2_b64 v[34:37], v142 offset0:69 offset1:70
	v_mul_f32_e32 v3, v19, v23
	v_fma_f32 v3, v18, v22, -v3
	v_add_f32_e32 v2, v2, v3
	v_mul_f32_e32 v3, v21, v25
	s_waitcnt vmcnt(17) lgkmcnt(0)
	v_mul_f32_e32 v43, v34, v39
	v_fmac_f32_e32 v43, v35, v38
	v_add_f32_e32 v42, v42, v43
	v_mul_f32_e32 v43, v36, v41
	v_fmac_f32_e32 v43, v37, v40
	v_add_f32_e32 v50, v42, v43
	ds_read2_b64 v[42:45], v142 offset0:71 offset1:72
	v_fma_f32 v3, v20, v24, -v3
	v_add_f32_e32 v2, v2, v3
	v_mul_f32_e32 v3, v27, v31
	v_fma_f32 v3, v26, v30, -v3
	s_waitcnt vmcnt(16) lgkmcnt(0)
	v_mul_f32_e32 v51, v42, v47
	v_fmac_f32_e32 v51, v43, v46
	v_add_f32_e32 v50, v50, v51
	v_mul_f32_e32 v51, v44, v49
	v_fmac_f32_e32 v51, v45, v48
	v_add_f32_e32 v58, v50, v51
	ds_read2_b64 v[50:53], v142 offset0:73 offset1:74
	v_add_f32_e32 v2, v2, v3
	v_mul_f32_e32 v3, v29, v33
	v_fma_f32 v3, v28, v32, -v3
	v_add_f32_e32 v2, v2, v3
	s_waitcnt vmcnt(15) lgkmcnt(0)
	v_mul_f32_e32 v59, v50, v55
	v_fmac_f32_e32 v59, v51, v54
	v_add_f32_e32 v58, v58, v59
	v_mul_f32_e32 v59, v52, v57
	v_fmac_f32_e32 v59, v53, v56
	v_add_f32_e32 v66, v58, v59
	ds_read2_b64 v[58:61], v142 offset0:75 offset1:76
	v_mul_f32_e32 v3, v35, v39
	v_fma_f32 v3, v34, v38, -v3
	v_add_f32_e32 v2, v2, v3
	v_mul_f32_e32 v3, v37, v41
	;; [unrolled: 36-line block ×5, first 2 shown]
	s_waitcnt vmcnt(5) lgkmcnt(0)
	v_mul_f32_e32 v139, v130, v135
	v_fmac_f32_e32 v139, v131, v134
	v_add_f32_e32 v138, v138, v139
	v_mul_f32_e32 v139, v132, v137
	v_fmac_f32_e32 v139, v133, v136
	v_add_f32_e32 v143, v138, v139
	ds_read2_b64 v[138:141], v142 offset0:95 offset1:96
	scratch_load_dwordx4 v[190:193], off, off offset:392
	scratch_load_dwordx4 v[194:197], off, off offset:408
	;; [unrolled: 1-line block ×3, first 2 shown]
	scratch_load_dwordx2 v[206:207], off, off offset:440
	v_fma_f32 v3, v84, v88, -v3
	v_add_f32_e32 v2, v2, v3
	v_mul_f32_e32 v3, v91, v95
	v_fma_f32 v3, v90, v94, -v3
	v_add_f32_e32 v2, v2, v3
	v_mul_f32_e32 v3, v93, v97
	;; [unrolled: 3-line block ×12, first 2 shown]
	v_fma_f32 v3, v132, v136, -v3
	s_waitcnt vmcnt(8) lgkmcnt(0)
	v_mul_f32_e32 v148, v138, v145
	v_add_f32_e32 v2, v2, v3
	v_mul_f32_e32 v3, v139, v145
	v_fmac_f32_e32 v148, v139, v144
	v_fma_f32 v3, v138, v144, -v3
	v_add_f32_e32 v143, v143, v148
	v_mul_f32_e32 v148, v140, v147
	v_add_f32_e32 v2, v2, v3
	v_mul_f32_e32 v3, v141, v147
	v_fmac_f32_e32 v148, v141, v146
	v_fma_f32 v3, v140, v146, -v3
	v_add_f32_e32 v143, v143, v148
	s_waitcnt vmcnt(7)
	v_mul_f32_e32 v148, v158, v163
	v_add_f32_e32 v2, v2, v3
	v_mul_f32_e32 v3, v159, v163
	v_fmac_f32_e32 v148, v159, v162
	v_fma_f32 v3, v158, v162, -v3
	v_add_f32_e32 v143, v143, v148
	v_mul_f32_e32 v148, v160, v165
	v_add_f32_e32 v2, v2, v3
	v_mul_f32_e32 v3, v161, v165
	v_fmac_f32_e32 v148, v161, v164
	v_fma_f32 v3, v160, v164, -v3
	v_add_f32_e32 v143, v143, v148
	s_waitcnt vmcnt(6)
	;; [unrolled: 13-line block ×3, first 2 shown]
	v_mul_f32_e32 v148, v174, v179
	v_add_f32_e32 v2, v2, v3
	v_mul_f32_e32 v3, v175, v179
	v_fmac_f32_e32 v148, v175, v178
	v_fma_f32 v3, v174, v178, -v3
	v_add_f32_e32 v149, v143, v148
	v_add_f32_e32 v148, v2, v3
	v_mul_f32_e32 v2, v177, v181
	v_mul_f32_e32 v203, v176, v181
	v_fma_f32 v202, v176, v180, -v2
	s_waitcnt vmcnt(4)
	v_mul_f32_e32 v2, v183, v187
	v_mov_b32_e32 v18, v189
	v_fmac_f32_e32 v203, v177, v180
	v_mul_f32_e32 v205, v182, v187
	v_fma_f32 v204, v182, v186, -v2
	ds_read2_b64 v[2:5], v142 offset0:105 offset1:106
	ds_read2_b64 v[6:9], v142 offset0:107 offset1:108
	;; [unrolled: 1-line block ×3, first 2 shown]
	ds_read_b64 v[14:15], v142 offset:888
	v_pk_mul_f32 v[18:19], v[184:185], v[18:19] op_sel:[1,0] op_sel_hi:[0,0]
	v_fmac_f32_e32 v205, v183, v186
	v_pk_add_f32 v[16:17], v[148:149], v[202:203]
	v_pk_fma_f32 v[20:21], v[184:185], v[188:189], v[18:19] neg_lo:[0,0,1] neg_hi:[0,0,1]
	v_pk_fma_f32 v[18:19], v[184:185], v[188:189], v[18:19] op_sel_hi:[1,0,1]
	v_pk_add_f32 v[16:17], v[16:17], v[204:205]
	v_mov_b32_e32 v21, v19
	s_waitcnt vmcnt(3) lgkmcnt(3)
	v_pk_mul_f32 v[18:19], v[2:3], v[190:191] op_sel:[1,1] op_sel_hi:[0,1]
	v_pk_add_f32 v[16:17], v[16:17], v[20:21]
	v_pk_fma_f32 v[20:21], v[2:3], v[190:191], v[18:19] neg_lo:[0,0,1] neg_hi:[0,0,1]
	v_pk_fma_f32 v[2:3], v[2:3], v[190:191], v[18:19] op_sel_hi:[1,0,1]
	s_nop 0
	v_mov_b32_e32 v21, v3
	v_pk_add_f32 v[2:3], v[16:17], v[20:21]
	v_mov_b32_e32 v16, v193
	v_pk_mul_f32 v[16:17], v[4:5], v[16:17] op_sel:[1,0] op_sel_hi:[0,0]
	v_pk_fma_f32 v[18:19], v[4:5], v[192:193], v[16:17] neg_lo:[0,0,1] neg_hi:[0,0,1]
	v_pk_fma_f32 v[4:5], v[4:5], v[192:193], v[16:17] op_sel_hi:[1,0,1]
	s_nop 0
	v_mov_b32_e32 v19, v5
	s_waitcnt vmcnt(2) lgkmcnt(2)
	v_pk_mul_f32 v[4:5], v[6:7], v[194:195] op_sel:[1,1] op_sel_hi:[0,1]
	v_pk_fma_f32 v[16:17], v[6:7], v[194:195], v[4:5] neg_lo:[0,0,1] neg_hi:[0,0,1]
	v_pk_fma_f32 v[4:5], v[6:7], v[194:195], v[4:5] op_sel_hi:[1,0,1]
	v_pk_add_f32 v[2:3], v[2:3], v[18:19]
	v_mov_b32_e32 v4, v197
	v_mov_b32_e32 v17, v5
	v_pk_mul_f32 v[4:5], v[8:9], v[4:5] op_sel:[1,0] op_sel_hi:[0,0]
	v_pk_fma_f32 v[6:7], v[8:9], v[196:197], v[4:5] neg_lo:[0,0,1] neg_hi:[0,0,1]
	v_pk_fma_f32 v[4:5], v[8:9], v[196:197], v[4:5] op_sel_hi:[1,0,1]
	v_pk_add_f32 v[2:3], v[2:3], v[16:17]
	v_mov_b32_e32 v7, v5
	s_waitcnt vmcnt(1) lgkmcnt(1)
	v_pk_mul_f32 v[4:5], v[10:11], v[198:199] op_sel:[1,1] op_sel_hi:[0,1]
	v_pk_add_f32 v[2:3], v[2:3], v[6:7]
	v_pk_fma_f32 v[6:7], v[10:11], v[198:199], v[4:5] neg_lo:[0,0,1] neg_hi:[0,0,1]
	v_pk_fma_f32 v[4:5], v[10:11], v[198:199], v[4:5] op_sel_hi:[1,0,1]
	s_nop 0
	v_mov_b32_e32 v4, v201
	v_mov_b32_e32 v7, v5
	v_pk_mul_f32 v[4:5], v[12:13], v[4:5] op_sel:[1,0] op_sel_hi:[0,0]
	v_pk_add_f32 v[2:3], v[2:3], v[6:7]
	v_pk_fma_f32 v[6:7], v[12:13], v[200:201], v[4:5] neg_lo:[0,0,1] neg_hi:[0,0,1]
	v_pk_fma_f32 v[4:5], v[12:13], v[200:201], v[4:5] op_sel_hi:[1,0,1]
	s_nop 0
	v_mov_b32_e32 v7, v5
	s_waitcnt vmcnt(0) lgkmcnt(0)
	v_pk_mul_f32 v[4:5], v[14:15], v[206:207] op_sel:[1,1] op_sel_hi:[0,1]
	v_pk_add_f32 v[2:3], v[2:3], v[6:7]
	v_pk_fma_f32 v[6:7], v[14:15], v[206:207], v[4:5] neg_lo:[0,0,1] neg_hi:[0,0,1]
	v_pk_fma_f32 v[4:5], v[14:15], v[206:207], v[4:5] op_sel_hi:[1,0,1]
	s_nop 0
	v_mov_b32_e32 v7, v5
	scratch_load_dwordx2 v[4:5], off, off offset:32
	v_pk_add_f32 v[2:3], v[2:3], v[6:7]
	s_waitcnt vmcnt(0)
	v_pk_add_f32 v[2:3], v[4:5], v[2:3] neg_lo:[0,1] neg_hi:[0,1]
	scratch_store_dwordx2 off, v[2:3], off offset:32
	s_and_saveexec_b64 s[0:1], vcc
	s_cbranch_execz .LBB119_343
; %bb.342:
	scratch_load_dwordx2 v[2:3], off, off offset:24
	v_mov_b32_e32 v143, v142
	scratch_store_dwordx2 off, v[142:143], off offset:24
	s_waitcnt vmcnt(1)
	ds_write_b64 v1, v[2:3]
.LBB119_343:
	s_or_b64 exec, exec, s[0:1]
	s_waitcnt lgkmcnt(0)
	; wave barrier
	ds_read_b128 v[14:17], v142 offset:480
	ds_read_b128 v[10:13], v142 offset:496
	;; [unrolled: 1-line block ×4, first 2 shown]
	scratch_load_dwordx4 v[18:21], off, off offset:32
	scratch_load_dwordx4 v[38:41], off, off offset:96
	;; [unrolled: 1-line block ×16, first 2 shown]
	v_cmp_lt_u32_e32 vcc, 2, v0
	scratch_load_dwordx4 v[46:49], off, off offset:112
	scratch_load_dwordx4 v[54:57], off, off offset:128
	;; [unrolled: 1-line block ×3, first 2 shown]
	ds_read_b128 v[158:161], v142 offset:768
	ds_read_b128 v[166:169], v142 offset:784
	;; [unrolled: 1-line block ×4, first 2 shown]
	s_waitcnt vmcnt(18) lgkmcnt(7)
	v_mul_f32_e32 v22, v14, v19
	v_fmac_f32_e32 v22, v15, v18
	v_mul_f32_e32 v23, v16, v21
	v_add_f32_e32 v22, 0, v22
	v_fmac_f32_e32 v23, v17, v20
	v_add_f32_e32 v26, v22, v23
	scratch_load_dwordx4 v[22:25], off, off offset:48
	v_mul_f32_e32 v15, v15, v19
	v_fma_f32 v14, v14, v18, -v15
	v_mul_f32_e32 v15, v17, v21
	v_add_f32_e32 v14, 0, v14
	v_fma_f32 v15, v16, v20, -v15
	v_add_f32_e32 v14, v14, v15
	s_waitcnt vmcnt(4) lgkmcnt(0)
	v_mul_f32_e32 v207, v182, v187
	v_mul_f32_e32 v209, v184, v189
	v_fmac_f32_e32 v207, v183, v186
	v_fmac_f32_e32 v209, v185, v188
	s_waitcnt vmcnt(0)
	v_mul_f32_e32 v27, v10, v23
	v_fmac_f32_e32 v27, v11, v22
	v_add_f32_e32 v26, v26, v27
	v_mul_f32_e32 v27, v12, v25
	v_fmac_f32_e32 v27, v13, v24
	v_add_f32_e32 v30, v26, v27
	scratch_load_dwordx4 v[26:29], off, off offset:64
	v_mul_f32_e32 v11, v11, v23
	v_fma_f32 v10, v10, v22, -v11
	v_mul_f32_e32 v11, v13, v25
	v_add_f32_e32 v10, v14, v10
	v_fma_f32 v11, v12, v24, -v11
	v_add_f32_e32 v10, v10, v11
	s_waitcnt vmcnt(0)
	v_mul_f32_e32 v31, v6, v27
	v_fmac_f32_e32 v31, v7, v26
	v_add_f32_e32 v30, v30, v31
	v_mul_f32_e32 v31, v8, v29
	v_fmac_f32_e32 v31, v9, v28
	v_add_f32_e32 v34, v30, v31
	scratch_load_dwordx4 v[30:33], off, off offset:80
	v_mul_f32_e32 v7, v7, v27
	v_fma_f32 v6, v6, v26, -v7
	v_mul_f32_e32 v7, v9, v29
	v_add_f32_e32 v6, v10, v6
	v_fma_f32 v7, v8, v28, -v7
	v_add_f32_e32 v6, v6, v7
	s_waitcnt vmcnt(0)
	v_mul_f32_e32 v35, v2, v31
	v_fmac_f32_e32 v35, v3, v30
	v_add_f32_e32 v34, v34, v35
	v_mul_f32_e32 v35, v4, v33
	v_fmac_f32_e32 v35, v5, v32
	v_add_f32_e32 v42, v34, v35
	ds_read_b128 v[34:37], v142 offset:544
	v_mul_f32_e32 v3, v3, v31
	v_fma_f32 v2, v2, v30, -v3
	v_mul_f32_e32 v3, v5, v33
	v_add_f32_e32 v2, v6, v2
	s_waitcnt lgkmcnt(0)
	v_mul_f32_e32 v43, v34, v39
	v_fmac_f32_e32 v43, v35, v38
	v_add_f32_e32 v42, v42, v43
	v_mul_f32_e32 v43, v36, v41
	v_fmac_f32_e32 v43, v37, v40
	v_add_f32_e32 v50, v42, v43
	ds_read_b128 v[42:45], v142 offset:560
	v_fma_f32 v3, v4, v32, -v3
	v_add_f32_e32 v2, v2, v3
	v_mul_f32_e32 v3, v35, v39
	v_fma_f32 v3, v34, v38, -v3
	s_waitcnt lgkmcnt(0)
	v_mul_f32_e32 v51, v42, v47
	v_fmac_f32_e32 v51, v43, v46
	v_add_f32_e32 v50, v50, v51
	v_mul_f32_e32 v51, v44, v49
	v_fmac_f32_e32 v51, v45, v48
	v_add_f32_e32 v58, v50, v51
	ds_read_b128 v[50:53], v142 offset:576
	v_add_f32_e32 v2, v2, v3
	v_mul_f32_e32 v3, v37, v41
	v_fma_f32 v3, v36, v40, -v3
	v_add_f32_e32 v2, v2, v3
	s_waitcnt lgkmcnt(0)
	v_mul_f32_e32 v59, v50, v55
	v_fmac_f32_e32 v59, v51, v54
	v_add_f32_e32 v58, v58, v59
	v_mul_f32_e32 v59, v52, v57
	v_fmac_f32_e32 v59, v53, v56
	v_add_f32_e32 v66, v58, v59
	ds_read_b128 v[58:61], v142 offset:592
	v_mul_f32_e32 v3, v43, v47
	v_fma_f32 v3, v42, v46, -v3
	v_add_f32_e32 v2, v2, v3
	v_mul_f32_e32 v3, v45, v49
	s_waitcnt lgkmcnt(0)
	v_mul_f32_e32 v67, v58, v63
	v_fmac_f32_e32 v67, v59, v62
	v_add_f32_e32 v66, v66, v67
	v_mul_f32_e32 v67, v60, v65
	v_fmac_f32_e32 v67, v61, v64
	v_add_f32_e32 v74, v66, v67
	ds_read_b128 v[66:69], v142 offset:608
	v_fma_f32 v3, v44, v48, -v3
	v_add_f32_e32 v2, v2, v3
	v_mul_f32_e32 v3, v51, v55
	v_fma_f32 v3, v50, v54, -v3
	s_waitcnt lgkmcnt(0)
	v_mul_f32_e32 v75, v66, v71
	v_fmac_f32_e32 v75, v67, v70
	v_add_f32_e32 v74, v74, v75
	v_mul_f32_e32 v75, v68, v73
	v_fmac_f32_e32 v75, v69, v72
	v_add_f32_e32 v82, v74, v75
	ds_read_b128 v[74:77], v142 offset:624
	v_add_f32_e32 v2, v2, v3
	v_mul_f32_e32 v3, v53, v57
	v_fma_f32 v3, v52, v56, -v3
	v_add_f32_e32 v2, v2, v3
	s_waitcnt lgkmcnt(0)
	v_mul_f32_e32 v83, v74, v79
	v_fmac_f32_e32 v83, v75, v78
	v_add_f32_e32 v82, v82, v83
	v_mul_f32_e32 v83, v76, v81
	v_fmac_f32_e32 v83, v77, v80
	v_add_f32_e32 v90, v82, v83
	ds_read_b128 v[82:85], v142 offset:640
	v_mul_f32_e32 v3, v59, v63
	v_fma_f32 v3, v58, v62, -v3
	v_add_f32_e32 v2, v2, v3
	v_mul_f32_e32 v3, v61, v65
	s_waitcnt lgkmcnt(0)
	v_mul_f32_e32 v91, v82, v87
	v_fmac_f32_e32 v91, v83, v86
	v_add_f32_e32 v90, v90, v91
	v_mul_f32_e32 v91, v84, v89
	v_fmac_f32_e32 v91, v85, v88
	v_add_f32_e32 v98, v90, v91
	ds_read_b128 v[90:93], v142 offset:656
	v_fma_f32 v3, v60, v64, -v3
	v_add_f32_e32 v2, v2, v3
	v_mul_f32_e32 v3, v67, v71
	v_fma_f32 v3, v66, v70, -v3
	s_waitcnt lgkmcnt(0)
	v_mul_f32_e32 v99, v90, v95
	v_fmac_f32_e32 v99, v91, v94
	v_add_f32_e32 v98, v98, v99
	v_mul_f32_e32 v99, v92, v97
	v_fmac_f32_e32 v99, v93, v96
	v_add_f32_e32 v106, v98, v99
	ds_read_b128 v[98:101], v142 offset:672
	v_add_f32_e32 v2, v2, v3
	v_mul_f32_e32 v3, v69, v73
	v_fma_f32 v3, v68, v72, -v3
	v_add_f32_e32 v2, v2, v3
	s_waitcnt lgkmcnt(0)
	v_mul_f32_e32 v107, v98, v103
	v_fmac_f32_e32 v107, v99, v102
	v_add_f32_e32 v106, v106, v107
	v_mul_f32_e32 v107, v100, v105
	v_fmac_f32_e32 v107, v101, v104
	v_add_f32_e32 v114, v106, v107
	ds_read_b128 v[106:109], v142 offset:688
	v_mul_f32_e32 v3, v75, v79
	v_fma_f32 v3, v74, v78, -v3
	v_add_f32_e32 v2, v2, v3
	v_mul_f32_e32 v3, v77, v81
	s_waitcnt lgkmcnt(0)
	v_mul_f32_e32 v115, v106, v111
	v_fmac_f32_e32 v115, v107, v110
	v_add_f32_e32 v114, v114, v115
	v_mul_f32_e32 v115, v108, v113
	v_fmac_f32_e32 v115, v109, v112
	v_add_f32_e32 v122, v114, v115
	ds_read_b128 v[114:117], v142 offset:704
	v_fma_f32 v3, v76, v80, -v3
	v_add_f32_e32 v2, v2, v3
	v_mul_f32_e32 v3, v83, v87
	v_fma_f32 v3, v82, v86, -v3
	s_waitcnt lgkmcnt(0)
	v_mul_f32_e32 v123, v114, v119
	v_fmac_f32_e32 v123, v115, v118
	v_add_f32_e32 v122, v122, v123
	v_mul_f32_e32 v123, v116, v121
	v_fmac_f32_e32 v123, v117, v120
	v_add_f32_e32 v130, v122, v123
	ds_read_b128 v[122:125], v142 offset:720
	v_add_f32_e32 v2, v2, v3
	v_mul_f32_e32 v3, v85, v89
	v_fma_f32 v3, v84, v88, -v3
	v_add_f32_e32 v2, v2, v3
	s_waitcnt lgkmcnt(0)
	v_mul_f32_e32 v131, v122, v127
	v_fmac_f32_e32 v131, v123, v126
	v_add_f32_e32 v130, v130, v131
	v_mul_f32_e32 v131, v124, v129
	v_fmac_f32_e32 v131, v125, v128
	v_add_f32_e32 v138, v130, v131
	ds_read_b128 v[130:133], v142 offset:736
	v_mul_f32_e32 v3, v91, v95
	v_fma_f32 v3, v90, v94, -v3
	v_add_f32_e32 v2, v2, v3
	v_mul_f32_e32 v3, v93, v97
	s_waitcnt lgkmcnt(0)
	v_mul_f32_e32 v139, v130, v135
	v_fmac_f32_e32 v139, v131, v134
	v_add_f32_e32 v138, v138, v139
	v_mul_f32_e32 v139, v132, v137
	v_fmac_f32_e32 v139, v133, v136
	v_add_f32_e32 v143, v138, v139
	ds_read_b128 v[138:141], v142 offset:752
	scratch_load_dwordx4 v[190:193], off, off offset:384
	scratch_load_dwordx4 v[194:197], off, off offset:400
	;; [unrolled: 1-line block ×4, first 2 shown]
	v_fma_f32 v3, v92, v96, -v3
	v_add_f32_e32 v2, v2, v3
	v_mul_f32_e32 v3, v99, v103
	v_fma_f32 v3, v98, v102, -v3
	v_add_f32_e32 v2, v2, v3
	v_mul_f32_e32 v3, v101, v105
	;; [unrolled: 3-line block ×10, first 2 shown]
	v_fma_f32 v3, v132, v136, -v3
	s_waitcnt lgkmcnt(0)
	v_mul_f32_e32 v148, v138, v145
	v_add_f32_e32 v2, v2, v3
	v_mul_f32_e32 v3, v139, v145
	v_fmac_f32_e32 v148, v139, v144
	v_fma_f32 v3, v138, v144, -v3
	v_add_f32_e32 v143, v143, v148
	v_mul_f32_e32 v148, v140, v147
	v_add_f32_e32 v2, v2, v3
	v_mul_f32_e32 v3, v141, v147
	v_fmac_f32_e32 v148, v141, v146
	v_fma_f32 v3, v140, v146, -v3
	v_add_f32_e32 v143, v143, v148
	;; [unrolled: 6-line block ×8, first 2 shown]
	v_add_f32_e32 v148, v2, v3
	v_mul_f32_e32 v2, v183, v187
	v_fma_f32 v206, v182, v186, -v2
	v_mul_f32_e32 v2, v185, v189
	v_fma_f32 v208, v184, v188, -v2
	ds_read_b128 v[2:5], v142 offset:832
	ds_read_b128 v[6:9], v142 offset:848
	;; [unrolled: 1-line block ×4, first 2 shown]
	v_pk_add_f32 v[18:19], v[148:149], v[206:207]
	s_waitcnt vmcnt(3) lgkmcnt(3)
	v_pk_mul_f32 v[20:21], v[2:3], v[190:191] op_sel:[1,1] op_sel_hi:[0,1]
	v_pk_fma_f32 v[22:23], v[2:3], v[190:191], v[20:21] neg_lo:[0,0,1] neg_hi:[0,0,1]
	v_pk_fma_f32 v[2:3], v[2:3], v[190:191], v[20:21] op_sel_hi:[1,0,1]
	v_pk_add_f32 v[18:19], v[18:19], v[208:209]
	v_mov_b32_e32 v23, v3
	v_pk_add_f32 v[2:3], v[18:19], v[22:23]
	v_mov_b32_e32 v18, v193
	v_pk_mul_f32 v[18:19], v[4:5], v[18:19] op_sel:[1,0] op_sel_hi:[0,0]
	v_pk_fma_f32 v[20:21], v[4:5], v[192:193], v[18:19] neg_lo:[0,0,1] neg_hi:[0,0,1]
	v_pk_fma_f32 v[4:5], v[4:5], v[192:193], v[18:19] op_sel_hi:[1,0,1]
	s_nop 0
	v_mov_b32_e32 v21, v5
	s_waitcnt vmcnt(2) lgkmcnt(2)
	v_pk_mul_f32 v[4:5], v[6:7], v[194:195] op_sel:[1,1] op_sel_hi:[0,1]
	v_pk_fma_f32 v[18:19], v[6:7], v[194:195], v[4:5] neg_lo:[0,0,1] neg_hi:[0,0,1]
	v_pk_fma_f32 v[4:5], v[6:7], v[194:195], v[4:5] op_sel_hi:[1,0,1]
	v_pk_add_f32 v[2:3], v[2:3], v[20:21]
	v_mov_b32_e32 v4, v197
	v_mov_b32_e32 v19, v5
	v_pk_mul_f32 v[4:5], v[8:9], v[4:5] op_sel:[1,0] op_sel_hi:[0,0]
	v_pk_fma_f32 v[6:7], v[8:9], v[196:197], v[4:5] neg_lo:[0,0,1] neg_hi:[0,0,1]
	v_pk_fma_f32 v[4:5], v[8:9], v[196:197], v[4:5] op_sel_hi:[1,0,1]
	v_pk_add_f32 v[2:3], v[2:3], v[18:19]
	v_mov_b32_e32 v7, v5
	s_waitcnt vmcnt(1) lgkmcnt(1)
	v_pk_mul_f32 v[4:5], v[10:11], v[198:199] op_sel:[1,1] op_sel_hi:[0,1]
	v_pk_add_f32 v[2:3], v[2:3], v[6:7]
	v_pk_fma_f32 v[6:7], v[10:11], v[198:199], v[4:5] neg_lo:[0,0,1] neg_hi:[0,0,1]
	v_pk_fma_f32 v[4:5], v[10:11], v[198:199], v[4:5] op_sel_hi:[1,0,1]
	s_nop 0
	v_mov_b32_e32 v4, v201
	v_mov_b32_e32 v7, v5
	v_pk_mul_f32 v[4:5], v[12:13], v[4:5] op_sel:[1,0] op_sel_hi:[0,0]
	v_pk_add_f32 v[2:3], v[2:3], v[6:7]
	v_pk_fma_f32 v[6:7], v[12:13], v[200:201], v[4:5] neg_lo:[0,0,1] neg_hi:[0,0,1]
	v_pk_fma_f32 v[4:5], v[12:13], v[200:201], v[4:5] op_sel_hi:[1,0,1]
	s_nop 0
	v_mov_b32_e32 v7, v5
	s_waitcnt vmcnt(0) lgkmcnt(0)
	v_pk_mul_f32 v[4:5], v[14:15], v[202:203] op_sel:[1,1] op_sel_hi:[0,1]
	v_pk_add_f32 v[2:3], v[2:3], v[6:7]
	v_pk_fma_f32 v[6:7], v[14:15], v[202:203], v[4:5] neg_lo:[0,0,1] neg_hi:[0,0,1]
	v_pk_fma_f32 v[4:5], v[14:15], v[202:203], v[4:5] op_sel_hi:[1,0,1]
	s_nop 0
	v_mov_b32_e32 v4, v205
	v_mov_b32_e32 v7, v5
	v_pk_mul_f32 v[4:5], v[16:17], v[4:5] op_sel:[1,0] op_sel_hi:[0,0]
	v_pk_add_f32 v[2:3], v[2:3], v[6:7]
	v_pk_fma_f32 v[6:7], v[16:17], v[204:205], v[4:5] neg_lo:[0,0,1] neg_hi:[0,0,1]
	v_pk_fma_f32 v[4:5], v[16:17], v[204:205], v[4:5] op_sel_hi:[1,0,1]
	s_nop 0
	v_mov_b32_e32 v7, v5
	scratch_load_dwordx2 v[4:5], off, off offset:24
	v_pk_add_f32 v[2:3], v[2:3], v[6:7]
	s_waitcnt vmcnt(0)
	v_pk_add_f32 v[2:3], v[4:5], v[2:3] neg_lo:[0,1] neg_hi:[0,1]
	scratch_store_dwordx2 off, v[2:3], off offset:24
	s_and_saveexec_b64 s[0:1], vcc
	s_cbranch_execz .LBB119_345
; %bb.344:
	scratch_load_dwordx2 v[2:3], off, off offset:16
	v_mov_b32_e32 v4, 0
	v_mov_b32_e32 v5, v4
	scratch_store_dwordx2 off, v[4:5], off offset:16
	s_waitcnt vmcnt(1)
	ds_write_b64 v1, v[2:3]
.LBB119_345:
	s_or_b64 exec, exec, s[0:1]
	s_waitcnt lgkmcnt(0)
	; wave barrier
	scratch_load_dwordx4 v[6:9], off, off offset:24
	scratch_load_dwordx4 v[14:17], off, off offset:40
	scratch_load_dwordx4 v[22:25], off, off offset:56
	scratch_load_dwordx4 v[30:33], off, off offset:72
	scratch_load_dwordx4 v[38:41], off, off offset:88
	scratch_load_dwordx4 v[46:49], off, off offset:104
	scratch_load_dwordx4 v[54:57], off, off offset:120
	scratch_load_dwordx4 v[62:65], off, off offset:136
	scratch_load_dwordx4 v[70:73], off, off offset:152
	scratch_load_dwordx4 v[78:81], off, off offset:168
	v_mov_b32_e32 v158, 0
	ds_read2_b64 v[2:5], v158 offset0:59 offset1:60
	scratch_load_dwordx4 v[86:89], off, off offset:184
	scratch_load_dwordx4 v[94:97], off, off offset:200
	;; [unrolled: 1-line block ×13, first 2 shown]
	v_cmp_lt_u32_e32 vcc, 1, v0
	s_waitcnt vmcnt(22) lgkmcnt(0)
	v_mul_f32_e32 v10, v2, v7
	v_fmac_f32_e32 v10, v3, v6
	v_mul_f32_e32 v11, v4, v9
	v_add_f32_e32 v10, 0, v10
	v_fmac_f32_e32 v11, v5, v8
	v_add_f32_e32 v18, v10, v11
	ds_read2_b64 v[10:13], v158 offset0:61 offset1:62
	v_mul_f32_e32 v3, v3, v7
	v_fma_f32 v2, v2, v6, -v3
	v_mul_f32_e32 v3, v5, v9
	v_add_f32_e32 v2, 0, v2
	s_waitcnt vmcnt(21) lgkmcnt(0)
	v_mul_f32_e32 v19, v10, v15
	v_fmac_f32_e32 v19, v11, v14
	v_add_f32_e32 v18, v18, v19
	v_mul_f32_e32 v19, v12, v17
	v_fmac_f32_e32 v19, v13, v16
	v_add_f32_e32 v26, v18, v19
	ds_read2_b64 v[18:21], v158 offset0:63 offset1:64
	v_fma_f32 v3, v4, v8, -v3
	v_add_f32_e32 v2, v2, v3
	v_mul_f32_e32 v3, v11, v15
	v_fma_f32 v3, v10, v14, -v3
	s_waitcnt vmcnt(20) lgkmcnt(0)
	v_mul_f32_e32 v27, v18, v23
	v_fmac_f32_e32 v27, v19, v22
	v_add_f32_e32 v26, v26, v27
	v_mul_f32_e32 v27, v20, v25
	v_fmac_f32_e32 v27, v21, v24
	v_add_f32_e32 v34, v26, v27
	ds_read2_b64 v[26:29], v158 offset0:65 offset1:66
	v_add_f32_e32 v2, v2, v3
	v_mul_f32_e32 v3, v13, v17
	v_fma_f32 v3, v12, v16, -v3
	v_add_f32_e32 v2, v2, v3
	s_waitcnt vmcnt(19) lgkmcnt(0)
	v_mul_f32_e32 v35, v26, v31
	v_fmac_f32_e32 v35, v27, v30
	v_add_f32_e32 v34, v34, v35
	v_mul_f32_e32 v35, v28, v33
	v_fmac_f32_e32 v35, v29, v32
	v_add_f32_e32 v42, v34, v35
	ds_read2_b64 v[34:37], v158 offset0:67 offset1:68
	v_mul_f32_e32 v3, v19, v23
	v_fma_f32 v3, v18, v22, -v3
	v_add_f32_e32 v2, v2, v3
	v_mul_f32_e32 v3, v21, v25
	s_waitcnt vmcnt(18) lgkmcnt(0)
	v_mul_f32_e32 v43, v34, v39
	v_fmac_f32_e32 v43, v35, v38
	v_add_f32_e32 v42, v42, v43
	v_mul_f32_e32 v43, v36, v41
	v_fmac_f32_e32 v43, v37, v40
	v_add_f32_e32 v50, v42, v43
	ds_read2_b64 v[42:45], v158 offset0:69 offset1:70
	v_fma_f32 v3, v20, v24, -v3
	v_add_f32_e32 v2, v2, v3
	v_mul_f32_e32 v3, v27, v31
	v_fma_f32 v3, v26, v30, -v3
	s_waitcnt vmcnt(17) lgkmcnt(0)
	v_mul_f32_e32 v51, v42, v47
	v_fmac_f32_e32 v51, v43, v46
	v_add_f32_e32 v50, v50, v51
	v_mul_f32_e32 v51, v44, v49
	v_fmac_f32_e32 v51, v45, v48
	v_add_f32_e32 v58, v50, v51
	ds_read2_b64 v[50:53], v158 offset0:71 offset1:72
	v_add_f32_e32 v2, v2, v3
	v_mul_f32_e32 v3, v29, v33
	v_fma_f32 v3, v28, v32, -v3
	v_add_f32_e32 v2, v2, v3
	s_waitcnt vmcnt(16) lgkmcnt(0)
	v_mul_f32_e32 v59, v50, v55
	v_fmac_f32_e32 v59, v51, v54
	v_add_f32_e32 v58, v58, v59
	v_mul_f32_e32 v59, v52, v57
	v_fmac_f32_e32 v59, v53, v56
	v_add_f32_e32 v66, v58, v59
	ds_read2_b64 v[58:61], v158 offset0:73 offset1:74
	v_mul_f32_e32 v3, v35, v39
	v_fma_f32 v3, v34, v38, -v3
	v_add_f32_e32 v2, v2, v3
	v_mul_f32_e32 v3, v37, v41
	;; [unrolled: 36-line block ×6, first 2 shown]
	s_waitcnt vmcnt(3) lgkmcnt(0)
	v_mul_f32_e32 v172, v164, v169
	v_fmac_f32_e32 v172, v165, v168
	v_add_f32_e32 v159, v159, v172
	v_mul_f32_e32 v172, v166, v171
	v_fmac_f32_e32 v172, v167, v170
	v_add_f32_e32 v159, v159, v172
	ds_read2_b64 v[172:175], v158 offset0:99 offset1:100
	v_fma_f32 v3, v100, v104, -v3
	v_add_f32_e32 v2, v2, v3
	v_mul_f32_e32 v3, v107, v111
	v_fma_f32 v3, v106, v110, -v3
	s_waitcnt vmcnt(2) lgkmcnt(0)
	v_mul_f32_e32 v180, v172, v177
	v_fmac_f32_e32 v180, v173, v176
	v_add_f32_e32 v159, v159, v180
	v_mul_f32_e32 v180, v174, v179
	v_fmac_f32_e32 v180, v175, v178
	v_add_f32_e32 v159, v159, v180
	ds_read2_b64 v[180:183], v158 offset0:101 offset1:102
	v_add_f32_e32 v2, v2, v3
	v_mul_f32_e32 v3, v109, v113
	v_fma_f32 v3, v108, v112, -v3
	v_add_f32_e32 v2, v2, v3
	s_waitcnt vmcnt(1) lgkmcnt(0)
	v_mul_f32_e32 v188, v180, v185
	v_fmac_f32_e32 v188, v181, v184
	v_add_f32_e32 v209, v159, v188
	ds_read2_b64 v[188:191], v158 offset0:103 offset1:104
	scratch_load_dwordx4 v[196:199], off, off offset:392
	scratch_load_dwordx4 v[200:203], off, off offset:408
	;; [unrolled: 1-line block ×3, first 2 shown]
	scratch_load_dwordx2 v[214:215], off, off offset:440
	v_mul_f32_e32 v3, v115, v119
	v_fma_f32 v3, v114, v118, -v3
	v_add_f32_e32 v2, v2, v3
	v_mul_f32_e32 v3, v117, v121
	v_fma_f32 v3, v116, v120, -v3
	v_add_f32_e32 v2, v2, v3
	;; [unrolled: 3-line block ×15, first 2 shown]
	v_mul_f32_e32 v2, v183, v187
	v_mul_f32_e32 v211, v182, v187
	v_fma_f32 v210, v182, v186, -v2
	s_waitcnt vmcnt(4) lgkmcnt(0)
	v_mul_f32_e32 v2, v189, v193
	v_mov_b32_e32 v18, v195
	v_fmac_f32_e32 v211, v183, v186
	v_mul_f32_e32 v213, v188, v193
	v_fma_f32 v212, v188, v192, -v2
	ds_read2_b64 v[2:5], v158 offset0:105 offset1:106
	ds_read2_b64 v[6:9], v158 offset0:107 offset1:108
	;; [unrolled: 1-line block ×3, first 2 shown]
	ds_read_b64 v[14:15], v158 offset:888
	v_pk_mul_f32 v[18:19], v[190:191], v[18:19] op_sel:[1,0] op_sel_hi:[0,0]
	v_fmac_f32_e32 v213, v189, v192
	v_pk_add_f32 v[16:17], v[208:209], v[210:211]
	v_pk_fma_f32 v[20:21], v[190:191], v[194:195], v[18:19] neg_lo:[0,0,1] neg_hi:[0,0,1]
	v_pk_fma_f32 v[18:19], v[190:191], v[194:195], v[18:19] op_sel_hi:[1,0,1]
	v_pk_add_f32 v[16:17], v[16:17], v[212:213]
	v_mov_b32_e32 v21, v19
	v_pk_add_f32 v[16:17], v[16:17], v[20:21]
	s_waitcnt vmcnt(3) lgkmcnt(3)
	v_pk_mul_f32 v[18:19], v[2:3], v[196:197] op_sel:[1,1] op_sel_hi:[0,1]
	v_pk_fma_f32 v[20:21], v[2:3], v[196:197], v[18:19] neg_lo:[0,0,1] neg_hi:[0,0,1]
	v_pk_fma_f32 v[2:3], v[2:3], v[196:197], v[18:19] op_sel_hi:[1,0,1]
	s_nop 0
	v_mov_b32_e32 v21, v3
	v_pk_add_f32 v[2:3], v[16:17], v[20:21]
	v_mov_b32_e32 v16, v199
	v_pk_mul_f32 v[16:17], v[4:5], v[16:17] op_sel:[1,0] op_sel_hi:[0,0]
	v_pk_fma_f32 v[18:19], v[4:5], v[198:199], v[16:17] neg_lo:[0,0,1] neg_hi:[0,0,1]
	v_pk_fma_f32 v[4:5], v[4:5], v[198:199], v[16:17] op_sel_hi:[1,0,1]
	s_nop 0
	v_mov_b32_e32 v19, v5
	s_waitcnt vmcnt(2) lgkmcnt(2)
	v_pk_mul_f32 v[4:5], v[6:7], v[200:201] op_sel:[1,1] op_sel_hi:[0,1]
	v_pk_fma_f32 v[16:17], v[6:7], v[200:201], v[4:5] neg_lo:[0,0,1] neg_hi:[0,0,1]
	v_pk_fma_f32 v[4:5], v[6:7], v[200:201], v[4:5] op_sel_hi:[1,0,1]
	v_pk_add_f32 v[2:3], v[2:3], v[18:19]
	v_mov_b32_e32 v4, v203
	v_mov_b32_e32 v17, v5
	v_pk_mul_f32 v[4:5], v[8:9], v[4:5] op_sel:[1,0] op_sel_hi:[0,0]
	v_pk_fma_f32 v[6:7], v[8:9], v[202:203], v[4:5] neg_lo:[0,0,1] neg_hi:[0,0,1]
	v_pk_fma_f32 v[4:5], v[8:9], v[202:203], v[4:5] op_sel_hi:[1,0,1]
	v_pk_add_f32 v[2:3], v[2:3], v[16:17]
	v_mov_b32_e32 v7, v5
	s_waitcnt vmcnt(1) lgkmcnt(1)
	v_pk_mul_f32 v[4:5], v[10:11], v[204:205] op_sel:[1,1] op_sel_hi:[0,1]
	v_pk_add_f32 v[2:3], v[2:3], v[6:7]
	v_pk_fma_f32 v[6:7], v[10:11], v[204:205], v[4:5] neg_lo:[0,0,1] neg_hi:[0,0,1]
	v_pk_fma_f32 v[4:5], v[10:11], v[204:205], v[4:5] op_sel_hi:[1,0,1]
	s_nop 0
	v_mov_b32_e32 v4, v207
	v_mov_b32_e32 v7, v5
	v_pk_mul_f32 v[4:5], v[12:13], v[4:5] op_sel:[1,0] op_sel_hi:[0,0]
	v_pk_add_f32 v[2:3], v[2:3], v[6:7]
	v_pk_fma_f32 v[6:7], v[12:13], v[206:207], v[4:5] neg_lo:[0,0,1] neg_hi:[0,0,1]
	v_pk_fma_f32 v[4:5], v[12:13], v[206:207], v[4:5] op_sel_hi:[1,0,1]
	s_nop 0
	v_mov_b32_e32 v7, v5
	s_waitcnt vmcnt(0) lgkmcnt(0)
	v_pk_mul_f32 v[4:5], v[14:15], v[214:215] op_sel:[1,1] op_sel_hi:[0,1]
	v_pk_add_f32 v[2:3], v[2:3], v[6:7]
	v_pk_fma_f32 v[6:7], v[14:15], v[214:215], v[4:5] neg_lo:[0,0,1] neg_hi:[0,0,1]
	v_pk_fma_f32 v[4:5], v[14:15], v[214:215], v[4:5] op_sel_hi:[1,0,1]
	s_nop 0
	v_mov_b32_e32 v7, v5
	scratch_load_dwordx2 v[4:5], off, off offset:16
	v_pk_add_f32 v[2:3], v[2:3], v[6:7]
	s_waitcnt vmcnt(0)
	v_pk_add_f32 v[2:3], v[4:5], v[2:3] neg_lo:[0,1] neg_hi:[0,1]
	scratch_store_dwordx2 off, v[2:3], off offset:16
	s_and_saveexec_b64 s[0:1], vcc
	s_cbranch_execz .LBB119_347
; %bb.346:
	scratch_load_dwordx2 v[2:3], off, off offset:8
	v_mov_b32_e32 v159, v158
	scratch_store_dwordx2 off, v[158:159], off offset:8
	s_waitcnt vmcnt(1)
	ds_write_b64 v1, v[2:3]
.LBB119_347:
	s_or_b64 exec, exec, s[0:1]
	s_waitcnt lgkmcnt(0)
	; wave barrier
	ds_read_b128 v[14:17], v158 offset:464
	ds_read_b128 v[10:13], v158 offset:480
	;; [unrolled: 1-line block ×4, first 2 shown]
	scratch_load_dwordx4 v[18:21], off, off offset:16
	scratch_load_dwordx4 v[38:41], off, off offset:80
	scratch_load_dwordx4 v[70:73], off, off offset:144
	scratch_load_dwordx4 v[78:81], off, off offset:160
	scratch_load_dwordx4 v[86:89], off, off offset:176
	scratch_load_dwordx4 v[94:97], off, off offset:192
	scratch_load_dwordx4 v[102:105], off, off offset:208
	scratch_load_dwordx4 v[110:113], off, off offset:224
	scratch_load_dwordx4 v[118:121], off, off offset:240
	scratch_load_dwordx4 v[126:129], off, off offset:256
	scratch_load_dwordx4 v[134:137], off, off offset:272
	scratch_load_dwordx4 v[142:145], off, off offset:288
	scratch_load_dwordx4 v[160:163], off, off offset:304
	scratch_load_dwordx4 v[168:171], off, off offset:320
	scratch_load_dwordx4 v[176:179], off, off offset:336
	scratch_load_dwordx4 v[184:187], off, off offset:352
	scratch_load_dwordx4 v[192:195], off, off offset:368
	v_cmp_ne_u32_e32 vcc, 0, v0
	scratch_load_dwordx4 v[46:49], off, off offset:96
	scratch_load_dwordx4 v[54:57], off, off offset:112
	;; [unrolled: 1-line block ×3, first 2 shown]
	s_waitcnt vmcnt(19) lgkmcnt(3)
	v_mul_f32_e32 v22, v14, v19
	v_fmac_f32_e32 v22, v15, v18
	v_mul_f32_e32 v23, v16, v21
	v_add_f32_e32 v22, 0, v22
	v_fmac_f32_e32 v23, v17, v20
	v_add_f32_e32 v26, v22, v23
	scratch_load_dwordx4 v[22:25], off, off offset:32
	v_mul_f32_e32 v15, v15, v19
	v_fma_f32 v14, v14, v18, -v15
	v_mul_f32_e32 v15, v17, v21
	v_add_f32_e32 v14, 0, v14
	v_fma_f32 v15, v16, v20, -v15
	v_add_f32_e32 v14, v14, v15
	s_waitcnt vmcnt(0) lgkmcnt(2)
	v_mul_f32_e32 v27, v10, v23
	v_fmac_f32_e32 v27, v11, v22
	v_add_f32_e32 v26, v26, v27
	v_mul_f32_e32 v27, v12, v25
	v_fmac_f32_e32 v27, v13, v24
	v_add_f32_e32 v30, v26, v27
	scratch_load_dwordx4 v[26:29], off, off offset:48
	v_mul_f32_e32 v11, v11, v23
	v_fma_f32 v10, v10, v22, -v11
	v_mul_f32_e32 v11, v13, v25
	v_add_f32_e32 v10, v14, v10
	v_fma_f32 v11, v12, v24, -v11
	v_add_f32_e32 v10, v10, v11
	s_waitcnt vmcnt(0) lgkmcnt(1)
	v_mul_f32_e32 v31, v6, v27
	v_fmac_f32_e32 v31, v7, v26
	v_add_f32_e32 v30, v30, v31
	v_mul_f32_e32 v31, v8, v29
	;; [unrolled: 14-line block ×3, first 2 shown]
	v_fmac_f32_e32 v35, v5, v32
	v_add_f32_e32 v42, v34, v35
	ds_read_b128 v[34:37], v158 offset:528
	v_mul_f32_e32 v3, v3, v31
	v_fma_f32 v2, v2, v30, -v3
	v_mul_f32_e32 v3, v5, v33
	v_add_f32_e32 v2, v6, v2
	s_waitcnt lgkmcnt(0)
	v_mul_f32_e32 v43, v34, v39
	v_fmac_f32_e32 v43, v35, v38
	v_add_f32_e32 v42, v42, v43
	v_mul_f32_e32 v43, v36, v41
	v_fmac_f32_e32 v43, v37, v40
	v_add_f32_e32 v50, v42, v43
	ds_read_b128 v[42:45], v158 offset:544
	v_fma_f32 v3, v4, v32, -v3
	v_add_f32_e32 v2, v2, v3
	v_mul_f32_e32 v3, v35, v39
	v_fma_f32 v3, v34, v38, -v3
	s_waitcnt lgkmcnt(0)
	v_mul_f32_e32 v51, v42, v47
	v_fmac_f32_e32 v51, v43, v46
	v_add_f32_e32 v50, v50, v51
	v_mul_f32_e32 v51, v44, v49
	v_fmac_f32_e32 v51, v45, v48
	v_add_f32_e32 v58, v50, v51
	ds_read_b128 v[50:53], v158 offset:560
	v_add_f32_e32 v2, v2, v3
	v_mul_f32_e32 v3, v37, v41
	v_fma_f32 v3, v36, v40, -v3
	v_add_f32_e32 v2, v2, v3
	s_waitcnt lgkmcnt(0)
	v_mul_f32_e32 v59, v50, v55
	v_fmac_f32_e32 v59, v51, v54
	v_add_f32_e32 v58, v58, v59
	v_mul_f32_e32 v59, v52, v57
	v_fmac_f32_e32 v59, v53, v56
	v_add_f32_e32 v66, v58, v59
	ds_read_b128 v[58:61], v158 offset:576
	v_mul_f32_e32 v3, v43, v47
	v_fma_f32 v3, v42, v46, -v3
	v_add_f32_e32 v2, v2, v3
	v_mul_f32_e32 v3, v45, v49
	s_waitcnt lgkmcnt(0)
	v_mul_f32_e32 v67, v58, v63
	v_fmac_f32_e32 v67, v59, v62
	v_add_f32_e32 v66, v66, v67
	v_mul_f32_e32 v67, v60, v65
	v_fmac_f32_e32 v67, v61, v64
	v_add_f32_e32 v74, v66, v67
	ds_read_b128 v[66:69], v158 offset:592
	v_fma_f32 v3, v44, v48, -v3
	v_add_f32_e32 v2, v2, v3
	v_mul_f32_e32 v3, v51, v55
	v_fma_f32 v3, v50, v54, -v3
	s_waitcnt lgkmcnt(0)
	v_mul_f32_e32 v75, v66, v71
	v_fmac_f32_e32 v75, v67, v70
	v_add_f32_e32 v74, v74, v75
	v_mul_f32_e32 v75, v68, v73
	v_fmac_f32_e32 v75, v69, v72
	v_add_f32_e32 v82, v74, v75
	ds_read_b128 v[74:77], v158 offset:608
	v_add_f32_e32 v2, v2, v3
	v_mul_f32_e32 v3, v53, v57
	v_fma_f32 v3, v52, v56, -v3
	v_add_f32_e32 v2, v2, v3
	s_waitcnt lgkmcnt(0)
	v_mul_f32_e32 v83, v74, v79
	v_fmac_f32_e32 v83, v75, v78
	v_add_f32_e32 v82, v82, v83
	v_mul_f32_e32 v83, v76, v81
	v_fmac_f32_e32 v83, v77, v80
	v_add_f32_e32 v90, v82, v83
	ds_read_b128 v[82:85], v158 offset:624
	v_mul_f32_e32 v3, v59, v63
	v_fma_f32 v3, v58, v62, -v3
	v_add_f32_e32 v2, v2, v3
	v_mul_f32_e32 v3, v61, v65
	;; [unrolled: 36-line block ×5, first 2 shown]
	s_waitcnt lgkmcnt(0)
	v_mul_f32_e32 v172, v164, v169
	v_fmac_f32_e32 v172, v165, v168
	v_add_f32_e32 v159, v159, v172
	v_mul_f32_e32 v172, v166, v171
	v_fmac_f32_e32 v172, v167, v170
	v_add_f32_e32 v159, v159, v172
	ds_read_b128 v[172:175], v158 offset:784
	v_fma_f32 v3, v108, v112, -v3
	v_add_f32_e32 v2, v2, v3
	v_mul_f32_e32 v3, v115, v119
	v_fma_f32 v3, v114, v118, -v3
	s_waitcnt lgkmcnt(0)
	v_mul_f32_e32 v180, v172, v177
	v_fmac_f32_e32 v180, v173, v176
	v_add_f32_e32 v159, v159, v180
	v_mul_f32_e32 v180, v174, v179
	v_fmac_f32_e32 v180, v175, v178
	v_add_f32_e32 v159, v159, v180
	ds_read_b128 v[180:183], v158 offset:800
	v_add_f32_e32 v2, v2, v3
	v_mul_f32_e32 v3, v117, v121
	v_fma_f32 v3, v116, v120, -v3
	v_add_f32_e32 v2, v2, v3
	s_waitcnt lgkmcnt(0)
	v_mul_f32_e32 v188, v180, v185
	v_fmac_f32_e32 v188, v181, v184
	v_add_f32_e32 v159, v159, v188
	v_mul_f32_e32 v188, v182, v187
	v_fmac_f32_e32 v188, v183, v186
	v_add_f32_e32 v213, v159, v188
	ds_read_b128 v[188:191], v158 offset:816
	scratch_load_dwordx4 v[196:199], off, off offset:384
	scratch_load_dwordx4 v[200:203], off, off offset:400
	;; [unrolled: 1-line block ×4, first 2 shown]
	v_mul_f32_e32 v3, v123, v127
	v_fma_f32 v3, v122, v126, -v3
	v_add_f32_e32 v2, v2, v3
	v_mul_f32_e32 v3, v125, v129
	v_fma_f32 v3, v124, v128, -v3
	v_add_f32_e32 v2, v2, v3
	;; [unrolled: 3-line block ×14, first 2 shown]
	s_waitcnt lgkmcnt(0)
	v_mul_f32_e32 v2, v189, v193
	v_fma_f32 v214, v188, v192, -v2
	v_mul_f32_e32 v2, v191, v195
	v_fma_f32 v216, v190, v194, -v2
	ds_read_b128 v[2:5], v158 offset:832
	ds_read_b128 v[6:9], v158 offset:848
	;; [unrolled: 1-line block ×4, first 2 shown]
	v_mul_f32_e32 v215, v188, v193
	v_fmac_f32_e32 v215, v189, v192
	v_mul_f32_e32 v217, v190, v195
	v_fmac_f32_e32 v217, v191, v194
	v_pk_add_f32 v[18:19], v[212:213], v[214:215]
	s_waitcnt vmcnt(3) lgkmcnt(3)
	v_pk_mul_f32 v[20:21], v[2:3], v[196:197] op_sel:[1,1] op_sel_hi:[0,1]
	v_pk_fma_f32 v[22:23], v[2:3], v[196:197], v[20:21] neg_lo:[0,0,1] neg_hi:[0,0,1]
	v_pk_fma_f32 v[2:3], v[2:3], v[196:197], v[20:21] op_sel_hi:[1,0,1]
	v_pk_add_f32 v[18:19], v[18:19], v[216:217]
	v_mov_b32_e32 v23, v3
	v_pk_add_f32 v[2:3], v[18:19], v[22:23]
	v_mov_b32_e32 v18, v199
	v_pk_mul_f32 v[18:19], v[4:5], v[18:19] op_sel:[1,0] op_sel_hi:[0,0]
	v_pk_fma_f32 v[20:21], v[4:5], v[198:199], v[18:19] neg_lo:[0,0,1] neg_hi:[0,0,1]
	v_pk_fma_f32 v[4:5], v[4:5], v[198:199], v[18:19] op_sel_hi:[1,0,1]
	s_nop 0
	v_mov_b32_e32 v21, v5
	s_waitcnt vmcnt(2) lgkmcnt(2)
	v_pk_mul_f32 v[4:5], v[6:7], v[200:201] op_sel:[1,1] op_sel_hi:[0,1]
	v_pk_fma_f32 v[18:19], v[6:7], v[200:201], v[4:5] neg_lo:[0,0,1] neg_hi:[0,0,1]
	v_pk_fma_f32 v[4:5], v[6:7], v[200:201], v[4:5] op_sel_hi:[1,0,1]
	v_pk_add_f32 v[2:3], v[2:3], v[20:21]
	v_mov_b32_e32 v4, v203
	v_mov_b32_e32 v19, v5
	v_pk_mul_f32 v[4:5], v[8:9], v[4:5] op_sel:[1,0] op_sel_hi:[0,0]
	v_pk_fma_f32 v[6:7], v[8:9], v[202:203], v[4:5] neg_lo:[0,0,1] neg_hi:[0,0,1]
	v_pk_fma_f32 v[4:5], v[8:9], v[202:203], v[4:5] op_sel_hi:[1,0,1]
	v_pk_add_f32 v[2:3], v[2:3], v[18:19]
	v_mov_b32_e32 v7, v5
	s_waitcnt vmcnt(1) lgkmcnt(1)
	v_pk_mul_f32 v[4:5], v[10:11], v[204:205] op_sel:[1,1] op_sel_hi:[0,1]
	v_pk_add_f32 v[2:3], v[2:3], v[6:7]
	v_pk_fma_f32 v[6:7], v[10:11], v[204:205], v[4:5] neg_lo:[0,0,1] neg_hi:[0,0,1]
	v_pk_fma_f32 v[4:5], v[10:11], v[204:205], v[4:5] op_sel_hi:[1,0,1]
	s_nop 0
	v_mov_b32_e32 v4, v207
	v_mov_b32_e32 v7, v5
	v_pk_mul_f32 v[4:5], v[12:13], v[4:5] op_sel:[1,0] op_sel_hi:[0,0]
	v_pk_add_f32 v[2:3], v[2:3], v[6:7]
	v_pk_fma_f32 v[6:7], v[12:13], v[206:207], v[4:5] neg_lo:[0,0,1] neg_hi:[0,0,1]
	v_pk_fma_f32 v[4:5], v[12:13], v[206:207], v[4:5] op_sel_hi:[1,0,1]
	s_nop 0
	v_mov_b32_e32 v7, v5
	s_waitcnt vmcnt(0) lgkmcnt(0)
	v_pk_mul_f32 v[4:5], v[14:15], v[208:209] op_sel:[1,1] op_sel_hi:[0,1]
	v_pk_add_f32 v[2:3], v[2:3], v[6:7]
	v_pk_fma_f32 v[6:7], v[14:15], v[208:209], v[4:5] neg_lo:[0,0,1] neg_hi:[0,0,1]
	v_pk_fma_f32 v[4:5], v[14:15], v[208:209], v[4:5] op_sel_hi:[1,0,1]
	s_nop 0
	v_mov_b32_e32 v4, v211
	v_mov_b32_e32 v7, v5
	v_pk_mul_f32 v[4:5], v[16:17], v[4:5] op_sel:[1,0] op_sel_hi:[0,0]
	v_pk_add_f32 v[2:3], v[2:3], v[6:7]
	v_pk_fma_f32 v[6:7], v[16:17], v[210:211], v[4:5] neg_lo:[0,0,1] neg_hi:[0,0,1]
	v_pk_fma_f32 v[4:5], v[16:17], v[210:211], v[4:5] op_sel_hi:[1,0,1]
	s_nop 0
	v_mov_b32_e32 v7, v5
	scratch_load_dwordx2 v[4:5], off, off offset:8
	v_pk_add_f32 v[2:3], v[2:3], v[6:7]
	s_waitcnt vmcnt(0)
	v_pk_add_f32 v[2:3], v[4:5], v[2:3] neg_lo:[0,1] neg_hi:[0,1]
	scratch_store_dwordx2 off, v[2:3], off offset:8
	s_and_saveexec_b64 s[0:1], vcc
	s_cbranch_execz .LBB119_349
; %bb.348:
	scratch_load_dwordx2 v[2:3], off, off
	v_mov_b32_e32 v4, 0
	v_mov_b32_e32 v5, v4
	scratch_store_dwordx2 off, v[4:5], off
	s_waitcnt vmcnt(1)
	ds_write_b64 v1, v[2:3]
.LBB119_349:
	s_or_b64 exec, exec, s[0:1]
	s_waitcnt lgkmcnt(0)
	; wave barrier
	scratch_load_dwordx4 v[4:7], off, off offset:8
	scratch_load_dwordx4 v[12:15], off, off offset:24
	;; [unrolled: 1-line block ×10, first 2 shown]
	v_mov_b32_e32 v140, 0
	ds_read2_b64 v[0:3], v140 offset0:57 offset1:58
	scratch_load_dwordx4 v[84:87], off, off offset:168
	scratch_load_dwordx4 v[92:95], off, off offset:184
	;; [unrolled: 1-line block ×14, first 2 shown]
	s_and_b64 vcc, exec, s[10:11]
	s_waitcnt vmcnt(23) lgkmcnt(0)
	v_mul_f32_e32 v8, v0, v5
	v_fmac_f32_e32 v8, v1, v4
	v_mul_f32_e32 v9, v2, v7
	v_add_f32_e32 v8, 0, v8
	v_fmac_f32_e32 v9, v3, v6
	v_add_f32_e32 v16, v8, v9
	ds_read2_b64 v[8:11], v140 offset0:59 offset1:60
	v_mul_f32_e32 v1, v1, v5
	v_fma_f32 v0, v0, v4, -v1
	v_mul_f32_e32 v1, v3, v7
	v_add_f32_e32 v0, 0, v0
	s_waitcnt vmcnt(22) lgkmcnt(0)
	v_mul_f32_e32 v17, v8, v13
	v_fmac_f32_e32 v17, v9, v12
	v_add_f32_e32 v16, v16, v17
	v_mul_f32_e32 v17, v10, v15
	v_fmac_f32_e32 v17, v11, v14
	v_add_f32_e32 v24, v16, v17
	ds_read2_b64 v[16:19], v140 offset0:61 offset1:62
	v_fma_f32 v1, v2, v6, -v1
	v_add_f32_e32 v0, v0, v1
	v_mul_f32_e32 v1, v9, v13
	v_fma_f32 v1, v8, v12, -v1
	s_waitcnt vmcnt(21) lgkmcnt(0)
	v_mul_f32_e32 v25, v16, v21
	v_fmac_f32_e32 v25, v17, v20
	v_add_f32_e32 v24, v24, v25
	v_mul_f32_e32 v25, v18, v23
	v_fmac_f32_e32 v25, v19, v22
	v_add_f32_e32 v32, v24, v25
	ds_read2_b64 v[24:27], v140 offset0:63 offset1:64
	v_add_f32_e32 v0, v0, v1
	v_mul_f32_e32 v1, v11, v15
	v_fma_f32 v1, v10, v14, -v1
	v_add_f32_e32 v0, v0, v1
	s_waitcnt vmcnt(20) lgkmcnt(0)
	v_mul_f32_e32 v33, v24, v29
	v_fmac_f32_e32 v33, v25, v28
	v_add_f32_e32 v32, v32, v33
	v_mul_f32_e32 v33, v26, v31
	v_fmac_f32_e32 v33, v27, v30
	v_add_f32_e32 v40, v32, v33
	ds_read2_b64 v[32:35], v140 offset0:65 offset1:66
	v_mul_f32_e32 v1, v17, v21
	v_fma_f32 v1, v16, v20, -v1
	v_add_f32_e32 v0, v0, v1
	v_mul_f32_e32 v1, v19, v23
	s_waitcnt vmcnt(19) lgkmcnt(0)
	v_mul_f32_e32 v41, v32, v37
	v_fmac_f32_e32 v41, v33, v36
	v_add_f32_e32 v40, v40, v41
	v_mul_f32_e32 v41, v34, v39
	v_fmac_f32_e32 v41, v35, v38
	v_add_f32_e32 v48, v40, v41
	ds_read2_b64 v[40:43], v140 offset0:67 offset1:68
	v_fma_f32 v1, v18, v22, -v1
	v_add_f32_e32 v0, v0, v1
	v_mul_f32_e32 v1, v25, v29
	v_fma_f32 v1, v24, v28, -v1
	s_waitcnt vmcnt(18) lgkmcnt(0)
	v_mul_f32_e32 v49, v40, v45
	v_fmac_f32_e32 v49, v41, v44
	v_add_f32_e32 v48, v48, v49
	v_mul_f32_e32 v49, v42, v47
	v_fmac_f32_e32 v49, v43, v46
	v_add_f32_e32 v56, v48, v49
	ds_read2_b64 v[48:51], v140 offset0:69 offset1:70
	v_add_f32_e32 v0, v0, v1
	v_mul_f32_e32 v1, v27, v31
	v_fma_f32 v1, v26, v30, -v1
	v_add_f32_e32 v0, v0, v1
	s_waitcnt vmcnt(17) lgkmcnt(0)
	v_mul_f32_e32 v57, v48, v53
	v_fmac_f32_e32 v57, v49, v52
	v_add_f32_e32 v56, v56, v57
	v_mul_f32_e32 v57, v50, v55
	v_fmac_f32_e32 v57, v51, v54
	v_add_f32_e32 v64, v56, v57
	ds_read2_b64 v[56:59], v140 offset0:71 offset1:72
	v_mul_f32_e32 v1, v33, v37
	v_fma_f32 v1, v32, v36, -v1
	v_add_f32_e32 v0, v0, v1
	v_mul_f32_e32 v1, v35, v39
	s_waitcnt vmcnt(16) lgkmcnt(0)
	v_mul_f32_e32 v65, v56, v61
	v_fmac_f32_e32 v65, v57, v60
	v_add_f32_e32 v64, v64, v65
	v_mul_f32_e32 v65, v58, v63
	v_fmac_f32_e32 v65, v59, v62
	v_add_f32_e32 v72, v64, v65
	ds_read2_b64 v[64:67], v140 offset0:73 offset1:74
	v_fma_f32 v1, v34, v38, -v1
	v_add_f32_e32 v0, v0, v1
	v_mul_f32_e32 v1, v41, v45
	v_fma_f32 v1, v40, v44, -v1
	s_waitcnt vmcnt(15) lgkmcnt(0)
	v_mul_f32_e32 v73, v64, v69
	v_fmac_f32_e32 v73, v65, v68
	v_add_f32_e32 v72, v72, v73
	v_mul_f32_e32 v73, v66, v71
	v_fmac_f32_e32 v73, v67, v70
	v_add_f32_e32 v80, v72, v73
	ds_read2_b64 v[72:75], v140 offset0:75 offset1:76
	v_add_f32_e32 v0, v0, v1
	v_mul_f32_e32 v1, v43, v47
	v_fma_f32 v1, v42, v46, -v1
	v_add_f32_e32 v0, v0, v1
	s_waitcnt vmcnt(14) lgkmcnt(0)
	v_mul_f32_e32 v81, v72, v77
	v_fmac_f32_e32 v81, v73, v76
	v_add_f32_e32 v80, v80, v81
	v_mul_f32_e32 v81, v74, v79
	v_fmac_f32_e32 v81, v75, v78
	v_add_f32_e32 v88, v80, v81
	ds_read2_b64 v[80:83], v140 offset0:77 offset1:78
	v_mul_f32_e32 v1, v49, v53
	v_fma_f32 v1, v48, v52, -v1
	v_add_f32_e32 v0, v0, v1
	v_mul_f32_e32 v1, v51, v55
	s_waitcnt vmcnt(13) lgkmcnt(0)
	v_mul_f32_e32 v89, v80, v85
	v_fmac_f32_e32 v89, v81, v84
	v_add_f32_e32 v88, v88, v89
	v_mul_f32_e32 v89, v82, v87
	v_fmac_f32_e32 v89, v83, v86
	v_add_f32_e32 v96, v88, v89
	ds_read2_b64 v[88:91], v140 offset0:79 offset1:80
	v_fma_f32 v1, v50, v54, -v1
	v_add_f32_e32 v0, v0, v1
	v_mul_f32_e32 v1, v57, v61
	v_fma_f32 v1, v56, v60, -v1
	s_waitcnt vmcnt(12) lgkmcnt(0)
	v_mul_f32_e32 v97, v88, v93
	v_fmac_f32_e32 v97, v89, v92
	v_add_f32_e32 v96, v96, v97
	v_mul_f32_e32 v97, v90, v95
	v_fmac_f32_e32 v97, v91, v94
	v_add_f32_e32 v104, v96, v97
	ds_read2_b64 v[96:99], v140 offset0:81 offset1:82
	v_add_f32_e32 v0, v0, v1
	v_mul_f32_e32 v1, v59, v63
	v_fma_f32 v1, v58, v62, -v1
	v_add_f32_e32 v0, v0, v1
	s_waitcnt vmcnt(11) lgkmcnt(0)
	v_mul_f32_e32 v105, v96, v101
	v_fmac_f32_e32 v105, v97, v100
	v_add_f32_e32 v104, v104, v105
	v_mul_f32_e32 v105, v98, v103
	v_fmac_f32_e32 v105, v99, v102
	v_add_f32_e32 v112, v104, v105
	ds_read2_b64 v[104:107], v140 offset0:83 offset1:84
	v_mul_f32_e32 v1, v65, v69
	v_fma_f32 v1, v64, v68, -v1
	v_add_f32_e32 v0, v0, v1
	v_mul_f32_e32 v1, v67, v71
	s_waitcnt vmcnt(10) lgkmcnt(0)
	v_mul_f32_e32 v113, v104, v109
	v_fmac_f32_e32 v113, v105, v108
	v_add_f32_e32 v112, v112, v113
	v_mul_f32_e32 v113, v106, v111
	v_fmac_f32_e32 v113, v107, v110
	v_add_f32_e32 v120, v112, v113
	ds_read2_b64 v[112:115], v140 offset0:85 offset1:86
	v_fma_f32 v1, v66, v70, -v1
	v_add_f32_e32 v0, v0, v1
	v_mul_f32_e32 v1, v73, v77
	v_fma_f32 v1, v72, v76, -v1
	s_waitcnt vmcnt(9) lgkmcnt(0)
	v_mul_f32_e32 v121, v112, v117
	v_fmac_f32_e32 v121, v113, v116
	v_add_f32_e32 v120, v120, v121
	v_mul_f32_e32 v121, v114, v119
	v_fmac_f32_e32 v121, v115, v118
	v_add_f32_e32 v128, v120, v121
	ds_read2_b64 v[120:123], v140 offset0:87 offset1:88
	v_add_f32_e32 v0, v0, v1
	v_mul_f32_e32 v1, v75, v79
	v_fma_f32 v1, v74, v78, -v1
	v_add_f32_e32 v0, v0, v1
	s_waitcnt vmcnt(8) lgkmcnt(0)
	v_mul_f32_e32 v129, v120, v125
	v_fmac_f32_e32 v129, v121, v124
	v_add_f32_e32 v128, v128, v129
	v_mul_f32_e32 v129, v122, v127
	v_fmac_f32_e32 v129, v123, v126
	v_add_f32_e32 v136, v128, v129
	ds_read2_b64 v[128:131], v140 offset0:89 offset1:90
	v_mul_f32_e32 v1, v81, v85
	v_fma_f32 v1, v80, v84, -v1
	v_add_f32_e32 v0, v0, v1
	v_mul_f32_e32 v1, v83, v87
	s_waitcnt vmcnt(7) lgkmcnt(0)
	v_mul_f32_e32 v137, v128, v133
	v_fmac_f32_e32 v137, v129, v132
	v_add_f32_e32 v136, v136, v137
	v_mul_f32_e32 v137, v130, v135
	v_fmac_f32_e32 v137, v131, v134
	v_add_f32_e32 v141, v136, v137
	ds_read2_b64 v[136:139], v140 offset0:91 offset1:92
	v_fma_f32 v1, v82, v86, -v1
	v_add_f32_e32 v0, v0, v1
	v_mul_f32_e32 v1, v89, v93
	v_fma_f32 v1, v88, v92, -v1
	s_waitcnt vmcnt(6) lgkmcnt(0)
	v_mul_f32_e32 v146, v136, v143
	v_fmac_f32_e32 v146, v137, v142
	v_add_f32_e32 v141, v141, v146
	v_mul_f32_e32 v146, v138, v145
	v_fmac_f32_e32 v146, v139, v144
	v_add_f32_e32 v141, v141, v146
	ds_read2_b64 v[146:149], v140 offset0:93 offset1:94
	v_add_f32_e32 v0, v0, v1
	v_mul_f32_e32 v1, v91, v95
	v_fma_f32 v1, v90, v94, -v1
	v_add_f32_e32 v0, v0, v1
	s_waitcnt vmcnt(5) lgkmcnt(0)
	v_mul_f32_e32 v162, v146, v159
	v_fmac_f32_e32 v162, v147, v158
	v_add_f32_e32 v141, v141, v162
	v_mul_f32_e32 v162, v148, v161
	v_fmac_f32_e32 v162, v149, v160
	v_add_f32_e32 v141, v141, v162
	ds_read2_b64 v[162:165], v140 offset0:95 offset1:96
	v_mul_f32_e32 v1, v97, v101
	v_fma_f32 v1, v96, v100, -v1
	v_add_f32_e32 v0, v0, v1
	v_mul_f32_e32 v1, v99, v103
	s_waitcnt vmcnt(4) lgkmcnt(0)
	v_mul_f32_e32 v170, v162, v167
	v_fmac_f32_e32 v170, v163, v166
	v_add_f32_e32 v141, v141, v170
	v_mul_f32_e32 v170, v164, v169
	v_fmac_f32_e32 v170, v165, v168
	v_add_f32_e32 v141, v141, v170
	ds_read2_b64 v[170:173], v140 offset0:97 offset1:98
	v_fma_f32 v1, v98, v102, -v1
	v_add_f32_e32 v0, v0, v1
	v_mul_f32_e32 v1, v105, v109
	v_fma_f32 v1, v104, v108, -v1
	s_waitcnt vmcnt(3) lgkmcnt(0)
	v_mul_f32_e32 v178, v170, v175
	v_fmac_f32_e32 v178, v171, v174
	v_add_f32_e32 v141, v141, v178
	v_mul_f32_e32 v178, v172, v177
	v_fmac_f32_e32 v178, v173, v176
	v_add_f32_e32 v141, v141, v178
	ds_read2_b64 v[178:181], v140 offset0:99 offset1:100
	v_add_f32_e32 v0, v0, v1
	v_mul_f32_e32 v1, v107, v111
	v_fma_f32 v1, v106, v110, -v1
	v_add_f32_e32 v0, v0, v1
	s_waitcnt vmcnt(2) lgkmcnt(0)
	v_mul_f32_e32 v186, v178, v183
	v_fmac_f32_e32 v186, v179, v182
	v_add_f32_e32 v141, v141, v186
	v_mul_f32_e32 v186, v180, v185
	v_fmac_f32_e32 v186, v181, v184
	v_add_f32_e32 v141, v141, v186
	ds_read2_b64 v[186:189], v140 offset0:101 offset1:102
	v_mul_f32_e32 v1, v113, v117
	v_fma_f32 v1, v112, v116, -v1
	v_add_f32_e32 v0, v0, v1
	v_mul_f32_e32 v1, v115, v119
	s_waitcnt vmcnt(1) lgkmcnt(0)
	v_mul_f32_e32 v194, v186, v191
	v_fmac_f32_e32 v194, v187, v190
	v_add_f32_e32 v215, v141, v194
	ds_read2_b64 v[194:197], v140 offset0:103 offset1:104
	scratch_load_dwordx4 v[202:205], off, off offset:392
	scratch_load_dwordx4 v[206:209], off, off offset:408
	;; [unrolled: 1-line block ×3, first 2 shown]
	scratch_load_dwordx2 v[220:221], off, off offset:440
	v_fma_f32 v1, v114, v118, -v1
	v_add_f32_e32 v0, v0, v1
	v_mul_f32_e32 v1, v121, v125
	v_fma_f32 v1, v120, v124, -v1
	v_add_f32_e32 v0, v0, v1
	v_mul_f32_e32 v1, v123, v127
	v_fma_f32 v1, v122, v126, -v1
	v_add_f32_e32 v0, v0, v1
	v_mul_f32_e32 v1, v129, v133
	v_fma_f32 v1, v128, v132, -v1
	v_add_f32_e32 v0, v0, v1
	v_mul_f32_e32 v1, v131, v135
	v_fma_f32 v1, v130, v134, -v1
	v_add_f32_e32 v0, v0, v1
	v_mul_f32_e32 v1, v137, v143
	v_fma_f32 v1, v136, v142, -v1
	v_add_f32_e32 v0, v0, v1
	v_mul_f32_e32 v1, v139, v145
	v_fma_f32 v1, v138, v144, -v1
	v_add_f32_e32 v0, v0, v1
	v_mul_f32_e32 v1, v147, v159
	v_fma_f32 v1, v146, v158, -v1
	v_add_f32_e32 v0, v0, v1
	v_mul_f32_e32 v1, v149, v161
	v_fma_f32 v1, v148, v160, -v1
	v_add_f32_e32 v0, v0, v1
	v_mul_f32_e32 v1, v163, v167
	v_fma_f32 v1, v162, v166, -v1
	v_add_f32_e32 v0, v0, v1
	v_mul_f32_e32 v1, v165, v169
	v_fma_f32 v1, v164, v168, -v1
	v_add_f32_e32 v0, v0, v1
	v_mul_f32_e32 v1, v171, v175
	v_fma_f32 v1, v170, v174, -v1
	v_add_f32_e32 v0, v0, v1
	v_mul_f32_e32 v1, v173, v177
	v_fma_f32 v1, v172, v176, -v1
	v_add_f32_e32 v0, v0, v1
	v_mul_f32_e32 v1, v179, v183
	v_fma_f32 v1, v178, v182, -v1
	v_add_f32_e32 v0, v0, v1
	v_mul_f32_e32 v1, v181, v185
	v_fma_f32 v1, v180, v184, -v1
	v_add_f32_e32 v0, v0, v1
	v_mul_f32_e32 v1, v187, v191
	v_fma_f32 v1, v186, v190, -v1
	v_add_f32_e32 v214, v0, v1
	v_mul_f32_e32 v0, v189, v193
	v_mul_f32_e32 v217, v188, v193
	v_fma_f32 v216, v188, v192, -v0
	s_waitcnt vmcnt(4) lgkmcnt(0)
	v_mul_f32_e32 v0, v195, v199
	v_mov_b32_e32 v16, v201
	v_fmac_f32_e32 v217, v189, v192
	v_mul_f32_e32 v219, v194, v199
	v_fma_f32 v218, v194, v198, -v0
	ds_read2_b64 v[0:3], v140 offset0:105 offset1:106
	ds_read2_b64 v[4:7], v140 offset0:107 offset1:108
	;; [unrolled: 1-line block ×3, first 2 shown]
	ds_read_b64 v[12:13], v140 offset:888
	v_pk_mul_f32 v[16:17], v[196:197], v[16:17] op_sel:[1,0] op_sel_hi:[0,0]
	v_fmac_f32_e32 v219, v195, v198
	v_pk_add_f32 v[14:15], v[214:215], v[216:217]
	v_pk_fma_f32 v[18:19], v[196:197], v[200:201], v[16:17] neg_lo:[0,0,1] neg_hi:[0,0,1]
	v_pk_fma_f32 v[16:17], v[196:197], v[200:201], v[16:17] op_sel_hi:[1,0,1]
	v_pk_add_f32 v[14:15], v[14:15], v[218:219]
	v_mov_b32_e32 v19, v17
	v_pk_add_f32 v[14:15], v[14:15], v[18:19]
	s_waitcnt vmcnt(3) lgkmcnt(3)
	v_pk_mul_f32 v[16:17], v[0:1], v[202:203] op_sel:[1,1] op_sel_hi:[0,1]
	v_pk_fma_f32 v[18:19], v[0:1], v[202:203], v[16:17] neg_lo:[0,0,1] neg_hi:[0,0,1]
	v_pk_fma_f32 v[0:1], v[0:1], v[202:203], v[16:17] op_sel_hi:[1,0,1]
	s_nop 0
	v_mov_b32_e32 v19, v1
	v_pk_add_f32 v[0:1], v[14:15], v[18:19]
	v_mov_b32_e32 v14, v205
	v_pk_mul_f32 v[14:15], v[2:3], v[14:15] op_sel:[1,0] op_sel_hi:[0,0]
	v_pk_fma_f32 v[16:17], v[2:3], v[204:205], v[14:15] neg_lo:[0,0,1] neg_hi:[0,0,1]
	v_pk_fma_f32 v[2:3], v[2:3], v[204:205], v[14:15] op_sel_hi:[1,0,1]
	s_nop 0
	v_mov_b32_e32 v17, v3
	s_waitcnt vmcnt(2) lgkmcnt(2)
	v_pk_mul_f32 v[2:3], v[4:5], v[206:207] op_sel:[1,1] op_sel_hi:[0,1]
	v_pk_fma_f32 v[14:15], v[4:5], v[206:207], v[2:3] neg_lo:[0,0,1] neg_hi:[0,0,1]
	v_pk_fma_f32 v[2:3], v[4:5], v[206:207], v[2:3] op_sel_hi:[1,0,1]
	v_pk_add_f32 v[0:1], v[0:1], v[16:17]
	v_mov_b32_e32 v2, v209
	v_mov_b32_e32 v15, v3
	v_pk_mul_f32 v[2:3], v[6:7], v[2:3] op_sel:[1,0] op_sel_hi:[0,0]
	v_pk_fma_f32 v[4:5], v[6:7], v[208:209], v[2:3] neg_lo:[0,0,1] neg_hi:[0,0,1]
	v_pk_fma_f32 v[2:3], v[6:7], v[208:209], v[2:3] op_sel_hi:[1,0,1]
	v_pk_add_f32 v[0:1], v[0:1], v[14:15]
	v_mov_b32_e32 v5, v3
	s_waitcnt vmcnt(1) lgkmcnt(1)
	v_pk_mul_f32 v[2:3], v[8:9], v[210:211] op_sel:[1,1] op_sel_hi:[0,1]
	v_pk_add_f32 v[0:1], v[0:1], v[4:5]
	v_pk_fma_f32 v[4:5], v[8:9], v[210:211], v[2:3] neg_lo:[0,0,1] neg_hi:[0,0,1]
	v_pk_fma_f32 v[2:3], v[8:9], v[210:211], v[2:3] op_sel_hi:[1,0,1]
	s_nop 0
	v_mov_b32_e32 v2, v213
	v_mov_b32_e32 v5, v3
	v_pk_mul_f32 v[2:3], v[10:11], v[2:3] op_sel:[1,0] op_sel_hi:[0,0]
	v_pk_add_f32 v[0:1], v[0:1], v[4:5]
	v_pk_fma_f32 v[4:5], v[10:11], v[212:213], v[2:3] neg_lo:[0,0,1] neg_hi:[0,0,1]
	v_pk_fma_f32 v[2:3], v[10:11], v[212:213], v[2:3] op_sel_hi:[1,0,1]
	s_nop 0
	v_mov_b32_e32 v5, v3
	s_waitcnt vmcnt(0) lgkmcnt(0)
	v_pk_mul_f32 v[2:3], v[12:13], v[220:221] op_sel:[1,1] op_sel_hi:[0,1]
	v_pk_add_f32 v[0:1], v[0:1], v[4:5]
	v_pk_fma_f32 v[4:5], v[12:13], v[220:221], v[2:3] neg_lo:[0,0,1] neg_hi:[0,0,1]
	v_pk_fma_f32 v[2:3], v[12:13], v[220:221], v[2:3] op_sel_hi:[1,0,1]
	s_nop 0
	v_mov_b32_e32 v5, v3
	scratch_load_dwordx2 v[2:3], off, off
	v_pk_add_f32 v[0:1], v[0:1], v[4:5]
	s_waitcnt vmcnt(0)
	v_pk_add_f32 v[0:1], v[2:3], v[0:1] neg_lo:[0,1] neg_hi:[0,1]
	scratch_store_dwordx2 off, v[0:1], off
	s_cbranch_vccz .LBB119_460
; %bb.350:
	global_load_dword v0, v140, s[8:9] offset:216
	s_waitcnt vmcnt(0)
	v_readfirstlane_b32 s0, v0
	s_add_i32 s0, s0, -1
	s_cmp_lg_u32 s0, 54
	s_cbranch_scc0 .LBB119_352
; %bb.351:
	s_lshl_b32 s0, s0, 3
	s_nop 0
	scratch_load_dwordx2 v[0:1], off, s0
	scratch_load_dwordx2 v[2:3], off, off offset:432
	s_waitcnt vmcnt(1)
	scratch_store_dwordx2 off, v[0:1], off offset:432
	s_waitcnt vmcnt(1)
	scratch_store_dwordx2 off, v[2:3], s0
.LBB119_352:
	v_mov_b32_e32 v0, 0
	global_load_dword v1, v0, s[8:9] offset:212
	s_waitcnt vmcnt(0)
	v_readfirstlane_b32 s0, v1
	s_add_i32 s0, s0, -1
	s_cmp_eq_u32 s0, 53
	s_cbranch_scc1 .LBB119_354
; %bb.353:
	s_lshl_b32 s0, s0, 3
	s_nop 0
	scratch_load_dwordx2 v[2:3], off, s0
	scratch_load_dwordx2 v[4:5], off, off offset:424
	s_waitcnt vmcnt(1)
	scratch_store_dwordx2 off, v[2:3], off offset:424
	s_waitcnt vmcnt(1)
	scratch_store_dwordx2 off, v[4:5], s0
.LBB119_354:
	global_load_dword v0, v0, s[8:9] offset:208
	s_waitcnt vmcnt(0)
	v_readfirstlane_b32 s0, v0
	s_add_i32 s0, s0, -1
	s_cmp_eq_u32 s0, 52
	s_cbranch_scc1 .LBB119_356
; %bb.355:
	s_lshl_b32 s0, s0, 3
	s_nop 0
	scratch_load_dwordx2 v[0:1], off, s0
	scratch_load_dwordx2 v[2:3], off, off offset:416
	s_waitcnt vmcnt(1)
	scratch_store_dwordx2 off, v[0:1], off offset:416
	s_waitcnt vmcnt(1)
	scratch_store_dwordx2 off, v[2:3], s0
.LBB119_356:
	v_mov_b32_e32 v0, 0
	global_load_dword v1, v0, s[8:9] offset:204
	s_waitcnt vmcnt(0)
	v_readfirstlane_b32 s0, v1
	s_add_i32 s0, s0, -1
	s_cmp_eq_u32 s0, 51
	s_cbranch_scc1 .LBB119_358
; %bb.357:
	s_lshl_b32 s0, s0, 3
	s_nop 0
	scratch_load_dwordx2 v[2:3], off, s0
	scratch_load_dwordx2 v[4:5], off, off offset:408
	s_waitcnt vmcnt(1)
	scratch_store_dwordx2 off, v[2:3], off offset:408
	s_waitcnt vmcnt(1)
	scratch_store_dwordx2 off, v[4:5], s0
.LBB119_358:
	global_load_dword v0, v0, s[8:9] offset:200
	s_waitcnt vmcnt(0)
	v_readfirstlane_b32 s0, v0
	s_add_i32 s0, s0, -1
	s_cmp_eq_u32 s0, 50
	s_cbranch_scc1 .LBB119_360
; %bb.359:
	s_lshl_b32 s0, s0, 3
	s_nop 0
	scratch_load_dwordx2 v[0:1], off, s0
	scratch_load_dwordx2 v[2:3], off, off offset:400
	s_waitcnt vmcnt(1)
	scratch_store_dwordx2 off, v[0:1], off offset:400
	s_waitcnt vmcnt(1)
	scratch_store_dwordx2 off, v[2:3], s0
.LBB119_360:
	;; [unrolled: 33-line block ×26, first 2 shown]
	v_mov_b32_e32 v0, 0
	global_load_dword v1, v0, s[8:9] offset:4
	s_waitcnt vmcnt(0)
	v_readfirstlane_b32 s0, v1
	s_add_i32 s0, s0, -1
	s_cmp_eq_u32 s0, 1
	s_cbranch_scc1 .LBB119_458
; %bb.457:
	s_lshl_b32 s0, s0, 3
	s_nop 0
	scratch_load_dwordx2 v[2:3], off, s0
	scratch_load_dwordx2 v[4:5], off, off offset:8
	s_waitcnt vmcnt(1)
	scratch_store_dwordx2 off, v[2:3], off offset:8
	s_waitcnt vmcnt(1)
	scratch_store_dwordx2 off, v[4:5], s0
.LBB119_458:
	global_load_dword v2, v0, s[8:9]
	s_nop 0
	scratch_load_dwordx2 v[0:1], off, off
	s_waitcnt vmcnt(1)
	v_readfirstlane_b32 s0, v2
	s_add_i32 s0, s0, -1
	s_cmp_eq_u32 s0, 0
	s_cbranch_scc1 .LBB119_460
; %bb.459:
	s_lshl_b32 s0, s0, 3
	s_nop 0
	scratch_load_dwordx2 v[2:3], off, s0
	s_waitcnt vmcnt(0)
	scratch_store_dwordx2 off, v[2:3], off
	scratch_store_dwordx2 off, v[0:1], s0
	scratch_load_dwordx2 v[0:1], off, off
.LBB119_460:
	s_waitcnt vmcnt(0)
	flat_store_dwordx2 v[150:151], v[0:1]
	scratch_load_dwordx2 v[0:1], off, off offset:8
	v_accvgpr_read_b32 v3, a1
	v_accvgpr_read_b32 v2, a0
	s_waitcnt vmcnt(0)
	flat_store_dwordx2 v[2:3], v[0:1]
	scratch_load_dwordx2 v[0:1], off, off offset:16
	v_accvgpr_read_b32 v2, a2
	v_accvgpr_read_b32 v3, a3
	;; [unrolled: 5-line block ×35, first 2 shown]
	s_waitcnt vmcnt(0)
	flat_store_dwordx2 v[2:3], v[0:1]
	scratch_load_dwordx2 v[0:1], off, off offset:288
	s_waitcnt vmcnt(0)
	flat_store_dwordx2 v[222:223], v[0:1]
	scratch_load_dwordx2 v[0:1], off, off offset:296
	;; [unrolled: 3-line block ×20, first 2 shown]
	s_waitcnt vmcnt(0)
	flat_store_dwordx2 v[156:157], v[0:1]
	s_endpgm
	.section	.rodata,"a",@progbits
	.p2align	6, 0x0
	.amdhsa_kernel _ZN9rocsolver6v33100L18getri_kernel_smallILi56E19rocblas_complex_numIfEPKPS3_EEvT1_iilPiilS8_bb
		.amdhsa_group_segment_fixed_size 900
		.amdhsa_private_segment_fixed_size 464
		.amdhsa_kernarg_size 60
		.amdhsa_user_sgpr_count 2
		.amdhsa_user_sgpr_dispatch_ptr 0
		.amdhsa_user_sgpr_queue_ptr 0
		.amdhsa_user_sgpr_kernarg_segment_ptr 1
		.amdhsa_user_sgpr_dispatch_id 0
		.amdhsa_user_sgpr_kernarg_preload_length 0
		.amdhsa_user_sgpr_kernarg_preload_offset 0
		.amdhsa_user_sgpr_private_segment_size 0
		.amdhsa_uses_dynamic_stack 0
		.amdhsa_enable_private_segment 1
		.amdhsa_system_sgpr_workgroup_id_x 1
		.amdhsa_system_sgpr_workgroup_id_y 0
		.amdhsa_system_sgpr_workgroup_id_z 0
		.amdhsa_system_sgpr_workgroup_info 0
		.amdhsa_system_vgpr_workitem_id 0
		.amdhsa_next_free_vgpr 326
		.amdhsa_next_free_sgpr 17
		.amdhsa_accum_offset 256
		.amdhsa_reserve_vcc 1
		.amdhsa_float_round_mode_32 0
		.amdhsa_float_round_mode_16_64 0
		.amdhsa_float_denorm_mode_32 3
		.amdhsa_float_denorm_mode_16_64 3
		.amdhsa_dx10_clamp 1
		.amdhsa_ieee_mode 1
		.amdhsa_fp16_overflow 0
		.amdhsa_tg_split 0
		.amdhsa_exception_fp_ieee_invalid_op 0
		.amdhsa_exception_fp_denorm_src 0
		.amdhsa_exception_fp_ieee_div_zero 0
		.amdhsa_exception_fp_ieee_overflow 0
		.amdhsa_exception_fp_ieee_underflow 0
		.amdhsa_exception_fp_ieee_inexact 0
		.amdhsa_exception_int_div_zero 0
	.end_amdhsa_kernel
	.section	.text._ZN9rocsolver6v33100L18getri_kernel_smallILi56E19rocblas_complex_numIfEPKPS3_EEvT1_iilPiilS8_bb,"axG",@progbits,_ZN9rocsolver6v33100L18getri_kernel_smallILi56E19rocblas_complex_numIfEPKPS3_EEvT1_iilPiilS8_bb,comdat
.Lfunc_end119:
	.size	_ZN9rocsolver6v33100L18getri_kernel_smallILi56E19rocblas_complex_numIfEPKPS3_EEvT1_iilPiilS8_bb, .Lfunc_end119-_ZN9rocsolver6v33100L18getri_kernel_smallILi56E19rocblas_complex_numIfEPKPS3_EEvT1_iilPiilS8_bb
                                        ; -- End function
	.set _ZN9rocsolver6v33100L18getri_kernel_smallILi56E19rocblas_complex_numIfEPKPS3_EEvT1_iilPiilS8_bb.num_vgpr, 256
	.set _ZN9rocsolver6v33100L18getri_kernel_smallILi56E19rocblas_complex_numIfEPKPS3_EEvT1_iilPiilS8_bb.num_agpr, 70
	.set _ZN9rocsolver6v33100L18getri_kernel_smallILi56E19rocblas_complex_numIfEPKPS3_EEvT1_iilPiilS8_bb.numbered_sgpr, 17
	.set _ZN9rocsolver6v33100L18getri_kernel_smallILi56E19rocblas_complex_numIfEPKPS3_EEvT1_iilPiilS8_bb.num_named_barrier, 0
	.set _ZN9rocsolver6v33100L18getri_kernel_smallILi56E19rocblas_complex_numIfEPKPS3_EEvT1_iilPiilS8_bb.private_seg_size, 464
	.set _ZN9rocsolver6v33100L18getri_kernel_smallILi56E19rocblas_complex_numIfEPKPS3_EEvT1_iilPiilS8_bb.uses_vcc, 1
	.set _ZN9rocsolver6v33100L18getri_kernel_smallILi56E19rocblas_complex_numIfEPKPS3_EEvT1_iilPiilS8_bb.uses_flat_scratch, 0
	.set _ZN9rocsolver6v33100L18getri_kernel_smallILi56E19rocblas_complex_numIfEPKPS3_EEvT1_iilPiilS8_bb.has_dyn_sized_stack, 0
	.set _ZN9rocsolver6v33100L18getri_kernel_smallILi56E19rocblas_complex_numIfEPKPS3_EEvT1_iilPiilS8_bb.has_recursion, 0
	.set _ZN9rocsolver6v33100L18getri_kernel_smallILi56E19rocblas_complex_numIfEPKPS3_EEvT1_iilPiilS8_bb.has_indirect_call, 0
	.section	.AMDGPU.csdata,"",@progbits
; Kernel info:
; codeLenInByte = 89688
; TotalNumSgprs: 23
; NumVgprs: 256
; NumAgprs: 70
; TotalNumVgprs: 326
; ScratchSize: 464
; MemoryBound: 0
; FloatMode: 240
; IeeeMode: 1
; LDSByteSize: 900 bytes/workgroup (compile time only)
; SGPRBlocks: 2
; VGPRBlocks: 40
; NumSGPRsForWavesPerEU: 23
; NumVGPRsForWavesPerEU: 326
; AccumOffset: 256
; Occupancy: 1
; WaveLimiterHint : 1
; COMPUTE_PGM_RSRC2:SCRATCH_EN: 1
; COMPUTE_PGM_RSRC2:USER_SGPR: 2
; COMPUTE_PGM_RSRC2:TRAP_HANDLER: 0
; COMPUTE_PGM_RSRC2:TGID_X_EN: 1
; COMPUTE_PGM_RSRC2:TGID_Y_EN: 0
; COMPUTE_PGM_RSRC2:TGID_Z_EN: 0
; COMPUTE_PGM_RSRC2:TIDIG_COMP_CNT: 0
; COMPUTE_PGM_RSRC3_GFX90A:ACCUM_OFFSET: 63
; COMPUTE_PGM_RSRC3_GFX90A:TG_SPLIT: 0
	.section	.text._ZN9rocsolver6v33100L18getri_kernel_smallILi57E19rocblas_complex_numIfEPKPS3_EEvT1_iilPiilS8_bb,"axG",@progbits,_ZN9rocsolver6v33100L18getri_kernel_smallILi57E19rocblas_complex_numIfEPKPS3_EEvT1_iilPiilS8_bb,comdat
	.globl	_ZN9rocsolver6v33100L18getri_kernel_smallILi57E19rocblas_complex_numIfEPKPS3_EEvT1_iilPiilS8_bb ; -- Begin function _ZN9rocsolver6v33100L18getri_kernel_smallILi57E19rocblas_complex_numIfEPKPS3_EEvT1_iilPiilS8_bb
	.p2align	8
	.type	_ZN9rocsolver6v33100L18getri_kernel_smallILi57E19rocblas_complex_numIfEPKPS3_EEvT1_iilPiilS8_bb,@function
_ZN9rocsolver6v33100L18getri_kernel_smallILi57E19rocblas_complex_numIfEPKPS3_EEvT1_iilPiilS8_bb: ; @_ZN9rocsolver6v33100L18getri_kernel_smallILi57E19rocblas_complex_numIfEPKPS3_EEvT1_iilPiilS8_bb
; %bb.0:
	v_cmp_gt_u32_e32 vcc, 57, v0
	s_and_saveexec_b64 s[4:5], vcc
	s_cbranch_execz .LBB120_242
; %bb.1:
	s_load_dword s14, s[0:1], 0x38
	s_load_dwordx2 s[8:9], s[0:1], 0x0
	s_load_dwordx4 s[4:7], s[0:1], 0x28
	s_waitcnt lgkmcnt(0)
	s_bitcmp1_b32 s14, 8
	s_cselect_b64 s[10:11], -1, 0
	s_ashr_i32 s3, s2, 31
	s_lshl_b64 s[12:13], s[2:3], 3
	s_add_u32 s8, s8, s12
	s_addc_u32 s9, s9, s13
	s_load_dwordx2 s[12:13], s[8:9], 0x0
	s_bfe_u32 s8, s14, 0x10008
	s_cmp_eq_u32 s8, 0
                                        ; implicit-def: $sgpr8_sgpr9
	s_cbranch_scc1 .LBB120_3
; %bb.2:
	s_load_dword s8, s[0:1], 0x20
	s_load_dwordx2 s[14:15], s[0:1], 0x18
	s_mul_i32 s9, s4, s3
	s_mul_hi_u32 s16, s4, s2
	s_add_i32 s16, s16, s9
	s_mul_i32 s5, s5, s2
	s_add_i32 s5, s16, s5
	s_mul_i32 s4, s4, s2
	s_waitcnt lgkmcnt(0)
	s_ashr_i32 s9, s8, 31
	s_lshl_b64 s[4:5], s[4:5], 2
	s_add_u32 s14, s14, s4
	s_addc_u32 s15, s15, s5
	s_lshl_b64 s[4:5], s[8:9], 2
	s_add_u32 s8, s14, s4
	s_addc_u32 s9, s15, s5
.LBB120_3:
	s_load_dwordx2 s[4:5], s[0:1], 0x8
	s_load_dword s14, s[0:1], 0x38
	v_lshlrev_b32_e32 v2, 3, v0
	v_mov_b32_e32 v3, 0
	s_waitcnt lgkmcnt(0)
	s_ashr_i32 s1, s4, 31
	s_mov_b32 s0, s4
	s_lshl_b64 s[0:1], s[0:1], 3
	s_add_u32 s0, s12, s0
	s_addc_u32 s1, s13, s1
	v_lshl_add_u64 v[150:151], s[0:1], 0, v[2:3]
	flat_load_dwordx2 v[4:5], v[150:151]
	s_mov_b32 s12, s5
	s_ashr_i32 s13, s5, 31
	v_lshl_add_u64 v[6:7], s[12:13], 3, v[150:151]
	v_accvgpr_write_b32 a0, v6
	s_add_i32 s4, s5, s5
	v_accvgpr_write_b32 a1, v7
	s_bitcmp0_b32 s14, 0
	s_waitcnt vmcnt(0) lgkmcnt(0)
	scratch_store_dwordx2 off, v[4:5], off
	flat_load_dwordx2 v[4:5], v[6:7]
	v_add_u32_e32 v6, s4, v0
	v_ashrrev_i32_e32 v7, 31, v6
	v_lshl_add_u64 v[8:9], v[6:7], 3, s[0:1]
	v_add_u32_e32 v6, s5, v6
	v_accvgpr_write_b32 a2, v8
	v_ashrrev_i32_e32 v7, 31, v6
	v_accvgpr_write_b32 a3, v9
	s_waitcnt vmcnt(0) lgkmcnt(0)
	scratch_store_dwordx2 off, v[4:5], off offset:8
	flat_load_dwordx2 v[4:5], v[8:9]
	v_lshl_add_u64 v[8:9], v[6:7], 3, s[0:1]
	v_add_u32_e32 v6, s5, v6
	v_accvgpr_write_b32 a4, v8
	v_ashrrev_i32_e32 v7, 31, v6
	v_accvgpr_write_b32 a5, v9
	s_waitcnt vmcnt(0) lgkmcnt(0)
	scratch_store_dwordx2 off, v[4:5], off offset:16
	flat_load_dwordx2 v[4:5], v[8:9]
	;; [unrolled: 8-line block ×35, first 2 shown]
	v_lshl_add_u64 v[8:9], v[6:7], 3, s[0:1]
	v_add_u32_e32 v6, s5, v6
	v_ashrrev_i32_e32 v7, 31, v6
	v_lshl_add_u64 v[226:227], v[6:7], 3, s[0:1]
	v_add_u32_e32 v6, s5, v6
	v_ashrrev_i32_e32 v7, 31, v6
	;; [unrolled: 3-line block ×19, first 2 shown]
	v_lshl_add_u64 v[158:159], v[6:7], 3, s[0:1]
	v_accvgpr_write_b32 a73, v9
	v_accvgpr_write_b32 a72, v8
	s_mov_b64 s[4:5], -1
	s_waitcnt vmcnt(0) lgkmcnt(0)
	scratch_store_dwordx2 off, v[4:5], off offset:288
	flat_load_dwordx2 v[4:5], v[8:9]
	s_waitcnt vmcnt(0) lgkmcnt(0)
	scratch_store_dwordx2 off, v[4:5], off offset:296
	flat_load_dwordx2 v[4:5], v[226:227]
	;; [unrolled: 3-line block ×20, first 2 shown]
	s_waitcnt vmcnt(0) lgkmcnt(0)
	scratch_store_dwordx2 off, v[4:5], off offset:448
	s_cbranch_scc1 .LBB120_240
; %bb.4:
	v_cmp_eq_u32_e64 s[0:1], 0, v0
	s_and_saveexec_b64 s[4:5], s[0:1]
; %bb.5:
	v_mov_b32_e32 v1, 0
	ds_write_b32 v1, v1 offset:456
; %bb.6:
	s_or_b64 exec, exec, s[4:5]
	s_waitcnt lgkmcnt(0)
	; wave barrier
	scratch_load_dwordx2 v[4:5], v2, off
	s_waitcnt vmcnt(0)
	v_cmp_eq_f32_e32 vcc, 0, v4
	v_cmp_eq_f32_e64 s[4:5], 0, v5
	s_and_b64 s[4:5], vcc, s[4:5]
	s_and_saveexec_b64 s[12:13], s[4:5]
	s_cbranch_execz .LBB120_10
; %bb.7:
	v_mov_b32_e32 v1, 0
	ds_read_b32 v4, v1 offset:456
	v_add_u32_e32 v3, 1, v0
	s_waitcnt lgkmcnt(0)
	v_readfirstlane_b32 s4, v4
	s_cmp_eq_u32 s4, 0
	s_cselect_b64 s[14:15], -1, 0
	v_cmp_gt_i32_e32 vcc, s4, v3
	s_or_b64 s[14:15], s[14:15], vcc
	s_and_b64 exec, exec, s[14:15]
	s_cbranch_execz .LBB120_10
; %bb.8:
	s_mov_b64 s[14:15], 0
	v_mov_b32_e32 v4, s4
.LBB120_9:                              ; =>This Inner Loop Header: Depth=1
	ds_cmpst_rtn_b32 v4, v1, v4, v3 offset:456
	s_waitcnt lgkmcnt(0)
	v_cmp_ne_u32_e32 vcc, 0, v4
	v_cmp_le_i32_e64 s[4:5], v4, v3
	s_and_b64 s[4:5], vcc, s[4:5]
	s_and_b64 s[4:5], exec, s[4:5]
	s_or_b64 s[14:15], s[4:5], s[14:15]
	s_andn2_b64 exec, exec, s[14:15]
	s_cbranch_execnz .LBB120_9
.LBB120_10:
	s_or_b64 exec, exec, s[12:13]
	v_mov_b32_e32 v3, 0
	; wave barrier
	ds_read_b32 v1, v3 offset:456
	s_and_saveexec_b64 s[4:5], s[0:1]
	s_cbranch_execz .LBB120_12
; %bb.11:
	s_lshl_b64 s[12:13], s[2:3], 2
	s_add_u32 s12, s6, s12
	s_addc_u32 s13, s7, s13
	s_waitcnt lgkmcnt(0)
	global_store_dword v3, v1, s[12:13]
.LBB120_12:
	s_or_b64 exec, exec, s[4:5]
	s_waitcnt lgkmcnt(0)
	v_cmp_ne_u32_e32 vcc, 0, v1
	s_mov_b64 s[4:5], 0
	s_cbranch_vccnz .LBB120_240
; %bb.13:
	v_mov_b32_e32 v3, v2
	scratch_load_dwordx2 v[4:5], v3, off
                                        ; implicit-def: $vgpr7
                                        ; implicit-def: $vgpr8
	s_waitcnt vmcnt(0)
	v_cmp_ngt_f32_e64 s[4:5], |v4|, |v5|
	s_and_saveexec_b64 s[12:13], s[4:5]
	s_xor_b64 s[4:5], exec, s[12:13]
	s_cbranch_execz .LBB120_15
; %bb.14:
	v_div_scale_f32 v1, s[12:13], v5, v5, v4
	v_rcp_f32_e32 v6, v1
	v_div_scale_f32 v7, vcc, v4, v5, v4
	v_fma_f32 v8, -v1, v6, 1.0
	v_fmac_f32_e32 v6, v8, v6
	v_mul_f32_e32 v8, v7, v6
	v_fma_f32 v9, -v1, v8, v7
	v_fmac_f32_e32 v8, v9, v6
	v_fma_f32 v1, -v1, v8, v7
	v_div_fmas_f32 v1, v1, v6, v8
	v_div_fixup_f32 v1, v1, v5, v4
	v_fmac_f32_e32 v5, v4, v1
	v_div_scale_f32 v4, s[12:13], v5, v5, -1.0
	v_rcp_f32_e32 v6, v4
	s_nop 0
	v_fma_f32 v7, -v4, v6, 1.0
	v_fmac_f32_e32 v6, v7, v6
	v_div_scale_f32 v7, vcc, -1.0, v5, -1.0
	v_mul_f32_e32 v8, v7, v6
	v_fma_f32 v9, -v4, v8, v7
	v_fmac_f32_e32 v8, v9, v6
	v_fma_f32 v4, -v4, v8, v7
	v_div_fmas_f32 v4, v4, v6, v8
	v_div_fixup_f32 v7, v4, v5, -1.0
	v_mul_f32_e32 v8, v1, v7
	v_xor_b32_e32 v6, 0x80000000, v8
                                        ; implicit-def: $vgpr4_vgpr5
.LBB120_15:
	s_andn2_saveexec_b64 s[4:5], s[4:5]
	s_cbranch_execz .LBB120_17
; %bb.16:
	v_div_scale_f32 v1, s[12:13], v4, v4, v5
	v_rcp_f32_e32 v6, v1
	v_div_scale_f32 v7, vcc, v5, v4, v5
	v_fma_f32 v8, -v1, v6, 1.0
	v_fmac_f32_e32 v6, v8, v6
	v_mul_f32_e32 v8, v7, v6
	v_fma_f32 v9, -v1, v8, v7
	v_fmac_f32_e32 v8, v9, v6
	v_fma_f32 v1, -v1, v8, v7
	v_div_fmas_f32 v1, v1, v6, v8
	v_div_fixup_f32 v1, v1, v4, v5
	v_fmac_f32_e32 v4, v5, v1
	v_div_scale_f32 v5, s[12:13], v4, v4, 1.0
	v_rcp_f32_e32 v6, v5
	s_nop 0
	v_fma_f32 v7, -v5, v6, 1.0
	v_fmac_f32_e32 v6, v7, v6
	v_div_scale_f32 v7, vcc, 1.0, v4, 1.0
	v_mul_f32_e32 v8, v7, v6
	v_fma_f32 v9, -v5, v8, v7
	v_fmac_f32_e32 v8, v9, v6
	v_fma_f32 v5, -v5, v8, v7
	v_div_fmas_f32 v5, v5, v6, v8
	v_div_fixup_f32 v6, v5, v4, 1.0
	v_xor_b32_e32 v8, 0x80000000, v6
	v_mul_f32_e64 v7, v1, -v6
.LBB120_17:
	s_or_b64 exec, exec, s[4:5]
	scratch_store_dwordx2 v3, v[6:7], off
	scratch_load_dwordx2 v[4:5], off, off offset:8
	v_xor_b32_e32 v9, 0x80000000, v7
	v_add_u32_e32 v1, 0x1d0, v2
	s_waitcnt vmcnt(0)
	ds_write2_b64 v2, v[8:9], v[4:5] offset1:58
	s_waitcnt lgkmcnt(0)
	; wave barrier
	s_and_saveexec_b64 s[4:5], s[0:1]
	s_cbranch_execz .LBB120_19
; %bb.18:
	scratch_load_dwordx2 v[4:5], v3, off
	ds_read_b64 v[6:7], v1
	v_mov_b32_e32 v8, 0
	ds_read_b64 v[8:9], v8 offset:8
	s_waitcnt vmcnt(0) lgkmcnt(1)
	v_pk_mul_f32 v[10:11], v[6:7], v[4:5] op_sel:[1,1] op_sel_hi:[0,1]
	v_pk_fma_f32 v[12:13], v[6:7], v[4:5], v[10:11] neg_lo:[0,0,1] neg_hi:[0,0,1]
	v_pk_fma_f32 v[4:5], v[6:7], v[4:5], v[10:11] op_sel_hi:[1,0,1]
	s_nop 0
	v_mov_b32_e32 v13, v5
	v_pk_add_f32 v[4:5], v[12:13], 0 op_sel_hi:[1,0]
	s_waitcnt lgkmcnt(0)
	v_pk_mul_f32 v[6:7], v[4:5], v[8:9] op_sel:[1,1] op_sel_hi:[0,1]
	v_pk_fma_f32 v[10:11], v[4:5], v[8:9], v[6:7] neg_lo:[0,0,1] neg_hi:[0,0,1]
	v_pk_fma_f32 v[4:5], v[4:5], v[8:9], v[6:7] op_sel_hi:[1,0,1]
	s_nop 0
	v_mov_b32_e32 v11, v5
	scratch_store_dwordx2 off, v[10:11], off offset:8
.LBB120_19:
	s_or_b64 exec, exec, s[4:5]
	; wave barrier
	scratch_load_dwordx2 v[4:5], off, off offset:16
	v_cmp_gt_u32_e32 vcc, 2, v0
	s_waitcnt vmcnt(0)
	ds_write_b64 v1, v[4:5]
	s_waitcnt lgkmcnt(0)
	; wave barrier
	s_and_saveexec_b64 s[4:5], vcc
	s_cbranch_execz .LBB120_23
; %bb.20:
	scratch_load_dwordx2 v[4:5], v3, off
	ds_read_b64 v[6:7], v1
	s_waitcnt vmcnt(0) lgkmcnt(0)
	v_pk_mul_f32 v[8:9], v[6:7], v[4:5] op_sel:[1,1] op_sel_hi:[0,1]
	v_pk_fma_f32 v[10:11], v[6:7], v[4:5], v[8:9] neg_lo:[0,0,1] neg_hi:[0,0,1]
	v_pk_fma_f32 v[4:5], v[6:7], v[4:5], v[8:9] op_sel_hi:[1,0,1]
	s_nop 0
	v_mov_b32_e32 v11, v5
	v_pk_add_f32 v[4:5], v[10:11], 0 op_sel_hi:[1,0]
	s_and_saveexec_b64 s[12:13], s[0:1]
	s_cbranch_execz .LBB120_22
; %bb.21:
	scratch_load_dwordx2 v[6:7], off, off offset:8
	v_mov_b32_e32 v3, 0
	ds_read_b64 v[8:9], v3 offset:472
	s_waitcnt vmcnt(0) lgkmcnt(0)
	v_pk_mul_f32 v[10:11], v[8:9], v[6:7] op_sel:[1,1] op_sel_hi:[0,1]
	v_pk_fma_f32 v[12:13], v[8:9], v[6:7], v[10:11] neg_lo:[0,0,1] neg_hi:[0,0,1]
	v_pk_fma_f32 v[6:7], v[8:9], v[6:7], v[10:11] op_sel_hi:[1,0,1]
	s_nop 0
	v_mov_b32_e32 v13, v7
	v_pk_add_f32 v[4:5], v[4:5], v[12:13]
.LBB120_22:
	s_or_b64 exec, exec, s[12:13]
	v_mov_b32_e32 v3, 0
	ds_read_b64 v[6:7], v3 offset:16
	s_waitcnt lgkmcnt(0)
	v_pk_mul_f32 v[8:9], v[4:5], v[6:7] op_sel:[1,1] op_sel_hi:[0,1]
	v_pk_fma_f32 v[10:11], v[4:5], v[6:7], v[8:9] neg_lo:[0,0,1] neg_hi:[0,0,1]
	v_pk_fma_f32 v[4:5], v[4:5], v[6:7], v[8:9] op_sel_hi:[1,0,1]
	s_nop 0
	v_mov_b32_e32 v11, v5
	scratch_store_dwordx2 off, v[10:11], off offset:16
.LBB120_23:
	s_or_b64 exec, exec, s[4:5]
	; wave barrier
	scratch_load_dwordx2 v[4:5], off, off offset:24
	v_cmp_gt_u32_e32 vcc, 3, v0
	v_add_u32_e32 v6, -1, v0
	s_waitcnt vmcnt(0)
	ds_write_b64 v1, v[4:5]
	s_waitcnt lgkmcnt(0)
	; wave barrier
	s_and_saveexec_b64 s[0:1], vcc
	s_cbranch_execz .LBB120_27
; %bb.24:
	v_mov_b32_e32 v4, 0
	v_add_u32_e32 v3, -1, v0
	v_add_u32_e32 v7, 0x1d0, v2
	v_mov_b32_e32 v8, v2
	s_mov_b64 s[4:5], 0
	v_mov_b32_e32 v5, v4
.LBB120_25:                             ; =>This Inner Loop Header: Depth=1
	scratch_load_dwordx2 v[10:11], v8, off
	ds_read_b64 v[12:13], v7
	v_add_u32_e32 v3, 1, v3
	v_cmp_lt_u32_e32 vcc, 1, v3
	v_add_u32_e32 v7, 8, v7
	v_add_u32_e32 v8, 8, v8
	s_or_b64 s[4:5], vcc, s[4:5]
	s_waitcnt vmcnt(0) lgkmcnt(0)
	v_pk_mul_f32 v[14:15], v[12:13], v[10:11] op_sel:[1,1] op_sel_hi:[0,1]
	v_pk_fma_f32 v[16:17], v[12:13], v[10:11], v[14:15] neg_lo:[0,0,1] neg_hi:[0,0,1]
	v_pk_fma_f32 v[10:11], v[12:13], v[10:11], v[14:15] op_sel_hi:[1,0,1]
	s_nop 0
	v_mov_b32_e32 v17, v11
	v_pk_add_f32 v[4:5], v[4:5], v[16:17]
	s_andn2_b64 exec, exec, s[4:5]
	s_cbranch_execnz .LBB120_25
; %bb.26:
	s_or_b64 exec, exec, s[4:5]
	v_mov_b32_e32 v3, 0
	ds_read_b64 v[8:9], v3 offset:24
	s_waitcnt lgkmcnt(0)
	v_pk_mul_f32 v[10:11], v[4:5], v[8:9] op_sel:[1,1] op_sel_hi:[0,1]
	v_pk_fma_f32 v[12:13], v[4:5], v[8:9], v[10:11] neg_lo:[0,0,1] neg_hi:[0,0,1]
	v_pk_fma_f32 v[4:5], v[4:5], v[8:9], v[10:11] op_sel_hi:[1,0,1]
	s_nop 0
	v_mov_b32_e32 v13, v5
	scratch_store_dwordx2 off, v[12:13], off offset:24
.LBB120_27:
	s_or_b64 exec, exec, s[0:1]
	; wave barrier
	scratch_load_dwordx2 v[4:5], off, off offset:32
	v_cmp_gt_u32_e32 vcc, 4, v0
	s_waitcnt vmcnt(0)
	ds_write_b64 v1, v[4:5]
	s_waitcnt lgkmcnt(0)
	; wave barrier
	s_and_saveexec_b64 s[0:1], vcc
	s_cbranch_execz .LBB120_31
; %bb.28:
	v_mov_b32_e32 v4, 0
	v_add_u32_e32 v3, -1, v0
	v_add_u32_e32 v7, 0x1d0, v2
	v_mov_b32_e32 v8, v2
	s_mov_b64 s[4:5], 0
	v_mov_b32_e32 v5, v4
.LBB120_29:                             ; =>This Inner Loop Header: Depth=1
	scratch_load_dwordx2 v[10:11], v8, off
	ds_read_b64 v[12:13], v7
	v_add_u32_e32 v3, 1, v3
	v_cmp_lt_u32_e32 vcc, 2, v3
	v_add_u32_e32 v7, 8, v7
	v_add_u32_e32 v8, 8, v8
	s_or_b64 s[4:5], vcc, s[4:5]
	s_waitcnt vmcnt(0) lgkmcnt(0)
	v_pk_mul_f32 v[14:15], v[12:13], v[10:11] op_sel:[1,1] op_sel_hi:[0,1]
	v_pk_fma_f32 v[16:17], v[12:13], v[10:11], v[14:15] neg_lo:[0,0,1] neg_hi:[0,0,1]
	v_pk_fma_f32 v[10:11], v[12:13], v[10:11], v[14:15] op_sel_hi:[1,0,1]
	s_nop 0
	v_mov_b32_e32 v17, v11
	v_pk_add_f32 v[4:5], v[4:5], v[16:17]
	s_andn2_b64 exec, exec, s[4:5]
	s_cbranch_execnz .LBB120_29
; %bb.30:
	s_or_b64 exec, exec, s[4:5]
	v_mov_b32_e32 v3, 0
	ds_read_b64 v[8:9], v3 offset:32
	s_waitcnt lgkmcnt(0)
	v_pk_mul_f32 v[10:11], v[4:5], v[8:9] op_sel:[1,1] op_sel_hi:[0,1]
	v_pk_fma_f32 v[12:13], v[4:5], v[8:9], v[10:11] neg_lo:[0,0,1] neg_hi:[0,0,1]
	v_pk_fma_f32 v[4:5], v[4:5], v[8:9], v[10:11] op_sel_hi:[1,0,1]
	s_nop 0
	v_mov_b32_e32 v13, v5
	scratch_store_dwordx2 off, v[12:13], off offset:32
.LBB120_31:
	s_or_b64 exec, exec, s[0:1]
	; wave barrier
	scratch_load_dwordx2 v[4:5], off, off offset:40
	v_cmp_gt_u32_e32 vcc, 5, v0
	;; [unrolled: 46-line block ×19, first 2 shown]
	s_waitcnt vmcnt(0)
	ds_write_b64 v1, v[4:5]
	s_waitcnt lgkmcnt(0)
	; wave barrier
	s_and_saveexec_b64 s[0:1], vcc
	s_cbranch_execz .LBB120_103
; %bb.100:
	v_mov_b32_e32 v4, 0
	v_add_u32_e32 v3, -1, v0
	v_add_u32_e32 v7, 0x1d0, v2
	v_mov_b32_e32 v8, v2
	s_mov_b64 s[4:5], 0
	v_mov_b32_e32 v5, v4
.LBB120_101:                            ; =>This Inner Loop Header: Depth=1
	scratch_load_dwordx2 v[10:11], v8, off
	ds_read_b64 v[12:13], v7
	v_add_u32_e32 v3, 1, v3
	v_cmp_lt_u32_e32 vcc, 20, v3
	v_add_u32_e32 v7, 8, v7
	v_add_u32_e32 v8, 8, v8
	s_or_b64 s[4:5], vcc, s[4:5]
	s_waitcnt vmcnt(0) lgkmcnt(0)
	v_pk_mul_f32 v[14:15], v[12:13], v[10:11] op_sel:[1,1] op_sel_hi:[0,1]
	v_pk_fma_f32 v[16:17], v[12:13], v[10:11], v[14:15] neg_lo:[0,0,1] neg_hi:[0,0,1]
	v_pk_fma_f32 v[10:11], v[12:13], v[10:11], v[14:15] op_sel_hi:[1,0,1]
	s_nop 0
	v_mov_b32_e32 v17, v11
	v_pk_add_f32 v[4:5], v[4:5], v[16:17]
	s_andn2_b64 exec, exec, s[4:5]
	s_cbranch_execnz .LBB120_101
; %bb.102:
	s_or_b64 exec, exec, s[4:5]
	v_mov_b32_e32 v3, 0
	ds_read_b64 v[8:9], v3 offset:176
	s_waitcnt lgkmcnt(0)
	v_pk_mul_f32 v[10:11], v[4:5], v[8:9] op_sel:[1,1] op_sel_hi:[0,1]
	v_pk_fma_f32 v[12:13], v[4:5], v[8:9], v[10:11] neg_lo:[0,0,1] neg_hi:[0,0,1]
	v_pk_fma_f32 v[4:5], v[4:5], v[8:9], v[10:11] op_sel_hi:[1,0,1]
	s_nop 0
	v_mov_b32_e32 v13, v5
	scratch_store_dwordx2 off, v[12:13], off offset:176
.LBB120_103:
	s_or_b64 exec, exec, s[0:1]
	; wave barrier
	scratch_load_dwordx2 v[4:5], off, off offset:184
	v_cmp_gt_u32_e32 vcc, 23, v0
	s_waitcnt vmcnt(0)
	ds_write_b64 v1, v[4:5]
	s_waitcnt lgkmcnt(0)
	; wave barrier
	s_and_saveexec_b64 s[0:1], vcc
	s_cbranch_execz .LBB120_107
; %bb.104:
	v_mov_b32_e32 v4, 0
	v_add_u32_e32 v3, -1, v0
	v_add_u32_e32 v7, 0x1d0, v2
	v_mov_b32_e32 v8, v2
	s_mov_b64 s[4:5], 0
	v_mov_b32_e32 v5, v4
.LBB120_105:                            ; =>This Inner Loop Header: Depth=1
	scratch_load_dwordx2 v[10:11], v8, off
	ds_read_b64 v[12:13], v7
	v_add_u32_e32 v3, 1, v3
	v_cmp_lt_u32_e32 vcc, 21, v3
	v_add_u32_e32 v7, 8, v7
	v_add_u32_e32 v8, 8, v8
	s_or_b64 s[4:5], vcc, s[4:5]
	s_waitcnt vmcnt(0) lgkmcnt(0)
	v_pk_mul_f32 v[14:15], v[12:13], v[10:11] op_sel:[1,1] op_sel_hi:[0,1]
	v_pk_fma_f32 v[16:17], v[12:13], v[10:11], v[14:15] neg_lo:[0,0,1] neg_hi:[0,0,1]
	v_pk_fma_f32 v[10:11], v[12:13], v[10:11], v[14:15] op_sel_hi:[1,0,1]
	s_nop 0
	v_mov_b32_e32 v17, v11
	v_pk_add_f32 v[4:5], v[4:5], v[16:17]
	s_andn2_b64 exec, exec, s[4:5]
	s_cbranch_execnz .LBB120_105
; %bb.106:
	s_or_b64 exec, exec, s[4:5]
	v_mov_b32_e32 v3, 0
	ds_read_b64 v[8:9], v3 offset:184
	s_waitcnt lgkmcnt(0)
	v_pk_mul_f32 v[10:11], v[4:5], v[8:9] op_sel:[1,1] op_sel_hi:[0,1]
	v_pk_fma_f32 v[12:13], v[4:5], v[8:9], v[10:11] neg_lo:[0,0,1] neg_hi:[0,0,1]
	v_pk_fma_f32 v[4:5], v[4:5], v[8:9], v[10:11] op_sel_hi:[1,0,1]
	s_nop 0
	v_mov_b32_e32 v13, v5
	scratch_store_dwordx2 off, v[12:13], off offset:184
.LBB120_107:
	s_or_b64 exec, exec, s[0:1]
	; wave barrier
	scratch_load_dwordx2 v[4:5], off, off offset:192
	v_cmp_gt_u32_e32 vcc, 24, v0
	;; [unrolled: 46-line block ×33, first 2 shown]
	s_waitcnt vmcnt(0)
	ds_write_b64 v1, v[4:5]
	s_waitcnt lgkmcnt(0)
	; wave barrier
	s_and_saveexec_b64 s[0:1], vcc
	s_cbranch_execz .LBB120_235
; %bb.232:
	v_mov_b32_e32 v4, 0
	v_add_u32_e32 v3, -1, v0
	v_add_u32_e32 v7, 0x1d0, v2
	v_mov_b32_e32 v8, v2
	s_mov_b64 s[4:5], 0
	v_mov_b32_e32 v5, v4
.LBB120_233:                            ; =>This Inner Loop Header: Depth=1
	scratch_load_dwordx2 v[10:11], v8, off
	ds_read_b64 v[12:13], v7
	v_add_u32_e32 v3, 1, v3
	v_cmp_lt_u32_e32 vcc, 53, v3
	v_add_u32_e32 v7, 8, v7
	v_add_u32_e32 v8, 8, v8
	s_or_b64 s[4:5], vcc, s[4:5]
	s_waitcnt vmcnt(0) lgkmcnt(0)
	v_pk_mul_f32 v[14:15], v[12:13], v[10:11] op_sel:[1,1] op_sel_hi:[0,1]
	v_pk_fma_f32 v[16:17], v[12:13], v[10:11], v[14:15] neg_lo:[0,0,1] neg_hi:[0,0,1]
	v_pk_fma_f32 v[10:11], v[12:13], v[10:11], v[14:15] op_sel_hi:[1,0,1]
	s_nop 0
	v_mov_b32_e32 v17, v11
	v_pk_add_f32 v[4:5], v[4:5], v[16:17]
	s_andn2_b64 exec, exec, s[4:5]
	s_cbranch_execnz .LBB120_233
; %bb.234:
	s_or_b64 exec, exec, s[4:5]
	v_mov_b32_e32 v3, 0
	ds_read_b64 v[8:9], v3 offset:440
	s_waitcnt lgkmcnt(0)
	v_pk_mul_f32 v[10:11], v[4:5], v[8:9] op_sel:[1,1] op_sel_hi:[0,1]
	v_pk_fma_f32 v[12:13], v[4:5], v[8:9], v[10:11] neg_lo:[0,0,1] neg_hi:[0,0,1]
	v_pk_fma_f32 v[4:5], v[4:5], v[8:9], v[10:11] op_sel_hi:[1,0,1]
	s_nop 0
	v_mov_b32_e32 v13, v5
	scratch_store_dwordx2 off, v[12:13], off offset:440
.LBB120_235:
	s_or_b64 exec, exec, s[0:1]
	; wave barrier
	scratch_load_dwordx2 v[4:5], off, off offset:448
	v_cmp_ne_u32_e32 vcc, 56, v0
	s_waitcnt vmcnt(0)
	ds_write_b64 v1, v[4:5]
	s_waitcnt lgkmcnt(0)
	; wave barrier
	s_and_saveexec_b64 s[0:1], vcc
	s_cbranch_execz .LBB120_239
; %bb.236:
	v_add_u32_e32 v1, 0x1d0, v2
	v_mov_b32_e32 v4, v2
	v_mov_b32_e32 v2, 0
	s_mov_b64 s[4:5], 0
	v_mov_b32_e32 v3, v2
.LBB120_237:                            ; =>This Inner Loop Header: Depth=1
	scratch_load_dwordx2 v[8:9], v4, off
	ds_read_b64 v[10:11], v1
	v_add_u32_e32 v6, 1, v6
	v_cmp_lt_u32_e32 vcc, 54, v6
	v_add_u32_e32 v1, 8, v1
	v_add_u32_e32 v4, 8, v4
	s_or_b64 s[4:5], vcc, s[4:5]
	s_waitcnt vmcnt(0) lgkmcnt(0)
	v_pk_mul_f32 v[12:13], v[10:11], v[8:9] op_sel:[1,1] op_sel_hi:[0,1]
	v_pk_fma_f32 v[14:15], v[10:11], v[8:9], v[12:13] neg_lo:[0,0,1] neg_hi:[0,0,1]
	v_pk_fma_f32 v[8:9], v[10:11], v[8:9], v[12:13] op_sel_hi:[1,0,1]
	s_nop 0
	v_mov_b32_e32 v15, v9
	v_pk_add_f32 v[2:3], v[2:3], v[14:15]
	s_andn2_b64 exec, exec, s[4:5]
	s_cbranch_execnz .LBB120_237
; %bb.238:
	s_or_b64 exec, exec, s[4:5]
	v_mov_b32_e32 v1, 0
	ds_read_b64 v[4:5], v1 offset:448
	s_waitcnt lgkmcnt(0)
	v_pk_mul_f32 v[6:7], v[2:3], v[4:5] op_sel:[1,1] op_sel_hi:[0,1]
	v_pk_fma_f32 v[8:9], v[2:3], v[4:5], v[6:7] neg_lo:[0,0,1] neg_hi:[0,0,1]
	v_pk_fma_f32 v[2:3], v[2:3], v[4:5], v[6:7] op_sel_hi:[1,0,1]
	s_nop 0
	v_mov_b32_e32 v9, v3
	scratch_store_dwordx2 off, v[8:9], off offset:448
.LBB120_239:
	s_or_b64 exec, exec, s[0:1]
	s_mov_b64 s[4:5], -1
	; wave barrier
.LBB120_240:
	s_and_b64 vcc, exec, s[4:5]
	s_cbranch_vccz .LBB120_242
; %bb.241:
	s_lshl_b64 s[0:1], s[2:3], 2
	s_add_u32 s0, s6, s0
	s_addc_u32 s1, s7, s1
	v_mov_b32_e32 v1, 0
	global_load_dword v1, v1, s[0:1]
	s_waitcnt vmcnt(0)
	v_cmp_ne_u32_e32 vcc, 0, v1
	s_cbranch_vccz .LBB120_243
.LBB120_242:
	s_endpgm
.LBB120_243:
	v_mov_b32_e32 v1, 0x1d0
	v_lshl_add_u32 v1, v0, 3, v1
	v_cmp_eq_u32_e32 vcc, 56, v0
	s_and_saveexec_b64 s[0:1], vcc
	s_cbranch_execz .LBB120_245
; %bb.244:
	scratch_load_dwordx2 v[2:3], off, off offset:440
	v_mov_b32_e32 v4, 0
	v_mov_b32_e32 v5, v4
	scratch_store_dwordx2 off, v[4:5], off offset:440
	s_waitcnt vmcnt(1)
	ds_write_b64 v1, v[2:3]
.LBB120_245:
	s_or_b64 exec, exec, s[0:1]
	s_waitcnt lgkmcnt(0)
	; wave barrier
	scratch_load_dwordx2 v[4:5], off, off offset:448
	scratch_load_dwordx2 v[6:7], off, off offset:440
	v_mov_b32_e32 v2, 0
	ds_read_b64 v[8:9], v2 offset:912
	v_cmp_lt_u32_e32 vcc, 54, v0
	s_waitcnt vmcnt(1) lgkmcnt(0)
	v_pk_mul_f32 v[10:11], v[8:9], v[4:5] op_sel:[1,1] op_sel_hi:[0,1]
	v_pk_fma_f32 v[12:13], v[8:9], v[4:5], v[10:11] neg_lo:[0,0,1] neg_hi:[0,0,1]
	v_pk_fma_f32 v[4:5], v[8:9], v[4:5], v[10:11] op_sel_hi:[1,0,1]
	s_nop 0
	v_mov_b32_e32 v13, v5
	v_pk_add_f32 v[4:5], v[12:13], 0 op_sel_hi:[1,0]
	s_waitcnt vmcnt(0)
	v_pk_add_f32 v[4:5], v[6:7], v[4:5] neg_lo:[0,1] neg_hi:[0,1]
	scratch_store_dwordx2 off, v[4:5], off offset:440
	s_and_saveexec_b64 s[0:1], vcc
	s_cbranch_execz .LBB120_247
; %bb.246:
	scratch_load_dwordx2 v[4:5], off, off offset:432
	v_mov_b32_e32 v3, v2
	scratch_store_dwordx2 off, v[2:3], off offset:432
	s_waitcnt vmcnt(1)
	ds_write_b64 v1, v[4:5]
.LBB120_247:
	s_or_b64 exec, exec, s[0:1]
	s_waitcnt lgkmcnt(0)
	; wave barrier
	scratch_load_dwordx4 v[4:7], off, off offset:440
	scratch_load_dwordx2 v[12:13], off, off offset:432
	ds_read2_b64 v[8:11], v2 offset0:113 offset1:114
	v_cmp_lt_u32_e32 vcc, 53, v0
	s_waitcnt vmcnt(1) lgkmcnt(0)
	v_pk_mul_f32 v[2:3], v[8:9], v[4:5] op_sel:[1,1] op_sel_hi:[0,1]
	v_mov_b32_e32 v14, v7
	v_pk_fma_f32 v[16:17], v[8:9], v[4:5], v[2:3] neg_lo:[0,0,1] neg_hi:[0,0,1]
	v_pk_fma_f32 v[2:3], v[8:9], v[4:5], v[2:3] op_sel_hi:[1,0,1]
	v_pk_mul_f32 v[4:5], v[10:11], v[14:15] op_sel:[1,0] op_sel_hi:[0,0]
	v_mov_b32_e32 v17, v3
	v_pk_fma_f32 v[2:3], v[10:11], v[6:7], v[4:5] neg_lo:[0,0,1] neg_hi:[0,0,1]
	v_pk_fma_f32 v[4:5], v[10:11], v[6:7], v[4:5] op_sel_hi:[1,0,1]
	v_pk_add_f32 v[6:7], v[16:17], 0 op_sel_hi:[1,0]
	v_mov_b32_e32 v3, v5
	v_pk_add_f32 v[2:3], v[6:7], v[2:3]
	s_waitcnt vmcnt(0)
	v_pk_add_f32 v[2:3], v[12:13], v[2:3] neg_lo:[0,1] neg_hi:[0,1]
	scratch_store_dwordx2 off, v[2:3], off offset:432
	s_and_saveexec_b64 s[0:1], vcc
	s_cbranch_execz .LBB120_249
; %bb.248:
	scratch_load_dwordx2 v[2:3], off, off offset:424
	v_mov_b32_e32 v4, 0
	v_mov_b32_e32 v5, v4
	scratch_store_dwordx2 off, v[4:5], off offset:424
	s_waitcnt vmcnt(1)
	ds_write_b64 v1, v[2:3]
.LBB120_249:
	s_or_b64 exec, exec, s[0:1]
	s_waitcnt lgkmcnt(0)
	; wave barrier
	scratch_load_dwordx4 v[4:7], off, off offset:432
	scratch_load_dwordx2 v[12:13], off, off offset:448
	scratch_load_dwordx2 v[14:15], off, off offset:424
	v_mov_b32_e32 v2, 0
	ds_read_b128 v[8:11], v2 offset:896
	ds_read_b64 v[16:17], v2 offset:912
	v_cmp_lt_u32_e32 vcc, 52, v0
	s_waitcnt vmcnt(2) lgkmcnt(1)
	v_pk_mul_f32 v[18:19], v[8:9], v[4:5] op_sel:[1,1] op_sel_hi:[0,1]
	v_mov_b32_e32 v20, v7
	v_pk_fma_f32 v[24:25], v[8:9], v[4:5], v[18:19] neg_lo:[0,0,1] neg_hi:[0,0,1]
	v_pk_fma_f32 v[4:5], v[8:9], v[4:5], v[18:19] op_sel_hi:[1,0,1]
	v_pk_mul_f32 v[8:9], v[10:11], v[20:21] op_sel:[1,0] op_sel_hi:[0,0]
	s_waitcnt vmcnt(1) lgkmcnt(0)
	v_pk_mul_f32 v[22:23], v[16:17], v[12:13] op_sel:[1,1] op_sel_hi:[0,1]
	v_mov_b32_e32 v25, v5
	v_pk_fma_f32 v[4:5], v[10:11], v[6:7], v[8:9] neg_lo:[0,0,1] neg_hi:[0,0,1]
	v_pk_fma_f32 v[6:7], v[10:11], v[6:7], v[8:9] op_sel_hi:[1,0,1]
	v_pk_fma_f32 v[18:19], v[16:17], v[12:13], v[22:23] neg_lo:[0,0,1] neg_hi:[0,0,1]
	v_pk_fma_f32 v[12:13], v[16:17], v[12:13], v[22:23] op_sel_hi:[1,0,1]
	v_pk_add_f32 v[8:9], v[24:25], 0 op_sel_hi:[1,0]
	v_mov_b32_e32 v5, v7
	v_mov_b32_e32 v19, v13
	v_pk_add_f32 v[4:5], v[8:9], v[4:5]
	s_nop 0
	v_pk_add_f32 v[4:5], v[4:5], v[18:19]
	s_waitcnt vmcnt(0)
	v_pk_add_f32 v[4:5], v[14:15], v[4:5] neg_lo:[0,1] neg_hi:[0,1]
	scratch_store_dwordx2 off, v[4:5], off offset:424
	s_and_saveexec_b64 s[0:1], vcc
	s_cbranch_execz .LBB120_251
; %bb.250:
	scratch_load_dwordx2 v[4:5], off, off offset:416
	v_mov_b32_e32 v3, v2
	scratch_store_dwordx2 off, v[2:3], off offset:416
	s_waitcnt vmcnt(1)
	ds_write_b64 v1, v[4:5]
.LBB120_251:
	s_or_b64 exec, exec, s[0:1]
	s_waitcnt lgkmcnt(0)
	; wave barrier
	scratch_load_dwordx4 v[4:7], off, off offset:424
	scratch_load_dwordx4 v[8:11], off, off offset:440
	scratch_load_dwordx2 v[20:21], off, off offset:416
	ds_read2_b64 v[12:15], v2 offset0:111 offset1:112
	ds_read2_b64 v[16:19], v2 offset0:113 offset1:114
	v_cmp_lt_u32_e32 vcc, 51, v0
	s_waitcnt vmcnt(2) lgkmcnt(1)
	v_pk_mul_f32 v[2:3], v[12:13], v[4:5] op_sel:[1,1] op_sel_hi:[0,1]
	v_mov_b32_e32 v22, v7
	s_waitcnt vmcnt(1) lgkmcnt(0)
	v_pk_mul_f32 v[24:25], v[16:17], v[8:9] op_sel:[1,1] op_sel_hi:[0,1]
	v_mov_b32_e32 v26, v11
	v_pk_fma_f32 v[28:29], v[12:13], v[4:5], v[2:3] neg_lo:[0,0,1] neg_hi:[0,0,1]
	v_pk_fma_f32 v[2:3], v[12:13], v[4:5], v[2:3] op_sel_hi:[1,0,1]
	v_pk_mul_f32 v[4:5], v[14:15], v[22:23] op_sel:[1,0] op_sel_hi:[0,0]
	v_pk_fma_f32 v[12:13], v[16:17], v[8:9], v[24:25] neg_lo:[0,0,1] neg_hi:[0,0,1]
	v_pk_fma_f32 v[8:9], v[16:17], v[8:9], v[24:25] op_sel_hi:[1,0,1]
	v_pk_mul_f32 v[16:17], v[18:19], v[26:27] op_sel:[1,0] op_sel_hi:[0,0]
	v_mov_b32_e32 v29, v3
	v_pk_fma_f32 v[2:3], v[14:15], v[6:7], v[4:5] neg_lo:[0,0,1] neg_hi:[0,0,1]
	v_pk_fma_f32 v[4:5], v[14:15], v[6:7], v[4:5] op_sel_hi:[1,0,1]
	v_mov_b32_e32 v13, v9
	v_pk_fma_f32 v[6:7], v[18:19], v[10:11], v[16:17] neg_lo:[0,0,1] neg_hi:[0,0,1]
	v_pk_fma_f32 v[8:9], v[18:19], v[10:11], v[16:17] op_sel_hi:[1,0,1]
	v_pk_add_f32 v[10:11], v[28:29], 0 op_sel_hi:[1,0]
	v_mov_b32_e32 v3, v5
	v_pk_add_f32 v[2:3], v[10:11], v[2:3]
	v_mov_b32_e32 v7, v9
	v_pk_add_f32 v[2:3], v[2:3], v[12:13]
	s_nop 0
	v_pk_add_f32 v[2:3], v[2:3], v[6:7]
	s_waitcnt vmcnt(0)
	v_pk_add_f32 v[2:3], v[20:21], v[2:3] neg_lo:[0,1] neg_hi:[0,1]
	scratch_store_dwordx2 off, v[2:3], off offset:416
	s_and_saveexec_b64 s[0:1], vcc
	s_cbranch_execz .LBB120_253
; %bb.252:
	scratch_load_dwordx2 v[2:3], off, off offset:408
	v_mov_b32_e32 v4, 0
	v_mov_b32_e32 v5, v4
	scratch_store_dwordx2 off, v[4:5], off offset:408
	s_waitcnt vmcnt(1)
	ds_write_b64 v1, v[2:3]
.LBB120_253:
	s_or_b64 exec, exec, s[0:1]
	s_waitcnt lgkmcnt(0)
	; wave barrier
	scratch_load_dwordx4 v[4:7], off, off offset:416
	scratch_load_dwordx4 v[8:11], off, off offset:432
	scratch_load_dwordx2 v[20:21], off, off offset:448
	scratch_load_dwordx2 v[22:23], off, off offset:408
	v_mov_b32_e32 v2, 0
	ds_read_b128 v[12:15], v2 offset:880
	ds_read_b128 v[16:19], v2 offset:896
	ds_read_b64 v[24:25], v2 offset:912
	v_cmp_lt_u32_e32 vcc, 50, v0
	s_waitcnt vmcnt(3) lgkmcnt(2)
	v_pk_mul_f32 v[26:27], v[12:13], v[4:5] op_sel:[1,1] op_sel_hi:[0,1]
	v_mov_b32_e32 v28, v7
	v_pk_fma_f32 v[36:37], v[12:13], v[4:5], v[26:27] neg_lo:[0,0,1] neg_hi:[0,0,1]
	v_pk_fma_f32 v[4:5], v[12:13], v[4:5], v[26:27] op_sel_hi:[1,0,1]
	v_pk_mul_f32 v[12:13], v[14:15], v[28:29] op_sel:[1,0] op_sel_hi:[0,0]
	s_waitcnt vmcnt(2) lgkmcnt(1)
	v_pk_mul_f32 v[30:31], v[16:17], v[8:9] op_sel:[1,1] op_sel_hi:[0,1]
	v_mov_b32_e32 v32, v11
	v_mov_b32_e32 v37, v5
	v_pk_fma_f32 v[4:5], v[14:15], v[6:7], v[12:13] neg_lo:[0,0,1] neg_hi:[0,0,1]
	v_pk_fma_f32 v[6:7], v[14:15], v[6:7], v[12:13] op_sel_hi:[1,0,1]
	v_pk_fma_f32 v[26:27], v[16:17], v[8:9], v[30:31] neg_lo:[0,0,1] neg_hi:[0,0,1]
	v_pk_fma_f32 v[8:9], v[16:17], v[8:9], v[30:31] op_sel_hi:[1,0,1]
	v_pk_mul_f32 v[16:17], v[18:19], v[32:33] op_sel:[1,0] op_sel_hi:[0,0]
	v_pk_add_f32 v[12:13], v[36:37], 0 op_sel_hi:[1,0]
	v_mov_b32_e32 v5, v7
	s_waitcnt vmcnt(1) lgkmcnt(0)
	v_pk_mul_f32 v[34:35], v[24:25], v[20:21] op_sel:[1,1] op_sel_hi:[0,1]
	v_mov_b32_e32 v27, v9
	v_pk_fma_f32 v[8:9], v[18:19], v[10:11], v[16:17] neg_lo:[0,0,1] neg_hi:[0,0,1]
	v_pk_fma_f32 v[10:11], v[18:19], v[10:11], v[16:17] op_sel_hi:[1,0,1]
	v_pk_add_f32 v[4:5], v[12:13], v[4:5]
	v_pk_fma_f32 v[28:29], v[24:25], v[20:21], v[34:35] neg_lo:[0,0,1] neg_hi:[0,0,1]
	v_pk_fma_f32 v[20:21], v[24:25], v[20:21], v[34:35] op_sel_hi:[1,0,1]
	v_mov_b32_e32 v9, v11
	v_pk_add_f32 v[4:5], v[4:5], v[26:27]
	v_mov_b32_e32 v29, v21
	v_pk_add_f32 v[4:5], v[4:5], v[8:9]
	s_nop 0
	v_pk_add_f32 v[4:5], v[4:5], v[28:29]
	s_waitcnt vmcnt(0)
	v_pk_add_f32 v[4:5], v[22:23], v[4:5] neg_lo:[0,1] neg_hi:[0,1]
	scratch_store_dwordx2 off, v[4:5], off offset:408
	s_and_saveexec_b64 s[0:1], vcc
	s_cbranch_execz .LBB120_255
; %bb.254:
	scratch_load_dwordx2 v[4:5], off, off offset:400
	v_mov_b32_e32 v3, v2
	scratch_store_dwordx2 off, v[2:3], off offset:400
	s_waitcnt vmcnt(1)
	ds_write_b64 v1, v[4:5]
.LBB120_255:
	s_or_b64 exec, exec, s[0:1]
	s_waitcnt lgkmcnt(0)
	; wave barrier
	scratch_load_dwordx4 v[4:7], off, off offset:408
	scratch_load_dwordx4 v[8:11], off, off offset:424
	;; [unrolled: 1-line block ×3, first 2 shown]
	scratch_load_dwordx2 v[28:29], off, off offset:400
	ds_read2_b64 v[16:19], v2 offset0:109 offset1:110
	ds_read2_b64 v[20:23], v2 offset0:111 offset1:112
	;; [unrolled: 1-line block ×3, first 2 shown]
	v_cmp_lt_u32_e32 vcc, 49, v0
	s_waitcnt vmcnt(3) lgkmcnt(2)
	v_pk_mul_f32 v[2:3], v[16:17], v[4:5] op_sel:[1,1] op_sel_hi:[0,1]
	v_mov_b32_e32 v30, v7
	s_waitcnt vmcnt(2) lgkmcnt(1)
	v_pk_mul_f32 v[32:33], v[20:21], v[8:9] op_sel:[1,1] op_sel_hi:[0,1]
	v_mov_b32_e32 v34, v11
	;; [unrolled: 3-line block ×3, first 2 shown]
	v_pk_fma_f32 v[40:41], v[16:17], v[4:5], v[2:3] neg_lo:[0,0,1] neg_hi:[0,0,1]
	v_pk_fma_f32 v[2:3], v[16:17], v[4:5], v[2:3] op_sel_hi:[1,0,1]
	v_pk_mul_f32 v[4:5], v[18:19], v[30:31] op_sel:[1,0] op_sel_hi:[0,0]
	v_pk_fma_f32 v[16:17], v[20:21], v[8:9], v[32:33] neg_lo:[0,0,1] neg_hi:[0,0,1]
	v_pk_fma_f32 v[8:9], v[20:21], v[8:9], v[32:33] op_sel_hi:[1,0,1]
	v_pk_mul_f32 v[20:21], v[22:23], v[34:35] op_sel:[1,0] op_sel_hi:[0,0]
	;; [unrolled: 3-line block ×3, first 2 shown]
	v_mov_b32_e32 v41, v3
	v_pk_fma_f32 v[2:3], v[18:19], v[6:7], v[4:5] neg_lo:[0,0,1] neg_hi:[0,0,1]
	v_pk_fma_f32 v[4:5], v[18:19], v[6:7], v[4:5] op_sel_hi:[1,0,1]
	v_mov_b32_e32 v17, v9
	v_pk_fma_f32 v[6:7], v[22:23], v[10:11], v[20:21] neg_lo:[0,0,1] neg_hi:[0,0,1]
	v_pk_fma_f32 v[8:9], v[22:23], v[10:11], v[20:21] op_sel_hi:[1,0,1]
	;; [unrolled: 3-line block ×3, first 2 shown]
	v_pk_add_f32 v[14:15], v[40:41], 0 op_sel_hi:[1,0]
	v_mov_b32_e32 v3, v5
	v_pk_add_f32 v[2:3], v[14:15], v[2:3]
	v_mov_b32_e32 v7, v9
	v_pk_add_f32 v[2:3], v[2:3], v[16:17]
	;; [unrolled: 2-line block ×3, first 2 shown]
	s_nop 0
	v_pk_add_f32 v[2:3], v[2:3], v[30:31]
	s_nop 0
	v_pk_add_f32 v[2:3], v[2:3], v[10:11]
	s_waitcnt vmcnt(0)
	v_pk_add_f32 v[2:3], v[28:29], v[2:3] neg_lo:[0,1] neg_hi:[0,1]
	scratch_store_dwordx2 off, v[2:3], off offset:400
	s_and_saveexec_b64 s[0:1], vcc
	s_cbranch_execz .LBB120_257
; %bb.256:
	scratch_load_dwordx2 v[2:3], off, off offset:392
	v_mov_b32_e32 v4, 0
	v_mov_b32_e32 v5, v4
	scratch_store_dwordx2 off, v[4:5], off offset:392
	s_waitcnt vmcnt(1)
	ds_write_b64 v1, v[2:3]
.LBB120_257:
	s_or_b64 exec, exec, s[0:1]
	s_waitcnt lgkmcnt(0)
	; wave barrier
	scratch_load_dwordx4 v[4:7], off, off offset:400
	scratch_load_dwordx4 v[8:11], off, off offset:416
	;; [unrolled: 1-line block ×3, first 2 shown]
	scratch_load_dwordx2 v[28:29], off, off offset:448
	scratch_load_dwordx2 v[30:31], off, off offset:392
	v_mov_b32_e32 v2, 0
	ds_read_b128 v[16:19], v2 offset:864
	ds_read_b128 v[20:23], v2 offset:880
	ds_read_b128 v[24:27], v2 offset:896
	ds_read_b64 v[32:33], v2 offset:912
	v_cmp_lt_u32_e32 vcc, 48, v0
	s_waitcnt vmcnt(4) lgkmcnt(3)
	v_pk_mul_f32 v[34:35], v[16:17], v[4:5] op_sel:[1,1] op_sel_hi:[0,1]
	v_mov_b32_e32 v36, v7
	v_pk_fma_f32 v[48:49], v[16:17], v[4:5], v[34:35] neg_lo:[0,0,1] neg_hi:[0,0,1]
	v_pk_fma_f32 v[4:5], v[16:17], v[4:5], v[34:35] op_sel_hi:[1,0,1]
	v_pk_mul_f32 v[16:17], v[18:19], v[36:37] op_sel:[1,0] op_sel_hi:[0,0]
	s_waitcnt vmcnt(3) lgkmcnt(2)
	v_pk_mul_f32 v[38:39], v[20:21], v[8:9] op_sel:[1,1] op_sel_hi:[0,1]
	v_mov_b32_e32 v40, v11
	v_mov_b32_e32 v49, v5
	v_pk_fma_f32 v[4:5], v[18:19], v[6:7], v[16:17] neg_lo:[0,0,1] neg_hi:[0,0,1]
	v_pk_fma_f32 v[6:7], v[18:19], v[6:7], v[16:17] op_sel_hi:[1,0,1]
	v_pk_fma_f32 v[34:35], v[20:21], v[8:9], v[38:39] neg_lo:[0,0,1] neg_hi:[0,0,1]
	v_pk_fma_f32 v[8:9], v[20:21], v[8:9], v[38:39] op_sel_hi:[1,0,1]
	v_pk_mul_f32 v[20:21], v[22:23], v[40:41] op_sel:[1,0] op_sel_hi:[0,0]
	v_pk_add_f32 v[16:17], v[48:49], 0 op_sel_hi:[1,0]
	v_mov_b32_e32 v5, v7
	s_waitcnt vmcnt(2) lgkmcnt(1)
	v_pk_mul_f32 v[42:43], v[24:25], v[12:13] op_sel:[1,1] op_sel_hi:[0,1]
	v_mov_b32_e32 v44, v15
	v_mov_b32_e32 v35, v9
	v_pk_fma_f32 v[8:9], v[22:23], v[10:11], v[20:21] neg_lo:[0,0,1] neg_hi:[0,0,1]
	v_pk_fma_f32 v[10:11], v[22:23], v[10:11], v[20:21] op_sel_hi:[1,0,1]
	v_pk_add_f32 v[4:5], v[16:17], v[4:5]
	v_pk_fma_f32 v[36:37], v[24:25], v[12:13], v[42:43] neg_lo:[0,0,1] neg_hi:[0,0,1]
	v_pk_fma_f32 v[12:13], v[24:25], v[12:13], v[42:43] op_sel_hi:[1,0,1]
	v_pk_mul_f32 v[24:25], v[26:27], v[44:45] op_sel:[1,0] op_sel_hi:[0,0]
	v_mov_b32_e32 v9, v11
	v_pk_add_f32 v[4:5], v[4:5], v[34:35]
	s_waitcnt vmcnt(1) lgkmcnt(0)
	v_pk_mul_f32 v[46:47], v[32:33], v[28:29] op_sel:[1,1] op_sel_hi:[0,1]
	v_mov_b32_e32 v37, v13
	v_pk_fma_f32 v[12:13], v[26:27], v[14:15], v[24:25] neg_lo:[0,0,1] neg_hi:[0,0,1]
	v_pk_fma_f32 v[14:15], v[26:27], v[14:15], v[24:25] op_sel_hi:[1,0,1]
	v_pk_add_f32 v[4:5], v[4:5], v[8:9]
	v_pk_fma_f32 v[38:39], v[32:33], v[28:29], v[46:47] neg_lo:[0,0,1] neg_hi:[0,0,1]
	v_pk_fma_f32 v[28:29], v[32:33], v[28:29], v[46:47] op_sel_hi:[1,0,1]
	v_mov_b32_e32 v13, v15
	v_pk_add_f32 v[4:5], v[4:5], v[36:37]
	v_mov_b32_e32 v39, v29
	v_pk_add_f32 v[4:5], v[4:5], v[12:13]
	s_nop 0
	v_pk_add_f32 v[4:5], v[4:5], v[38:39]
	s_waitcnt vmcnt(0)
	v_pk_add_f32 v[4:5], v[30:31], v[4:5] neg_lo:[0,1] neg_hi:[0,1]
	scratch_store_dwordx2 off, v[4:5], off offset:392
	s_and_saveexec_b64 s[0:1], vcc
	s_cbranch_execz .LBB120_259
; %bb.258:
	scratch_load_dwordx2 v[4:5], off, off offset:384
	v_mov_b32_e32 v3, v2
	scratch_store_dwordx2 off, v[2:3], off offset:384
	s_waitcnt vmcnt(1)
	ds_write_b64 v1, v[4:5]
.LBB120_259:
	s_or_b64 exec, exec, s[0:1]
	s_waitcnt lgkmcnt(0)
	; wave barrier
	scratch_load_dwordx4 v[4:7], off, off offset:392
	scratch_load_dwordx4 v[8:11], off, off offset:408
	;; [unrolled: 1-line block ×4, first 2 shown]
	scratch_load_dwordx2 v[36:37], off, off offset:384
	ds_read2_b64 v[20:23], v2 offset0:107 offset1:108
	ds_read2_b64 v[24:27], v2 offset0:109 offset1:110
	;; [unrolled: 1-line block ×4, first 2 shown]
	v_cmp_lt_u32_e32 vcc, 47, v0
	s_waitcnt vmcnt(4) lgkmcnt(3)
	v_pk_mul_f32 v[2:3], v[20:21], v[4:5] op_sel:[1,1] op_sel_hi:[0,1]
	v_mov_b32_e32 v38, v7
	s_waitcnt vmcnt(3) lgkmcnt(2)
	v_pk_mul_f32 v[40:41], v[24:25], v[8:9] op_sel:[1,1] op_sel_hi:[0,1]
	v_mov_b32_e32 v42, v11
	s_waitcnt vmcnt(2) lgkmcnt(1)
	v_pk_mul_f32 v[44:45], v[28:29], v[12:13] op_sel:[1,1] op_sel_hi:[0,1]
	v_mov_b32_e32 v46, v15
	s_waitcnt vmcnt(1) lgkmcnt(0)
	v_pk_mul_f32 v[48:49], v[32:33], v[16:17] op_sel:[1,1] op_sel_hi:[0,1]
	v_mov_b32_e32 v50, v19
	v_pk_fma_f32 v[52:53], v[20:21], v[4:5], v[2:3] neg_lo:[0,0,1] neg_hi:[0,0,1]
	v_pk_fma_f32 v[2:3], v[20:21], v[4:5], v[2:3] op_sel_hi:[1,0,1]
	v_pk_mul_f32 v[4:5], v[22:23], v[38:39] op_sel:[1,0] op_sel_hi:[0,0]
	v_pk_fma_f32 v[20:21], v[24:25], v[8:9], v[40:41] neg_lo:[0,0,1] neg_hi:[0,0,1]
	v_pk_fma_f32 v[8:9], v[24:25], v[8:9], v[40:41] op_sel_hi:[1,0,1]
	v_pk_mul_f32 v[24:25], v[26:27], v[42:43] op_sel:[1,0] op_sel_hi:[0,0]
	;; [unrolled: 3-line block ×4, first 2 shown]
	v_mov_b32_e32 v53, v3
	v_pk_fma_f32 v[2:3], v[22:23], v[6:7], v[4:5] neg_lo:[0,0,1] neg_hi:[0,0,1]
	v_pk_fma_f32 v[4:5], v[22:23], v[6:7], v[4:5] op_sel_hi:[1,0,1]
	v_mov_b32_e32 v21, v9
	v_pk_fma_f32 v[6:7], v[26:27], v[10:11], v[24:25] neg_lo:[0,0,1] neg_hi:[0,0,1]
	v_pk_fma_f32 v[8:9], v[26:27], v[10:11], v[24:25] op_sel_hi:[1,0,1]
	;; [unrolled: 3-line block ×4, first 2 shown]
	v_pk_add_f32 v[18:19], v[52:53], 0 op_sel_hi:[1,0]
	v_mov_b32_e32 v3, v5
	v_pk_add_f32 v[2:3], v[18:19], v[2:3]
	v_mov_b32_e32 v7, v9
	v_pk_add_f32 v[2:3], v[2:3], v[20:21]
	;; [unrolled: 2-line block ×4, first 2 shown]
	s_nop 0
	v_pk_add_f32 v[2:3], v[2:3], v[10:11]
	s_nop 0
	v_pk_add_f32 v[2:3], v[2:3], v[40:41]
	;; [unrolled: 2-line block ×3, first 2 shown]
	s_waitcnt vmcnt(0)
	v_pk_add_f32 v[2:3], v[36:37], v[2:3] neg_lo:[0,1] neg_hi:[0,1]
	scratch_store_dwordx2 off, v[2:3], off offset:384
	s_and_saveexec_b64 s[0:1], vcc
	s_cbranch_execz .LBB120_261
; %bb.260:
	scratch_load_dwordx2 v[2:3], off, off offset:376
	v_mov_b32_e32 v4, 0
	v_mov_b32_e32 v5, v4
	scratch_store_dwordx2 off, v[4:5], off offset:376
	s_waitcnt vmcnt(1)
	ds_write_b64 v1, v[2:3]
.LBB120_261:
	s_or_b64 exec, exec, s[0:1]
	v_mov_b32_e32 v2, 0
	s_waitcnt lgkmcnt(0)
	; wave barrier
	ds_read_b128 v[4:7], v2 offset:848
	ds_read_b128 v[8:11], v2 offset:864
	;; [unrolled: 1-line block ×4, first 2 shown]
	scratch_load_dwordx4 v[20:23], off, off offset:384
	scratch_load_dwordx4 v[24:27], off, off offset:400
	;; [unrolled: 1-line block ×4, first 2 shown]
	scratch_load_dwordx2 v[38:39], off, off offset:448
	v_cmp_lt_u32_e32 vcc, 46, v0
	s_waitcnt vmcnt(4) lgkmcnt(3)
	v_mul_f32_e32 v37, v4, v21
	v_mul_f32_e32 v3, v5, v21
	v_fmac_f32_e32 v37, v5, v20
	v_fma_f32 v36, v4, v20, -v3
	v_pk_add_f32 v[20:21], v[36:37], 0 op_sel_hi:[1,0]
	v_mov_b32_e32 v36, v23
	v_pk_mul_f32 v[36:37], v[6:7], v[36:37] op_sel:[1,0] op_sel_hi:[0,0]
	v_pk_fma_f32 v[40:41], v[6:7], v[22:23], v[36:37] neg_lo:[0,0,1] neg_hi:[0,0,1]
	v_pk_fma_f32 v[6:7], v[6:7], v[22:23], v[36:37] op_sel_hi:[1,0,1]
	ds_read_b64 v[4:5], v2 offset:912
	v_mov_b32_e32 v41, v7
	v_pk_add_f32 v[6:7], v[20:21], v[40:41]
	s_waitcnt vmcnt(3) lgkmcnt(3)
	v_pk_mul_f32 v[20:21], v[8:9], v[24:25] op_sel:[1,1] op_sel_hi:[0,1]
	v_pk_fma_f32 v[22:23], v[8:9], v[24:25], v[20:21] neg_lo:[0,0,1] neg_hi:[0,0,1]
	v_pk_fma_f32 v[8:9], v[8:9], v[24:25], v[20:21] op_sel_hi:[1,0,1]
	s_nop 0
	v_mov_b32_e32 v8, v27
	v_mov_b32_e32 v23, v9
	v_pk_mul_f32 v[8:9], v[10:11], v[8:9] op_sel:[1,0] op_sel_hi:[0,0]
	v_pk_fma_f32 v[20:21], v[10:11], v[26:27], v[8:9] neg_lo:[0,0,1] neg_hi:[0,0,1]
	v_pk_fma_f32 v[8:9], v[10:11], v[26:27], v[8:9] op_sel_hi:[1,0,1]
	v_pk_add_f32 v[6:7], v[6:7], v[22:23]
	v_mov_b32_e32 v21, v9
	s_waitcnt vmcnt(2) lgkmcnt(2)
	v_pk_mul_f32 v[8:9], v[12:13], v[28:29] op_sel:[1,1] op_sel_hi:[0,1]
	v_pk_fma_f32 v[10:11], v[12:13], v[28:29], v[8:9] neg_lo:[0,0,1] neg_hi:[0,0,1]
	v_pk_fma_f32 v[8:9], v[12:13], v[28:29], v[8:9] op_sel_hi:[1,0,1]
	v_pk_add_f32 v[6:7], v[6:7], v[20:21]
	v_mov_b32_e32 v8, v31
	v_mov_b32_e32 v11, v9
	v_pk_mul_f32 v[8:9], v[14:15], v[8:9] op_sel:[1,0] op_sel_hi:[0,0]
	v_pk_add_f32 v[6:7], v[6:7], v[10:11]
	v_pk_fma_f32 v[10:11], v[14:15], v[30:31], v[8:9] neg_lo:[0,0,1] neg_hi:[0,0,1]
	v_pk_fma_f32 v[8:9], v[14:15], v[30:31], v[8:9] op_sel_hi:[1,0,1]
	s_nop 0
	v_mov_b32_e32 v11, v9
	s_waitcnt vmcnt(1) lgkmcnt(1)
	v_pk_mul_f32 v[8:9], v[16:17], v[32:33] op_sel:[1,1] op_sel_hi:[0,1]
	v_pk_add_f32 v[6:7], v[6:7], v[10:11]
	v_pk_fma_f32 v[10:11], v[16:17], v[32:33], v[8:9] neg_lo:[0,0,1] neg_hi:[0,0,1]
	v_pk_fma_f32 v[8:9], v[16:17], v[32:33], v[8:9] op_sel_hi:[1,0,1]
	s_nop 0
	v_mov_b32_e32 v8, v35
	v_mov_b32_e32 v11, v9
	v_pk_mul_f32 v[8:9], v[18:19], v[8:9] op_sel:[1,0] op_sel_hi:[0,0]
	v_pk_add_f32 v[6:7], v[6:7], v[10:11]
	v_pk_fma_f32 v[10:11], v[18:19], v[34:35], v[8:9] neg_lo:[0,0,1] neg_hi:[0,0,1]
	v_pk_fma_f32 v[8:9], v[18:19], v[34:35], v[8:9] op_sel_hi:[1,0,1]
	s_nop 0
	v_mov_b32_e32 v11, v9
	s_waitcnt vmcnt(0) lgkmcnt(0)
	v_pk_mul_f32 v[8:9], v[4:5], v[38:39] op_sel:[1,1] op_sel_hi:[0,1]
	v_pk_add_f32 v[6:7], v[6:7], v[10:11]
	v_pk_fma_f32 v[10:11], v[4:5], v[38:39], v[8:9] neg_lo:[0,0,1] neg_hi:[0,0,1]
	v_pk_fma_f32 v[4:5], v[4:5], v[38:39], v[8:9] op_sel_hi:[1,0,1]
	s_nop 0
	v_mov_b32_e32 v11, v5
	v_pk_add_f32 v[4:5], v[6:7], v[10:11]
	scratch_load_dwordx2 v[6:7], off, off offset:376
	s_waitcnt vmcnt(0)
	v_pk_add_f32 v[4:5], v[6:7], v[4:5] neg_lo:[0,1] neg_hi:[0,1]
	scratch_store_dwordx2 off, v[4:5], off offset:376
	s_and_saveexec_b64 s[0:1], vcc
	s_cbranch_execz .LBB120_263
; %bb.262:
	scratch_load_dwordx2 v[4:5], off, off offset:368
	v_mov_b32_e32 v3, v2
	scratch_store_dwordx2 off, v[2:3], off offset:368
	s_waitcnt vmcnt(1)
	ds_write_b64 v1, v[4:5]
.LBB120_263:
	s_or_b64 exec, exec, s[0:1]
	s_waitcnt lgkmcnt(0)
	; wave barrier
	scratch_load_dwordx4 v[8:11], off, off offset:376
	ds_read2_b64 v[4:7], v2 offset0:105 offset1:106
	scratch_load_dwordx4 v[12:15], off, off offset:392
	scratch_load_dwordx4 v[16:19], off, off offset:408
	;; [unrolled: 1-line block ×4, first 2 shown]
	v_cmp_lt_u32_e32 vcc, 45, v0
	s_waitcnt vmcnt(4) lgkmcnt(0)
	v_mul_f32_e32 v3, v5, v9
	v_mul_f32_e32 v37, v4, v9
	;; [unrolled: 1-line block ×3, first 2 shown]
	v_fma_f32 v36, v4, v8, -v3
	v_mul_f32_e32 v3, v7, v11
	v_fmac_f32_e32 v37, v5, v8
	v_fmac_f32_e32 v39, v7, v10
	v_fma_f32 v38, v6, v10, -v3
	ds_read2_b64 v[4:7], v2 offset0:107 offset1:108
	ds_read2_b64 v[8:11], v2 offset0:109 offset1:110
	;; [unrolled: 1-line block ×4, first 2 shown]
	v_pk_add_f32 v[2:3], v[36:37], 0 op_sel_hi:[1,0]
	s_waitcnt vmcnt(3) lgkmcnt(3)
	v_pk_mul_f32 v[36:37], v[4:5], v[12:13] op_sel:[1,1] op_sel_hi:[0,1]
	v_pk_add_f32 v[2:3], v[2:3], v[38:39]
	v_pk_fma_f32 v[38:39], v[4:5], v[12:13], v[36:37] neg_lo:[0,0,1] neg_hi:[0,0,1]
	v_pk_fma_f32 v[4:5], v[4:5], v[12:13], v[36:37] op_sel_hi:[1,0,1]
	s_nop 0
	v_mov_b32_e32 v4, v15
	v_mov_b32_e32 v39, v5
	v_pk_mul_f32 v[4:5], v[6:7], v[4:5] op_sel:[1,0] op_sel_hi:[0,0]
	v_pk_fma_f32 v[12:13], v[6:7], v[14:15], v[4:5] neg_lo:[0,0,1] neg_hi:[0,0,1]
	v_pk_fma_f32 v[4:5], v[6:7], v[14:15], v[4:5] op_sel_hi:[1,0,1]
	v_pk_add_f32 v[2:3], v[2:3], v[38:39]
	v_mov_b32_e32 v13, v5
	s_waitcnt vmcnt(2) lgkmcnt(2)
	v_pk_mul_f32 v[4:5], v[8:9], v[16:17] op_sel:[1,1] op_sel_hi:[0,1]
	v_pk_fma_f32 v[6:7], v[8:9], v[16:17], v[4:5] neg_lo:[0,0,1] neg_hi:[0,0,1]
	v_pk_fma_f32 v[4:5], v[8:9], v[16:17], v[4:5] op_sel_hi:[1,0,1]
	v_pk_add_f32 v[2:3], v[2:3], v[12:13]
	v_mov_b32_e32 v4, v19
	v_mov_b32_e32 v7, v5
	v_pk_mul_f32 v[4:5], v[10:11], v[4:5] op_sel:[1,0] op_sel_hi:[0,0]
	v_pk_add_f32 v[2:3], v[2:3], v[6:7]
	v_pk_fma_f32 v[6:7], v[10:11], v[18:19], v[4:5] neg_lo:[0,0,1] neg_hi:[0,0,1]
	v_pk_fma_f32 v[4:5], v[10:11], v[18:19], v[4:5] op_sel_hi:[1,0,1]
	s_nop 0
	v_mov_b32_e32 v7, v5
	s_waitcnt vmcnt(1) lgkmcnt(1)
	v_pk_mul_f32 v[4:5], v[28:29], v[20:21] op_sel:[1,1] op_sel_hi:[0,1]
	v_pk_add_f32 v[2:3], v[2:3], v[6:7]
	v_pk_fma_f32 v[6:7], v[28:29], v[20:21], v[4:5] neg_lo:[0,0,1] neg_hi:[0,0,1]
	v_pk_fma_f32 v[4:5], v[28:29], v[20:21], v[4:5] op_sel_hi:[1,0,1]
	s_nop 0
	v_mov_b32_e32 v4, v23
	v_mov_b32_e32 v7, v5
	v_pk_mul_f32 v[4:5], v[30:31], v[4:5] op_sel:[1,0] op_sel_hi:[0,0]
	v_pk_add_f32 v[2:3], v[2:3], v[6:7]
	v_pk_fma_f32 v[6:7], v[30:31], v[22:23], v[4:5] neg_lo:[0,0,1] neg_hi:[0,0,1]
	v_pk_fma_f32 v[4:5], v[30:31], v[22:23], v[4:5] op_sel_hi:[1,0,1]
	s_nop 0
	v_mov_b32_e32 v7, v5
	s_waitcnt vmcnt(0) lgkmcnt(0)
	v_pk_mul_f32 v[4:5], v[32:33], v[24:25] op_sel:[1,1] op_sel_hi:[0,1]
	v_pk_add_f32 v[2:3], v[2:3], v[6:7]
	v_pk_fma_f32 v[6:7], v[32:33], v[24:25], v[4:5] neg_lo:[0,0,1] neg_hi:[0,0,1]
	v_pk_fma_f32 v[4:5], v[32:33], v[24:25], v[4:5] op_sel_hi:[1,0,1]
	s_nop 0
	v_mov_b32_e32 v4, v27
	v_mov_b32_e32 v7, v5
	v_pk_mul_f32 v[4:5], v[34:35], v[4:5] op_sel:[1,0] op_sel_hi:[0,0]
	v_pk_add_f32 v[2:3], v[2:3], v[6:7]
	v_pk_fma_f32 v[6:7], v[34:35], v[26:27], v[4:5] neg_lo:[0,0,1] neg_hi:[0,0,1]
	v_pk_fma_f32 v[4:5], v[34:35], v[26:27], v[4:5] op_sel_hi:[1,0,1]
	s_nop 0
	v_mov_b32_e32 v7, v5
	scratch_load_dwordx2 v[4:5], off, off offset:368
	v_pk_add_f32 v[2:3], v[2:3], v[6:7]
	s_waitcnt vmcnt(0)
	v_pk_add_f32 v[2:3], v[4:5], v[2:3] neg_lo:[0,1] neg_hi:[0,1]
	scratch_store_dwordx2 off, v[2:3], off offset:368
	s_and_saveexec_b64 s[0:1], vcc
	s_cbranch_execz .LBB120_265
; %bb.264:
	scratch_load_dwordx2 v[2:3], off, off offset:360
	v_mov_b32_e32 v4, 0
	v_mov_b32_e32 v5, v4
	scratch_store_dwordx2 off, v[4:5], off offset:360
	s_waitcnt vmcnt(1)
	ds_write_b64 v1, v[2:3]
.LBB120_265:
	s_or_b64 exec, exec, s[0:1]
	v_mov_b32_e32 v2, 0
	s_waitcnt lgkmcnt(0)
	; wave barrier
	ds_read_b128 v[4:7], v2 offset:832
	ds_read_b128 v[8:11], v2 offset:848
	;; [unrolled: 1-line block ×4, first 2 shown]
	scratch_load_dwordx4 v[20:23], off, off offset:368
	scratch_load_dwordx4 v[24:27], off, off offset:384
	;; [unrolled: 1-line block ×5, first 2 shown]
	scratch_load_dwordx2 v[46:47], off, off offset:448
	v_cmp_lt_u32_e32 vcc, 44, v0
	s_waitcnt vmcnt(5) lgkmcnt(3)
	v_mul_f32_e32 v3, v4, v21
	v_fmac_f32_e32 v3, v5, v20
	v_add_f32_e32 v41, 0, v3
	v_mul_f32_e32 v3, v5, v21
	v_fma_f32 v3, v4, v20, -v3
	v_mul_f32_e32 v43, v6, v23
	v_add_f32_e32 v40, 0, v3
	v_mul_f32_e32 v3, v7, v23
	v_fmac_f32_e32 v43, v7, v22
	v_fma_f32 v42, v6, v22, -v3
	s_waitcnt vmcnt(4)
	v_mov_b32_e32 v22, v27
	s_waitcnt lgkmcnt(2)
	v_mul_f32_e32 v45, v8, v25
	v_mul_f32_e32 v3, v9, v25
	v_pk_mul_f32 v[22:23], v[10:11], v[22:23] op_sel:[1,0] op_sel_hi:[0,0]
	v_fmac_f32_e32 v45, v9, v24
	v_fma_f32 v44, v8, v24, -v3
	v_pk_add_f32 v[20:21], v[40:41], v[42:43]
	v_pk_fma_f32 v[24:25], v[10:11], v[26:27], v[22:23] neg_lo:[0,0,1] neg_hi:[0,0,1]
	v_pk_fma_f32 v[10:11], v[10:11], v[26:27], v[22:23] op_sel_hi:[1,0,1]
	v_pk_add_f32 v[20:21], v[20:21], v[44:45]
	v_mov_b32_e32 v25, v11
	v_pk_add_f32 v[10:11], v[20:21], v[24:25]
	s_waitcnt vmcnt(3) lgkmcnt(1)
	v_pk_mul_f32 v[20:21], v[12:13], v[28:29] op_sel:[1,1] op_sel_hi:[0,1]
	v_pk_fma_f32 v[22:23], v[12:13], v[28:29], v[20:21] neg_lo:[0,0,1] neg_hi:[0,0,1]
	v_pk_fma_f32 v[12:13], v[12:13], v[28:29], v[20:21] op_sel_hi:[1,0,1]
	ds_read_b128 v[4:7], v2 offset:896
	ds_read_b64 v[8:9], v2 offset:912
	v_mov_b32_e32 v12, v31
	v_mov_b32_e32 v23, v13
	v_pk_mul_f32 v[12:13], v[14:15], v[12:13] op_sel:[1,0] op_sel_hi:[0,0]
	v_pk_fma_f32 v[20:21], v[14:15], v[30:31], v[12:13] neg_lo:[0,0,1] neg_hi:[0,0,1]
	v_pk_fma_f32 v[12:13], v[14:15], v[30:31], v[12:13] op_sel_hi:[1,0,1]
	v_pk_add_f32 v[10:11], v[10:11], v[22:23]
	v_mov_b32_e32 v21, v13
	s_waitcnt vmcnt(2) lgkmcnt(2)
	v_pk_mul_f32 v[12:13], v[16:17], v[32:33] op_sel:[1,1] op_sel_hi:[0,1]
	v_pk_fma_f32 v[14:15], v[16:17], v[32:33], v[12:13] neg_lo:[0,0,1] neg_hi:[0,0,1]
	v_pk_fma_f32 v[12:13], v[16:17], v[32:33], v[12:13] op_sel_hi:[1,0,1]
	v_pk_add_f32 v[10:11], v[10:11], v[20:21]
	v_mov_b32_e32 v12, v35
	v_mov_b32_e32 v15, v13
	v_pk_mul_f32 v[12:13], v[18:19], v[12:13] op_sel:[1,0] op_sel_hi:[0,0]
	v_pk_add_f32 v[10:11], v[10:11], v[14:15]
	v_pk_fma_f32 v[14:15], v[18:19], v[34:35], v[12:13] neg_lo:[0,0,1] neg_hi:[0,0,1]
	v_pk_fma_f32 v[12:13], v[18:19], v[34:35], v[12:13] op_sel_hi:[1,0,1]
	s_nop 0
	v_mov_b32_e32 v15, v13
	s_waitcnt vmcnt(1) lgkmcnt(1)
	v_pk_mul_f32 v[12:13], v[4:5], v[36:37] op_sel:[1,1] op_sel_hi:[0,1]
	v_pk_add_f32 v[10:11], v[10:11], v[14:15]
	v_pk_fma_f32 v[14:15], v[4:5], v[36:37], v[12:13] neg_lo:[0,0,1] neg_hi:[0,0,1]
	v_pk_fma_f32 v[4:5], v[4:5], v[36:37], v[12:13] op_sel_hi:[1,0,1]
	s_nop 0
	v_mov_b32_e32 v15, v5
	v_pk_add_f32 v[4:5], v[10:11], v[14:15]
	v_mov_b32_e32 v10, v39
	v_pk_mul_f32 v[10:11], v[6:7], v[10:11] op_sel:[1,0] op_sel_hi:[0,0]
	v_pk_fma_f32 v[12:13], v[6:7], v[38:39], v[10:11] neg_lo:[0,0,1] neg_hi:[0,0,1]
	v_pk_fma_f32 v[6:7], v[6:7], v[38:39], v[10:11] op_sel_hi:[1,0,1]
	s_nop 0
	v_mov_b32_e32 v13, v7
	s_waitcnt vmcnt(0) lgkmcnt(0)
	v_pk_mul_f32 v[6:7], v[8:9], v[46:47] op_sel:[1,1] op_sel_hi:[0,1]
	v_pk_fma_f32 v[10:11], v[8:9], v[46:47], v[6:7] neg_lo:[0,0,1] neg_hi:[0,0,1]
	v_pk_fma_f32 v[6:7], v[8:9], v[46:47], v[6:7] op_sel_hi:[1,0,1]
	v_pk_add_f32 v[4:5], v[4:5], v[12:13]
	v_mov_b32_e32 v11, v7
	scratch_load_dwordx2 v[6:7], off, off offset:360
	v_pk_add_f32 v[4:5], v[4:5], v[10:11]
	s_waitcnt vmcnt(0)
	v_pk_add_f32 v[4:5], v[6:7], v[4:5] neg_lo:[0,1] neg_hi:[0,1]
	scratch_store_dwordx2 off, v[4:5], off offset:360
	s_and_saveexec_b64 s[0:1], vcc
	s_cbranch_execz .LBB120_267
; %bb.266:
	scratch_load_dwordx2 v[4:5], off, off offset:352
	v_mov_b32_e32 v3, v2
	scratch_store_dwordx2 off, v[2:3], off offset:352
	s_waitcnt vmcnt(1)
	ds_write_b64 v1, v[4:5]
.LBB120_267:
	s_or_b64 exec, exec, s[0:1]
	s_waitcnt lgkmcnt(0)
	; wave barrier
	scratch_load_dwordx4 v[8:11], off, off offset:360
	scratch_load_dwordx4 v[16:19], off, off offset:376
	ds_read2_b64 v[4:7], v2 offset0:103 offset1:104
	v_cmp_lt_u32_e32 vcc, 43, v0
	s_waitcnt vmcnt(1) lgkmcnt(0)
	v_mul_f32_e32 v3, v4, v9
	v_fmac_f32_e32 v3, v5, v8
	v_mul_f32_e32 v12, v6, v11
	v_add_f32_e32 v3, 0, v3
	v_fmac_f32_e32 v12, v7, v10
	v_add_f32_e32 v37, v3, v12
	ds_read2_b64 v[12:15], v2 offset0:105 offset1:106
	scratch_load_dwordx4 v[20:23], off, off offset:392
	scratch_load_dwordx4 v[24:27], off, off offset:408
	;; [unrolled: 1-line block ×4, first 2 shown]
	v_mul_f32_e32 v3, v5, v9
	v_fma_f32 v3, v4, v8, -v3
	v_mul_f32_e32 v4, v7, v11
	v_add_f32_e32 v3, 0, v3
	v_fma_f32 v4, v6, v10, -v4
	v_add_f32_e32 v36, v3, v4
	s_waitcnt vmcnt(4) lgkmcnt(0)
	v_mul_f32_e32 v3, v13, v17
	v_mul_f32_e32 v39, v12, v17
	v_mul_f32_e32 v41, v14, v19
	v_fma_f32 v38, v12, v16, -v3
	v_mul_f32_e32 v3, v15, v19
	v_fmac_f32_e32 v39, v13, v16
	v_fmac_f32_e32 v41, v15, v18
	v_fma_f32 v40, v14, v18, -v3
	ds_read2_b64 v[4:7], v2 offset0:107 offset1:108
	ds_read2_b64 v[8:11], v2 offset0:109 offset1:110
	;; [unrolled: 1-line block ×4, first 2 shown]
	v_pk_add_f32 v[2:3], v[36:37], v[38:39]
	s_waitcnt vmcnt(3) lgkmcnt(3)
	v_pk_mul_f32 v[36:37], v[4:5], v[20:21] op_sel:[1,1] op_sel_hi:[0,1]
	v_pk_fma_f32 v[38:39], v[4:5], v[20:21], v[36:37] neg_lo:[0,0,1] neg_hi:[0,0,1]
	v_pk_fma_f32 v[4:5], v[4:5], v[20:21], v[36:37] op_sel_hi:[1,0,1]
	v_pk_add_f32 v[2:3], v[2:3], v[40:41]
	v_mov_b32_e32 v4, v23
	v_mov_b32_e32 v39, v5
	v_pk_mul_f32 v[4:5], v[6:7], v[4:5] op_sel:[1,0] op_sel_hi:[0,0]
	v_pk_fma_f32 v[20:21], v[6:7], v[22:23], v[4:5] neg_lo:[0,0,1] neg_hi:[0,0,1]
	v_pk_fma_f32 v[4:5], v[6:7], v[22:23], v[4:5] op_sel_hi:[1,0,1]
	v_pk_add_f32 v[2:3], v[2:3], v[38:39]
	v_mov_b32_e32 v21, v5
	s_waitcnt vmcnt(2) lgkmcnt(2)
	v_pk_mul_f32 v[4:5], v[8:9], v[24:25] op_sel:[1,1] op_sel_hi:[0,1]
	v_pk_fma_f32 v[6:7], v[8:9], v[24:25], v[4:5] neg_lo:[0,0,1] neg_hi:[0,0,1]
	v_pk_fma_f32 v[4:5], v[8:9], v[24:25], v[4:5] op_sel_hi:[1,0,1]
	v_pk_add_f32 v[2:3], v[2:3], v[20:21]
	v_mov_b32_e32 v4, v27
	v_mov_b32_e32 v7, v5
	v_pk_mul_f32 v[4:5], v[10:11], v[4:5] op_sel:[1,0] op_sel_hi:[0,0]
	v_pk_add_f32 v[2:3], v[2:3], v[6:7]
	v_pk_fma_f32 v[6:7], v[10:11], v[26:27], v[4:5] neg_lo:[0,0,1] neg_hi:[0,0,1]
	v_pk_fma_f32 v[4:5], v[10:11], v[26:27], v[4:5] op_sel_hi:[1,0,1]
	s_nop 0
	v_mov_b32_e32 v7, v5
	s_waitcnt vmcnt(1) lgkmcnt(1)
	v_pk_mul_f32 v[4:5], v[12:13], v[28:29] op_sel:[1,1] op_sel_hi:[0,1]
	v_pk_add_f32 v[2:3], v[2:3], v[6:7]
	v_pk_fma_f32 v[6:7], v[12:13], v[28:29], v[4:5] neg_lo:[0,0,1] neg_hi:[0,0,1]
	v_pk_fma_f32 v[4:5], v[12:13], v[28:29], v[4:5] op_sel_hi:[1,0,1]
	s_nop 0
	v_mov_b32_e32 v4, v31
	v_mov_b32_e32 v7, v5
	v_pk_mul_f32 v[4:5], v[14:15], v[4:5] op_sel:[1,0] op_sel_hi:[0,0]
	v_pk_add_f32 v[2:3], v[2:3], v[6:7]
	v_pk_fma_f32 v[6:7], v[14:15], v[30:31], v[4:5] neg_lo:[0,0,1] neg_hi:[0,0,1]
	v_pk_fma_f32 v[4:5], v[14:15], v[30:31], v[4:5] op_sel_hi:[1,0,1]
	s_nop 0
	v_mov_b32_e32 v7, v5
	s_waitcnt vmcnt(0) lgkmcnt(0)
	v_pk_mul_f32 v[4:5], v[16:17], v[32:33] op_sel:[1,1] op_sel_hi:[0,1]
	v_pk_add_f32 v[2:3], v[2:3], v[6:7]
	v_pk_fma_f32 v[6:7], v[16:17], v[32:33], v[4:5] neg_lo:[0,0,1] neg_hi:[0,0,1]
	v_pk_fma_f32 v[4:5], v[16:17], v[32:33], v[4:5] op_sel_hi:[1,0,1]
	s_nop 0
	v_mov_b32_e32 v4, v35
	v_mov_b32_e32 v7, v5
	v_pk_mul_f32 v[4:5], v[18:19], v[4:5] op_sel:[1,0] op_sel_hi:[0,0]
	v_pk_add_f32 v[2:3], v[2:3], v[6:7]
	v_pk_fma_f32 v[6:7], v[18:19], v[34:35], v[4:5] neg_lo:[0,0,1] neg_hi:[0,0,1]
	v_pk_fma_f32 v[4:5], v[18:19], v[34:35], v[4:5] op_sel_hi:[1,0,1]
	s_nop 0
	v_mov_b32_e32 v7, v5
	scratch_load_dwordx2 v[4:5], off, off offset:352
	v_pk_add_f32 v[2:3], v[2:3], v[6:7]
	s_waitcnt vmcnt(0)
	v_pk_add_f32 v[2:3], v[4:5], v[2:3] neg_lo:[0,1] neg_hi:[0,1]
	scratch_store_dwordx2 off, v[2:3], off offset:352
	s_and_saveexec_b64 s[0:1], vcc
	s_cbranch_execz .LBB120_269
; %bb.268:
	scratch_load_dwordx2 v[2:3], off, off offset:344
	v_mov_b32_e32 v4, 0
	v_mov_b32_e32 v5, v4
	scratch_store_dwordx2 off, v[4:5], off offset:344
	s_waitcnt vmcnt(1)
	ds_write_b64 v1, v[2:3]
.LBB120_269:
	s_or_b64 exec, exec, s[0:1]
	v_mov_b32_e32 v2, 0
	s_waitcnt lgkmcnt(0)
	; wave barrier
	ds_read_b128 v[4:7], v2 offset:816
	ds_read_b128 v[8:11], v2 offset:832
	;; [unrolled: 1-line block ×4, first 2 shown]
	scratch_load_dwordx4 v[20:23], off, off offset:352
	v_cmp_lt_u32_e32 vcc, 42, v0
	s_waitcnt vmcnt(0) lgkmcnt(3)
	v_mul_f32_e32 v3, v4, v21
	v_fmac_f32_e32 v3, v5, v20
	v_mul_f32_e32 v24, v6, v23
	v_add_f32_e32 v3, 0, v3
	v_fmac_f32_e32 v24, v7, v22
	v_add_f32_e32 v3, v3, v24
	scratch_load_dwordx4 v[24:27], off, off offset:368
	s_waitcnt vmcnt(0) lgkmcnt(2)
	v_mul_f32_e32 v28, v8, v25
	v_fmac_f32_e32 v28, v9, v24
	v_add_f32_e32 v45, v3, v28
	scratch_load_dwordx4 v[28:31], off, off offset:384
	scratch_load_dwordx4 v[32:35], off, off offset:400
	;; [unrolled: 1-line block ×4, first 2 shown]
	scratch_load_dwordx2 v[50:51], off, off offset:448
	v_mul_f32_e32 v3, v5, v21
	v_fma_f32 v3, v4, v20, -v3
	v_mul_f32_e32 v4, v7, v23
	v_add_f32_e32 v3, 0, v3
	v_fma_f32 v4, v6, v22, -v4
	v_add_f32_e32 v3, v3, v4
	v_mul_f32_e32 v4, v9, v25
	v_fma_f32 v4, v8, v24, -v4
	v_mul_f32_e32 v47, v10, v27
	v_add_f32_e32 v44, v3, v4
	v_mul_f32_e32 v3, v11, v27
	v_fmac_f32_e32 v47, v11, v26
	v_fma_f32 v46, v10, v26, -v3
	v_pk_add_f32 v[20:21], v[44:45], v[46:47]
	s_waitcnt vmcnt(4)
	v_mov_b32_e32 v22, v31
	s_waitcnt lgkmcnt(1)
	v_mul_f32_e32 v49, v12, v29
	v_mul_f32_e32 v3, v13, v29
	v_pk_mul_f32 v[22:23], v[14:15], v[22:23] op_sel:[1,0] op_sel_hi:[0,0]
	v_fmac_f32_e32 v49, v13, v28
	v_fma_f32 v48, v12, v28, -v3
	v_pk_fma_f32 v[24:25], v[14:15], v[30:31], v[22:23] neg_lo:[0,0,1] neg_hi:[0,0,1]
	v_pk_fma_f32 v[14:15], v[14:15], v[30:31], v[22:23] op_sel_hi:[1,0,1]
	v_pk_add_f32 v[20:21], v[20:21], v[48:49]
	v_mov_b32_e32 v25, v15
	v_pk_add_f32 v[14:15], v[20:21], v[24:25]
	s_waitcnt vmcnt(3) lgkmcnt(0)
	v_pk_mul_f32 v[20:21], v[16:17], v[32:33] op_sel:[1,1] op_sel_hi:[0,1]
	v_pk_fma_f32 v[22:23], v[16:17], v[32:33], v[20:21] neg_lo:[0,0,1] neg_hi:[0,0,1]
	v_pk_fma_f32 v[16:17], v[16:17], v[32:33], v[20:21] op_sel_hi:[1,0,1]
	ds_read_b128 v[4:7], v2 offset:880
	ds_read_b128 v[8:11], v2 offset:896
	ds_read_b64 v[12:13], v2 offset:912
	v_mov_b32_e32 v16, v35
	v_mov_b32_e32 v23, v17
	v_pk_mul_f32 v[16:17], v[18:19], v[16:17] op_sel:[1,0] op_sel_hi:[0,0]
	v_pk_fma_f32 v[20:21], v[18:19], v[34:35], v[16:17] neg_lo:[0,0,1] neg_hi:[0,0,1]
	v_pk_fma_f32 v[16:17], v[18:19], v[34:35], v[16:17] op_sel_hi:[1,0,1]
	v_pk_add_f32 v[14:15], v[14:15], v[22:23]
	v_mov_b32_e32 v21, v17
	s_waitcnt vmcnt(2) lgkmcnt(2)
	v_pk_mul_f32 v[16:17], v[4:5], v[36:37] op_sel:[1,1] op_sel_hi:[0,1]
	v_pk_fma_f32 v[18:19], v[4:5], v[36:37], v[16:17] neg_lo:[0,0,1] neg_hi:[0,0,1]
	v_pk_fma_f32 v[4:5], v[4:5], v[36:37], v[16:17] op_sel_hi:[1,0,1]
	v_pk_add_f32 v[14:15], v[14:15], v[20:21]
	v_mov_b32_e32 v19, v5
	v_pk_add_f32 v[4:5], v[14:15], v[18:19]
	v_mov_b32_e32 v14, v39
	v_pk_mul_f32 v[14:15], v[6:7], v[14:15] op_sel:[1,0] op_sel_hi:[0,0]
	v_pk_fma_f32 v[16:17], v[6:7], v[38:39], v[14:15] neg_lo:[0,0,1] neg_hi:[0,0,1]
	v_pk_fma_f32 v[6:7], v[6:7], v[38:39], v[14:15] op_sel_hi:[1,0,1]
	s_nop 0
	v_mov_b32_e32 v17, v7
	s_waitcnt vmcnt(1) lgkmcnt(1)
	v_pk_mul_f32 v[6:7], v[8:9], v[40:41] op_sel:[1,1] op_sel_hi:[0,1]
	v_pk_fma_f32 v[14:15], v[8:9], v[40:41], v[6:7] neg_lo:[0,0,1] neg_hi:[0,0,1]
	v_pk_fma_f32 v[6:7], v[8:9], v[40:41], v[6:7] op_sel_hi:[1,0,1]
	v_pk_add_f32 v[4:5], v[4:5], v[16:17]
	v_mov_b32_e32 v6, v43
	v_mov_b32_e32 v15, v7
	v_pk_mul_f32 v[6:7], v[10:11], v[6:7] op_sel:[1,0] op_sel_hi:[0,0]
	v_pk_fma_f32 v[8:9], v[10:11], v[42:43], v[6:7] neg_lo:[0,0,1] neg_hi:[0,0,1]
	v_pk_fma_f32 v[6:7], v[10:11], v[42:43], v[6:7] op_sel_hi:[1,0,1]
	v_pk_add_f32 v[4:5], v[4:5], v[14:15]
	v_mov_b32_e32 v9, v7
	s_waitcnt vmcnt(0) lgkmcnt(0)
	v_pk_mul_f32 v[6:7], v[12:13], v[50:51] op_sel:[1,1] op_sel_hi:[0,1]
	v_pk_add_f32 v[4:5], v[4:5], v[8:9]
	v_pk_fma_f32 v[8:9], v[12:13], v[50:51], v[6:7] neg_lo:[0,0,1] neg_hi:[0,0,1]
	v_pk_fma_f32 v[6:7], v[12:13], v[50:51], v[6:7] op_sel_hi:[1,0,1]
	s_nop 0
	v_mov_b32_e32 v9, v7
	scratch_load_dwordx2 v[6:7], off, off offset:344
	v_pk_add_f32 v[4:5], v[4:5], v[8:9]
	s_waitcnt vmcnt(0)
	v_pk_add_f32 v[4:5], v[6:7], v[4:5] neg_lo:[0,1] neg_hi:[0,1]
	scratch_store_dwordx2 off, v[4:5], off offset:344
	s_and_saveexec_b64 s[0:1], vcc
	s_cbranch_execz .LBB120_271
; %bb.270:
	scratch_load_dwordx2 v[4:5], off, off offset:336
	v_mov_b32_e32 v3, v2
	scratch_store_dwordx2 off, v[2:3], off offset:336
	s_waitcnt vmcnt(1)
	ds_write_b64 v1, v[4:5]
.LBB120_271:
	s_or_b64 exec, exec, s[0:1]
	s_waitcnt lgkmcnt(0)
	; wave barrier
	scratch_load_dwordx4 v[8:11], off, off offset:344
	scratch_load_dwordx4 v[16:19], off, off offset:360
	ds_read2_b64 v[4:7], v2 offset0:101 offset1:102
	scratch_load_dwordx4 v[24:27], off, off offset:376
	v_cmp_lt_u32_e32 vcc, 41, v0
	s_waitcnt vmcnt(2) lgkmcnt(0)
	v_mul_f32_e32 v3, v4, v9
	v_fmac_f32_e32 v3, v5, v8
	v_mul_f32_e32 v12, v6, v11
	v_add_f32_e32 v3, 0, v3
	v_fmac_f32_e32 v12, v7, v10
	v_add_f32_e32 v3, v3, v12
	ds_read2_b64 v[12:15], v2 offset0:103 offset1:104
	s_waitcnt vmcnt(1) lgkmcnt(0)
	v_mul_f32_e32 v20, v12, v17
	v_fmac_f32_e32 v20, v13, v16
	v_add_f32_e32 v3, v3, v20
	v_mul_f32_e32 v20, v14, v19
	v_fmac_f32_e32 v20, v15, v18
	v_add_f32_e32 v45, v3, v20
	ds_read2_b64 v[20:23], v2 offset0:105 offset1:106
	scratch_load_dwordx4 v[28:31], off, off offset:392
	scratch_load_dwordx4 v[32:35], off, off offset:408
	;; [unrolled: 1-line block ×4, first 2 shown]
	v_mul_f32_e32 v3, v5, v9
	v_fma_f32 v3, v4, v8, -v3
	v_mul_f32_e32 v4, v7, v11
	v_add_f32_e32 v3, 0, v3
	v_fma_f32 v4, v6, v10, -v4
	v_add_f32_e32 v3, v3, v4
	v_mul_f32_e32 v4, v13, v17
	v_fma_f32 v4, v12, v16, -v4
	v_add_f32_e32 v3, v3, v4
	v_mul_f32_e32 v4, v15, v19
	v_fma_f32 v4, v14, v18, -v4
	v_add_f32_e32 v44, v3, v4
	ds_read2_b64 v[4:7], v2 offset0:107 offset1:108
	ds_read2_b64 v[8:11], v2 offset0:109 offset1:110
	;; [unrolled: 1-line block ×4, first 2 shown]
	s_waitcnt vmcnt(4) lgkmcnt(4)
	v_mul_f32_e32 v47, v20, v25
	v_mul_f32_e32 v3, v21, v25
	v_fmac_f32_e32 v47, v21, v24
	v_mul_f32_e32 v49, v22, v27
	v_fma_f32 v46, v20, v24, -v3
	v_mul_f32_e32 v3, v23, v27
	v_fmac_f32_e32 v49, v23, v26
	v_fma_f32 v48, v22, v26, -v3
	v_pk_add_f32 v[2:3], v[44:45], v[46:47]
	s_waitcnt vmcnt(3) lgkmcnt(3)
	v_pk_mul_f32 v[20:21], v[4:5], v[28:29] op_sel:[1,1] op_sel_hi:[0,1]
	v_pk_fma_f32 v[22:23], v[4:5], v[28:29], v[20:21] neg_lo:[0,0,1] neg_hi:[0,0,1]
	v_pk_fma_f32 v[4:5], v[4:5], v[28:29], v[20:21] op_sel_hi:[1,0,1]
	v_pk_add_f32 v[2:3], v[2:3], v[48:49]
	v_mov_b32_e32 v4, v31
	v_mov_b32_e32 v23, v5
	v_pk_mul_f32 v[4:5], v[6:7], v[4:5] op_sel:[1,0] op_sel_hi:[0,0]
	v_pk_fma_f32 v[20:21], v[6:7], v[30:31], v[4:5] neg_lo:[0,0,1] neg_hi:[0,0,1]
	v_pk_fma_f32 v[4:5], v[6:7], v[30:31], v[4:5] op_sel_hi:[1,0,1]
	v_pk_add_f32 v[2:3], v[2:3], v[22:23]
	v_mov_b32_e32 v21, v5
	s_waitcnt vmcnt(2) lgkmcnt(2)
	v_pk_mul_f32 v[4:5], v[8:9], v[32:33] op_sel:[1,1] op_sel_hi:[0,1]
	v_pk_fma_f32 v[6:7], v[8:9], v[32:33], v[4:5] neg_lo:[0,0,1] neg_hi:[0,0,1]
	v_pk_fma_f32 v[4:5], v[8:9], v[32:33], v[4:5] op_sel_hi:[1,0,1]
	v_pk_add_f32 v[2:3], v[2:3], v[20:21]
	v_mov_b32_e32 v4, v35
	v_mov_b32_e32 v7, v5
	v_pk_mul_f32 v[4:5], v[10:11], v[4:5] op_sel:[1,0] op_sel_hi:[0,0]
	v_pk_add_f32 v[2:3], v[2:3], v[6:7]
	v_pk_fma_f32 v[6:7], v[10:11], v[34:35], v[4:5] neg_lo:[0,0,1] neg_hi:[0,0,1]
	v_pk_fma_f32 v[4:5], v[10:11], v[34:35], v[4:5] op_sel_hi:[1,0,1]
	s_nop 0
	v_mov_b32_e32 v7, v5
	s_waitcnt vmcnt(1) lgkmcnt(1)
	v_pk_mul_f32 v[4:5], v[12:13], v[36:37] op_sel:[1,1] op_sel_hi:[0,1]
	v_pk_add_f32 v[2:3], v[2:3], v[6:7]
	v_pk_fma_f32 v[6:7], v[12:13], v[36:37], v[4:5] neg_lo:[0,0,1] neg_hi:[0,0,1]
	v_pk_fma_f32 v[4:5], v[12:13], v[36:37], v[4:5] op_sel_hi:[1,0,1]
	s_nop 0
	v_mov_b32_e32 v4, v39
	v_mov_b32_e32 v7, v5
	v_pk_mul_f32 v[4:5], v[14:15], v[4:5] op_sel:[1,0] op_sel_hi:[0,0]
	v_pk_add_f32 v[2:3], v[2:3], v[6:7]
	v_pk_fma_f32 v[6:7], v[14:15], v[38:39], v[4:5] neg_lo:[0,0,1] neg_hi:[0,0,1]
	v_pk_fma_f32 v[4:5], v[14:15], v[38:39], v[4:5] op_sel_hi:[1,0,1]
	s_nop 0
	v_mov_b32_e32 v7, v5
	s_waitcnt vmcnt(0) lgkmcnt(0)
	v_pk_mul_f32 v[4:5], v[16:17], v[40:41] op_sel:[1,1] op_sel_hi:[0,1]
	v_pk_add_f32 v[2:3], v[2:3], v[6:7]
	v_pk_fma_f32 v[6:7], v[16:17], v[40:41], v[4:5] neg_lo:[0,0,1] neg_hi:[0,0,1]
	v_pk_fma_f32 v[4:5], v[16:17], v[40:41], v[4:5] op_sel_hi:[1,0,1]
	s_nop 0
	v_mov_b32_e32 v4, v43
	v_mov_b32_e32 v7, v5
	v_pk_mul_f32 v[4:5], v[18:19], v[4:5] op_sel:[1,0] op_sel_hi:[0,0]
	v_pk_add_f32 v[2:3], v[2:3], v[6:7]
	v_pk_fma_f32 v[6:7], v[18:19], v[42:43], v[4:5] neg_lo:[0,0,1] neg_hi:[0,0,1]
	v_pk_fma_f32 v[4:5], v[18:19], v[42:43], v[4:5] op_sel_hi:[1,0,1]
	s_nop 0
	v_mov_b32_e32 v7, v5
	scratch_load_dwordx2 v[4:5], off, off offset:336
	v_pk_add_f32 v[2:3], v[2:3], v[6:7]
	s_waitcnt vmcnt(0)
	v_pk_add_f32 v[2:3], v[4:5], v[2:3] neg_lo:[0,1] neg_hi:[0,1]
	scratch_store_dwordx2 off, v[2:3], off offset:336
	s_and_saveexec_b64 s[0:1], vcc
	s_cbranch_execz .LBB120_273
; %bb.272:
	scratch_load_dwordx2 v[2:3], off, off offset:328
	v_mov_b32_e32 v4, 0
	v_mov_b32_e32 v5, v4
	scratch_store_dwordx2 off, v[4:5], off offset:328
	s_waitcnt vmcnt(1)
	ds_write_b64 v1, v[2:3]
.LBB120_273:
	s_or_b64 exec, exec, s[0:1]
	v_mov_b32_e32 v2, 0
	s_waitcnt lgkmcnt(0)
	; wave barrier
	ds_read_b128 v[4:7], v2 offset:800
	ds_read_b128 v[8:11], v2 offset:816
	;; [unrolled: 1-line block ×4, first 2 shown]
	scratch_load_dwordx4 v[20:23], off, off offset:336
	v_cmp_lt_u32_e32 vcc, 40, v0
	s_waitcnt vmcnt(0) lgkmcnt(3)
	v_mul_f32_e32 v3, v4, v21
	v_fmac_f32_e32 v3, v5, v20
	v_mul_f32_e32 v24, v6, v23
	v_add_f32_e32 v3, 0, v3
	v_fmac_f32_e32 v24, v7, v22
	v_add_f32_e32 v3, v3, v24
	scratch_load_dwordx4 v[24:27], off, off offset:352
	s_waitcnt vmcnt(0) lgkmcnt(2)
	v_mul_f32_e32 v28, v8, v25
	v_fmac_f32_e32 v28, v9, v24
	v_add_f32_e32 v3, v3, v28
	v_mul_f32_e32 v28, v10, v27
	v_fmac_f32_e32 v28, v11, v26
	v_add_f32_e32 v3, v3, v28
	scratch_load_dwordx4 v[28:31], off, off offset:368
	s_waitcnt vmcnt(0) lgkmcnt(1)
	v_mul_f32_e32 v32, v12, v29
	v_fmac_f32_e32 v32, v13, v28
	v_add_f32_e32 v49, v3, v32
	scratch_load_dwordx4 v[32:35], off, off offset:384
	scratch_load_dwordx4 v[36:39], off, off offset:400
	;; [unrolled: 1-line block ×4, first 2 shown]
	scratch_load_dwordx2 v[54:55], off, off offset:448
	v_mul_f32_e32 v3, v5, v21
	v_fma_f32 v3, v4, v20, -v3
	v_mul_f32_e32 v4, v7, v23
	v_add_f32_e32 v3, 0, v3
	v_fma_f32 v4, v6, v22, -v4
	v_add_f32_e32 v3, v3, v4
	v_mul_f32_e32 v4, v9, v25
	v_fma_f32 v4, v8, v24, -v4
	v_add_f32_e32 v3, v3, v4
	v_mul_f32_e32 v4, v11, v27
	v_fma_f32 v4, v10, v26, -v4
	v_add_f32_e32 v3, v3, v4
	v_mul_f32_e32 v4, v13, v29
	v_fma_f32 v4, v12, v28, -v4
	v_mul_f32_e32 v51, v14, v31
	v_add_f32_e32 v48, v3, v4
	v_mul_f32_e32 v3, v15, v31
	v_fmac_f32_e32 v51, v15, v30
	v_fma_f32 v50, v14, v30, -v3
	v_pk_add_f32 v[20:21], v[48:49], v[50:51]
	s_waitcnt vmcnt(4)
	v_mov_b32_e32 v22, v35
	s_waitcnt lgkmcnt(0)
	v_mul_f32_e32 v53, v16, v33
	v_mul_f32_e32 v3, v17, v33
	v_pk_mul_f32 v[22:23], v[18:19], v[22:23] op_sel:[1,0] op_sel_hi:[0,0]
	v_fmac_f32_e32 v53, v17, v32
	v_fma_f32 v52, v16, v32, -v3
	ds_read_b128 v[4:7], v2 offset:864
	ds_read_b128 v[8:11], v2 offset:880
	;; [unrolled: 1-line block ×3, first 2 shown]
	ds_read_b64 v[16:17], v2 offset:912
	v_pk_fma_f32 v[24:25], v[18:19], v[34:35], v[22:23] neg_lo:[0,0,1] neg_hi:[0,0,1]
	v_pk_fma_f32 v[18:19], v[18:19], v[34:35], v[22:23] op_sel_hi:[1,0,1]
	v_pk_add_f32 v[20:21], v[20:21], v[52:53]
	v_mov_b32_e32 v25, v19
	v_pk_add_f32 v[18:19], v[20:21], v[24:25]
	s_waitcnt vmcnt(3) lgkmcnt(3)
	v_pk_mul_f32 v[20:21], v[4:5], v[36:37] op_sel:[1,1] op_sel_hi:[0,1]
	v_pk_fma_f32 v[22:23], v[4:5], v[36:37], v[20:21] neg_lo:[0,0,1] neg_hi:[0,0,1]
	v_pk_fma_f32 v[4:5], v[4:5], v[36:37], v[20:21] op_sel_hi:[1,0,1]
	s_nop 0
	v_mov_b32_e32 v23, v5
	v_pk_add_f32 v[4:5], v[18:19], v[22:23]
	v_mov_b32_e32 v18, v39
	v_pk_mul_f32 v[18:19], v[6:7], v[18:19] op_sel:[1,0] op_sel_hi:[0,0]
	v_pk_fma_f32 v[20:21], v[6:7], v[38:39], v[18:19] neg_lo:[0,0,1] neg_hi:[0,0,1]
	v_pk_fma_f32 v[6:7], v[6:7], v[38:39], v[18:19] op_sel_hi:[1,0,1]
	s_nop 0
	v_mov_b32_e32 v21, v7
	s_waitcnt vmcnt(2) lgkmcnt(2)
	v_pk_mul_f32 v[6:7], v[8:9], v[40:41] op_sel:[1,1] op_sel_hi:[0,1]
	v_pk_fma_f32 v[18:19], v[8:9], v[40:41], v[6:7] neg_lo:[0,0,1] neg_hi:[0,0,1]
	v_pk_fma_f32 v[6:7], v[8:9], v[40:41], v[6:7] op_sel_hi:[1,0,1]
	v_pk_add_f32 v[4:5], v[4:5], v[20:21]
	v_mov_b32_e32 v6, v43
	v_mov_b32_e32 v19, v7
	v_pk_mul_f32 v[6:7], v[10:11], v[6:7] op_sel:[1,0] op_sel_hi:[0,0]
	v_pk_fma_f32 v[8:9], v[10:11], v[42:43], v[6:7] neg_lo:[0,0,1] neg_hi:[0,0,1]
	v_pk_fma_f32 v[6:7], v[10:11], v[42:43], v[6:7] op_sel_hi:[1,0,1]
	v_pk_add_f32 v[4:5], v[4:5], v[18:19]
	v_mov_b32_e32 v9, v7
	s_waitcnt vmcnt(1) lgkmcnt(1)
	v_pk_mul_f32 v[6:7], v[12:13], v[44:45] op_sel:[1,1] op_sel_hi:[0,1]
	v_pk_add_f32 v[4:5], v[4:5], v[8:9]
	v_pk_fma_f32 v[8:9], v[12:13], v[44:45], v[6:7] neg_lo:[0,0,1] neg_hi:[0,0,1]
	v_pk_fma_f32 v[6:7], v[12:13], v[44:45], v[6:7] op_sel_hi:[1,0,1]
	s_nop 0
	v_mov_b32_e32 v6, v47
	v_mov_b32_e32 v9, v7
	v_pk_mul_f32 v[6:7], v[14:15], v[6:7] op_sel:[1,0] op_sel_hi:[0,0]
	v_pk_add_f32 v[4:5], v[4:5], v[8:9]
	v_pk_fma_f32 v[8:9], v[14:15], v[46:47], v[6:7] neg_lo:[0,0,1] neg_hi:[0,0,1]
	v_pk_fma_f32 v[6:7], v[14:15], v[46:47], v[6:7] op_sel_hi:[1,0,1]
	s_nop 0
	v_mov_b32_e32 v9, v7
	s_waitcnt vmcnt(0) lgkmcnt(0)
	v_pk_mul_f32 v[6:7], v[16:17], v[54:55] op_sel:[1,1] op_sel_hi:[0,1]
	v_pk_add_f32 v[4:5], v[4:5], v[8:9]
	v_pk_fma_f32 v[8:9], v[16:17], v[54:55], v[6:7] neg_lo:[0,0,1] neg_hi:[0,0,1]
	v_pk_fma_f32 v[6:7], v[16:17], v[54:55], v[6:7] op_sel_hi:[1,0,1]
	s_nop 0
	v_mov_b32_e32 v9, v7
	scratch_load_dwordx2 v[6:7], off, off offset:328
	v_pk_add_f32 v[4:5], v[4:5], v[8:9]
	s_waitcnt vmcnt(0)
	v_pk_add_f32 v[4:5], v[6:7], v[4:5] neg_lo:[0,1] neg_hi:[0,1]
	scratch_store_dwordx2 off, v[4:5], off offset:328
	s_and_saveexec_b64 s[0:1], vcc
	s_cbranch_execz .LBB120_275
; %bb.274:
	scratch_load_dwordx2 v[4:5], off, off offset:320
	v_mov_b32_e32 v3, v2
	scratch_store_dwordx2 off, v[2:3], off offset:320
	s_waitcnt vmcnt(1)
	ds_write_b64 v1, v[4:5]
.LBB120_275:
	s_or_b64 exec, exec, s[0:1]
	s_waitcnt lgkmcnt(0)
	; wave barrier
	scratch_load_dwordx4 v[4:7], off, off offset:328
	scratch_load_dwordx4 v[8:11], off, off offset:344
	;; [unrolled: 1-line block ×7, first 2 shown]
	ds_read2_b64 v[32:35], v2 offset0:99 offset1:100
	ds_read2_b64 v[36:39], v2 offset0:101 offset1:102
	;; [unrolled: 1-line block ×4, first 2 shown]
	scratch_load_dwordx4 v[48:51], off, off offset:440
	ds_read2_b64 v[52:55], v2 offset0:107 offset1:108
	ds_read2_b64 v[56:59], v2 offset0:109 offset1:110
	;; [unrolled: 1-line block ×4, first 2 shown]
	scratch_load_dwordx2 v[2:3], off, off offset:320
	v_cmp_lt_u32_e32 vcc, 39, v0
	s_waitcnt vmcnt(8) lgkmcnt(7)
	v_mul_f32_e32 v75, v32, v5
	v_mul_f32_e32 v79, v34, v7
	s_waitcnt vmcnt(7) lgkmcnt(6)
	v_mul_f32_e32 v83, v36, v9
	v_mul_f32_e32 v84, v38, v11
	;; [unrolled: 3-line block ×3, first 2 shown]
	v_mul_f32_e32 v5, v33, v5
	v_mul_f32_e32 v7, v35, v7
	;; [unrolled: 1-line block ×6, first 2 shown]
	s_waitcnt vmcnt(4) lgkmcnt(3)
	v_pk_mul_f32 v[72:73], v[52:53], v[20:21] op_sel:[1,1] op_sel_hi:[0,1]
	v_mov_b32_e32 v74, v23
	s_waitcnt vmcnt(3) lgkmcnt(2)
	v_pk_mul_f32 v[76:77], v[56:57], v[24:25] op_sel:[1,1] op_sel_hi:[0,1]
	v_mov_b32_e32 v78, v27
	v_fmac_f32_e32 v75, v33, v4
	v_fmac_f32_e32 v79, v35, v6
	;; [unrolled: 1-line block ×6, first 2 shown]
	v_fma_f32 v32, v32, v4, -v5
	v_fma_f32 v33, v34, v6, -v7
	;; [unrolled: 1-line block ×6, first 2 shown]
	v_pk_fma_f32 v[4:5], v[52:53], v[20:21], v[72:73] neg_lo:[0,0,1] neg_hi:[0,0,1]
	v_pk_fma_f32 v[6:7], v[52:53], v[20:21], v[72:73] op_sel_hi:[1,0,1]
	v_pk_mul_f32 v[8:9], v[54:55], v[74:75] op_sel:[1,0] op_sel_hi:[0,0]
	v_pk_fma_f32 v[10:11], v[56:57], v[24:25], v[76:77] neg_lo:[0,0,1] neg_hi:[0,0,1]
	v_pk_fma_f32 v[12:13], v[56:57], v[24:25], v[76:77] op_sel_hi:[1,0,1]
	v_pk_mul_f32 v[14:15], v[58:59], v[78:79] op_sel:[1,0] op_sel_hi:[0,0]
	v_add_f32_e32 v24, 0, v75
	v_add_f32_e32 v25, 0, v32
	v_mov_b32_e32 v5, v7
	v_pk_fma_f32 v[6:7], v[54:55], v[22:23], v[8:9] neg_lo:[0,0,1] neg_hi:[0,0,1]
	v_pk_fma_f32 v[8:9], v[54:55], v[22:23], v[8:9] op_sel_hi:[1,0,1]
	v_mov_b32_e32 v11, v13
	v_pk_fma_f32 v[12:13], v[58:59], v[26:27], v[14:15] neg_lo:[0,0,1] neg_hi:[0,0,1]
	v_pk_fma_f32 v[14:15], v[58:59], v[26:27], v[14:15] op_sel_hi:[1,0,1]
	v_add_f32_e32 v8, v24, v79
	v_add_f32_e32 v14, v25, v33
	v_mov_b32_e32 v7, v9
	v_add_f32_e32 v8, v8, v83
	v_add_f32_e32 v9, v14, v34
	;; [unrolled: 1-line block ×4, first 2 shown]
	v_mul_f32_e32 v69, v44, v17
	v_mul_f32_e32 v17, v45, v17
	v_add_f32_e32 v8, v8, v85
	v_add_f32_e32 v14, v9, v36
	v_mul_f32_e32 v71, v46, v19
	v_mul_f32_e32 v19, v47, v19
	v_fmac_f32_e32 v69, v45, v16
	v_fma_f32 v68, v44, v16, -v17
	v_add_f32_e32 v9, v8, v86
	v_add_f32_e32 v8, v14, v37
	v_fmac_f32_e32 v71, v47, v18
	v_fma_f32 v70, v46, v18, -v19
	v_pk_add_f32 v[8:9], v[8:9], v[68:69]
	s_waitcnt vmcnt(2) lgkmcnt(1)
	v_pk_mul_f32 v[80:81], v[60:61], v[28:29] op_sel:[1,1] op_sel_hi:[0,1]
	v_mov_b32_e32 v82, v31
	v_pk_add_f32 v[8:9], v[8:9], v[70:71]
	v_pk_fma_f32 v[16:17], v[60:61], v[28:29], v[80:81] neg_lo:[0,0,1] neg_hi:[0,0,1]
	v_pk_fma_f32 v[18:19], v[60:61], v[28:29], v[80:81] op_sel_hi:[1,0,1]
	v_pk_mul_f32 v[20:21], v[62:63], v[82:83] op_sel:[1,0] op_sel_hi:[0,0]
	v_pk_add_f32 v[4:5], v[8:9], v[4:5]
	v_mov_b32_e32 v17, v19
	v_pk_fma_f32 v[18:19], v[62:63], v[30:31], v[20:21] neg_lo:[0,0,1] neg_hi:[0,0,1]
	v_pk_add_f32 v[4:5], v[4:5], v[6:7]
	v_pk_fma_f32 v[6:7], v[62:63], v[30:31], v[20:21] op_sel_hi:[1,0,1]
	v_mov_b32_e32 v13, v15
	v_pk_add_f32 v[4:5], v[4:5], v[10:11]
	v_mov_b32_e32 v19, v7
	s_waitcnt vmcnt(1) lgkmcnt(0)
	v_pk_mul_f32 v[6:7], v[64:65], v[48:49] op_sel:[1,1] op_sel_hi:[0,1]
	v_pk_add_f32 v[4:5], v[4:5], v[12:13]
	v_pk_fma_f32 v[8:9], v[64:65], v[48:49], v[6:7] neg_lo:[0,0,1] neg_hi:[0,0,1]
	v_pk_fma_f32 v[6:7], v[64:65], v[48:49], v[6:7] op_sel_hi:[1,0,1]
	v_pk_add_f32 v[4:5], v[4:5], v[16:17]
	v_mov_b32_e32 v6, v51
	v_pk_add_f32 v[4:5], v[4:5], v[18:19]
	v_mov_b32_e32 v9, v7
	v_pk_mul_f32 v[6:7], v[66:67], v[6:7] op_sel:[1,0] op_sel_hi:[0,0]
	v_pk_add_f32 v[4:5], v[4:5], v[8:9]
	v_pk_fma_f32 v[8:9], v[66:67], v[50:51], v[6:7] neg_lo:[0,0,1] neg_hi:[0,0,1]
	v_pk_fma_f32 v[6:7], v[66:67], v[50:51], v[6:7] op_sel_hi:[1,0,1]
	s_nop 0
	v_mov_b32_e32 v9, v7
	v_pk_add_f32 v[4:5], v[4:5], v[8:9]
	s_waitcnt vmcnt(0)
	v_pk_add_f32 v[2:3], v[2:3], v[4:5] neg_lo:[0,1] neg_hi:[0,1]
	scratch_store_dwordx2 off, v[2:3], off offset:320
	s_and_saveexec_b64 s[0:1], vcc
	s_cbranch_execz .LBB120_277
; %bb.276:
	scratch_load_dwordx2 v[2:3], off, off offset:312
	v_mov_b32_e32 v4, 0
	v_mov_b32_e32 v5, v4
	scratch_store_dwordx2 off, v[4:5], off offset:312
	s_waitcnt vmcnt(1)
	ds_write_b64 v1, v[2:3]
.LBB120_277:
	s_or_b64 exec, exec, s[0:1]
	s_waitcnt lgkmcnt(0)
	; wave barrier
	scratch_load_dwordx4 v[4:7], off, off offset:320
	scratch_load_dwordx4 v[8:11], off, off offset:336
	;; [unrolled: 1-line block ×8, first 2 shown]
	scratch_load_dwordx2 v[68:69], off, off offset:448
	scratch_load_dwordx2 v[70:71], off, off offset:312
	v_mov_b32_e32 v2, 0
	ds_read_b128 v[36:39], v2 offset:784
	ds_read_b128 v[40:43], v2 offset:800
	;; [unrolled: 1-line block ×8, first 2 shown]
	ds_read_b64 v[72:73], v2 offset:912
	v_cmp_lt_u32_e32 vcc, 38, v0
	s_waitcnt vmcnt(9) lgkmcnt(8)
	v_mul_f32_e32 v79, v38, v7
	v_mul_f32_e32 v3, v36, v5
	s_waitcnt vmcnt(8) lgkmcnt(7)
	v_mul_f32_e32 v83, v40, v9
	s_waitcnt vmcnt(7) lgkmcnt(6)
	v_mul_f32_e32 v87, v44, v13
	v_mul_f32_e32 v5, v37, v5
	;; [unrolled: 1-line block ×5, first 2 shown]
	s_waitcnt vmcnt(5)
	v_mov_b32_e32 v78, v23
	s_waitcnt vmcnt(3) lgkmcnt(2)
	v_pk_mul_f32 v[84:85], v[60:61], v[28:29] op_sel:[1,1] op_sel_hi:[0,1]
	v_fmac_f32_e32 v79, v39, v6
	v_mul_f32_e32 v86, v42, v11
	v_mul_f32_e32 v89, v48, v17
	;; [unrolled: 1-line block ×4, first 2 shown]
	v_fmac_f32_e32 v3, v37, v4
	v_fmac_f32_e32 v87, v45, v12
	v_fma_f32 v36, v36, v4, -v5
	v_fma_f32 v37, v38, v6, -v7
	;; [unrolled: 1-line block ×4, first 2 shown]
	v_pk_mul_f32 v[4:5], v[54:55], v[78:79] op_sel:[1,0] op_sel_hi:[0,0]
	v_pk_fma_f32 v[12:13], v[60:61], v[28:29], v[84:85] neg_lo:[0,0,1] neg_hi:[0,0,1]
	v_fmac_f32_e32 v89, v49, v16
	v_fma_f32 v39, v42, v10, -v11
	v_fma_f32 v42, v48, v16, -v17
	v_add_f32_e32 v3, 0, v3
	v_add_f32_e32 v13, 0, v36
	v_pk_fma_f32 v[16:17], v[54:55], v[22:23], v[4:5] neg_lo:[0,0,1] neg_hi:[0,0,1]
	v_pk_fma_f32 v[4:5], v[54:55], v[22:23], v[4:5] op_sel_hi:[1,0,1]
	v_fmac_f32_e32 v83, v41, v8
	v_add_f32_e32 v3, v3, v79
	v_add_f32_e32 v4, v13, v37
	v_fmac_f32_e32 v86, v43, v10
	v_add_f32_e32 v3, v3, v83
	v_add_f32_e32 v4, v4, v38
	v_mul_f32_e32 v88, v46, v15
	v_mul_f32_e32 v15, v47, v15
	v_add_f32_e32 v3, v3, v86
	v_add_f32_e32 v4, v4, v39
	v_fmac_f32_e32 v88, v47, v14
	v_fma_f32 v41, v46, v14, -v15
	v_add_f32_e32 v3, v3, v87
	v_add_f32_e32 v4, v4, v40
	v_mul_f32_e32 v75, v50, v19
	v_mul_f32_e32 v19, v51, v19
	v_add_f32_e32 v3, v3, v88
	v_add_f32_e32 v4, v4, v41
	v_mul_f32_e32 v77, v52, v21
	v_mul_f32_e32 v21, v53, v21
	v_fmac_f32_e32 v75, v51, v18
	v_fma_f32 v74, v50, v18, -v19
	v_mov_b32_e32 v17, v5
	v_add_f32_e32 v5, v3, v89
	v_add_f32_e32 v4, v4, v42
	v_pk_mul_f32 v[80:81], v[56:57], v[24:25] op_sel:[1,1] op_sel_hi:[0,1]
	v_fmac_f32_e32 v77, v53, v20
	v_fma_f32 v76, v52, v20, -v21
	v_pk_add_f32 v[4:5], v[4:5], v[74:75]
	v_mov_b32_e32 v82, v27
	v_pk_fma_f32 v[6:7], v[56:57], v[24:25], v[80:81] neg_lo:[0,0,1] neg_hi:[0,0,1]
	v_pk_fma_f32 v[8:9], v[56:57], v[24:25], v[80:81] op_sel_hi:[1,0,1]
	v_pk_add_f32 v[4:5], v[4:5], v[76:77]
	v_pk_mul_f32 v[10:11], v[58:59], v[82:83] op_sel:[1,0] op_sel_hi:[0,0]
	v_mov_b32_e32 v7, v9
	v_pk_add_f32 v[4:5], v[4:5], v[16:17]
	v_pk_fma_f32 v[8:9], v[58:59], v[26:27], v[10:11] neg_lo:[0,0,1] neg_hi:[0,0,1]
	v_pk_fma_f32 v[10:11], v[58:59], v[26:27], v[10:11] op_sel_hi:[1,0,1]
	v_pk_add_f32 v[4:5], v[4:5], v[6:7]
	v_mov_b32_e32 v6, v31
	v_pk_fma_f32 v[14:15], v[60:61], v[28:29], v[84:85] op_sel_hi:[1,0,1]
	v_mov_b32_e32 v9, v11
	v_pk_mul_f32 v[6:7], v[62:63], v[6:7] op_sel:[1,0] op_sel_hi:[0,0]
	v_pk_add_f32 v[4:5], v[4:5], v[8:9]
	v_mov_b32_e32 v13, v15
	v_pk_fma_f32 v[8:9], v[62:63], v[30:31], v[6:7] neg_lo:[0,0,1] neg_hi:[0,0,1]
	v_pk_fma_f32 v[6:7], v[62:63], v[30:31], v[6:7] op_sel_hi:[1,0,1]
	v_pk_add_f32 v[4:5], v[4:5], v[12:13]
	v_mov_b32_e32 v9, v7
	s_waitcnt vmcnt(2) lgkmcnt(1)
	v_pk_mul_f32 v[6:7], v[64:65], v[32:33] op_sel:[1,1] op_sel_hi:[0,1]
	v_pk_add_f32 v[4:5], v[4:5], v[8:9]
	v_pk_fma_f32 v[8:9], v[64:65], v[32:33], v[6:7] neg_lo:[0,0,1] neg_hi:[0,0,1]
	v_pk_fma_f32 v[6:7], v[64:65], v[32:33], v[6:7] op_sel_hi:[1,0,1]
	s_nop 0
	v_mov_b32_e32 v6, v35
	v_mov_b32_e32 v9, v7
	v_pk_mul_f32 v[6:7], v[66:67], v[6:7] op_sel:[1,0] op_sel_hi:[0,0]
	v_pk_add_f32 v[4:5], v[4:5], v[8:9]
	v_pk_fma_f32 v[8:9], v[66:67], v[34:35], v[6:7] neg_lo:[0,0,1] neg_hi:[0,0,1]
	v_pk_fma_f32 v[6:7], v[66:67], v[34:35], v[6:7] op_sel_hi:[1,0,1]
	s_nop 0
	v_mov_b32_e32 v9, v7
	s_waitcnt vmcnt(1) lgkmcnt(0)
	v_pk_mul_f32 v[6:7], v[72:73], v[68:69] op_sel:[1,1] op_sel_hi:[0,1]
	v_pk_add_f32 v[4:5], v[4:5], v[8:9]
	v_pk_fma_f32 v[8:9], v[72:73], v[68:69], v[6:7] neg_lo:[0,0,1] neg_hi:[0,0,1]
	v_pk_fma_f32 v[6:7], v[72:73], v[68:69], v[6:7] op_sel_hi:[1,0,1]
	s_nop 0
	v_mov_b32_e32 v9, v7
	v_pk_add_f32 v[4:5], v[4:5], v[8:9]
	s_waitcnt vmcnt(0)
	v_pk_add_f32 v[4:5], v[70:71], v[4:5] neg_lo:[0,1] neg_hi:[0,1]
	scratch_store_dwordx2 off, v[4:5], off offset:312
	s_and_saveexec_b64 s[0:1], vcc
	s_cbranch_execz .LBB120_279
; %bb.278:
	scratch_load_dwordx2 v[4:5], off, off offset:304
	v_mov_b32_e32 v3, v2
	scratch_store_dwordx2 off, v[2:3], off offset:304
	s_waitcnt vmcnt(1)
	ds_write_b64 v1, v[4:5]
.LBB120_279:
	s_or_b64 exec, exec, s[0:1]
	s_waitcnt lgkmcnt(0)
	; wave barrier
	scratch_load_dwordx4 v[4:7], off, off offset:312
	scratch_load_dwordx4 v[8:11], off, off offset:328
	;; [unrolled: 1-line block ×7, first 2 shown]
	ds_read2_b64 v[32:35], v2 offset0:97 offset1:98
	ds_read2_b64 v[36:39], v2 offset0:99 offset1:100
	;; [unrolled: 1-line block ×4, first 2 shown]
	scratch_load_dwordx4 v[48:51], off, off offset:424
	scratch_load_dwordx4 v[52:55], off, off offset:440
	ds_read2_b64 v[56:59], v2 offset0:105 offset1:106
	ds_read2_b64 v[60:63], v2 offset0:107 offset1:108
	ds_read2_b64 v[64:67], v2 offset0:109 offset1:110
	ds_read2_b64 v[68:71], v2 offset0:111 offset1:112
	ds_read2_b64 v[72:75], v2 offset0:113 offset1:114
	scratch_load_dwordx2 v[2:3], off, off offset:304
	v_cmp_lt_u32_e32 vcc, 37, v0
	s_waitcnt vmcnt(9) lgkmcnt(8)
	v_mul_f32_e32 v83, v32, v5
	v_mul_f32_e32 v86, v34, v7
	s_waitcnt vmcnt(8) lgkmcnt(7)
	v_mul_f32_e32 v87, v36, v9
	s_waitcnt vmcnt(7) lgkmcnt(6)
	v_mul_f32_e32 v89, v40, v13
	v_mul_f32_e32 v5, v33, v5
	;; [unrolled: 1-line block ×5, first 2 shown]
	s_waitcnt vmcnt(4) lgkmcnt(3)
	v_pk_mul_f32 v[80:81], v[60:61], v[24:25] op_sel:[1,1] op_sel_hi:[0,1]
	v_mov_b32_e32 v82, v27
	s_waitcnt vmcnt(3) lgkmcnt(2)
	v_pk_mul_f32 v[84:85], v[64:65], v[28:29] op_sel:[1,1] op_sel_hi:[0,1]
	v_fmac_f32_e32 v83, v33, v4
	v_mul_f32_e32 v90, v42, v15
	v_mul_f32_e32 v91, v44, v17
	;; [unrolled: 1-line block ×4, first 2 shown]
	v_fmac_f32_e32 v86, v35, v6
	v_fmac_f32_e32 v87, v37, v8
	;; [unrolled: 1-line block ×3, first 2 shown]
	v_fma_f32 v32, v32, v4, -v5
	v_fma_f32 v33, v34, v6, -v7
	;; [unrolled: 1-line block ×4, first 2 shown]
	v_pk_fma_f32 v[4:5], v[60:61], v[24:25], v[80:81] neg_lo:[0,0,1] neg_hi:[0,0,1]
	v_pk_fma_f32 v[6:7], v[60:61], v[24:25], v[80:81] op_sel_hi:[1,0,1]
	v_pk_mul_f32 v[8:9], v[62:63], v[82:83] op_sel:[1,0] op_sel_hi:[0,0]
	v_pk_fma_f32 v[12:13], v[64:65], v[28:29], v[84:85] op_sel_hi:[1,0,1]
	v_fmac_f32_e32 v90, v43, v14
	v_fma_f32 v14, v42, v14, -v15
	v_fma_f32 v15, v44, v16, -v17
	v_add_f32_e32 v12, 0, v83
	v_add_f32_e32 v17, 0, v32
	v_mov_b32_e32 v5, v7
	v_pk_fma_f32 v[6:7], v[62:63], v[26:27], v[8:9] neg_lo:[0,0,1] neg_hi:[0,0,1]
	v_pk_fma_f32 v[8:9], v[62:63], v[26:27], v[8:9] op_sel_hi:[1,0,1]
	v_mul_f32_e32 v88, v38, v11
	v_mul_f32_e32 v11, v39, v11
	v_add_f32_e32 v8, v12, v86
	v_add_f32_e32 v12, v17, v33
	v_fmac_f32_e32 v88, v39, v10
	v_fma_f32 v35, v38, v10, -v11
	v_mov_b32_e32 v7, v9
	v_add_f32_e32 v8, v8, v87
	v_add_f32_e32 v9, v12, v34
	;; [unrolled: 1-line block ×6, first 2 shown]
	v_mul_f32_e32 v92, v46, v19
	v_mul_f32_e32 v19, v47, v19
	v_fmac_f32_e32 v91, v45, v16
	v_add_f32_e32 v8, v8, v90
	v_add_f32_e32 v9, v9, v14
	v_mul_f32_e32 v77, v56, v21
	v_mul_f32_e32 v21, v57, v21
	v_fmac_f32_e32 v92, v47, v18
	v_fma_f32 v16, v46, v18, -v19
	v_add_f32_e32 v8, v8, v91
	v_add_f32_e32 v12, v9, v15
	v_mul_f32_e32 v79, v58, v23
	v_mul_f32_e32 v23, v59, v23
	v_fmac_f32_e32 v77, v57, v20
	v_fma_f32 v76, v56, v20, -v21
	v_add_f32_e32 v9, v8, v92
	v_add_f32_e32 v8, v12, v16
	v_fmac_f32_e32 v79, v59, v22
	v_fma_f32 v78, v58, v22, -v23
	v_pk_add_f32 v[8:9], v[8:9], v[76:77]
	v_pk_fma_f32 v[10:11], v[64:65], v[28:29], v[84:85] neg_lo:[0,0,1] neg_hi:[0,0,1]
	v_pk_add_f32 v[8:9], v[8:9], v[78:79]
	v_mov_b32_e32 v11, v13
	v_pk_add_f32 v[4:5], v[8:9], v[4:5]
	s_nop 0
	v_pk_add_f32 v[4:5], v[4:5], v[6:7]
	v_mov_b32_e32 v6, v31
	v_pk_mul_f32 v[6:7], v[66:67], v[6:7] op_sel:[1,0] op_sel_hi:[0,0]
	v_pk_fma_f32 v[8:9], v[66:67], v[30:31], v[6:7] neg_lo:[0,0,1] neg_hi:[0,0,1]
	v_pk_fma_f32 v[6:7], v[66:67], v[30:31], v[6:7] op_sel_hi:[1,0,1]
	v_pk_add_f32 v[4:5], v[4:5], v[10:11]
	v_mov_b32_e32 v9, v7
	s_waitcnt vmcnt(2) lgkmcnt(1)
	v_pk_mul_f32 v[6:7], v[68:69], v[48:49] op_sel:[1,1] op_sel_hi:[0,1]
	v_pk_add_f32 v[4:5], v[4:5], v[8:9]
	v_pk_fma_f32 v[8:9], v[68:69], v[48:49], v[6:7] neg_lo:[0,0,1] neg_hi:[0,0,1]
	v_pk_fma_f32 v[6:7], v[68:69], v[48:49], v[6:7] op_sel_hi:[1,0,1]
	s_nop 0
	v_mov_b32_e32 v6, v51
	v_mov_b32_e32 v9, v7
	v_pk_mul_f32 v[6:7], v[70:71], v[6:7] op_sel:[1,0] op_sel_hi:[0,0]
	v_pk_add_f32 v[4:5], v[4:5], v[8:9]
	v_pk_fma_f32 v[8:9], v[70:71], v[50:51], v[6:7] neg_lo:[0,0,1] neg_hi:[0,0,1]
	v_pk_fma_f32 v[6:7], v[70:71], v[50:51], v[6:7] op_sel_hi:[1,0,1]
	s_nop 0
	v_mov_b32_e32 v9, v7
	s_waitcnt vmcnt(1) lgkmcnt(0)
	v_pk_mul_f32 v[6:7], v[72:73], v[52:53] op_sel:[1,1] op_sel_hi:[0,1]
	v_pk_add_f32 v[4:5], v[4:5], v[8:9]
	v_pk_fma_f32 v[8:9], v[72:73], v[52:53], v[6:7] neg_lo:[0,0,1] neg_hi:[0,0,1]
	v_pk_fma_f32 v[6:7], v[72:73], v[52:53], v[6:7] op_sel_hi:[1,0,1]
	s_nop 0
	v_mov_b32_e32 v6, v55
	v_mov_b32_e32 v9, v7
	v_pk_mul_f32 v[6:7], v[74:75], v[6:7] op_sel:[1,0] op_sel_hi:[0,0]
	v_pk_add_f32 v[4:5], v[4:5], v[8:9]
	v_pk_fma_f32 v[8:9], v[74:75], v[54:55], v[6:7] neg_lo:[0,0,1] neg_hi:[0,0,1]
	v_pk_fma_f32 v[6:7], v[74:75], v[54:55], v[6:7] op_sel_hi:[1,0,1]
	s_nop 0
	v_mov_b32_e32 v9, v7
	v_pk_add_f32 v[4:5], v[4:5], v[8:9]
	s_waitcnt vmcnt(0)
	v_pk_add_f32 v[2:3], v[2:3], v[4:5] neg_lo:[0,1] neg_hi:[0,1]
	scratch_store_dwordx2 off, v[2:3], off offset:304
	s_and_saveexec_b64 s[0:1], vcc
	s_cbranch_execz .LBB120_281
; %bb.280:
	scratch_load_dwordx2 v[2:3], off, off offset:296
	v_mov_b32_e32 v4, 0
	v_mov_b32_e32 v5, v4
	scratch_store_dwordx2 off, v[4:5], off offset:296
	s_waitcnt vmcnt(1)
	ds_write_b64 v1, v[2:3]
.LBB120_281:
	s_or_b64 exec, exec, s[0:1]
	s_waitcnt lgkmcnt(0)
	; wave barrier
	scratch_load_dwordx4 v[4:7], off, off offset:304
	scratch_load_dwordx4 v[8:11], off, off offset:320
	;; [unrolled: 1-line block ×9, first 2 shown]
	scratch_load_dwordx2 v[76:77], off, off offset:448
	scratch_load_dwordx2 v[78:79], off, off offset:296
	v_mov_b32_e32 v2, 0
	ds_read_b128 v[40:43], v2 offset:768
	ds_read_b128 v[44:47], v2 offset:784
	;; [unrolled: 1-line block ×9, first 2 shown]
	ds_read_b64 v[80:81], v2 offset:912
	v_cmp_lt_u32_e32 vcc, 36, v0
	s_waitcnt vmcnt(10) lgkmcnt(9)
	v_mul_f32_e32 v87, v42, v7
	v_mul_f32_e32 v3, v40, v5
	;; [unrolled: 1-line block ×3, first 2 shown]
	v_fmac_f32_e32 v87, v43, v6
	s_waitcnt vmcnt(9) lgkmcnt(8)
	v_mul_f32_e32 v88, v44, v9
	s_waitcnt vmcnt(5)
	v_mov_b32_e32 v86, v27
	v_mul_f32_e32 v89, v46, v11
	s_waitcnt lgkmcnt(7)
	v_mul_f32_e32 v91, v50, v15
	v_mul_f32_e32 v7, v43, v7
	;; [unrolled: 1-line block ×5, first 2 shown]
	v_fmac_f32_e32 v3, v41, v4
	v_fma_f32 v40, v40, v4, -v5
	s_waitcnt lgkmcnt(4)
	v_pk_mul_f32 v[4:5], v[62:63], v[86:87] op_sel:[1,0] op_sel_hi:[0,0]
	v_fmac_f32_e32 v88, v45, v8
	v_fma_f32 v41, v42, v6, -v7
	v_fma_f32 v8, v44, v8, -v9
	;; [unrolled: 1-line block ×4, first 2 shown]
	v_add_f32_e32 v3, 0, v3
	v_add_f32_e32 v15, 0, v40
	v_pk_fma_f32 v[6:7], v[62:63], v[26:27], v[4:5] neg_lo:[0,0,1] neg_hi:[0,0,1]
	v_pk_fma_f32 v[4:5], v[62:63], v[26:27], v[4:5] op_sel_hi:[1,0,1]
	v_add_f32_e32 v3, v3, v87
	v_add_f32_e32 v4, v15, v41
	v_mul_f32_e32 v90, v48, v13
	v_mul_f32_e32 v13, v49, v13
	v_fmac_f32_e32 v89, v47, v10
	v_add_f32_e32 v3, v3, v88
	v_add_f32_e32 v4, v4, v8
	v_fmac_f32_e32 v90, v49, v12
	v_fma_f32 v10, v48, v12, -v13
	v_add_f32_e32 v3, v3, v89
	v_add_f32_e32 v4, v4, v9
	v_mul_f32_e32 v92, v52, v17
	v_mul_f32_e32 v17, v53, v17
	v_fmac_f32_e32 v91, v51, v14
	v_add_f32_e32 v3, v3, v90
	v_add_f32_e32 v4, v4, v10
	v_mul_f32_e32 v93, v54, v19
	v_mul_f32_e32 v19, v55, v19
	v_fmac_f32_e32 v92, v53, v16
	v_fma_f32 v12, v52, v16, -v17
	v_add_f32_e32 v3, v3, v91
	v_add_f32_e32 v4, v4, v11
	v_mul_f32_e32 v94, v56, v21
	v_mul_f32_e32 v21, v57, v21
	v_fmac_f32_e32 v93, v55, v18
	v_fma_f32 v13, v54, v18, -v19
	;; [unrolled: 6-line block ×4, first 2 shown]
	v_mov_b32_e32 v7, v5
	v_add_f32_e32 v5, v3, v94
	v_add_f32_e32 v4, v4, v14
	v_fmac_f32_e32 v85, v61, v24
	v_fma_f32 v84, v60, v24, -v25
	v_pk_add_f32 v[4:5], v[4:5], v[82:83]
	s_nop 0
	v_pk_add_f32 v[4:5], v[4:5], v[84:85]
	s_nop 0
	v_pk_add_f32 v[4:5], v[4:5], v[6:7]
	s_waitcnt vmcnt(4) lgkmcnt(3)
	v_pk_mul_f32 v[6:7], v[64:65], v[28:29] op_sel:[1,1] op_sel_hi:[0,1]
	v_pk_fma_f32 v[8:9], v[64:65], v[28:29], v[6:7] neg_lo:[0,0,1] neg_hi:[0,0,1]
	v_pk_fma_f32 v[6:7], v[64:65], v[28:29], v[6:7] op_sel_hi:[1,0,1]
	s_nop 0
	v_mov_b32_e32 v6, v31
	v_mov_b32_e32 v9, v7
	v_pk_mul_f32 v[6:7], v[66:67], v[6:7] op_sel:[1,0] op_sel_hi:[0,0]
	v_pk_add_f32 v[4:5], v[4:5], v[8:9]
	v_pk_fma_f32 v[8:9], v[66:67], v[30:31], v[6:7] neg_lo:[0,0,1] neg_hi:[0,0,1]
	v_pk_fma_f32 v[6:7], v[66:67], v[30:31], v[6:7] op_sel_hi:[1,0,1]
	s_nop 0
	v_mov_b32_e32 v9, v7
	s_waitcnt vmcnt(3) lgkmcnt(2)
	v_pk_mul_f32 v[6:7], v[68:69], v[32:33] op_sel:[1,1] op_sel_hi:[0,1]
	v_pk_add_f32 v[4:5], v[4:5], v[8:9]
	v_pk_fma_f32 v[8:9], v[68:69], v[32:33], v[6:7] neg_lo:[0,0,1] neg_hi:[0,0,1]
	v_pk_fma_f32 v[6:7], v[68:69], v[32:33], v[6:7] op_sel_hi:[1,0,1]
	s_nop 0
	v_mov_b32_e32 v6, v35
	v_mov_b32_e32 v9, v7
	v_pk_mul_f32 v[6:7], v[70:71], v[6:7] op_sel:[1,0] op_sel_hi:[0,0]
	v_pk_add_f32 v[4:5], v[4:5], v[8:9]
	v_pk_fma_f32 v[8:9], v[70:71], v[34:35], v[6:7] neg_lo:[0,0,1] neg_hi:[0,0,1]
	v_pk_fma_f32 v[6:7], v[70:71], v[34:35], v[6:7] op_sel_hi:[1,0,1]
	s_nop 0
	v_mov_b32_e32 v9, v7
	s_waitcnt vmcnt(2) lgkmcnt(1)
	v_pk_mul_f32 v[6:7], v[72:73], v[36:37] op_sel:[1,1] op_sel_hi:[0,1]
	v_pk_add_f32 v[4:5], v[4:5], v[8:9]
	;; [unrolled: 14-line block ×3, first 2 shown]
	v_pk_fma_f32 v[8:9], v[80:81], v[76:77], v[6:7] neg_lo:[0,0,1] neg_hi:[0,0,1]
	v_pk_fma_f32 v[6:7], v[80:81], v[76:77], v[6:7] op_sel_hi:[1,0,1]
	s_nop 0
	v_mov_b32_e32 v9, v7
	v_pk_add_f32 v[4:5], v[4:5], v[8:9]
	s_waitcnt vmcnt(0)
	v_pk_add_f32 v[4:5], v[78:79], v[4:5] neg_lo:[0,1] neg_hi:[0,1]
	scratch_store_dwordx2 off, v[4:5], off offset:296
	s_and_saveexec_b64 s[0:1], vcc
	s_cbranch_execz .LBB120_283
; %bb.282:
	scratch_load_dwordx2 v[4:5], off, off offset:288
	v_mov_b32_e32 v3, v2
	scratch_store_dwordx2 off, v[2:3], off offset:288
	s_waitcnt vmcnt(1)
	ds_write_b64 v1, v[4:5]
.LBB120_283:
	s_or_b64 exec, exec, s[0:1]
	s_waitcnt lgkmcnt(0)
	; wave barrier
	scratch_load_dwordx4 v[4:7], off, off offset:296
	scratch_load_dwordx4 v[8:11], off, off offset:312
	scratch_load_dwordx4 v[12:15], off, off offset:328
	scratch_load_dwordx4 v[16:19], off, off offset:344
	scratch_load_dwordx4 v[20:23], off, off offset:360
	scratch_load_dwordx4 v[24:27], off, off offset:376
	scratch_load_dwordx4 v[28:31], off, off offset:392
	ds_read2_b64 v[32:35], v2 offset0:95 offset1:96
	ds_read2_b64 v[36:39], v2 offset0:97 offset1:98
	;; [unrolled: 1-line block ×6, first 2 shown]
	scratch_load_dwordx4 v[56:59], off, off offset:408
	scratch_load_dwordx4 v[60:63], off, off offset:424
	;; [unrolled: 1-line block ×3, first 2 shown]
	ds_read2_b64 v[68:71], v2 offset0:107 offset1:108
	ds_read2_b64 v[72:75], v2 offset0:109 offset1:110
	;; [unrolled: 1-line block ×4, first 2 shown]
	scratch_load_dwordx2 v[2:3], off, off offset:288
	v_cmp_lt_u32_e32 vcc, 35, v0
	s_waitcnt vmcnt(10) lgkmcnt(9)
	v_mul_f32_e32 v90, v32, v5
	v_mul_f32_e32 v5, v33, v5
	;; [unrolled: 1-line block ×3, first 2 shown]
	s_waitcnt vmcnt(9) lgkmcnt(8)
	v_mul_f32_e32 v92, v36, v9
	s_waitcnt vmcnt(8) lgkmcnt(7)
	v_mul_f32_e32 v95, v42, v15
	v_mul_f32_e32 v7, v35, v7
	;; [unrolled: 1-line block ×4, first 2 shown]
	v_fmac_f32_e32 v90, v33, v4
	v_fma_f32 v4, v32, v4, -v5
	v_fmac_f32_e32 v91, v35, v6
	v_fmac_f32_e32 v95, v43, v14
	v_fma_f32 v5, v34, v6, -v7
	v_fma_f32 v6, v36, v8, -v9
	;; [unrolled: 1-line block ×3, first 2 shown]
	v_add_f32_e32 v14, 0, v90
	v_add_f32_e32 v4, 0, v4
	v_mul_f32_e32 v93, v38, v11
	v_mul_f32_e32 v11, v39, v11
	v_fmac_f32_e32 v92, v37, v8
	v_add_f32_e32 v14, v14, v91
	v_add_f32_e32 v4, v4, v5
	v_mul_f32_e32 v94, v40, v13
	v_mul_f32_e32 v13, v41, v13
	v_fmac_f32_e32 v93, v39, v10
	v_fma_f32 v7, v38, v10, -v11
	v_add_f32_e32 v5, v14, v92
	v_add_f32_e32 v4, v4, v6
	v_fmac_f32_e32 v94, v41, v12
	v_fma_f32 v8, v40, v12, -v13
	v_add_f32_e32 v5, v5, v93
	v_add_f32_e32 v4, v4, v7
	s_waitcnt vmcnt(7) lgkmcnt(6)
	v_mul_f32_e32 v96, v44, v17
	v_mul_f32_e32 v17, v45, v17
	v_add_f32_e32 v5, v5, v94
	v_add_f32_e32 v4, v4, v8
	v_mul_f32_e32 v97, v46, v19
	v_mul_f32_e32 v19, v47, v19
	v_fmac_f32_e32 v96, v45, v16
	v_fma_f32 v10, v44, v16, -v17
	v_add_f32_e32 v5, v5, v95
	v_add_f32_e32 v4, v4, v9
	s_waitcnt vmcnt(6) lgkmcnt(5)
	v_mul_f32_e32 v98, v48, v21
	v_mul_f32_e32 v21, v49, v21
	v_fmac_f32_e32 v97, v47, v18
	v_fma_f32 v11, v46, v18, -v19
	v_add_f32_e32 v5, v5, v96
	v_add_f32_e32 v4, v4, v10
	v_mul_f32_e32 v99, v50, v23
	v_mul_f32_e32 v23, v51, v23
	v_fmac_f32_e32 v98, v49, v20
	v_fma_f32 v12, v48, v20, -v21
	v_add_f32_e32 v5, v5, v97
	v_add_f32_e32 v4, v4, v11
	s_waitcnt vmcnt(5) lgkmcnt(4)
	v_mul_f32_e32 v85, v52, v25
	v_mul_f32_e32 v25, v53, v25
	v_fmac_f32_e32 v99, v51, v22
	v_fma_f32 v13, v50, v22, -v23
	v_add_f32_e32 v5, v5, v98
	v_add_f32_e32 v4, v4, v12
	v_mul_f32_e32 v87, v54, v27
	v_mul_f32_e32 v27, v55, v27
	s_waitcnt vmcnt(4) lgkmcnt(3)
	v_pk_mul_f32 v[88:89], v[68:69], v[28:29] op_sel:[1,1] op_sel_hi:[0,1]
	v_fmac_f32_e32 v85, v53, v24
	v_fma_f32 v84, v52, v24, -v25
	v_add_f32_e32 v5, v5, v99
	v_add_f32_e32 v4, v4, v13
	v_fmac_f32_e32 v87, v55, v26
	v_fma_f32 v86, v54, v26, -v27
	v_pk_add_f32 v[4:5], v[4:5], v[84:85]
	v_pk_fma_f32 v[6:7], v[68:69], v[28:29], v[88:89] neg_lo:[0,0,1] neg_hi:[0,0,1]
	v_pk_fma_f32 v[8:9], v[68:69], v[28:29], v[88:89] op_sel_hi:[1,0,1]
	v_pk_add_f32 v[4:5], v[4:5], v[86:87]
	v_mov_b32_e32 v7, v9
	v_pk_add_f32 v[4:5], v[4:5], v[6:7]
	v_mov_b32_e32 v6, v31
	v_pk_mul_f32 v[6:7], v[70:71], v[6:7] op_sel:[1,0] op_sel_hi:[0,0]
	v_pk_fma_f32 v[8:9], v[70:71], v[30:31], v[6:7] neg_lo:[0,0,1] neg_hi:[0,0,1]
	v_pk_fma_f32 v[6:7], v[70:71], v[30:31], v[6:7] op_sel_hi:[1,0,1]
	s_nop 0
	v_mov_b32_e32 v9, v7
	s_waitcnt vmcnt(3) lgkmcnt(2)
	v_pk_mul_f32 v[6:7], v[72:73], v[56:57] op_sel:[1,1] op_sel_hi:[0,1]
	v_pk_add_f32 v[4:5], v[4:5], v[8:9]
	v_pk_fma_f32 v[8:9], v[72:73], v[56:57], v[6:7] neg_lo:[0,0,1] neg_hi:[0,0,1]
	v_pk_fma_f32 v[6:7], v[72:73], v[56:57], v[6:7] op_sel_hi:[1,0,1]
	s_nop 0
	v_mov_b32_e32 v6, v59
	v_mov_b32_e32 v9, v7
	v_pk_mul_f32 v[6:7], v[74:75], v[6:7] op_sel:[1,0] op_sel_hi:[0,0]
	v_pk_add_f32 v[4:5], v[4:5], v[8:9]
	v_pk_fma_f32 v[8:9], v[74:75], v[58:59], v[6:7] neg_lo:[0,0,1] neg_hi:[0,0,1]
	v_pk_fma_f32 v[6:7], v[74:75], v[58:59], v[6:7] op_sel_hi:[1,0,1]
	s_nop 0
	v_mov_b32_e32 v9, v7
	s_waitcnt vmcnt(2) lgkmcnt(1)
	v_pk_mul_f32 v[6:7], v[76:77], v[60:61] op_sel:[1,1] op_sel_hi:[0,1]
	v_pk_add_f32 v[4:5], v[4:5], v[8:9]
	v_pk_fma_f32 v[8:9], v[76:77], v[60:61], v[6:7] neg_lo:[0,0,1] neg_hi:[0,0,1]
	v_pk_fma_f32 v[6:7], v[76:77], v[60:61], v[6:7] op_sel_hi:[1,0,1]
	s_nop 0
	v_mov_b32_e32 v6, v63
	v_mov_b32_e32 v9, v7
	v_pk_mul_f32 v[6:7], v[78:79], v[6:7] op_sel:[1,0] op_sel_hi:[0,0]
	v_pk_add_f32 v[4:5], v[4:5], v[8:9]
	;; [unrolled: 14-line block ×3, first 2 shown]
	v_pk_fma_f32 v[8:9], v[82:83], v[66:67], v[6:7] neg_lo:[0,0,1] neg_hi:[0,0,1]
	v_pk_fma_f32 v[6:7], v[82:83], v[66:67], v[6:7] op_sel_hi:[1,0,1]
	s_nop 0
	v_mov_b32_e32 v9, v7
	v_pk_add_f32 v[4:5], v[4:5], v[8:9]
	s_waitcnt vmcnt(0)
	v_pk_add_f32 v[2:3], v[2:3], v[4:5] neg_lo:[0,1] neg_hi:[0,1]
	scratch_store_dwordx2 off, v[2:3], off offset:288
	s_and_saveexec_b64 s[0:1], vcc
	s_cbranch_execz .LBB120_285
; %bb.284:
	scratch_load_dwordx2 v[2:3], off, off offset:280
	v_mov_b32_e32 v4, 0
	v_mov_b32_e32 v5, v4
	scratch_store_dwordx2 off, v[4:5], off offset:280
	s_waitcnt vmcnt(1)
	ds_write_b64 v1, v[2:3]
.LBB120_285:
	s_or_b64 exec, exec, s[0:1]
	s_waitcnt lgkmcnt(0)
	; wave barrier
	scratch_load_dwordx4 v[2:5], off, off offset:288
	scratch_load_dwordx4 v[6:9], off, off offset:304
	;; [unrolled: 1-line block ×10, first 2 shown]
	scratch_load_dwordx2 v[76:77], off, off offset:448
	scratch_load_dwordx2 v[78:79], off, off offset:280
	v_mov_b32_e32 v10, 0
	ds_read_b128 v[44:47], v10 offset:752
	ds_read_b128 v[48:51], v10 offset:768
	;; [unrolled: 1-line block ×8, first 2 shown]
	v_cmp_lt_u32_e32 vcc, 34, v0
	s_waitcnt vmcnt(11) lgkmcnt(7)
	v_mul_f32_e32 v11, v44, v3
	v_mul_f32_e32 v3, v45, v3
	;; [unrolled: 1-line block ×4, first 2 shown]
	v_fmac_f32_e32 v11, v45, v2
	v_fma_f32 v2, v44, v2, -v3
	s_waitcnt vmcnt(10) lgkmcnt(6)
	v_mul_f32_e32 v82, v48, v7
	v_mul_f32_e32 v7, v49, v7
	v_fma_f32 v3, v46, v4, -v5
	v_add_f32_e32 v2, 0, v2
	v_mul_f32_e32 v84, v50, v9
	v_mul_f32_e32 v9, v51, v9
	v_fmac_f32_e32 v80, v47, v4
	v_fma_f32 v4, v48, v6, -v7
	v_add_f32_e32 v11, 0, v11
	v_add_f32_e32 v2, v2, v3
	s_waitcnt vmcnt(9) lgkmcnt(5)
	v_mul_f32_e32 v85, v52, v13
	v_mul_f32_e32 v13, v53, v13
	v_fmac_f32_e32 v82, v49, v6
	v_fma_f32 v5, v50, v8, -v9
	v_add_f32_e32 v11, v11, v80
	v_add_f32_e32 v2, v2, v4
	v_mul_f32_e32 v86, v54, v15
	v_mul_f32_e32 v15, v55, v15
	v_fmac_f32_e32 v84, v51, v8
	v_fma_f32 v6, v52, v12, -v13
	v_add_f32_e32 v3, v11, v82
	v_add_f32_e32 v2, v2, v5
	s_waitcnt vmcnt(8) lgkmcnt(4)
	v_mul_f32_e32 v87, v56, v17
	v_mul_f32_e32 v17, v57, v17
	v_fmac_f32_e32 v85, v53, v12
	v_fma_f32 v7, v54, v14, -v15
	v_add_f32_e32 v3, v3, v84
	v_add_f32_e32 v2, v2, v6
	v_mul_f32_e32 v88, v58, v19
	v_mul_f32_e32 v19, v59, v19
	v_fmac_f32_e32 v86, v55, v14
	v_fma_f32 v8, v56, v16, -v17
	v_add_f32_e32 v3, v3, v85
	v_add_f32_e32 v2, v2, v7
	s_waitcnt vmcnt(7) lgkmcnt(3)
	v_mul_f32_e32 v89, v60, v21
	v_mul_f32_e32 v21, v61, v21
	v_fmac_f32_e32 v87, v57, v16
	v_fma_f32 v9, v58, v18, -v19
	v_add_f32_e32 v3, v3, v86
	v_add_f32_e32 v2, v2, v8
	v_mul_f32_e32 v90, v62, v23
	v_mul_f32_e32 v23, v63, v23
	v_fmac_f32_e32 v88, v59, v18
	v_fma_f32 v12, v60, v20, -v21
	v_add_f32_e32 v3, v3, v87
	v_add_f32_e32 v2, v2, v9
	s_waitcnt vmcnt(6) lgkmcnt(2)
	v_mul_f32_e32 v91, v64, v25
	v_mul_f32_e32 v25, v65, v25
	v_fmac_f32_e32 v89, v61, v20
	v_fma_f32 v13, v62, v22, -v23
	v_add_f32_e32 v3, v3, v88
	v_add_f32_e32 v2, v2, v12
	v_fmac_f32_e32 v90, v63, v22
	v_fma_f32 v14, v64, v24, -v25
	v_add_f32_e32 v3, v3, v89
	v_add_f32_e32 v2, v2, v13
	v_mul_f32_e32 v81, v66, v27
	v_fmac_f32_e32 v91, v65, v24
	v_add_f32_e32 v3, v3, v90
	v_add_f32_e32 v12, v2, v14
	v_mul_f32_e32 v2, v67, v27
	s_waitcnt vmcnt(5)
	v_mov_b32_e32 v16, v31
	s_waitcnt lgkmcnt(1)
	v_mul_f32_e32 v83, v68, v29
	v_fmac_f32_e32 v81, v67, v26
	v_add_f32_e32 v13, v3, v91
	v_fma_f32 v80, v66, v26, -v2
	v_mul_f32_e32 v2, v69, v29
	v_pk_mul_f32 v[16:17], v[70:71], v[16:17] op_sel:[1,0] op_sel_hi:[0,0]
	v_fmac_f32_e32 v83, v69, v28
	v_fma_f32 v82, v68, v28, -v2
	v_pk_add_f32 v[12:13], v[12:13], v[80:81]
	v_pk_fma_f32 v[18:19], v[70:71], v[30:31], v[16:17] neg_lo:[0,0,1] neg_hi:[0,0,1]
	v_pk_fma_f32 v[16:17], v[70:71], v[30:31], v[16:17] op_sel_hi:[1,0,1]
	v_pk_add_f32 v[12:13], v[12:13], v[82:83]
	v_mov_b32_e32 v19, v17
	s_waitcnt vmcnt(4) lgkmcnt(0)
	v_pk_mul_f32 v[16:17], v[72:73], v[32:33] op_sel:[1,1] op_sel_hi:[0,1]
	v_pk_add_f32 v[12:13], v[12:13], v[18:19]
	v_pk_fma_f32 v[18:19], v[72:73], v[32:33], v[16:17] neg_lo:[0,0,1] neg_hi:[0,0,1]
	v_pk_fma_f32 v[16:17], v[72:73], v[32:33], v[16:17] op_sel_hi:[1,0,1]
	ds_read_b128 v[2:5], v10 offset:880
	ds_read_b128 v[6:9], v10 offset:896
	ds_read_b64 v[14:15], v10 offset:912
	v_mov_b32_e32 v16, v35
	v_mov_b32_e32 v19, v17
	v_pk_mul_f32 v[16:17], v[74:75], v[16:17] op_sel:[1,0] op_sel_hi:[0,0]
	v_pk_add_f32 v[12:13], v[12:13], v[18:19]
	v_pk_fma_f32 v[18:19], v[74:75], v[34:35], v[16:17] neg_lo:[0,0,1] neg_hi:[0,0,1]
	v_pk_fma_f32 v[16:17], v[74:75], v[34:35], v[16:17] op_sel_hi:[1,0,1]
	s_nop 0
	v_mov_b32_e32 v19, v17
	s_waitcnt vmcnt(3) lgkmcnt(2)
	v_pk_mul_f32 v[16:17], v[2:3], v[36:37] op_sel:[1,1] op_sel_hi:[0,1]
	v_pk_add_f32 v[12:13], v[12:13], v[18:19]
	v_pk_fma_f32 v[18:19], v[2:3], v[36:37], v[16:17] neg_lo:[0,0,1] neg_hi:[0,0,1]
	v_pk_fma_f32 v[2:3], v[2:3], v[36:37], v[16:17] op_sel_hi:[1,0,1]
	s_nop 0
	v_mov_b32_e32 v19, v3
	v_pk_add_f32 v[2:3], v[12:13], v[18:19]
	v_mov_b32_e32 v12, v39
	v_pk_mul_f32 v[12:13], v[4:5], v[12:13] op_sel:[1,0] op_sel_hi:[0,0]
	v_pk_fma_f32 v[16:17], v[4:5], v[38:39], v[12:13] neg_lo:[0,0,1] neg_hi:[0,0,1]
	v_pk_fma_f32 v[4:5], v[4:5], v[38:39], v[12:13] op_sel_hi:[1,0,1]
	s_nop 0
	v_mov_b32_e32 v17, v5
	s_waitcnt vmcnt(2) lgkmcnt(1)
	v_pk_mul_f32 v[4:5], v[6:7], v[40:41] op_sel:[1,1] op_sel_hi:[0,1]
	v_pk_fma_f32 v[12:13], v[6:7], v[40:41], v[4:5] neg_lo:[0,0,1] neg_hi:[0,0,1]
	v_pk_fma_f32 v[4:5], v[6:7], v[40:41], v[4:5] op_sel_hi:[1,0,1]
	v_pk_add_f32 v[2:3], v[2:3], v[16:17]
	v_mov_b32_e32 v4, v43
	v_mov_b32_e32 v13, v5
	v_pk_mul_f32 v[4:5], v[8:9], v[4:5] op_sel:[1,0] op_sel_hi:[0,0]
	v_pk_fma_f32 v[6:7], v[8:9], v[42:43], v[4:5] neg_lo:[0,0,1] neg_hi:[0,0,1]
	v_pk_fma_f32 v[4:5], v[8:9], v[42:43], v[4:5] op_sel_hi:[1,0,1]
	v_pk_add_f32 v[2:3], v[2:3], v[12:13]
	v_mov_b32_e32 v7, v5
	s_waitcnt vmcnt(1) lgkmcnt(0)
	v_pk_mul_f32 v[4:5], v[14:15], v[76:77] op_sel:[1,1] op_sel_hi:[0,1]
	v_pk_add_f32 v[2:3], v[2:3], v[6:7]
	v_pk_fma_f32 v[6:7], v[14:15], v[76:77], v[4:5] neg_lo:[0,0,1] neg_hi:[0,0,1]
	v_pk_fma_f32 v[4:5], v[14:15], v[76:77], v[4:5] op_sel_hi:[1,0,1]
	s_nop 0
	v_mov_b32_e32 v7, v5
	v_pk_add_f32 v[2:3], v[2:3], v[6:7]
	s_waitcnt vmcnt(0)
	v_pk_add_f32 v[2:3], v[78:79], v[2:3] neg_lo:[0,1] neg_hi:[0,1]
	scratch_store_dwordx2 off, v[2:3], off offset:280
	s_and_saveexec_b64 s[0:1], vcc
	s_cbranch_execz .LBB120_287
; %bb.286:
	scratch_load_dwordx2 v[2:3], off, off offset:272
	v_mov_b32_e32 v11, v10
	scratch_store_dwordx2 off, v[10:11], off offset:272
	s_waitcnt vmcnt(1)
	ds_write_b64 v1, v[2:3]
.LBB120_287:
	s_or_b64 exec, exec, s[0:1]
	s_waitcnt lgkmcnt(0)
	; wave barrier
	scratch_load_dwordx4 v[6:9], off, off offset:280
	scratch_load_dwordx4 v[12:15], off, off offset:296
	;; [unrolled: 1-line block ×7, first 2 shown]
	ds_read2_b64 v[36:39], v10 offset0:93 offset1:94
	ds_read2_b64 v[40:43], v10 offset0:95 offset1:96
	;; [unrolled: 1-line block ×6, first 2 shown]
	scratch_load_dwordx4 v[60:63], off, off offset:392
	scratch_load_dwordx4 v[64:67], off, off offset:408
	;; [unrolled: 1-line block ×4, first 2 shown]
	ds_read2_b64 v[72:75], v10 offset0:105 offset1:106
	ds_read2_b64 v[76:79], v10 offset0:107 offset1:108
	scratch_load_dwordx2 v[80:81], off, off offset:272
	v_cmp_lt_u32_e32 vcc, 33, v0
	s_waitcnt vmcnt(11) lgkmcnt(7)
	v_mul_f32_e32 v11, v36, v7
	v_mul_f32_e32 v82, v38, v9
	;; [unrolled: 1-line block ×3, first 2 shown]
	v_fmac_f32_e32 v11, v37, v6
	s_waitcnt vmcnt(10) lgkmcnt(6)
	v_mul_f32_e32 v84, v40, v13
	v_mul_f32_e32 v9, v39, v9
	v_fmac_f32_e32 v82, v39, v8
	v_fma_f32 v6, v36, v6, -v7
	v_add_f32_e32 v11, 0, v11
	v_mul_f32_e32 v86, v42, v15
	v_fmac_f32_e32 v84, v41, v12
	v_fma_f32 v7, v38, v8, -v9
	v_add_f32_e32 v6, 0, v6
	v_add_f32_e32 v11, v11, v82
	s_waitcnt vmcnt(9) lgkmcnt(5)
	v_mul_f32_e32 v87, v44, v17
	v_mul_f32_e32 v13, v41, v13
	v_fmac_f32_e32 v86, v43, v14
	v_add_f32_e32 v6, v6, v7
	v_add_f32_e32 v7, v11, v84
	v_mul_f32_e32 v88, v46, v19
	v_mul_f32_e32 v15, v43, v15
	v_fmac_f32_e32 v87, v45, v16
	v_fma_f32 v8, v40, v12, -v13
	v_add_f32_e32 v7, v7, v86
	s_waitcnt vmcnt(8) lgkmcnt(4)
	v_mul_f32_e32 v89, v48, v21
	v_mul_f32_e32 v17, v45, v17
	v_fmac_f32_e32 v88, v47, v18
	v_fma_f32 v9, v42, v14, -v15
	v_add_f32_e32 v6, v6, v8
	v_add_f32_e32 v7, v7, v87
	v_mul_f32_e32 v90, v50, v23
	v_mul_f32_e32 v19, v47, v19
	v_fmac_f32_e32 v89, v49, v20
	v_fma_f32 v12, v44, v16, -v17
	v_add_f32_e32 v6, v6, v9
	v_add_f32_e32 v7, v7, v88
	s_waitcnt vmcnt(7) lgkmcnt(3)
	v_mul_f32_e32 v91, v52, v25
	v_mul_f32_e32 v21, v49, v21
	v_fmac_f32_e32 v90, v51, v22
	v_fma_f32 v13, v46, v18, -v19
	v_add_f32_e32 v6, v6, v12
	v_add_f32_e32 v7, v7, v89
	v_mul_f32_e32 v92, v54, v27
	v_mul_f32_e32 v23, v51, v23
	v_fmac_f32_e32 v91, v53, v24
	v_fma_f32 v14, v48, v20, -v21
	v_add_f32_e32 v6, v6, v13
	;; [unrolled: 13-line block ×3, first 2 shown]
	v_add_f32_e32 v7, v7, v92
	v_mul_f32_e32 v29, v57, v29
	v_fmac_f32_e32 v94, v59, v30
	v_fma_f32 v17, v54, v26, -v27
	v_add_f32_e32 v6, v6, v16
	v_add_f32_e32 v7, v7, v93
	v_fma_f32 v18, v56, v28, -v29
	v_add_f32_e32 v6, v6, v17
	v_add_f32_e32 v21, v7, v94
	v_mul_f32_e32 v7, v59, v31
	v_add_f32_e32 v6, v6, v18
	v_fma_f32 v7, v58, v30, -v7
	s_waitcnt vmcnt(5) lgkmcnt(1)
	v_mul_f32_e32 v83, v72, v33
	v_add_f32_e32 v20, v6, v7
	v_mul_f32_e32 v6, v73, v33
	v_fmac_f32_e32 v83, v73, v32
	v_fma_f32 v82, v72, v32, -v6
	v_mul_f32_e32 v6, v75, v35
	v_fma_f32 v84, v74, v34, -v6
	ds_read2_b64 v[6:9], v10 offset0:109 offset1:110
	ds_read2_b64 v[12:15], v10 offset0:111 offset1:112
	;; [unrolled: 1-line block ×3, first 2 shown]
	v_pk_add_f32 v[10:11], v[20:21], v[82:83]
	s_waitcnt vmcnt(4) lgkmcnt(3)
	v_pk_mul_f32 v[20:21], v[76:77], v[60:61] op_sel:[1,1] op_sel_hi:[0,1]
	v_mul_f32_e32 v85, v74, v35
	v_pk_fma_f32 v[22:23], v[76:77], v[60:61], v[20:21] neg_lo:[0,0,1] neg_hi:[0,0,1]
	v_pk_fma_f32 v[20:21], v[76:77], v[60:61], v[20:21] op_sel_hi:[1,0,1]
	v_fmac_f32_e32 v85, v75, v34
	v_mov_b32_e32 v20, v63
	v_pk_add_f32 v[10:11], v[10:11], v[84:85]
	v_mov_b32_e32 v23, v21
	v_pk_mul_f32 v[20:21], v[78:79], v[20:21] op_sel:[1,0] op_sel_hi:[0,0]
	v_pk_add_f32 v[10:11], v[10:11], v[22:23]
	v_pk_fma_f32 v[22:23], v[78:79], v[62:63], v[20:21] neg_lo:[0,0,1] neg_hi:[0,0,1]
	v_pk_fma_f32 v[20:21], v[78:79], v[62:63], v[20:21] op_sel_hi:[1,0,1]
	s_nop 0
	v_mov_b32_e32 v23, v21
	s_waitcnt vmcnt(3) lgkmcnt(2)
	v_pk_mul_f32 v[20:21], v[6:7], v[64:65] op_sel:[1,1] op_sel_hi:[0,1]
	v_pk_add_f32 v[10:11], v[10:11], v[22:23]
	v_pk_fma_f32 v[22:23], v[6:7], v[64:65], v[20:21] neg_lo:[0,0,1] neg_hi:[0,0,1]
	v_pk_fma_f32 v[6:7], v[6:7], v[64:65], v[20:21] op_sel_hi:[1,0,1]
	s_nop 0
	v_mov_b32_e32 v23, v7
	v_pk_add_f32 v[6:7], v[10:11], v[22:23]
	v_mov_b32_e32 v10, v67
	v_pk_mul_f32 v[10:11], v[8:9], v[10:11] op_sel:[1,0] op_sel_hi:[0,0]
	v_pk_fma_f32 v[20:21], v[8:9], v[66:67], v[10:11] neg_lo:[0,0,1] neg_hi:[0,0,1]
	v_pk_fma_f32 v[8:9], v[8:9], v[66:67], v[10:11] op_sel_hi:[1,0,1]
	s_nop 0
	v_mov_b32_e32 v21, v9
	s_waitcnt vmcnt(2) lgkmcnt(1)
	v_pk_mul_f32 v[8:9], v[12:13], v[68:69] op_sel:[1,1] op_sel_hi:[0,1]
	v_pk_fma_f32 v[10:11], v[12:13], v[68:69], v[8:9] neg_lo:[0,0,1] neg_hi:[0,0,1]
	v_pk_fma_f32 v[8:9], v[12:13], v[68:69], v[8:9] op_sel_hi:[1,0,1]
	v_pk_add_f32 v[6:7], v[6:7], v[20:21]
	v_mov_b32_e32 v8, v71
	v_mov_b32_e32 v11, v9
	v_pk_mul_f32 v[8:9], v[14:15], v[8:9] op_sel:[1,0] op_sel_hi:[0,0]
	v_pk_add_f32 v[6:7], v[6:7], v[10:11]
	v_pk_fma_f32 v[10:11], v[14:15], v[70:71], v[8:9] neg_lo:[0,0,1] neg_hi:[0,0,1]
	v_pk_fma_f32 v[8:9], v[14:15], v[70:71], v[8:9] op_sel_hi:[1,0,1]
	s_nop 0
	v_mov_b32_e32 v11, v9
	s_waitcnt vmcnt(1) lgkmcnt(0)
	v_pk_mul_f32 v[8:9], v[16:17], v[2:3] op_sel:[1,1] op_sel_hi:[0,1]
	v_pk_add_f32 v[6:7], v[6:7], v[10:11]
	v_pk_fma_f32 v[10:11], v[16:17], v[2:3], v[8:9] neg_lo:[0,0,1] neg_hi:[0,0,1]
	v_pk_fma_f32 v[2:3], v[16:17], v[2:3], v[8:9] op_sel_hi:[1,0,1]
	s_nop 0
	v_mov_b32_e32 v11, v3
	v_pk_add_f32 v[2:3], v[6:7], v[10:11]
	v_mov_b32_e32 v6, v5
	v_pk_mul_f32 v[6:7], v[18:19], v[6:7] op_sel:[1,0] op_sel_hi:[0,0]
	v_pk_fma_f32 v[8:9], v[18:19], v[4:5], v[6:7] neg_lo:[0,0,1] neg_hi:[0,0,1]
	v_pk_fma_f32 v[4:5], v[18:19], v[4:5], v[6:7] op_sel_hi:[1,0,1]
	s_nop 0
	v_mov_b32_e32 v9, v5
	v_pk_add_f32 v[2:3], v[2:3], v[8:9]
	s_waitcnt vmcnt(0)
	v_pk_add_f32 v[2:3], v[80:81], v[2:3] neg_lo:[0,1] neg_hi:[0,1]
	scratch_store_dwordx2 off, v[2:3], off offset:272
	s_and_saveexec_b64 s[0:1], vcc
	s_cbranch_execz .LBB120_289
; %bb.288:
	scratch_load_dwordx2 v[2:3], off, off offset:264
	v_mov_b32_e32 v4, 0
	v_mov_b32_e32 v5, v4
	scratch_store_dwordx2 off, v[4:5], off offset:264
	s_waitcnt vmcnt(1)
	ds_write_b64 v1, v[2:3]
.LBB120_289:
	s_or_b64 exec, exec, s[0:1]
	s_waitcnt lgkmcnt(0)
	; wave barrier
	scratch_load_dwordx4 v[6:9], off, off offset:272
	scratch_load_dwordx4 v[14:17], off, off offset:288
	;; [unrolled: 1-line block ×11, first 2 shown]
	scratch_load_dwordx2 v[22:23], off, off offset:448
	scratch_load_dwordx2 v[36:37], off, off offset:264
	v_mov_b32_e32 v38, 0
	ds_read_b128 v[52:55], v38 offset:736
	ds_read_b128 v[56:59], v38 offset:752
	;; [unrolled: 1-line block ×8, first 2 shown]
	v_cmp_lt_u32_e32 vcc, 32, v0
	s_waitcnt vmcnt(12) lgkmcnt(7)
	v_mul_f32_e32 v39, v52, v7
	v_mul_f32_e32 v84, v54, v9
	;; [unrolled: 1-line block ×3, first 2 shown]
	v_fmac_f32_e32 v39, v53, v6
	s_waitcnt vmcnt(8) lgkmcnt(3)
	v_mul_f32_e32 v93, v68, v19
	v_mul_f32_e32 v19, v69, v19
	;; [unrolled: 1-line block ×4, first 2 shown]
	v_fmac_f32_e32 v84, v55, v8
	v_fmac_f32_e32 v93, v69, v18
	v_fma_f32 v6, v52, v6, -v7
	v_fma_f32 v18, v68, v18, -v19
	v_add_f32_e32 v19, 0, v39
	v_mul_f32_e32 v88, v58, v17
	v_fmac_f32_e32 v86, v57, v14
	v_fma_f32 v7, v54, v8, -v9
	v_add_f32_e32 v6, 0, v6
	v_add_f32_e32 v19, v19, v84
	v_mul_f32_e32 v89, v60, v25
	v_fmac_f32_e32 v88, v59, v16
	v_add_f32_e32 v6, v6, v7
	v_add_f32_e32 v7, v19, v86
	v_mul_f32_e32 v90, v62, v27
	v_fmac_f32_e32 v89, v61, v24
	v_add_f32_e32 v7, v7, v88
	v_mul_f32_e32 v91, v64, v29
	v_mul_f32_e32 v15, v57, v15
	v_fmac_f32_e32 v90, v63, v26
	v_add_f32_e32 v7, v7, v89
	v_mul_f32_e32 v92, v66, v31
	v_mul_f32_e32 v17, v59, v17
	v_fmac_f32_e32 v91, v65, v28
	v_fma_f32 v8, v56, v14, -v15
	v_add_f32_e32 v7, v7, v90
	v_mul_f32_e32 v25, v61, v25
	v_fmac_f32_e32 v92, v67, v30
	v_fma_f32 v9, v58, v16, -v17
	v_add_f32_e32 v6, v6, v8
	v_add_f32_e32 v7, v7, v91
	v_mul_f32_e32 v94, v70, v21
	v_mul_f32_e32 v27, v63, v27
	v_fma_f32 v14, v60, v24, -v25
	v_add_f32_e32 v6, v6, v9
	v_add_f32_e32 v7, v7, v92
	s_waitcnt vmcnt(7) lgkmcnt(2)
	v_mul_f32_e32 v95, v72, v33
	v_mul_f32_e32 v29, v65, v29
	v_fmac_f32_e32 v94, v71, v20
	v_fma_f32 v15, v62, v26, -v27
	v_add_f32_e32 v6, v6, v14
	v_add_f32_e32 v7, v7, v93
	v_mul_f32_e32 v96, v74, v35
	v_mul_f32_e32 v31, v67, v31
	v_fmac_f32_e32 v95, v73, v32
	v_fma_f32 v16, v64, v28, -v29
	v_add_f32_e32 v6, v6, v15
	v_add_f32_e32 v7, v7, v94
	s_waitcnt vmcnt(6) lgkmcnt(1)
	v_mul_f32_e32 v97, v76, v41
	v_fmac_f32_e32 v96, v75, v34
	v_fma_f32 v17, v66, v30, -v31
	v_add_f32_e32 v6, v6, v16
	v_add_f32_e32 v7, v7, v95
	v_mul_f32_e32 v21, v71, v21
	v_fmac_f32_e32 v97, v77, v40
	v_add_f32_e32 v6, v6, v17
	v_add_f32_e32 v7, v7, v96
	;; [unrolled: 1-line block ×4, first 2 shown]
	v_fma_f32 v7, v70, v20, -v21
	v_add_f32_e32 v6, v6, v7
	v_mul_f32_e32 v7, v73, v33
	v_fma_f32 v7, v72, v32, -v7
	v_add_f32_e32 v6, v6, v7
	v_mul_f32_e32 v7, v75, v35
	;; [unrolled: 3-line block ×4, first 2 shown]
	v_mul_f32_e32 v85, v78, v43
	v_fma_f32 v84, v78, v42, -v6
	s_waitcnt vmcnt(5) lgkmcnt(0)
	v_mul_f32_e32 v6, v81, v45
	v_mov_b32_e32 v28, v47
	v_mul_f32_e32 v87, v80, v45
	v_fmac_f32_e32 v85, v79, v42
	v_fma_f32 v86, v80, v44, -v6
	ds_read_b128 v[6:9], v38 offset:864
	ds_read_b128 v[14:17], v38 offset:880
	;; [unrolled: 1-line block ×3, first 2 shown]
	ds_read_b64 v[26:27], v38 offset:912
	v_pk_mul_f32 v[28:29], v[82:83], v[28:29] op_sel:[1,0] op_sel_hi:[0,0]
	v_fmac_f32_e32 v87, v81, v44
	v_pk_add_f32 v[24:25], v[24:25], v[84:85]
	v_pk_fma_f32 v[30:31], v[82:83], v[46:47], v[28:29] neg_lo:[0,0,1] neg_hi:[0,0,1]
	v_pk_fma_f32 v[28:29], v[82:83], v[46:47], v[28:29] op_sel_hi:[1,0,1]
	v_pk_add_f32 v[24:25], v[24:25], v[86:87]
	v_mov_b32_e32 v31, v29
	s_waitcnt vmcnt(4) lgkmcnt(3)
	v_pk_mul_f32 v[28:29], v[6:7], v[48:49] op_sel:[1,1] op_sel_hi:[0,1]
	v_pk_add_f32 v[24:25], v[24:25], v[30:31]
	v_pk_fma_f32 v[30:31], v[6:7], v[48:49], v[28:29] neg_lo:[0,0,1] neg_hi:[0,0,1]
	v_pk_fma_f32 v[6:7], v[6:7], v[48:49], v[28:29] op_sel_hi:[1,0,1]
	s_nop 0
	v_mov_b32_e32 v31, v7
	v_pk_add_f32 v[6:7], v[24:25], v[30:31]
	v_mov_b32_e32 v24, v51
	v_pk_mul_f32 v[24:25], v[8:9], v[24:25] op_sel:[1,0] op_sel_hi:[0,0]
	v_pk_fma_f32 v[28:29], v[8:9], v[50:51], v[24:25] neg_lo:[0,0,1] neg_hi:[0,0,1]
	v_pk_fma_f32 v[8:9], v[8:9], v[50:51], v[24:25] op_sel_hi:[1,0,1]
	s_nop 0
	v_mov_b32_e32 v29, v9
	s_waitcnt vmcnt(3) lgkmcnt(2)
	v_pk_mul_f32 v[8:9], v[14:15], v[10:11] op_sel:[1,1] op_sel_hi:[0,1]
	v_pk_fma_f32 v[24:25], v[14:15], v[10:11], v[8:9] neg_lo:[0,0,1] neg_hi:[0,0,1]
	v_pk_fma_f32 v[8:9], v[14:15], v[10:11], v[8:9] op_sel_hi:[1,0,1]
	v_pk_add_f32 v[6:7], v[6:7], v[28:29]
	v_mov_b32_e32 v8, v13
	v_mov_b32_e32 v25, v9
	v_pk_mul_f32 v[8:9], v[16:17], v[8:9] op_sel:[1,0] op_sel_hi:[0,0]
	v_pk_fma_f32 v[10:11], v[16:17], v[12:13], v[8:9] neg_lo:[0,0,1] neg_hi:[0,0,1]
	v_pk_fma_f32 v[8:9], v[16:17], v[12:13], v[8:9] op_sel_hi:[1,0,1]
	v_pk_add_f32 v[6:7], v[6:7], v[24:25]
	v_mov_b32_e32 v11, v9
	s_waitcnt vmcnt(2) lgkmcnt(1)
	v_pk_mul_f32 v[8:9], v[18:19], v[2:3] op_sel:[1,1] op_sel_hi:[0,1]
	v_pk_add_f32 v[6:7], v[6:7], v[10:11]
	v_pk_fma_f32 v[10:11], v[18:19], v[2:3], v[8:9] neg_lo:[0,0,1] neg_hi:[0,0,1]
	v_pk_fma_f32 v[2:3], v[18:19], v[2:3], v[8:9] op_sel_hi:[1,0,1]
	s_nop 0
	v_mov_b32_e32 v11, v3
	v_pk_add_f32 v[2:3], v[6:7], v[10:11]
	v_mov_b32_e32 v6, v5
	v_pk_mul_f32 v[6:7], v[20:21], v[6:7] op_sel:[1,0] op_sel_hi:[0,0]
	v_pk_fma_f32 v[8:9], v[20:21], v[4:5], v[6:7] neg_lo:[0,0,1] neg_hi:[0,0,1]
	v_pk_fma_f32 v[4:5], v[20:21], v[4:5], v[6:7] op_sel_hi:[1,0,1]
	s_nop 0
	v_mov_b32_e32 v9, v5
	s_waitcnt vmcnt(1) lgkmcnt(0)
	v_pk_mul_f32 v[4:5], v[26:27], v[22:23] op_sel:[1,1] op_sel_hi:[0,1]
	v_pk_fma_f32 v[6:7], v[26:27], v[22:23], v[4:5] neg_lo:[0,0,1] neg_hi:[0,0,1]
	v_pk_fma_f32 v[4:5], v[26:27], v[22:23], v[4:5] op_sel_hi:[1,0,1]
	v_pk_add_f32 v[2:3], v[2:3], v[8:9]
	v_mov_b32_e32 v7, v5
	v_pk_add_f32 v[2:3], v[2:3], v[6:7]
	s_waitcnt vmcnt(0)
	v_pk_add_f32 v[2:3], v[36:37], v[2:3] neg_lo:[0,1] neg_hi:[0,1]
	scratch_store_dwordx2 off, v[2:3], off offset:264
	s_and_saveexec_b64 s[0:1], vcc
	s_cbranch_execz .LBB120_291
; %bb.290:
	scratch_load_dwordx2 v[2:3], off, off offset:256
	v_mov_b32_e32 v39, v38
	scratch_store_dwordx2 off, v[38:39], off offset:256
	s_waitcnt vmcnt(1)
	ds_write_b64 v1, v[2:3]
.LBB120_291:
	s_or_b64 exec, exec, s[0:1]
	s_waitcnt lgkmcnt(0)
	; wave barrier
	scratch_load_dwordx4 v[2:5], off, off offset:264
	scratch_load_dwordx4 v[14:17], off, off offset:280
	;; [unrolled: 1-line block ×8, first 2 shown]
	ds_read2_b64 v[48:51], v38 offset0:91 offset1:92
	ds_read2_b64 v[52:55], v38 offset0:93 offset1:94
	;; [unrolled: 1-line block ×8, first 2 shown]
	scratch_load_dwordx4 v[80:83], off, off offset:392
	scratch_load_dwordx4 v[26:29], off, off offset:408
	;; [unrolled: 1-line block ×4, first 2 shown]
	scratch_load_dwordx2 v[84:85], off, off offset:256
	v_cmp_lt_u32_e32 vcc, 31, v0
	s_waitcnt vmcnt(12) lgkmcnt(7)
	v_mul_f32_e32 v39, v48, v3
	v_mul_f32_e32 v86, v50, v5
	;; [unrolled: 1-line block ×3, first 2 shown]
	v_fmac_f32_e32 v39, v49, v2
	s_waitcnt vmcnt(8) lgkmcnt(3)
	v_mul_f32_e32 v95, v64, v19
	v_mul_f32_e32 v19, v65, v19
	;; [unrolled: 1-line block ×4, first 2 shown]
	v_fmac_f32_e32 v86, v51, v4
	v_fmac_f32_e32 v95, v65, v18
	v_fma_f32 v2, v48, v2, -v3
	v_fma_f32 v18, v64, v18, -v19
	v_add_f32_e32 v19, 0, v39
	v_mul_f32_e32 v90, v54, v17
	v_fmac_f32_e32 v88, v53, v14
	v_fma_f32 v3, v50, v4, -v5
	v_add_f32_e32 v2, 0, v2
	v_add_f32_e32 v19, v19, v86
	v_mul_f32_e32 v91, v56, v31
	v_fmac_f32_e32 v90, v55, v16
	v_add_f32_e32 v2, v2, v3
	v_add_f32_e32 v3, v19, v88
	v_mul_f32_e32 v92, v58, v33
	v_fmac_f32_e32 v91, v57, v30
	v_add_f32_e32 v3, v3, v90
	v_mul_f32_e32 v93, v60, v41
	v_fmac_f32_e32 v92, v59, v32
	;; [unrolled: 3-line block ×4, first 2 shown]
	v_add_f32_e32 v3, v3, v93
	v_mul_f32_e32 v96, v66, v21
	v_mul_f32_e32 v17, v55, v17
	v_fma_f32 v4, v52, v14, -v15
	v_add_f32_e32 v3, v3, v94
	s_waitcnt vmcnt(7) lgkmcnt(2)
	v_mul_f32_e32 v97, v68, v23
	v_mul_f32_e32 v31, v57, v31
	v_fmac_f32_e32 v96, v67, v20
	v_fma_f32 v5, v54, v16, -v17
	v_add_f32_e32 v2, v2, v4
	v_add_f32_e32 v3, v3, v95
	v_mul_f32_e32 v98, v70, v25
	v_mul_f32_e32 v33, v59, v33
	v_fmac_f32_e32 v97, v69, v22
	v_fma_f32 v14, v56, v30, -v31
	v_add_f32_e32 v2, v2, v5
	v_add_f32_e32 v3, v3, v96
	s_waitcnt vmcnt(6) lgkmcnt(1)
	v_mul_f32_e32 v99, v72, v35
	v_mul_f32_e32 v41, v61, v41
	v_fmac_f32_e32 v98, v71, v24
	v_fma_f32 v15, v58, v32, -v33
	v_add_f32_e32 v2, v2, v14
	v_add_f32_e32 v3, v3, v97
	v_mul_f32_e32 v100, v74, v37
	v_mul_f32_e32 v43, v63, v43
	v_fmac_f32_e32 v99, v73, v34
	v_fma_f32 v16, v60, v40, -v41
	v_add_f32_e32 v2, v2, v15
	v_add_f32_e32 v3, v3, v98
	v_fmac_f32_e32 v100, v75, v36
	v_fma_f32 v17, v62, v42, -v43
	v_add_f32_e32 v2, v2, v16
	v_add_f32_e32 v3, v3, v99
	;; [unrolled: 1-line block ×4, first 2 shown]
	v_mul_f32_e32 v3, v67, v21
	v_add_f32_e32 v2, v2, v18
	v_fma_f32 v3, v66, v20, -v3
	v_add_f32_e32 v2, v2, v3
	v_mul_f32_e32 v3, v69, v23
	v_fma_f32 v3, v68, v22, -v3
	v_add_f32_e32 v2, v2, v3
	v_mul_f32_e32 v3, v71, v25
	;; [unrolled: 3-line block ×4, first 2 shown]
	v_fma_f32 v3, v74, v36, -v3
	v_add_f32_e32 v30, v2, v3
	s_waitcnt vmcnt(5) lgkmcnt(0)
	v_mul_f32_e32 v2, v77, v45
	v_fma_f32 v86, v76, v44, -v2
	v_mul_f32_e32 v2, v79, v47
	v_fma_f32 v88, v78, v46, -v2
	ds_read2_b64 v[2:5], v38 offset0:107 offset1:108
	ds_read2_b64 v[14:17], v38 offset0:109 offset1:110
	;; [unrolled: 1-line block ×4, first 2 shown]
	v_mul_f32_e32 v87, v76, v45
	v_mul_f32_e32 v89, v78, v47
	v_fmac_f32_e32 v87, v77, v44
	s_waitcnt vmcnt(4) lgkmcnt(3)
	v_pk_mul_f32 v[32:33], v[2:3], v[80:81] op_sel:[1,1] op_sel_hi:[0,1]
	v_fmac_f32_e32 v89, v79, v46
	v_pk_add_f32 v[30:31], v[30:31], v[86:87]
	v_pk_fma_f32 v[34:35], v[2:3], v[80:81], v[32:33] neg_lo:[0,0,1] neg_hi:[0,0,1]
	v_pk_fma_f32 v[2:3], v[2:3], v[80:81], v[32:33] op_sel_hi:[1,0,1]
	v_pk_add_f32 v[30:31], v[30:31], v[88:89]
	v_mov_b32_e32 v35, v3
	v_pk_add_f32 v[2:3], v[30:31], v[34:35]
	v_mov_b32_e32 v30, v83
	v_pk_mul_f32 v[30:31], v[4:5], v[30:31] op_sel:[1,0] op_sel_hi:[0,0]
	v_pk_fma_f32 v[32:33], v[4:5], v[82:83], v[30:31] neg_lo:[0,0,1] neg_hi:[0,0,1]
	v_pk_fma_f32 v[4:5], v[4:5], v[82:83], v[30:31] op_sel_hi:[1,0,1]
	s_nop 0
	v_mov_b32_e32 v33, v5
	s_waitcnt vmcnt(3) lgkmcnt(2)
	v_pk_mul_f32 v[4:5], v[14:15], v[26:27] op_sel:[1,1] op_sel_hi:[0,1]
	v_pk_fma_f32 v[30:31], v[14:15], v[26:27], v[4:5] neg_lo:[0,0,1] neg_hi:[0,0,1]
	v_pk_fma_f32 v[4:5], v[14:15], v[26:27], v[4:5] op_sel_hi:[1,0,1]
	v_pk_add_f32 v[2:3], v[2:3], v[32:33]
	v_mov_b32_e32 v4, v29
	v_mov_b32_e32 v31, v5
	v_pk_mul_f32 v[4:5], v[16:17], v[4:5] op_sel:[1,0] op_sel_hi:[0,0]
	v_pk_fma_f32 v[14:15], v[16:17], v[28:29], v[4:5] neg_lo:[0,0,1] neg_hi:[0,0,1]
	v_pk_fma_f32 v[4:5], v[16:17], v[28:29], v[4:5] op_sel_hi:[1,0,1]
	v_pk_add_f32 v[2:3], v[2:3], v[30:31]
	v_mov_b32_e32 v15, v5
	s_waitcnt vmcnt(2) lgkmcnt(1)
	v_pk_mul_f32 v[4:5], v[18:19], v[10:11] op_sel:[1,1] op_sel_hi:[0,1]
	v_pk_add_f32 v[2:3], v[2:3], v[14:15]
	v_pk_fma_f32 v[14:15], v[18:19], v[10:11], v[4:5] neg_lo:[0,0,1] neg_hi:[0,0,1]
	v_pk_fma_f32 v[4:5], v[18:19], v[10:11], v[4:5] op_sel_hi:[1,0,1]
	s_nop 0
	v_mov_b32_e32 v4, v13
	v_mov_b32_e32 v15, v5
	v_pk_mul_f32 v[4:5], v[20:21], v[4:5] op_sel:[1,0] op_sel_hi:[0,0]
	v_pk_fma_f32 v[10:11], v[20:21], v[12:13], v[4:5] neg_lo:[0,0,1] neg_hi:[0,0,1]
	v_pk_fma_f32 v[4:5], v[20:21], v[12:13], v[4:5] op_sel_hi:[1,0,1]
	v_pk_add_f32 v[2:3], v[2:3], v[14:15]
	v_mov_b32_e32 v11, v5
	s_waitcnt vmcnt(1) lgkmcnt(0)
	v_pk_mul_f32 v[4:5], v[22:23], v[6:7] op_sel:[1,1] op_sel_hi:[0,1]
	v_pk_add_f32 v[2:3], v[2:3], v[10:11]
	v_pk_fma_f32 v[10:11], v[22:23], v[6:7], v[4:5] neg_lo:[0,0,1] neg_hi:[0,0,1]
	v_pk_fma_f32 v[4:5], v[22:23], v[6:7], v[4:5] op_sel_hi:[1,0,1]
	s_nop 0
	v_mov_b32_e32 v4, v9
	v_mov_b32_e32 v11, v5
	v_pk_mul_f32 v[4:5], v[24:25], v[4:5] op_sel:[1,0] op_sel_hi:[0,0]
	v_pk_fma_f32 v[6:7], v[24:25], v[8:9], v[4:5] neg_lo:[0,0,1] neg_hi:[0,0,1]
	v_pk_fma_f32 v[4:5], v[24:25], v[8:9], v[4:5] op_sel_hi:[1,0,1]
	v_pk_add_f32 v[2:3], v[2:3], v[10:11]
	v_mov_b32_e32 v7, v5
	v_pk_add_f32 v[2:3], v[2:3], v[6:7]
	s_waitcnt vmcnt(0)
	v_pk_add_f32 v[2:3], v[84:85], v[2:3] neg_lo:[0,1] neg_hi:[0,1]
	scratch_store_dwordx2 off, v[2:3], off offset:256
	s_and_saveexec_b64 s[0:1], vcc
	s_cbranch_execz .LBB120_293
; %bb.292:
	scratch_load_dwordx2 v[2:3], off, off offset:248
	v_mov_b32_e32 v4, 0
	v_mov_b32_e32 v5, v4
	scratch_store_dwordx2 off, v[4:5], off offset:248
	s_waitcnt vmcnt(1)
	ds_write_b64 v1, v[2:3]
.LBB120_293:
	s_or_b64 exec, exec, s[0:1]
	s_waitcnt lgkmcnt(0)
	; wave barrier
	scratch_load_dwordx4 v[10:13], off, off offset:256
	scratch_load_dwordx4 v[26:29], off, off offset:272
	;; [unrolled: 1-line block ×12, first 2 shown]
	scratch_load_dwordx2 v[50:51], off, off offset:448
	scratch_load_dwordx2 v[56:57], off, off offset:248
	v_mov_b32_e32 v58, 0
	ds_read_b128 v[52:55], v58 offset:720
	ds_read_b128 v[60:63], v58 offset:736
	;; [unrolled: 1-line block ×10, first 2 shown]
	v_cmp_lt_u32_e32 vcc, 30, v0
	s_waitcnt vmcnt(13) lgkmcnt(9)
	v_mul_f32_e32 v59, v52, v11
	v_mul_f32_e32 v96, v54, v13
	v_fmac_f32_e32 v59, v53, v10
	s_waitcnt vmcnt(10) lgkmcnt(6)
	v_mul_f32_e32 v103, v68, v7
	v_mul_f32_e32 v7, v69, v7
	;; [unrolled: 1-line block ×3, first 2 shown]
	v_fmac_f32_e32 v96, v55, v12
	v_fmac_f32_e32 v103, v69, v6
	v_fma_f32 v6, v68, v6, -v7
	v_add_f32_e32 v7, 0, v59
	v_mul_f32_e32 v100, v62, v29
	v_fmac_f32_e32 v98, v61, v26
	v_add_f32_e32 v7, v7, v96
	v_mul_f32_e32 v101, v64, v39
	v_fmac_f32_e32 v100, v63, v28
	;; [unrolled: 3-line block ×3, first 2 shown]
	v_add_f32_e32 v7, v7, v100
	v_fmac_f32_e32 v102, v67, v40
	v_add_f32_e32 v7, v7, v101
	v_mul_f32_e32 v104, v70, v9
	v_add_f32_e32 v7, v7, v102
	s_waitcnt vmcnt(9) lgkmcnt(5)
	v_mul_f32_e32 v105, v72, v15
	v_fmac_f32_e32 v104, v71, v8
	v_add_f32_e32 v7, v7, v103
	v_mul_f32_e32 v106, v74, v17
	v_mul_f32_e32 v11, v53, v11
	v_fmac_f32_e32 v105, v73, v14
	v_add_f32_e32 v7, v7, v104
	s_waitcnt vmcnt(8) lgkmcnt(4)
	v_mul_f32_e32 v107, v76, v23
	v_mul_f32_e32 v13, v55, v13
	v_fmac_f32_e32 v106, v75, v16
	v_fma_f32 v10, v52, v10, -v11
	v_add_f32_e32 v7, v7, v105
	v_mul_f32_e32 v108, v78, v25
	v_mul_f32_e32 v27, v61, v27
	v_fmac_f32_e32 v107, v77, v22
	v_fma_f32 v11, v54, v12, -v13
	v_add_f32_e32 v10, 0, v10
	v_add_f32_e32 v7, v7, v106
	s_waitcnt vmcnt(7) lgkmcnt(3)
	v_mul_f32_e32 v109, v80, v31
	v_mul_f32_e32 v29, v63, v29
	v_fmac_f32_e32 v108, v79, v24
	v_fma_f32 v12, v60, v26, -v27
	v_add_f32_e32 v10, v10, v11
	v_add_f32_e32 v7, v7, v107
	v_mul_f32_e32 v110, v82, v33
	v_mul_f32_e32 v39, v65, v39
	v_fmac_f32_e32 v109, v81, v30
	v_fma_f32 v13, v62, v28, -v29
	v_add_f32_e32 v10, v10, v12
	v_add_f32_e32 v7, v7, v108
	s_waitcnt vmcnt(6) lgkmcnt(2)
	v_mul_f32_e32 v111, v84, v43
	v_mul_f32_e32 v41, v67, v41
	v_fmac_f32_e32 v110, v83, v32
	v_fma_f32 v26, v64, v38, -v39
	v_add_f32_e32 v10, v10, v13
	v_add_f32_e32 v7, v7, v109
	v_fmac_f32_e32 v111, v85, v42
	v_fma_f32 v27, v66, v40, -v41
	v_add_f32_e32 v10, v10, v26
	v_add_f32_e32 v7, v7, v110
	;; [unrolled: 1-line block ×4, first 2 shown]
	v_mul_f32_e32 v7, v71, v9
	v_add_f32_e32 v6, v10, v6
	v_fma_f32 v7, v70, v8, -v7
	v_add_f32_e32 v6, v6, v7
	v_mul_f32_e32 v7, v73, v15
	v_fma_f32 v7, v72, v14, -v7
	v_add_f32_e32 v6, v6, v7
	v_mul_f32_e32 v7, v75, v17
	;; [unrolled: 3-line block ×7, first 2 shown]
	v_fma_f32 v7, v84, v42, -v7
	v_mul_f32_e32 v97, v86, v45
	v_add_f32_e32 v26, v6, v7
	v_mul_f32_e32 v6, v87, v45
	s_waitcnt vmcnt(5)
	v_mov_b32_e32 v22, v49
	s_waitcnt lgkmcnt(1)
	v_mul_f32_e32 v99, v88, v47
	v_fmac_f32_e32 v97, v87, v44
	v_fma_f32 v96, v86, v44, -v6
	v_mul_f32_e32 v6, v89, v47
	v_pk_mul_f32 v[22:23], v[90:91], v[22:23] op_sel:[1,0] op_sel_hi:[0,0]
	v_fmac_f32_e32 v99, v89, v46
	v_fma_f32 v98, v88, v46, -v6
	v_pk_add_f32 v[16:17], v[26:27], v[96:97]
	v_pk_fma_f32 v[24:25], v[90:91], v[48:49], v[22:23] neg_lo:[0,0,1] neg_hi:[0,0,1]
	v_pk_fma_f32 v[22:23], v[90:91], v[48:49], v[22:23] op_sel_hi:[1,0,1]
	v_pk_add_f32 v[16:17], v[16:17], v[98:99]
	v_mov_b32_e32 v25, v23
	s_waitcnt vmcnt(4) lgkmcnt(0)
	v_pk_mul_f32 v[22:23], v[92:93], v[34:35] op_sel:[1,1] op_sel_hi:[0,1]
	v_pk_add_f32 v[16:17], v[16:17], v[24:25]
	v_pk_fma_f32 v[24:25], v[92:93], v[34:35], v[22:23] neg_lo:[0,0,1] neg_hi:[0,0,1]
	v_pk_fma_f32 v[22:23], v[92:93], v[34:35], v[22:23] op_sel_hi:[1,0,1]
	ds_read_b128 v[6:9], v58 offset:880
	ds_read_b128 v[10:13], v58 offset:896
	ds_read_b64 v[14:15], v58 offset:912
	v_mov_b32_e32 v22, v37
	v_mov_b32_e32 v25, v23
	v_pk_mul_f32 v[22:23], v[94:95], v[22:23] op_sel:[1,0] op_sel_hi:[0,0]
	v_pk_add_f32 v[16:17], v[16:17], v[24:25]
	v_pk_fma_f32 v[24:25], v[94:95], v[36:37], v[22:23] neg_lo:[0,0,1] neg_hi:[0,0,1]
	v_pk_fma_f32 v[22:23], v[94:95], v[36:37], v[22:23] op_sel_hi:[1,0,1]
	s_nop 0
	v_mov_b32_e32 v25, v23
	s_waitcnt vmcnt(3) lgkmcnt(2)
	v_pk_mul_f32 v[22:23], v[6:7], v[18:19] op_sel:[1,1] op_sel_hi:[0,1]
	v_pk_add_f32 v[16:17], v[16:17], v[24:25]
	v_pk_fma_f32 v[24:25], v[6:7], v[18:19], v[22:23] neg_lo:[0,0,1] neg_hi:[0,0,1]
	v_pk_fma_f32 v[6:7], v[6:7], v[18:19], v[22:23] op_sel_hi:[1,0,1]
	s_nop 0
	v_mov_b32_e32 v25, v7
	v_pk_add_f32 v[6:7], v[16:17], v[24:25]
	v_mov_b32_e32 v16, v21
	v_pk_mul_f32 v[16:17], v[8:9], v[16:17] op_sel:[1,0] op_sel_hi:[0,0]
	v_pk_fma_f32 v[18:19], v[8:9], v[20:21], v[16:17] neg_lo:[0,0,1] neg_hi:[0,0,1]
	v_pk_fma_f32 v[8:9], v[8:9], v[20:21], v[16:17] op_sel_hi:[1,0,1]
	s_nop 0
	v_mov_b32_e32 v19, v9
	s_waitcnt vmcnt(2) lgkmcnt(1)
	v_pk_mul_f32 v[8:9], v[10:11], v[2:3] op_sel:[1,1] op_sel_hi:[0,1]
	v_pk_fma_f32 v[16:17], v[10:11], v[2:3], v[8:9] neg_lo:[0,0,1] neg_hi:[0,0,1]
	v_pk_fma_f32 v[2:3], v[10:11], v[2:3], v[8:9] op_sel_hi:[1,0,1]
	v_pk_add_f32 v[6:7], v[6:7], v[18:19]
	v_mov_b32_e32 v17, v3
	v_pk_add_f32 v[2:3], v[6:7], v[16:17]
	v_mov_b32_e32 v6, v5
	v_pk_mul_f32 v[6:7], v[12:13], v[6:7] op_sel:[1,0] op_sel_hi:[0,0]
	v_pk_fma_f32 v[8:9], v[12:13], v[4:5], v[6:7] neg_lo:[0,0,1] neg_hi:[0,0,1]
	v_pk_fma_f32 v[4:5], v[12:13], v[4:5], v[6:7] op_sel_hi:[1,0,1]
	s_nop 0
	v_mov_b32_e32 v9, v5
	s_waitcnt vmcnt(1) lgkmcnt(0)
	v_pk_mul_f32 v[4:5], v[14:15], v[50:51] op_sel:[1,1] op_sel_hi:[0,1]
	v_pk_fma_f32 v[6:7], v[14:15], v[50:51], v[4:5] neg_lo:[0,0,1] neg_hi:[0,0,1]
	v_pk_fma_f32 v[4:5], v[14:15], v[50:51], v[4:5] op_sel_hi:[1,0,1]
	v_pk_add_f32 v[2:3], v[2:3], v[8:9]
	v_mov_b32_e32 v7, v5
	v_pk_add_f32 v[2:3], v[2:3], v[6:7]
	s_waitcnt vmcnt(0)
	v_pk_add_f32 v[2:3], v[56:57], v[2:3] neg_lo:[0,1] neg_hi:[0,1]
	scratch_store_dwordx2 off, v[2:3], off offset:248
	s_and_saveexec_b64 s[0:1], vcc
	s_cbranch_execz .LBB120_295
; %bb.294:
	scratch_load_dwordx2 v[2:3], off, off offset:240
	v_mov_b32_e32 v59, v58
	scratch_store_dwordx2 off, v[58:59], off offset:240
	s_waitcnt vmcnt(1)
	ds_write_b64 v1, v[2:3]
.LBB120_295:
	s_or_b64 exec, exec, s[0:1]
	s_waitcnt lgkmcnt(0)
	; wave barrier
	scratch_load_dwordx4 v[2:5], off, off offset:248
	scratch_load_dwordx4 v[18:21], off, off offset:264
	;; [unrolled: 1-line block ×9, first 2 shown]
	ds_read2_b64 v[60:63], v58 offset0:89 offset1:90
	ds_read2_b64 v[64:67], v58 offset0:91 offset1:92
	;; [unrolled: 1-line block ×8, first 2 shown]
	scratch_load_dwordx4 v[50:53], off, off offset:392
	scratch_load_dwordx4 v[34:37], off, off offset:408
	;; [unrolled: 1-line block ×4, first 2 shown]
	ds_read2_b64 v[88:91], v58 offset0:105 offset1:106
	ds_read2_b64 v[92:95], v58 offset0:107 offset1:108
	scratch_load_dwordx2 v[96:97], off, off offset:240
	v_cmp_lt_u32_e32 vcc, 29, v0
	s_waitcnt vmcnt(13) lgkmcnt(9)
	v_mul_f32_e32 v59, v60, v3
	v_mul_f32_e32 v98, v62, v5
	;; [unrolled: 1-line block ×3, first 2 shown]
	s_waitcnt vmcnt(10) lgkmcnt(6)
	v_mul_f32_e32 v105, v72, v7
	v_mul_f32_e32 v7, v73, v7
	v_fmac_f32_e32 v59, v61, v2
	v_mul_f32_e32 v100, v64, v19
	v_mul_f32_e32 v5, v63, v5
	v_fmac_f32_e32 v98, v63, v4
	v_fmac_f32_e32 v105, v73, v6
	v_fma_f32 v2, v60, v2, -v3
	v_fma_f32 v6, v72, v6, -v7
	v_add_f32_e32 v7, 0, v59
	v_mul_f32_e32 v102, v66, v21
	v_fmac_f32_e32 v100, v65, v18
	v_fma_f32 v3, v62, v4, -v5
	v_add_f32_e32 v2, 0, v2
	v_add_f32_e32 v7, v7, v98
	v_mul_f32_e32 v103, v68, v39
	v_fmac_f32_e32 v102, v67, v20
	v_add_f32_e32 v2, v2, v3
	v_add_f32_e32 v3, v7, v100
	v_mul_f32_e32 v104, v70, v41
	v_fmac_f32_e32 v103, v69, v38
	v_add_f32_e32 v3, v3, v102
	v_fmac_f32_e32 v104, v71, v40
	v_add_f32_e32 v3, v3, v103
	v_mul_f32_e32 v106, v74, v9
	v_add_f32_e32 v3, v3, v104
	s_waitcnt vmcnt(9) lgkmcnt(5)
	v_mul_f32_e32 v107, v76, v15
	v_fmac_f32_e32 v106, v75, v8
	v_add_f32_e32 v3, v3, v105
	v_mul_f32_e32 v108, v78, v17
	v_fmac_f32_e32 v107, v77, v14
	v_add_f32_e32 v3, v3, v106
	s_waitcnt vmcnt(8) lgkmcnt(4)
	v_mul_f32_e32 v109, v80, v23
	v_fmac_f32_e32 v108, v79, v16
	v_add_f32_e32 v3, v3, v107
	v_mul_f32_e32 v110, v82, v25
	v_fmac_f32_e32 v109, v81, v22
	v_add_f32_e32 v3, v3, v108
	s_waitcnt vmcnt(7) lgkmcnt(3)
	v_mul_f32_e32 v111, v84, v31
	v_mul_f32_e32 v19, v65, v19
	v_fmac_f32_e32 v110, v83, v24
	v_add_f32_e32 v3, v3, v109
	v_mul_f32_e32 v112, v86, v33
	v_mul_f32_e32 v21, v67, v21
	v_fmac_f32_e32 v111, v85, v30
	v_fma_f32 v4, v64, v18, -v19
	v_add_f32_e32 v3, v3, v110
	s_waitcnt vmcnt(6) lgkmcnt(2)
	v_mul_f32_e32 v113, v54, v43
	v_mul_f32_e32 v39, v69, v39
	v_fmac_f32_e32 v112, v87, v32
	v_fma_f32 v5, v66, v20, -v21
	v_add_f32_e32 v2, v2, v4
	v_add_f32_e32 v3, v3, v111
	v_mul_f32_e32 v114, v56, v45
	v_mul_f32_e32 v41, v71, v41
	v_fmac_f32_e32 v113, v55, v42
	v_fma_f32 v18, v68, v38, -v39
	v_add_f32_e32 v2, v2, v5
	v_add_f32_e32 v3, v3, v112
	v_fmac_f32_e32 v114, v57, v44
	v_fma_f32 v19, v70, v40, -v41
	v_add_f32_e32 v2, v2, v18
	v_add_f32_e32 v3, v3, v113
	;; [unrolled: 1-line block ×4, first 2 shown]
	v_mul_f32_e32 v3, v75, v9
	v_add_f32_e32 v2, v2, v6
	v_fma_f32 v3, v74, v8, -v3
	v_add_f32_e32 v2, v2, v3
	v_mul_f32_e32 v3, v77, v15
	v_fma_f32 v3, v76, v14, -v3
	v_add_f32_e32 v2, v2, v3
	v_mul_f32_e32 v3, v79, v17
	;; [unrolled: 3-line block ×8, first 2 shown]
	v_fma_f32 v3, v56, v44, -v3
	s_waitcnt vmcnt(5) lgkmcnt(1)
	v_mul_f32_e32 v99, v88, v47
	v_add_f32_e32 v18, v2, v3
	v_mul_f32_e32 v2, v89, v47
	s_waitcnt vmcnt(4) lgkmcnt(0)
	v_pk_mul_f32 v[20:21], v[92:93], v[50:51] op_sel:[1,1] op_sel_hi:[0,1]
	v_mul_f32_e32 v101, v90, v49
	v_fmac_f32_e32 v99, v89, v46
	v_fma_f32 v98, v88, v46, -v2
	v_mul_f32_e32 v2, v91, v49
	v_pk_fma_f32 v[22:23], v[92:93], v[50:51], v[20:21] neg_lo:[0,0,1] neg_hi:[0,0,1]
	v_pk_fma_f32 v[20:21], v[92:93], v[50:51], v[20:21] op_sel_hi:[1,0,1]
	v_fmac_f32_e32 v101, v91, v48
	v_fma_f32 v100, v90, v48, -v2
	ds_read2_b64 v[2:5], v58 offset0:109 offset1:110
	ds_read2_b64 v[6:9], v58 offset0:111 offset1:112
	;; [unrolled: 1-line block ×3, first 2 shown]
	v_pk_add_f32 v[18:19], v[18:19], v[98:99]
	v_mov_b32_e32 v20, v53
	v_pk_add_f32 v[18:19], v[18:19], v[100:101]
	v_mov_b32_e32 v23, v21
	v_pk_mul_f32 v[20:21], v[94:95], v[20:21] op_sel:[1,0] op_sel_hi:[0,0]
	v_pk_add_f32 v[18:19], v[18:19], v[22:23]
	v_pk_fma_f32 v[22:23], v[94:95], v[52:53], v[20:21] neg_lo:[0,0,1] neg_hi:[0,0,1]
	v_pk_fma_f32 v[20:21], v[94:95], v[52:53], v[20:21] op_sel_hi:[1,0,1]
	s_nop 0
	v_mov_b32_e32 v23, v21
	s_waitcnt vmcnt(3) lgkmcnt(2)
	v_pk_mul_f32 v[20:21], v[2:3], v[34:35] op_sel:[1,1] op_sel_hi:[0,1]
	v_pk_add_f32 v[18:19], v[18:19], v[22:23]
	v_pk_fma_f32 v[22:23], v[2:3], v[34:35], v[20:21] neg_lo:[0,0,1] neg_hi:[0,0,1]
	v_pk_fma_f32 v[2:3], v[2:3], v[34:35], v[20:21] op_sel_hi:[1,0,1]
	s_nop 0
	v_mov_b32_e32 v23, v3
	v_pk_add_f32 v[2:3], v[18:19], v[22:23]
	v_mov_b32_e32 v18, v37
	v_pk_mul_f32 v[18:19], v[4:5], v[18:19] op_sel:[1,0] op_sel_hi:[0,0]
	v_pk_fma_f32 v[20:21], v[4:5], v[36:37], v[18:19] neg_lo:[0,0,1] neg_hi:[0,0,1]
	v_pk_fma_f32 v[4:5], v[4:5], v[36:37], v[18:19] op_sel_hi:[1,0,1]
	s_nop 0
	v_mov_b32_e32 v21, v5
	s_waitcnt vmcnt(2) lgkmcnt(1)
	v_pk_mul_f32 v[4:5], v[6:7], v[26:27] op_sel:[1,1] op_sel_hi:[0,1]
	v_pk_fma_f32 v[18:19], v[6:7], v[26:27], v[4:5] neg_lo:[0,0,1] neg_hi:[0,0,1]
	v_pk_fma_f32 v[4:5], v[6:7], v[26:27], v[4:5] op_sel_hi:[1,0,1]
	v_pk_add_f32 v[2:3], v[2:3], v[20:21]
	v_mov_b32_e32 v4, v29
	v_mov_b32_e32 v19, v5
	v_pk_mul_f32 v[4:5], v[8:9], v[4:5] op_sel:[1,0] op_sel_hi:[0,0]
	v_pk_fma_f32 v[6:7], v[8:9], v[28:29], v[4:5] neg_lo:[0,0,1] neg_hi:[0,0,1]
	v_pk_fma_f32 v[4:5], v[8:9], v[28:29], v[4:5] op_sel_hi:[1,0,1]
	v_pk_add_f32 v[2:3], v[2:3], v[18:19]
	v_mov_b32_e32 v7, v5
	s_waitcnt vmcnt(1) lgkmcnt(0)
	v_pk_mul_f32 v[4:5], v[14:15], v[10:11] op_sel:[1,1] op_sel_hi:[0,1]
	v_pk_add_f32 v[2:3], v[2:3], v[6:7]
	v_pk_fma_f32 v[6:7], v[14:15], v[10:11], v[4:5] neg_lo:[0,0,1] neg_hi:[0,0,1]
	v_pk_fma_f32 v[4:5], v[14:15], v[10:11], v[4:5] op_sel_hi:[1,0,1]
	s_nop 0
	v_mov_b32_e32 v4, v13
	v_mov_b32_e32 v7, v5
	v_pk_mul_f32 v[4:5], v[16:17], v[4:5] op_sel:[1,0] op_sel_hi:[0,0]
	v_pk_add_f32 v[2:3], v[2:3], v[6:7]
	v_pk_fma_f32 v[6:7], v[16:17], v[12:13], v[4:5] neg_lo:[0,0,1] neg_hi:[0,0,1]
	v_pk_fma_f32 v[4:5], v[16:17], v[12:13], v[4:5] op_sel_hi:[1,0,1]
	s_nop 0
	v_mov_b32_e32 v7, v5
	v_pk_add_f32 v[2:3], v[2:3], v[6:7]
	s_waitcnt vmcnt(0)
	v_pk_add_f32 v[2:3], v[96:97], v[2:3] neg_lo:[0,1] neg_hi:[0,1]
	scratch_store_dwordx2 off, v[2:3], off offset:240
	s_and_saveexec_b64 s[0:1], vcc
	s_cbranch_execz .LBB120_297
; %bb.296:
	scratch_load_dwordx2 v[2:3], off, off offset:232
	v_mov_b32_e32 v4, 0
	v_mov_b32_e32 v5, v4
	scratch_store_dwordx2 off, v[4:5], off offset:232
	s_waitcnt vmcnt(1)
	ds_write_b64 v1, v[2:3]
.LBB120_297:
	s_or_b64 exec, exec, s[0:1]
	s_waitcnt lgkmcnt(0)
	; wave barrier
	scratch_load_dwordx4 v[18:21], off, off offset:240
	scratch_load_dwordx4 v[30:33], off, off offset:256
	;; [unrolled: 1-line block ×13, first 2 shown]
	scratch_load_dwordx2 v[54:55], off, off offset:448
	scratch_load_dwordx2 v[80:81], off, off offset:232
	v_mov_b32_e32 v82, 0
	ds_read_b128 v[56:59], v82 offset:704
	ds_read_b128 v[60:63], v82 offset:720
	;; [unrolled: 1-line block ×10, first 2 shown]
	v_cmp_lt_u32_e32 vcc, 28, v0
	s_waitcnt vmcnt(14) lgkmcnt(9)
	v_mul_f32_e32 v83, v56, v19
	v_mul_f32_e32 v100, v58, v21
	s_waitcnt vmcnt(12) lgkmcnt(7)
	v_mul_f32_e32 v105, v64, v3
	v_mul_f32_e32 v3, v65, v3
	v_fmac_f32_e32 v83, v57, v18
	v_mul_f32_e32 v102, v60, v31
	v_fmac_f32_e32 v100, v59, v20
	v_fmac_f32_e32 v105, v65, v2
	v_fma_f32 v2, v64, v2, -v3
	v_add_f32_e32 v3, 0, v83
	v_mul_f32_e32 v104, v62, v33
	v_fmac_f32_e32 v102, v61, v30
	v_add_f32_e32 v3, v3, v100
	v_fmac_f32_e32 v104, v63, v32
	v_add_f32_e32 v3, v3, v102
	v_mul_f32_e32 v106, v66, v5
	v_add_f32_e32 v3, v3, v104
	s_waitcnt vmcnt(11) lgkmcnt(6)
	v_mul_f32_e32 v107, v68, v7
	v_fmac_f32_e32 v106, v67, v4
	v_add_f32_e32 v3, v3, v105
	v_mul_f32_e32 v108, v70, v9
	v_fmac_f32_e32 v107, v69, v6
	v_add_f32_e32 v3, v3, v106
	s_waitcnt vmcnt(10) lgkmcnt(5)
	v_mul_f32_e32 v109, v72, v15
	v_fmac_f32_e32 v108, v71, v8
	v_add_f32_e32 v3, v3, v107
	v_mul_f32_e32 v110, v74, v17
	v_fmac_f32_e32 v109, v73, v14
	;; [unrolled: 7-line block ×3, first 2 shown]
	v_add_f32_e32 v3, v3, v110
	s_waitcnt vmcnt(8) lgkmcnt(3)
	v_mul_f32_e32 v113, v84, v35
	v_mul_f32_e32 v19, v57, v19
	v_fmac_f32_e32 v112, v79, v24
	v_add_f32_e32 v3, v3, v111
	v_mul_f32_e32 v114, v86, v37
	v_mul_f32_e32 v21, v59, v21
	v_fmac_f32_e32 v113, v85, v34
	v_fma_f32 v18, v56, v18, -v19
	v_add_f32_e32 v3, v3, v112
	s_waitcnt vmcnt(7) lgkmcnt(2)
	v_mul_f32_e32 v115, v88, v39
	v_mul_f32_e32 v31, v61, v31
	v_fmac_f32_e32 v114, v87, v36
	v_fma_f32 v19, v58, v20, -v21
	v_add_f32_e32 v18, 0, v18
	v_add_f32_e32 v3, v3, v113
	v_mul_f32_e32 v116, v90, v41
	v_mul_f32_e32 v33, v63, v33
	v_fmac_f32_e32 v115, v89, v38
	v_fma_f32 v20, v60, v30, -v31
	v_add_f32_e32 v18, v18, v19
	v_add_f32_e32 v3, v3, v114
	s_waitcnt vmcnt(6) lgkmcnt(1)
	v_mul_f32_e32 v117, v92, v51
	v_fmac_f32_e32 v116, v91, v40
	v_fma_f32 v21, v62, v32, -v33
	v_add_f32_e32 v18, v18, v20
	v_add_f32_e32 v3, v3, v115
	v_mul_f32_e32 v5, v67, v5
	v_fmac_f32_e32 v117, v93, v50
	v_add_f32_e32 v18, v18, v21
	v_add_f32_e32 v3, v3, v116
	v_add_f32_e32 v2, v18, v2
	v_add_f32_e32 v19, v3, v117
	v_fma_f32 v3, v66, v4, -v5
	v_add_f32_e32 v2, v2, v3
	v_mul_f32_e32 v3, v69, v7
	v_fma_f32 v3, v68, v6, -v3
	v_add_f32_e32 v2, v2, v3
	v_mul_f32_e32 v3, v71, v9
	;; [unrolled: 3-line block ×12, first 2 shown]
	v_mul_f32_e32 v101, v94, v53
	v_fma_f32 v100, v94, v52, -v2
	s_waitcnt vmcnt(5) lgkmcnt(0)
	v_mul_f32_e32 v2, v97, v47
	v_mov_b32_e32 v22, v49
	v_mul_f32_e32 v103, v96, v47
	v_fmac_f32_e32 v101, v95, v52
	v_fma_f32 v102, v96, v46, -v2
	ds_read_b128 v[2:5], v82 offset:864
	ds_read_b128 v[6:9], v82 offset:880
	;; [unrolled: 1-line block ×3, first 2 shown]
	ds_read_b64 v[20:21], v82 offset:912
	v_pk_mul_f32 v[22:23], v[98:99], v[22:23] op_sel:[1,0] op_sel_hi:[0,0]
	v_fmac_f32_e32 v103, v97, v46
	v_pk_add_f32 v[18:19], v[18:19], v[100:101]
	v_pk_fma_f32 v[24:25], v[98:99], v[48:49], v[22:23] neg_lo:[0,0,1] neg_hi:[0,0,1]
	v_pk_fma_f32 v[22:23], v[98:99], v[48:49], v[22:23] op_sel_hi:[1,0,1]
	v_pk_add_f32 v[18:19], v[18:19], v[102:103]
	v_mov_b32_e32 v25, v23
	s_waitcnt vmcnt(4) lgkmcnt(3)
	v_pk_mul_f32 v[22:23], v[2:3], v[42:43] op_sel:[1,1] op_sel_hi:[0,1]
	v_pk_add_f32 v[18:19], v[18:19], v[24:25]
	v_pk_fma_f32 v[24:25], v[2:3], v[42:43], v[22:23] neg_lo:[0,0,1] neg_hi:[0,0,1]
	v_pk_fma_f32 v[2:3], v[2:3], v[42:43], v[22:23] op_sel_hi:[1,0,1]
	s_nop 0
	v_mov_b32_e32 v25, v3
	v_pk_add_f32 v[2:3], v[18:19], v[24:25]
	v_mov_b32_e32 v18, v45
	v_pk_mul_f32 v[18:19], v[4:5], v[18:19] op_sel:[1,0] op_sel_hi:[0,0]
	v_pk_fma_f32 v[22:23], v[4:5], v[44:45], v[18:19] neg_lo:[0,0,1] neg_hi:[0,0,1]
	v_pk_fma_f32 v[4:5], v[4:5], v[44:45], v[18:19] op_sel_hi:[1,0,1]
	s_nop 0
	v_mov_b32_e32 v23, v5
	s_waitcnt vmcnt(3) lgkmcnt(2)
	v_pk_mul_f32 v[4:5], v[6:7], v[26:27] op_sel:[1,1] op_sel_hi:[0,1]
	v_pk_fma_f32 v[18:19], v[6:7], v[26:27], v[4:5] neg_lo:[0,0,1] neg_hi:[0,0,1]
	v_pk_fma_f32 v[4:5], v[6:7], v[26:27], v[4:5] op_sel_hi:[1,0,1]
	v_pk_add_f32 v[2:3], v[2:3], v[22:23]
	v_mov_b32_e32 v4, v29
	v_mov_b32_e32 v19, v5
	v_pk_mul_f32 v[4:5], v[8:9], v[4:5] op_sel:[1,0] op_sel_hi:[0,0]
	v_pk_fma_f32 v[6:7], v[8:9], v[28:29], v[4:5] neg_lo:[0,0,1] neg_hi:[0,0,1]
	v_pk_fma_f32 v[4:5], v[8:9], v[28:29], v[4:5] op_sel_hi:[1,0,1]
	v_pk_add_f32 v[2:3], v[2:3], v[18:19]
	v_mov_b32_e32 v7, v5
	s_waitcnt vmcnt(2) lgkmcnt(1)
	v_pk_mul_f32 v[4:5], v[14:15], v[10:11] op_sel:[1,1] op_sel_hi:[0,1]
	v_pk_add_f32 v[2:3], v[2:3], v[6:7]
	v_pk_fma_f32 v[6:7], v[14:15], v[10:11], v[4:5] neg_lo:[0,0,1] neg_hi:[0,0,1]
	v_pk_fma_f32 v[4:5], v[14:15], v[10:11], v[4:5] op_sel_hi:[1,0,1]
	s_nop 0
	v_mov_b32_e32 v4, v13
	v_mov_b32_e32 v7, v5
	v_pk_mul_f32 v[4:5], v[16:17], v[4:5] op_sel:[1,0] op_sel_hi:[0,0]
	v_pk_add_f32 v[2:3], v[2:3], v[6:7]
	v_pk_fma_f32 v[6:7], v[16:17], v[12:13], v[4:5] neg_lo:[0,0,1] neg_hi:[0,0,1]
	v_pk_fma_f32 v[4:5], v[16:17], v[12:13], v[4:5] op_sel_hi:[1,0,1]
	s_nop 0
	v_mov_b32_e32 v7, v5
	s_waitcnt vmcnt(1) lgkmcnt(0)
	v_pk_mul_f32 v[4:5], v[20:21], v[54:55] op_sel:[1,1] op_sel_hi:[0,1]
	v_pk_add_f32 v[2:3], v[2:3], v[6:7]
	v_pk_fma_f32 v[6:7], v[20:21], v[54:55], v[4:5] neg_lo:[0,0,1] neg_hi:[0,0,1]
	v_pk_fma_f32 v[4:5], v[20:21], v[54:55], v[4:5] op_sel_hi:[1,0,1]
	s_nop 0
	v_mov_b32_e32 v7, v5
	v_pk_add_f32 v[2:3], v[2:3], v[6:7]
	s_waitcnt vmcnt(0)
	v_pk_add_f32 v[2:3], v[80:81], v[2:3] neg_lo:[0,1] neg_hi:[0,1]
	scratch_store_dwordx2 off, v[2:3], off offset:232
	s_and_saveexec_b64 s[0:1], vcc
	s_cbranch_execz .LBB120_299
; %bb.298:
	scratch_load_dwordx2 v[2:3], off, off offset:224
	v_mov_b32_e32 v83, v82
	scratch_store_dwordx2 off, v[82:83], off offset:224
	s_waitcnt vmcnt(1)
	ds_write_b64 v1, v[2:3]
.LBB120_299:
	s_or_b64 exec, exec, s[0:1]
	s_waitcnt lgkmcnt(0)
	; wave barrier
	scratch_load_dwordx4 v[10:13], off, off offset:232
	scratch_load_dwordx4 v[26:29], off, off offset:248
	;; [unrolled: 1-line block ×10, first 2 shown]
	ds_read2_b64 v[84:87], v82 offset0:87 offset1:88
	ds_read2_b64 v[88:91], v82 offset0:89 offset1:90
	;; [unrolled: 1-line block ×10, first 2 shown]
	scratch_load_dwordx4 v[54:57], off, off offset:392
	scratch_load_dwordx4 v[46:49], off, off offset:408
	;; [unrolled: 1-line block ×4, first 2 shown]
	scratch_load_dwordx2 v[100:101], off, off offset:224
	v_cmp_lt_u32_e32 vcc, 27, v0
	s_waitcnt vmcnt(14) lgkmcnt(9)
	v_mul_f32_e32 v83, v84, v11
	v_mul_f32_e32 v102, v86, v13
	s_waitcnt vmcnt(12) lgkmcnt(7)
	v_mul_f32_e32 v107, v92, v3
	v_mul_f32_e32 v3, v93, v3
	v_fmac_f32_e32 v83, v85, v10
	v_mul_f32_e32 v104, v88, v27
	v_fmac_f32_e32 v102, v87, v12
	v_fmac_f32_e32 v107, v93, v2
	v_fma_f32 v2, v92, v2, -v3
	v_add_f32_e32 v3, 0, v83
	v_mul_f32_e32 v106, v90, v29
	v_fmac_f32_e32 v104, v89, v26
	v_add_f32_e32 v3, v3, v102
	v_fmac_f32_e32 v106, v91, v28
	v_add_f32_e32 v3, v3, v104
	v_mul_f32_e32 v108, v94, v5
	v_add_f32_e32 v3, v3, v106
	s_waitcnt vmcnt(11) lgkmcnt(6)
	v_mul_f32_e32 v109, v96, v7
	v_fmac_f32_e32 v108, v95, v4
	v_add_f32_e32 v3, v3, v107
	v_mul_f32_e32 v110, v98, v9
	v_fmac_f32_e32 v109, v97, v6
	v_add_f32_e32 v3, v3, v108
	s_waitcnt vmcnt(10) lgkmcnt(5)
	v_mul_f32_e32 v111, v78, v15
	v_fmac_f32_e32 v110, v99, v8
	v_add_f32_e32 v3, v3, v109
	v_mul_f32_e32 v112, v80, v17
	v_fmac_f32_e32 v111, v79, v14
	;; [unrolled: 7-line block ×4, first 2 shown]
	v_add_f32_e32 v3, v3, v114
	s_waitcnt vmcnt(7) lgkmcnt(2)
	v_mul_f32_e32 v117, v66, v39
	v_mul_f32_e32 v11, v85, v11
	v_fmac_f32_e32 v116, v73, v32
	v_add_f32_e32 v3, v3, v115
	v_mul_f32_e32 v118, v68, v41
	v_mul_f32_e32 v13, v87, v13
	v_fmac_f32_e32 v117, v67, v38
	v_fma_f32 v10, v84, v10, -v11
	v_add_f32_e32 v3, v3, v116
	s_waitcnt vmcnt(6) lgkmcnt(1)
	v_mul_f32_e32 v119, v62, v43
	v_mul_f32_e32 v27, v89, v27
	v_fmac_f32_e32 v118, v69, v40
	v_fma_f32 v11, v86, v12, -v13
	v_add_f32_e32 v10, 0, v10
	v_add_f32_e32 v3, v3, v117
	v_mul_f32_e32 v120, v64, v45
	v_mul_f32_e32 v29, v91, v29
	v_fmac_f32_e32 v119, v63, v42
	v_fma_f32 v12, v88, v26, -v27
	v_add_f32_e32 v10, v10, v11
	v_add_f32_e32 v3, v3, v118
	v_fmac_f32_e32 v120, v65, v44
	v_fma_f32 v13, v90, v28, -v29
	v_add_f32_e32 v10, v10, v12
	v_add_f32_e32 v3, v3, v119
	;; [unrolled: 1-line block ×4, first 2 shown]
	v_mul_f32_e32 v3, v95, v5
	v_add_f32_e32 v2, v10, v2
	v_fma_f32 v3, v94, v4, -v3
	v_add_f32_e32 v2, v2, v3
	v_mul_f32_e32 v3, v97, v7
	v_fma_f32 v3, v96, v6, -v3
	v_add_f32_e32 v2, v2, v3
	v_mul_f32_e32 v3, v99, v9
	;; [unrolled: 3-line block ×12, first 2 shown]
	v_fma_f32 v3, v64, v44, -v3
	v_add_f32_e32 v26, v2, v3
	s_waitcnt vmcnt(5) lgkmcnt(0)
	v_mul_f32_e32 v2, v59, v51
	v_fma_f32 v102, v58, v50, -v2
	v_mul_f32_e32 v2, v61, v53
	v_fma_f32 v104, v60, v52, -v2
	ds_read2_b64 v[2:5], v82 offset0:107 offset1:108
	ds_read2_b64 v[6:9], v82 offset0:109 offset1:110
	;; [unrolled: 1-line block ×4, first 2 shown]
	v_mul_f32_e32 v103, v58, v51
	v_mul_f32_e32 v105, v60, v53
	v_fmac_f32_e32 v103, v59, v50
	s_waitcnt vmcnt(4) lgkmcnt(3)
	v_pk_mul_f32 v[24:25], v[2:3], v[54:55] op_sel:[1,1] op_sel_hi:[0,1]
	v_fmac_f32_e32 v105, v61, v52
	v_pk_add_f32 v[22:23], v[26:27], v[102:103]
	v_pk_fma_f32 v[26:27], v[2:3], v[54:55], v[24:25] neg_lo:[0,0,1] neg_hi:[0,0,1]
	v_pk_fma_f32 v[2:3], v[2:3], v[54:55], v[24:25] op_sel_hi:[1,0,1]
	v_pk_add_f32 v[22:23], v[22:23], v[104:105]
	v_mov_b32_e32 v27, v3
	v_pk_add_f32 v[2:3], v[22:23], v[26:27]
	v_mov_b32_e32 v22, v57
	v_pk_mul_f32 v[22:23], v[4:5], v[22:23] op_sel:[1,0] op_sel_hi:[0,0]
	v_pk_fma_f32 v[24:25], v[4:5], v[56:57], v[22:23] neg_lo:[0,0,1] neg_hi:[0,0,1]
	v_pk_fma_f32 v[4:5], v[4:5], v[56:57], v[22:23] op_sel_hi:[1,0,1]
	s_nop 0
	v_mov_b32_e32 v25, v5
	s_waitcnt vmcnt(3) lgkmcnt(2)
	v_pk_mul_f32 v[4:5], v[6:7], v[46:47] op_sel:[1,1] op_sel_hi:[0,1]
	v_pk_fma_f32 v[22:23], v[6:7], v[46:47], v[4:5] neg_lo:[0,0,1] neg_hi:[0,0,1]
	v_pk_fma_f32 v[4:5], v[6:7], v[46:47], v[4:5] op_sel_hi:[1,0,1]
	v_pk_add_f32 v[2:3], v[2:3], v[24:25]
	v_mov_b32_e32 v4, v49
	v_mov_b32_e32 v23, v5
	v_pk_mul_f32 v[4:5], v[8:9], v[4:5] op_sel:[1,0] op_sel_hi:[0,0]
	v_pk_fma_f32 v[6:7], v[8:9], v[48:49], v[4:5] neg_lo:[0,0,1] neg_hi:[0,0,1]
	v_pk_fma_f32 v[4:5], v[8:9], v[48:49], v[4:5] op_sel_hi:[1,0,1]
	v_pk_add_f32 v[2:3], v[2:3], v[22:23]
	v_mov_b32_e32 v7, v5
	s_waitcnt vmcnt(2) lgkmcnt(1)
	v_pk_mul_f32 v[4:5], v[10:11], v[34:35] op_sel:[1,1] op_sel_hi:[0,1]
	v_pk_add_f32 v[2:3], v[2:3], v[6:7]
	v_pk_fma_f32 v[6:7], v[10:11], v[34:35], v[4:5] neg_lo:[0,0,1] neg_hi:[0,0,1]
	v_pk_fma_f32 v[4:5], v[10:11], v[34:35], v[4:5] op_sel_hi:[1,0,1]
	s_nop 0
	v_mov_b32_e32 v4, v37
	v_mov_b32_e32 v7, v5
	v_pk_mul_f32 v[4:5], v[12:13], v[4:5] op_sel:[1,0] op_sel_hi:[0,0]
	v_pk_add_f32 v[2:3], v[2:3], v[6:7]
	v_pk_fma_f32 v[6:7], v[12:13], v[36:37], v[4:5] neg_lo:[0,0,1] neg_hi:[0,0,1]
	v_pk_fma_f32 v[4:5], v[12:13], v[36:37], v[4:5] op_sel_hi:[1,0,1]
	s_nop 0
	v_mov_b32_e32 v7, v5
	s_waitcnt vmcnt(1) lgkmcnt(0)
	v_pk_mul_f32 v[4:5], v[14:15], v[18:19] op_sel:[1,1] op_sel_hi:[0,1]
	v_pk_add_f32 v[2:3], v[2:3], v[6:7]
	v_pk_fma_f32 v[6:7], v[14:15], v[18:19], v[4:5] neg_lo:[0,0,1] neg_hi:[0,0,1]
	v_pk_fma_f32 v[4:5], v[14:15], v[18:19], v[4:5] op_sel_hi:[1,0,1]
	s_nop 0
	v_mov_b32_e32 v4, v21
	v_mov_b32_e32 v7, v5
	v_pk_mul_f32 v[4:5], v[16:17], v[4:5] op_sel:[1,0] op_sel_hi:[0,0]
	v_pk_add_f32 v[2:3], v[2:3], v[6:7]
	v_pk_fma_f32 v[6:7], v[16:17], v[20:21], v[4:5] neg_lo:[0,0,1] neg_hi:[0,0,1]
	v_pk_fma_f32 v[4:5], v[16:17], v[20:21], v[4:5] op_sel_hi:[1,0,1]
	s_nop 0
	v_mov_b32_e32 v7, v5
	v_pk_add_f32 v[2:3], v[2:3], v[6:7]
	s_waitcnt vmcnt(0)
	v_pk_add_f32 v[2:3], v[100:101], v[2:3] neg_lo:[0,1] neg_hi:[0,1]
	scratch_store_dwordx2 off, v[2:3], off offset:224
	s_and_saveexec_b64 s[0:1], vcc
	s_cbranch_execz .LBB120_301
; %bb.300:
	scratch_load_dwordx2 v[2:3], off, off offset:216
	v_mov_b32_e32 v4, 0
	v_mov_b32_e32 v5, v4
	scratch_store_dwordx2 off, v[4:5], off offset:216
	s_waitcnt vmcnt(1)
	ds_write_b64 v1, v[2:3]
.LBB120_301:
	s_or_b64 exec, exec, s[0:1]
	s_waitcnt lgkmcnt(0)
	; wave barrier
	scratch_load_dwordx4 v[26:29], off, off offset:224
	scratch_load_dwordx4 v[2:5], off, off offset:240
	;; [unrolled: 1-line block ×14, first 2 shown]
	scratch_load_dwordx2 v[58:59], off, off offset:448
	scratch_load_dwordx2 v[100:101], off, off offset:216
	v_mov_b32_e32 v102, 0
	ds_read_b128 v[60:63], v102 offset:688
	ds_read_b128 v[64:67], v102 offset:704
	ds_read_b128 v[68:71], v102 offset:720
	ds_read_b128 v[72:75], v102 offset:736
	ds_read_b128 v[76:79], v102 offset:752
	ds_read_b128 v[80:83], v102 offset:768
	ds_read_b128 v[84:87], v102 offset:784
	ds_read_b128 v[88:91], v102 offset:800
	ds_read_b128 v[92:95], v102 offset:816
	ds_read_b128 v[96:99], v102 offset:832
	ds_read_b128 v[104:107], v102 offset:848
	ds_read_b128 v[108:111], v102 offset:864
	v_cmp_lt_u32_e32 vcc, 26, v0
	s_waitcnt vmcnt(15) lgkmcnt(11)
	v_mul_f32_e32 v103, v60, v27
	v_mul_f32_e32 v112, v62, v29
	s_waitcnt vmcnt(14) lgkmcnt(10)
	v_mul_f32_e32 v114, v64, v3
	v_mul_f32_e32 v3, v65, v3
	v_fmac_f32_e32 v103, v61, v26
	v_fmac_f32_e32 v112, v63, v28
	;; [unrolled: 1-line block ×3, first 2 shown]
	v_fma_f32 v2, v64, v2, -v3
	v_add_f32_e32 v3, 0, v103
	v_mul_f32_e32 v116, v66, v5
	v_add_f32_e32 v3, v3, v112
	s_waitcnt vmcnt(13) lgkmcnt(9)
	v_mul_f32_e32 v117, v68, v7
	v_fmac_f32_e32 v116, v67, v4
	v_add_f32_e32 v3, v3, v114
	v_mul_f32_e32 v118, v70, v9
	v_fmac_f32_e32 v117, v69, v6
	v_add_f32_e32 v3, v3, v116
	s_waitcnt vmcnt(12) lgkmcnt(8)
	v_mul_f32_e32 v119, v72, v11
	v_fmac_f32_e32 v118, v71, v8
	v_add_f32_e32 v3, v3, v117
	v_mul_f32_e32 v120, v74, v13
	v_fmac_f32_e32 v119, v73, v10
	;; [unrolled: 7-line block ×6, first 2 shown]
	v_add_f32_e32 v3, v3, v126
	s_waitcnt vmcnt(7) lgkmcnt(3)
	v_mul_f32_e32 v129, v92, v43
	v_fmac_f32_e32 v128, v91, v40
	v_add_f32_e32 v3, v3, v127
	v_mul_f32_e32 v130, v94, v45
	v_mul_f32_e32 v27, v61, v27
	v_fmac_f32_e32 v129, v93, v42
	v_add_f32_e32 v3, v3, v128
	s_waitcnt vmcnt(6) lgkmcnt(2)
	v_mul_f32_e32 v131, v96, v51
	v_mul_f32_e32 v29, v63, v29
	v_fmac_f32_e32 v130, v95, v44
	v_fma_f32 v26, v60, v26, -v27
	v_add_f32_e32 v3, v3, v129
	v_fmac_f32_e32 v131, v97, v50
	v_fma_f32 v27, v62, v28, -v29
	v_add_f32_e32 v26, 0, v26
	v_add_f32_e32 v3, v3, v130
	;; [unrolled: 1-line block ×4, first 2 shown]
	v_mul_f32_e32 v3, v67, v5
	v_add_f32_e32 v2, v26, v2
	v_fma_f32 v3, v66, v4, -v3
	v_add_f32_e32 v2, v2, v3
	v_mul_f32_e32 v3, v69, v7
	v_fma_f32 v3, v68, v6, -v3
	v_add_f32_e32 v2, v2, v3
	v_mul_f32_e32 v3, v71, v9
	;; [unrolled: 3-line block ×15, first 2 shown]
	v_fma_f32 v3, v96, v50, -v3
	v_mul_f32_e32 v113, v98, v53
	v_add_f32_e32 v26, v2, v3
	v_mul_f32_e32 v2, v99, v53
	s_waitcnt vmcnt(5)
	v_mov_b32_e32 v14, v57
	s_waitcnt lgkmcnt(1)
	v_mul_f32_e32 v115, v104, v55
	v_fmac_f32_e32 v113, v99, v52
	v_fma_f32 v112, v98, v52, -v2
	v_mul_f32_e32 v2, v105, v55
	v_pk_mul_f32 v[14:15], v[106:107], v[14:15] op_sel:[1,0] op_sel_hi:[0,0]
	v_fmac_f32_e32 v115, v105, v54
	v_fma_f32 v114, v104, v54, -v2
	v_pk_add_f32 v[12:13], v[26:27], v[112:113]
	v_pk_fma_f32 v[16:17], v[106:107], v[56:57], v[14:15] neg_lo:[0,0,1] neg_hi:[0,0,1]
	v_pk_fma_f32 v[14:15], v[106:107], v[56:57], v[14:15] op_sel_hi:[1,0,1]
	v_pk_add_f32 v[12:13], v[12:13], v[114:115]
	v_mov_b32_e32 v17, v15
	s_waitcnt vmcnt(4) lgkmcnt(0)
	v_pk_mul_f32 v[14:15], v[108:109], v[46:47] op_sel:[1,1] op_sel_hi:[0,1]
	v_pk_add_f32 v[12:13], v[12:13], v[16:17]
	v_pk_fma_f32 v[16:17], v[108:109], v[46:47], v[14:15] neg_lo:[0,0,1] neg_hi:[0,0,1]
	v_pk_fma_f32 v[14:15], v[108:109], v[46:47], v[14:15] op_sel_hi:[1,0,1]
	ds_read_b128 v[2:5], v102 offset:880
	ds_read_b128 v[6:9], v102 offset:896
	ds_read_b64 v[10:11], v102 offset:912
	v_mov_b32_e32 v14, v49
	v_mov_b32_e32 v17, v15
	v_pk_mul_f32 v[14:15], v[110:111], v[14:15] op_sel:[1,0] op_sel_hi:[0,0]
	v_pk_add_f32 v[12:13], v[12:13], v[16:17]
	v_pk_fma_f32 v[16:17], v[110:111], v[48:49], v[14:15] neg_lo:[0,0,1] neg_hi:[0,0,1]
	v_pk_fma_f32 v[14:15], v[110:111], v[48:49], v[14:15] op_sel_hi:[1,0,1]
	s_nop 0
	v_mov_b32_e32 v17, v15
	s_waitcnt vmcnt(3) lgkmcnt(2)
	v_pk_mul_f32 v[14:15], v[2:3], v[34:35] op_sel:[1,1] op_sel_hi:[0,1]
	v_pk_add_f32 v[12:13], v[12:13], v[16:17]
	v_pk_fma_f32 v[16:17], v[2:3], v[34:35], v[14:15] neg_lo:[0,0,1] neg_hi:[0,0,1]
	v_pk_fma_f32 v[2:3], v[2:3], v[34:35], v[14:15] op_sel_hi:[1,0,1]
	s_nop 0
	v_mov_b32_e32 v17, v3
	v_pk_add_f32 v[2:3], v[12:13], v[16:17]
	v_mov_b32_e32 v12, v37
	v_pk_mul_f32 v[12:13], v[4:5], v[12:13] op_sel:[1,0] op_sel_hi:[0,0]
	v_pk_fma_f32 v[14:15], v[4:5], v[36:37], v[12:13] neg_lo:[0,0,1] neg_hi:[0,0,1]
	v_pk_fma_f32 v[4:5], v[4:5], v[36:37], v[12:13] op_sel_hi:[1,0,1]
	s_nop 0
	v_mov_b32_e32 v15, v5
	s_waitcnt vmcnt(2) lgkmcnt(1)
	v_pk_mul_f32 v[4:5], v[6:7], v[18:19] op_sel:[1,1] op_sel_hi:[0,1]
	v_pk_fma_f32 v[12:13], v[6:7], v[18:19], v[4:5] neg_lo:[0,0,1] neg_hi:[0,0,1]
	v_pk_fma_f32 v[4:5], v[6:7], v[18:19], v[4:5] op_sel_hi:[1,0,1]
	v_pk_add_f32 v[2:3], v[2:3], v[14:15]
	v_mov_b32_e32 v4, v21
	v_mov_b32_e32 v13, v5
	v_pk_mul_f32 v[4:5], v[8:9], v[4:5] op_sel:[1,0] op_sel_hi:[0,0]
	v_pk_fma_f32 v[6:7], v[8:9], v[20:21], v[4:5] neg_lo:[0,0,1] neg_hi:[0,0,1]
	v_pk_fma_f32 v[4:5], v[8:9], v[20:21], v[4:5] op_sel_hi:[1,0,1]
	v_pk_add_f32 v[2:3], v[2:3], v[12:13]
	v_mov_b32_e32 v7, v5
	s_waitcnt vmcnt(1) lgkmcnt(0)
	v_pk_mul_f32 v[4:5], v[10:11], v[58:59] op_sel:[1,1] op_sel_hi:[0,1]
	v_pk_add_f32 v[2:3], v[2:3], v[6:7]
	v_pk_fma_f32 v[6:7], v[10:11], v[58:59], v[4:5] neg_lo:[0,0,1] neg_hi:[0,0,1]
	v_pk_fma_f32 v[4:5], v[10:11], v[58:59], v[4:5] op_sel_hi:[1,0,1]
	s_nop 0
	v_mov_b32_e32 v7, v5
	v_pk_add_f32 v[2:3], v[2:3], v[6:7]
	s_waitcnt vmcnt(0)
	v_pk_add_f32 v[2:3], v[100:101], v[2:3] neg_lo:[0,1] neg_hi:[0,1]
	scratch_store_dwordx2 off, v[2:3], off offset:216
	s_and_saveexec_b64 s[0:1], vcc
	s_cbranch_execz .LBB120_303
; %bb.302:
	scratch_load_dwordx2 v[2:3], off, off offset:208
	v_mov_b32_e32 v103, v102
	scratch_store_dwordx2 off, v[102:103], off offset:208
	s_waitcnt vmcnt(1)
	ds_write_b64 v1, v[2:3]
.LBB120_303:
	s_or_b64 exec, exec, s[0:1]
	s_waitcnt lgkmcnt(0)
	; wave barrier
	scratch_load_dwordx4 v[18:21], off, off offset:216
	scratch_load_dwordx4 v[2:5], off, off offset:232
	;; [unrolled: 1-line block ×11, first 2 shown]
	ds_read2_b64 v[104:107], v102 offset0:85 offset1:86
	ds_read2_b64 v[98:101], v102 offset0:87 offset1:88
	;; [unrolled: 1-line block ×10, first 2 shown]
	scratch_load_dwordx4 v[58:61], off, off offset:392
	scratch_load_dwordx4 v[50:53], off, off offset:408
	;; [unrolled: 1-line block ×4, first 2 shown]
	ds_read2_b64 v[78:81], v102 offset0:105 offset1:106
	ds_read2_b64 v[108:111], v102 offset0:107 offset1:108
	scratch_load_dwordx2 v[112:113], off, off offset:208
	v_cmp_lt_u32_e32 vcc, 25, v0
	s_waitcnt vmcnt(15) lgkmcnt(11)
	v_mul_f32_e32 v103, v104, v19
	v_mul_f32_e32 v114, v106, v21
	s_waitcnt vmcnt(14) lgkmcnt(10)
	v_mul_f32_e32 v116, v98, v3
	v_mul_f32_e32 v3, v99, v3
	v_fmac_f32_e32 v103, v105, v18
	v_fmac_f32_e32 v114, v107, v20
	;; [unrolled: 1-line block ×3, first 2 shown]
	v_fma_f32 v2, v98, v2, -v3
	v_add_f32_e32 v3, 0, v103
	v_mul_f32_e32 v118, v100, v5
	v_add_f32_e32 v3, v3, v114
	s_waitcnt vmcnt(13) lgkmcnt(9)
	v_mul_f32_e32 v119, v94, v7
	v_fmac_f32_e32 v118, v101, v4
	v_add_f32_e32 v3, v3, v116
	v_mul_f32_e32 v120, v96, v9
	v_fmac_f32_e32 v119, v95, v6
	v_add_f32_e32 v3, v3, v118
	s_waitcnt vmcnt(12) lgkmcnt(8)
	v_mul_f32_e32 v121, v90, v11
	v_fmac_f32_e32 v120, v97, v8
	v_add_f32_e32 v3, v3, v119
	v_mul_f32_e32 v122, v92, v13
	v_fmac_f32_e32 v121, v91, v10
	;; [unrolled: 7-line block ×7, first 2 shown]
	v_add_f32_e32 v3, v3, v130
	s_waitcnt vmcnt(6) lgkmcnt(2)
	v_mul_f32_e32 v133, v62, v47
	v_mul_f32_e32 v19, v105, v19
	v_fmac_f32_e32 v132, v69, v44
	v_add_f32_e32 v3, v3, v131
	v_mul_f32_e32 v134, v64, v49
	v_mul_f32_e32 v21, v107, v21
	v_fmac_f32_e32 v133, v63, v46
	v_fma_f32 v18, v104, v18, -v19
	v_add_f32_e32 v3, v3, v132
	v_fmac_f32_e32 v134, v65, v48
	v_fma_f32 v19, v106, v20, -v21
	v_add_f32_e32 v18, 0, v18
	v_add_f32_e32 v3, v3, v133
	;; [unrolled: 1-line block ×4, first 2 shown]
	v_mul_f32_e32 v3, v101, v5
	v_add_f32_e32 v2, v18, v2
	v_fma_f32 v3, v100, v4, -v3
	v_add_f32_e32 v2, v2, v3
	v_mul_f32_e32 v3, v95, v7
	v_fma_f32 v3, v94, v6, -v3
	v_add_f32_e32 v2, v2, v3
	v_mul_f32_e32 v3, v97, v9
	;; [unrolled: 3-line block ×16, first 2 shown]
	v_fma_f32 v3, v64, v48, -v3
	s_waitcnt vmcnt(5) lgkmcnt(1)
	v_mul_f32_e32 v115, v78, v55
	v_add_f32_e32 v18, v2, v3
	v_mul_f32_e32 v2, v79, v55
	v_fmac_f32_e32 v115, v79, v54
	v_fma_f32 v114, v78, v54, -v2
	s_waitcnt vmcnt(4) lgkmcnt(0)
	v_pk_mul_f32 v[16:17], v[108:109], v[58:59] op_sel:[1,1] op_sel_hi:[0,1]
	v_mul_f32_e32 v117, v80, v57
	v_mul_f32_e32 v2, v81, v57
	v_pk_add_f32 v[14:15], v[18:19], v[114:115]
	v_pk_fma_f32 v[18:19], v[108:109], v[58:59], v[16:17] neg_lo:[0,0,1] neg_hi:[0,0,1]
	v_pk_fma_f32 v[16:17], v[108:109], v[58:59], v[16:17] op_sel_hi:[1,0,1]
	v_fmac_f32_e32 v117, v81, v56
	v_fma_f32 v116, v80, v56, -v2
	ds_read2_b64 v[2:5], v102 offset0:109 offset1:110
	ds_read2_b64 v[6:9], v102 offset0:111 offset1:112
	;; [unrolled: 1-line block ×3, first 2 shown]
	v_mov_b32_e32 v16, v61
	v_pk_add_f32 v[14:15], v[14:15], v[116:117]
	v_mov_b32_e32 v19, v17
	v_pk_mul_f32 v[16:17], v[110:111], v[16:17] op_sel:[1,0] op_sel_hi:[0,0]
	v_pk_add_f32 v[14:15], v[14:15], v[18:19]
	v_pk_fma_f32 v[18:19], v[110:111], v[60:61], v[16:17] neg_lo:[0,0,1] neg_hi:[0,0,1]
	v_pk_fma_f32 v[16:17], v[110:111], v[60:61], v[16:17] op_sel_hi:[1,0,1]
	s_nop 0
	v_mov_b32_e32 v19, v17
	s_waitcnt vmcnt(3) lgkmcnt(2)
	v_pk_mul_f32 v[16:17], v[2:3], v[50:51] op_sel:[1,1] op_sel_hi:[0,1]
	v_pk_add_f32 v[14:15], v[14:15], v[18:19]
	v_pk_fma_f32 v[18:19], v[2:3], v[50:51], v[16:17] neg_lo:[0,0,1] neg_hi:[0,0,1]
	v_pk_fma_f32 v[2:3], v[2:3], v[50:51], v[16:17] op_sel_hi:[1,0,1]
	s_nop 0
	v_mov_b32_e32 v19, v3
	v_pk_add_f32 v[2:3], v[14:15], v[18:19]
	v_mov_b32_e32 v14, v53
	v_pk_mul_f32 v[14:15], v[4:5], v[14:15] op_sel:[1,0] op_sel_hi:[0,0]
	v_pk_fma_f32 v[16:17], v[4:5], v[52:53], v[14:15] neg_lo:[0,0,1] neg_hi:[0,0,1]
	v_pk_fma_f32 v[4:5], v[4:5], v[52:53], v[14:15] op_sel_hi:[1,0,1]
	s_nop 0
	v_mov_b32_e32 v17, v5
	s_waitcnt vmcnt(2) lgkmcnt(1)
	v_pk_mul_f32 v[4:5], v[6:7], v[38:39] op_sel:[1,1] op_sel_hi:[0,1]
	v_pk_fma_f32 v[14:15], v[6:7], v[38:39], v[4:5] neg_lo:[0,0,1] neg_hi:[0,0,1]
	v_pk_fma_f32 v[4:5], v[6:7], v[38:39], v[4:5] op_sel_hi:[1,0,1]
	v_pk_add_f32 v[2:3], v[2:3], v[16:17]
	v_mov_b32_e32 v4, v41
	v_mov_b32_e32 v15, v5
	v_pk_mul_f32 v[4:5], v[8:9], v[4:5] op_sel:[1,0] op_sel_hi:[0,0]
	v_pk_fma_f32 v[6:7], v[8:9], v[40:41], v[4:5] neg_lo:[0,0,1] neg_hi:[0,0,1]
	v_pk_fma_f32 v[4:5], v[8:9], v[40:41], v[4:5] op_sel_hi:[1,0,1]
	v_pk_add_f32 v[2:3], v[2:3], v[14:15]
	v_mov_b32_e32 v7, v5
	s_waitcnt vmcnt(1) lgkmcnt(0)
	v_pk_mul_f32 v[4:5], v[10:11], v[26:27] op_sel:[1,1] op_sel_hi:[0,1]
	v_pk_add_f32 v[2:3], v[2:3], v[6:7]
	v_pk_fma_f32 v[6:7], v[10:11], v[26:27], v[4:5] neg_lo:[0,0,1] neg_hi:[0,0,1]
	v_pk_fma_f32 v[4:5], v[10:11], v[26:27], v[4:5] op_sel_hi:[1,0,1]
	s_nop 0
	v_mov_b32_e32 v4, v29
	v_mov_b32_e32 v7, v5
	v_pk_mul_f32 v[4:5], v[12:13], v[4:5] op_sel:[1,0] op_sel_hi:[0,0]
	v_pk_add_f32 v[2:3], v[2:3], v[6:7]
	v_pk_fma_f32 v[6:7], v[12:13], v[28:29], v[4:5] neg_lo:[0,0,1] neg_hi:[0,0,1]
	v_pk_fma_f32 v[4:5], v[12:13], v[28:29], v[4:5] op_sel_hi:[1,0,1]
	s_nop 0
	v_mov_b32_e32 v7, v5
	v_pk_add_f32 v[2:3], v[2:3], v[6:7]
	s_waitcnt vmcnt(0)
	v_pk_add_f32 v[2:3], v[112:113], v[2:3] neg_lo:[0,1] neg_hi:[0,1]
	scratch_store_dwordx2 off, v[2:3], off offset:208
	s_and_saveexec_b64 s[0:1], vcc
	s_cbranch_execz .LBB120_305
; %bb.304:
	scratch_load_dwordx2 v[2:3], off, off offset:200
	v_mov_b32_e32 v4, 0
	v_mov_b32_e32 v5, v4
	scratch_store_dwordx2 off, v[4:5], off offset:200
	s_waitcnt vmcnt(1)
	ds_write_b64 v1, v[2:3]
.LBB120_305:
	s_or_b64 exec, exec, s[0:1]
	s_waitcnt lgkmcnt(0)
	; wave barrier
	scratch_load_dwordx4 v[2:5], off, off offset:208
	scratch_load_dwordx4 v[6:9], off, off offset:224
	;; [unrolled: 1-line block ×15, first 2 shown]
	scratch_load_dwordx2 v[62:63], off, off offset:448
	scratch_load_dwordx2 v[112:113], off, off offset:200
	v_mov_b32_e32 v114, 0
	ds_read_b128 v[64:67], v114 offset:672
	ds_read_b128 v[68:71], v114 offset:688
	;; [unrolled: 1-line block ×12, first 2 shown]
	v_cmp_lt_u32_e32 vcc, 24, v0
	s_waitcnt vmcnt(16) lgkmcnt(11)
	v_mul_f32_e32 v115, v64, v3
	v_mul_f32_e32 v116, v66, v5
	;; [unrolled: 1-line block ×3, first 2 shown]
	v_fmac_f32_e32 v115, v65, v2
	s_waitcnt vmcnt(15) lgkmcnt(10)
	v_mul_f32_e32 v118, v68, v7
	v_fmac_f32_e32 v116, v67, v4
	v_fma_f32 v2, v64, v2, -v3
	v_add_f32_e32 v3, 0, v115
	v_mul_f32_e32 v120, v70, v9
	v_fmac_f32_e32 v118, v69, v6
	v_add_f32_e32 v3, v3, v116
	s_waitcnt vmcnt(14) lgkmcnt(9)
	v_mul_f32_e32 v121, v72, v11
	v_fmac_f32_e32 v120, v71, v8
	v_add_f32_e32 v3, v3, v118
	v_mul_f32_e32 v122, v74, v13
	v_fmac_f32_e32 v121, v73, v10
	v_add_f32_e32 v3, v3, v120
	s_waitcnt vmcnt(13) lgkmcnt(8)
	v_mul_f32_e32 v123, v76, v15
	v_fmac_f32_e32 v122, v75, v12
	;; [unrolled: 7-line block ×9, first 2 shown]
	v_add_f32_e32 v3, v3, v135
	v_mul_f32_e32 v5, v67, v5
	v_fmac_f32_e32 v137, v105, v58
	v_add_f32_e32 v3, v3, v136
	v_add_f32_e32 v2, 0, v2
	;; [unrolled: 1-line block ×3, first 2 shown]
	v_fma_f32 v3, v66, v4, -v5
	v_add_f32_e32 v2, v2, v3
	v_mul_f32_e32 v3, v69, v7
	v_fma_f32 v3, v68, v6, -v3
	v_add_f32_e32 v2, v2, v3
	v_mul_f32_e32 v3, v71, v9
	;; [unrolled: 3-line block ×20, first 2 shown]
	v_mul_f32_e32 v117, v106, v61
	v_fma_f32 v116, v106, v60, -v2
	s_waitcnt vmcnt(5) lgkmcnt(0)
	v_mul_f32_e32 v2, v109, v55
	v_mov_b32_e32 v18, v57
	v_mul_f32_e32 v119, v108, v55
	v_fmac_f32_e32 v117, v107, v60
	v_fma_f32 v118, v108, v54, -v2
	ds_read_b128 v[2:5], v114 offset:864
	ds_read_b128 v[6:9], v114 offset:880
	;; [unrolled: 1-line block ×3, first 2 shown]
	ds_read_b64 v[14:15], v114 offset:912
	v_pk_mul_f32 v[18:19], v[110:111], v[18:19] op_sel:[1,0] op_sel_hi:[0,0]
	v_fmac_f32_e32 v119, v109, v54
	v_pk_add_f32 v[16:17], v[64:65], v[116:117]
	v_pk_fma_f32 v[20:21], v[110:111], v[56:57], v[18:19] neg_lo:[0,0,1] neg_hi:[0,0,1]
	v_pk_fma_f32 v[18:19], v[110:111], v[56:57], v[18:19] op_sel_hi:[1,0,1]
	v_pk_add_f32 v[16:17], v[16:17], v[118:119]
	v_mov_b32_e32 v21, v19
	s_waitcnt vmcnt(4) lgkmcnt(3)
	v_pk_mul_f32 v[18:19], v[2:3], v[50:51] op_sel:[1,1] op_sel_hi:[0,1]
	v_pk_add_f32 v[16:17], v[16:17], v[20:21]
	v_pk_fma_f32 v[20:21], v[2:3], v[50:51], v[18:19] neg_lo:[0,0,1] neg_hi:[0,0,1]
	v_pk_fma_f32 v[2:3], v[2:3], v[50:51], v[18:19] op_sel_hi:[1,0,1]
	s_nop 0
	v_mov_b32_e32 v21, v3
	v_pk_add_f32 v[2:3], v[16:17], v[20:21]
	v_mov_b32_e32 v16, v53
	v_pk_mul_f32 v[16:17], v[4:5], v[16:17] op_sel:[1,0] op_sel_hi:[0,0]
	v_pk_fma_f32 v[18:19], v[4:5], v[52:53], v[16:17] neg_lo:[0,0,1] neg_hi:[0,0,1]
	v_pk_fma_f32 v[4:5], v[4:5], v[52:53], v[16:17] op_sel_hi:[1,0,1]
	s_nop 0
	v_mov_b32_e32 v19, v5
	s_waitcnt vmcnt(3) lgkmcnt(2)
	v_pk_mul_f32 v[4:5], v[6:7], v[38:39] op_sel:[1,1] op_sel_hi:[0,1]
	v_pk_fma_f32 v[16:17], v[6:7], v[38:39], v[4:5] neg_lo:[0,0,1] neg_hi:[0,0,1]
	v_pk_fma_f32 v[4:5], v[6:7], v[38:39], v[4:5] op_sel_hi:[1,0,1]
	v_pk_add_f32 v[2:3], v[2:3], v[18:19]
	v_mov_b32_e32 v4, v41
	v_mov_b32_e32 v17, v5
	v_pk_mul_f32 v[4:5], v[8:9], v[4:5] op_sel:[1,0] op_sel_hi:[0,0]
	v_pk_fma_f32 v[6:7], v[8:9], v[40:41], v[4:5] neg_lo:[0,0,1] neg_hi:[0,0,1]
	v_pk_fma_f32 v[4:5], v[8:9], v[40:41], v[4:5] op_sel_hi:[1,0,1]
	v_pk_add_f32 v[2:3], v[2:3], v[16:17]
	v_mov_b32_e32 v7, v5
	s_waitcnt vmcnt(2) lgkmcnt(1)
	v_pk_mul_f32 v[4:5], v[10:11], v[26:27] op_sel:[1,1] op_sel_hi:[0,1]
	v_pk_add_f32 v[2:3], v[2:3], v[6:7]
	v_pk_fma_f32 v[6:7], v[10:11], v[26:27], v[4:5] neg_lo:[0,0,1] neg_hi:[0,0,1]
	v_pk_fma_f32 v[4:5], v[10:11], v[26:27], v[4:5] op_sel_hi:[1,0,1]
	s_nop 0
	v_mov_b32_e32 v4, v29
	v_mov_b32_e32 v7, v5
	v_pk_mul_f32 v[4:5], v[12:13], v[4:5] op_sel:[1,0] op_sel_hi:[0,0]
	v_pk_add_f32 v[2:3], v[2:3], v[6:7]
	v_pk_fma_f32 v[6:7], v[12:13], v[28:29], v[4:5] neg_lo:[0,0,1] neg_hi:[0,0,1]
	v_pk_fma_f32 v[4:5], v[12:13], v[28:29], v[4:5] op_sel_hi:[1,0,1]
	s_nop 0
	v_mov_b32_e32 v7, v5
	s_waitcnt vmcnt(1) lgkmcnt(0)
	v_pk_mul_f32 v[4:5], v[14:15], v[62:63] op_sel:[1,1] op_sel_hi:[0,1]
	v_pk_add_f32 v[2:3], v[2:3], v[6:7]
	v_pk_fma_f32 v[6:7], v[14:15], v[62:63], v[4:5] neg_lo:[0,0,1] neg_hi:[0,0,1]
	v_pk_fma_f32 v[4:5], v[14:15], v[62:63], v[4:5] op_sel_hi:[1,0,1]
	s_nop 0
	v_mov_b32_e32 v7, v5
	v_pk_add_f32 v[2:3], v[2:3], v[6:7]
	s_waitcnt vmcnt(0)
	v_pk_add_f32 v[2:3], v[112:113], v[2:3] neg_lo:[0,1] neg_hi:[0,1]
	scratch_store_dwordx2 off, v[2:3], off offset:200
	s_and_saveexec_b64 s[0:1], vcc
	s_cbranch_execz .LBB120_307
; %bb.306:
	scratch_load_dwordx2 v[2:3], off, off offset:192
	v_mov_b32_e32 v115, v114
	scratch_store_dwordx2 off, v[114:115], off offset:192
	s_waitcnt vmcnt(1)
	ds_write_b64 v1, v[2:3]
.LBB120_307:
	s_or_b64 exec, exec, s[0:1]
	s_waitcnt lgkmcnt(0)
	; wave barrier
	scratch_load_dwordx4 v[2:5], off, off offset:200
	scratch_load_dwordx4 v[6:9], off, off offset:216
	;; [unrolled: 1-line block ×12, first 2 shown]
	ds_read2_b64 v[110:113], v114 offset0:83 offset1:84
	ds_read2_b64 v[106:109], v114 offset0:85 offset1:86
	;; [unrolled: 1-line block ×12, first 2 shown]
	scratch_load_dwordx4 v[62:65], off, off offset:392
	scratch_load_dwordx4 v[54:57], off, off offset:408
	;; [unrolled: 1-line block ×4, first 2 shown]
	scratch_load_dwordx2 v[116:117], off, off offset:192
	v_cmp_lt_u32_e32 vcc, 23, v0
	s_waitcnt vmcnt(16) lgkmcnt(11)
	v_mul_f32_e32 v115, v110, v3
	v_mul_f32_e32 v118, v112, v5
	v_mul_f32_e32 v3, v111, v3
	v_fmac_f32_e32 v115, v111, v2
	s_waitcnt vmcnt(15) lgkmcnt(10)
	v_mul_f32_e32 v120, v106, v7
	v_fmac_f32_e32 v118, v113, v4
	v_fma_f32 v2, v110, v2, -v3
	v_add_f32_e32 v3, 0, v115
	v_mul_f32_e32 v122, v108, v9
	v_fmac_f32_e32 v120, v107, v6
	v_add_f32_e32 v3, v3, v118
	s_waitcnt vmcnt(14) lgkmcnt(9)
	v_mul_f32_e32 v123, v102, v11
	v_fmac_f32_e32 v122, v109, v8
	v_add_f32_e32 v3, v3, v120
	v_mul_f32_e32 v124, v104, v13
	v_fmac_f32_e32 v123, v103, v10
	v_add_f32_e32 v3, v3, v122
	s_waitcnt vmcnt(13) lgkmcnt(8)
	v_mul_f32_e32 v125, v98, v15
	v_fmac_f32_e32 v124, v105, v12
	;; [unrolled: 7-line block ×9, first 2 shown]
	v_add_f32_e32 v3, v3, v137
	v_mul_f32_e32 v140, v72, v53
	v_fmac_f32_e32 v139, v71, v50
	v_add_f32_e32 v3, v3, v138
	v_fmac_f32_e32 v140, v73, v52
	v_add_f32_e32 v3, v3, v139
	v_add_f32_e32 v111, v3, v140
	v_mul_f32_e32 v3, v113, v5
	v_add_f32_e32 v2, 0, v2
	v_fma_f32 v3, v112, v4, -v3
	v_add_f32_e32 v2, v2, v3
	v_mul_f32_e32 v3, v107, v7
	v_fma_f32 v3, v106, v6, -v3
	v_add_f32_e32 v2, v2, v3
	v_mul_f32_e32 v3, v109, v9
	;; [unrolled: 3-line block ×20, first 2 shown]
	v_fma_f32 v3, v72, v52, -v3
	v_add_f32_e32 v110, v2, v3
	s_waitcnt vmcnt(5) lgkmcnt(0)
	v_mul_f32_e32 v2, v67, v59
	v_fma_f32 v118, v66, v58, -v2
	v_mul_f32_e32 v2, v69, v61
	v_fma_f32 v120, v68, v60, -v2
	ds_read2_b64 v[2:5], v114 offset0:107 offset1:108
	ds_read2_b64 v[6:9], v114 offset0:109 offset1:110
	;; [unrolled: 1-line block ×4, first 2 shown]
	v_mul_f32_e32 v119, v66, v59
	v_mul_f32_e32 v121, v68, v61
	v_fmac_f32_e32 v119, v67, v58
	s_waitcnt vmcnt(4) lgkmcnt(3)
	v_pk_mul_f32 v[20:21], v[2:3], v[62:63] op_sel:[1,1] op_sel_hi:[0,1]
	v_fmac_f32_e32 v121, v69, v60
	v_pk_add_f32 v[18:19], v[110:111], v[118:119]
	v_pk_fma_f32 v[22:23], v[2:3], v[62:63], v[20:21] neg_lo:[0,0,1] neg_hi:[0,0,1]
	v_pk_fma_f32 v[2:3], v[2:3], v[62:63], v[20:21] op_sel_hi:[1,0,1]
	v_pk_add_f32 v[18:19], v[18:19], v[120:121]
	v_mov_b32_e32 v23, v3
	v_pk_add_f32 v[2:3], v[18:19], v[22:23]
	v_mov_b32_e32 v18, v65
	v_pk_mul_f32 v[18:19], v[4:5], v[18:19] op_sel:[1,0] op_sel_hi:[0,0]
	v_pk_fma_f32 v[20:21], v[4:5], v[64:65], v[18:19] neg_lo:[0,0,1] neg_hi:[0,0,1]
	v_pk_fma_f32 v[4:5], v[4:5], v[64:65], v[18:19] op_sel_hi:[1,0,1]
	s_nop 0
	v_mov_b32_e32 v21, v5
	s_waitcnt vmcnt(3) lgkmcnt(2)
	v_pk_mul_f32 v[4:5], v[6:7], v[54:55] op_sel:[1,1] op_sel_hi:[0,1]
	v_pk_fma_f32 v[18:19], v[6:7], v[54:55], v[4:5] neg_lo:[0,0,1] neg_hi:[0,0,1]
	v_pk_fma_f32 v[4:5], v[6:7], v[54:55], v[4:5] op_sel_hi:[1,0,1]
	v_pk_add_f32 v[2:3], v[2:3], v[20:21]
	v_mov_b32_e32 v4, v57
	v_mov_b32_e32 v19, v5
	v_pk_mul_f32 v[4:5], v[8:9], v[4:5] op_sel:[1,0] op_sel_hi:[0,0]
	v_pk_fma_f32 v[6:7], v[8:9], v[56:57], v[4:5] neg_lo:[0,0,1] neg_hi:[0,0,1]
	v_pk_fma_f32 v[4:5], v[8:9], v[56:57], v[4:5] op_sel_hi:[1,0,1]
	v_pk_add_f32 v[2:3], v[2:3], v[18:19]
	v_mov_b32_e32 v7, v5
	s_waitcnt vmcnt(2) lgkmcnt(1)
	v_pk_mul_f32 v[4:5], v[10:11], v[42:43] op_sel:[1,1] op_sel_hi:[0,1]
	v_pk_add_f32 v[2:3], v[2:3], v[6:7]
	v_pk_fma_f32 v[6:7], v[10:11], v[42:43], v[4:5] neg_lo:[0,0,1] neg_hi:[0,0,1]
	v_pk_fma_f32 v[4:5], v[10:11], v[42:43], v[4:5] op_sel_hi:[1,0,1]
	s_nop 0
	v_mov_b32_e32 v4, v45
	v_mov_b32_e32 v7, v5
	v_pk_mul_f32 v[4:5], v[12:13], v[4:5] op_sel:[1,0] op_sel_hi:[0,0]
	v_pk_add_f32 v[2:3], v[2:3], v[6:7]
	v_pk_fma_f32 v[6:7], v[12:13], v[44:45], v[4:5] neg_lo:[0,0,1] neg_hi:[0,0,1]
	v_pk_fma_f32 v[4:5], v[12:13], v[44:45], v[4:5] op_sel_hi:[1,0,1]
	s_nop 0
	v_mov_b32_e32 v7, v5
	s_waitcnt vmcnt(1) lgkmcnt(0)
	v_pk_mul_f32 v[4:5], v[14:15], v[34:35] op_sel:[1,1] op_sel_hi:[0,1]
	v_pk_add_f32 v[2:3], v[2:3], v[6:7]
	v_pk_fma_f32 v[6:7], v[14:15], v[34:35], v[4:5] neg_lo:[0,0,1] neg_hi:[0,0,1]
	v_pk_fma_f32 v[4:5], v[14:15], v[34:35], v[4:5] op_sel_hi:[1,0,1]
	s_nop 0
	v_mov_b32_e32 v4, v37
	v_mov_b32_e32 v7, v5
	v_pk_mul_f32 v[4:5], v[16:17], v[4:5] op_sel:[1,0] op_sel_hi:[0,0]
	v_pk_add_f32 v[2:3], v[2:3], v[6:7]
	v_pk_fma_f32 v[6:7], v[16:17], v[36:37], v[4:5] neg_lo:[0,0,1] neg_hi:[0,0,1]
	v_pk_fma_f32 v[4:5], v[16:17], v[36:37], v[4:5] op_sel_hi:[1,0,1]
	s_nop 0
	v_mov_b32_e32 v7, v5
	v_pk_add_f32 v[2:3], v[2:3], v[6:7]
	s_waitcnt vmcnt(0)
	v_pk_add_f32 v[2:3], v[116:117], v[2:3] neg_lo:[0,1] neg_hi:[0,1]
	scratch_store_dwordx2 off, v[2:3], off offset:192
	s_and_saveexec_b64 s[0:1], vcc
	s_cbranch_execz .LBB120_309
; %bb.308:
	scratch_load_dwordx2 v[2:3], off, off offset:184
	v_mov_b32_e32 v4, 0
	v_mov_b32_e32 v5, v4
	scratch_store_dwordx2 off, v[4:5], off offset:184
	s_waitcnt vmcnt(1)
	ds_write_b64 v1, v[2:3]
.LBB120_309:
	s_or_b64 exec, exec, s[0:1]
	s_waitcnt lgkmcnt(0)
	; wave barrier
	scratch_load_dwordx4 v[2:5], off, off offset:192
	scratch_load_dwordx4 v[6:9], off, off offset:208
	;; [unrolled: 1-line block ×13, first 2 shown]
	v_mov_b32_e32 v106, 0
	scratch_load_dwordx2 v[124:125], off, off offset:184
	ds_read_b128 v[54:57], v106 offset:656
	ds_read_b128 v[58:61], v106 offset:672
	;; [unrolled: 1-line block ×14, first 2 shown]
	v_cmp_lt_u32_e32 vcc, 22, v0
	s_waitcnt vmcnt(13) lgkmcnt(13)
	v_mul_f32_e32 v107, v54, v3
	v_mul_f32_e32 v112, v56, v5
	v_fmac_f32_e32 v107, v55, v2
	s_waitcnt vmcnt(12) lgkmcnt(12)
	v_mul_f32_e32 v113, v58, v7
	v_fmac_f32_e32 v112, v57, v4
	v_add_f32_e32 v107, 0, v107
	v_mul_f32_e32 v114, v60, v9
	v_fmac_f32_e32 v113, v59, v6
	v_add_f32_e32 v107, v107, v112
	s_waitcnt vmcnt(11) lgkmcnt(11)
	v_mul_f32_e32 v115, v62, v11
	v_fmac_f32_e32 v114, v61, v8
	v_add_f32_e32 v107, v107, v113
	v_mul_f32_e32 v116, v64, v13
	v_fmac_f32_e32 v115, v63, v10
	v_add_f32_e32 v107, v107, v114
	;; [unrolled: 7-line block ×8, first 2 shown]
	s_waitcnt vmcnt(4) lgkmcnt(4)
	v_mul_f32_e32 v133, v90, v39
	v_fmac_f32_e32 v132, v89, v36
	v_add_f32_e32 v107, v107, v131
	v_fmac_f32_e32 v133, v91, v38
	v_add_f32_e32 v107, v107, v132
	v_add_f32_e32 v107, v107, v133
	scratch_load_dwordx4 v[112:115], off, off offset:400
	scratch_load_dwordx4 v[116:119], off, off offset:416
	;; [unrolled: 1-line block ×3, first 2 shown]
	scratch_load_dwordx2 v[132:133], off, off offset:448
	v_mul_f32_e32 v3, v55, v3
	v_fma_f32 v2, v54, v2, -v3
	v_mul_f32_e32 v3, v57, v5
	v_add_f32_e32 v2, 0, v2
	v_fma_f32 v3, v56, v4, -v3
	v_add_f32_e32 v2, v2, v3
	v_mul_f32_e32 v3, v59, v7
	v_fma_f32 v3, v58, v6, -v3
	v_add_f32_e32 v2, v2, v3
	v_mul_f32_e32 v3, v61, v9
	;; [unrolled: 3-line block ×18, first 2 shown]
	v_fma_f32 v3, v92, v40, -v3
	v_add_f32_e32 v2, v2, v3
	s_waitcnt vmcnt(7) lgkmcnt(3)
	v_mul_f32_e32 v3, v95, v43
	v_fma_f32 v3, v94, v42, -v3
	v_mul_f32_e32 v134, v92, v41
	v_add_f32_e32 v2, v2, v3
	v_mul_f32_e32 v3, v97, v45
	v_mul_f32_e32 v135, v94, v43
	v_fmac_f32_e32 v134, v93, v40
	v_fma_f32 v3, v96, v44, -v3
	v_mul_f32_e32 v136, v96, v45
	v_fmac_f32_e32 v135, v95, v42
	v_add_f32_e32 v107, v107, v134
	v_add_f32_e32 v2, v2, v3
	s_waitcnt vmcnt(6) lgkmcnt(2)
	v_mul_f32_e32 v3, v99, v47
	v_mul_f32_e32 v137, v98, v47
	v_fmac_f32_e32 v136, v97, v44
	v_add_f32_e32 v107, v107, v135
	v_fma_f32 v3, v98, v46, -v3
	v_mul_f32_e32 v127, v100, v49
	v_fmac_f32_e32 v137, v99, v46
	v_add_f32_e32 v107, v107, v136
	v_add_f32_e32 v130, v2, v3
	v_mul_f32_e32 v2, v101, v49
	s_waitcnt vmcnt(5)
	v_mov_b32_e32 v14, v53
	s_waitcnt lgkmcnt(1)
	v_mul_f32_e32 v129, v102, v51
	v_fmac_f32_e32 v127, v101, v48
	v_add_f32_e32 v131, v107, v137
	v_fma_f32 v126, v100, v48, -v2
	v_mul_f32_e32 v2, v103, v51
	v_pk_mul_f32 v[14:15], v[104:105], v[14:15] op_sel:[1,0] op_sel_hi:[0,0]
	v_fmac_f32_e32 v129, v103, v50
	v_fma_f32 v128, v102, v50, -v2
	v_pk_add_f32 v[12:13], v[130:131], v[126:127]
	v_pk_fma_f32 v[16:17], v[104:105], v[52:53], v[14:15] neg_lo:[0,0,1] neg_hi:[0,0,1]
	v_pk_fma_f32 v[14:15], v[104:105], v[52:53], v[14:15] op_sel_hi:[1,0,1]
	v_pk_add_f32 v[12:13], v[12:13], v[128:129]
	v_mov_b32_e32 v17, v15
	s_waitcnt vmcnt(3) lgkmcnt(0)
	v_pk_mul_f32 v[14:15], v[108:109], v[112:113] op_sel:[1,1] op_sel_hi:[0,1]
	v_pk_add_f32 v[12:13], v[12:13], v[16:17]
	v_pk_fma_f32 v[16:17], v[108:109], v[112:113], v[14:15] neg_lo:[0,0,1] neg_hi:[0,0,1]
	v_pk_fma_f32 v[14:15], v[108:109], v[112:113], v[14:15] op_sel_hi:[1,0,1]
	ds_read_b128 v[2:5], v106 offset:880
	ds_read_b128 v[6:9], v106 offset:896
	ds_read_b64 v[10:11], v106 offset:912
	v_mov_b32_e32 v14, v115
	v_mov_b32_e32 v17, v15
	v_pk_mul_f32 v[14:15], v[110:111], v[14:15] op_sel:[1,0] op_sel_hi:[0,0]
	v_pk_add_f32 v[12:13], v[12:13], v[16:17]
	v_pk_fma_f32 v[16:17], v[110:111], v[114:115], v[14:15] neg_lo:[0,0,1] neg_hi:[0,0,1]
	v_pk_fma_f32 v[14:15], v[110:111], v[114:115], v[14:15] op_sel_hi:[1,0,1]
	s_nop 0
	v_mov_b32_e32 v17, v15
	s_waitcnt vmcnt(2) lgkmcnt(2)
	v_pk_mul_f32 v[14:15], v[2:3], v[116:117] op_sel:[1,1] op_sel_hi:[0,1]
	v_pk_add_f32 v[12:13], v[12:13], v[16:17]
	v_pk_fma_f32 v[16:17], v[2:3], v[116:117], v[14:15] neg_lo:[0,0,1] neg_hi:[0,0,1]
	v_pk_fma_f32 v[2:3], v[2:3], v[116:117], v[14:15] op_sel_hi:[1,0,1]
	s_nop 0
	v_mov_b32_e32 v17, v3
	v_pk_add_f32 v[2:3], v[12:13], v[16:17]
	v_mov_b32_e32 v12, v119
	v_pk_mul_f32 v[12:13], v[4:5], v[12:13] op_sel:[1,0] op_sel_hi:[0,0]
	v_pk_fma_f32 v[14:15], v[4:5], v[118:119], v[12:13] neg_lo:[0,0,1] neg_hi:[0,0,1]
	v_pk_fma_f32 v[4:5], v[4:5], v[118:119], v[12:13] op_sel_hi:[1,0,1]
	s_nop 0
	v_mov_b32_e32 v15, v5
	s_waitcnt vmcnt(1) lgkmcnt(1)
	v_pk_mul_f32 v[4:5], v[6:7], v[120:121] op_sel:[1,1] op_sel_hi:[0,1]
	v_pk_fma_f32 v[12:13], v[6:7], v[120:121], v[4:5] neg_lo:[0,0,1] neg_hi:[0,0,1]
	v_pk_fma_f32 v[4:5], v[6:7], v[120:121], v[4:5] op_sel_hi:[1,0,1]
	v_pk_add_f32 v[2:3], v[2:3], v[14:15]
	v_mov_b32_e32 v4, v123
	v_mov_b32_e32 v13, v5
	v_pk_mul_f32 v[4:5], v[8:9], v[4:5] op_sel:[1,0] op_sel_hi:[0,0]
	v_pk_fma_f32 v[6:7], v[8:9], v[122:123], v[4:5] neg_lo:[0,0,1] neg_hi:[0,0,1]
	v_pk_fma_f32 v[4:5], v[8:9], v[122:123], v[4:5] op_sel_hi:[1,0,1]
	v_pk_add_f32 v[2:3], v[2:3], v[12:13]
	v_mov_b32_e32 v7, v5
	s_waitcnt vmcnt(0) lgkmcnt(0)
	v_pk_mul_f32 v[4:5], v[10:11], v[132:133] op_sel:[1,1] op_sel_hi:[0,1]
	v_pk_add_f32 v[2:3], v[2:3], v[6:7]
	v_pk_fma_f32 v[6:7], v[10:11], v[132:133], v[4:5] neg_lo:[0,0,1] neg_hi:[0,0,1]
	v_pk_fma_f32 v[4:5], v[10:11], v[132:133], v[4:5] op_sel_hi:[1,0,1]
	s_nop 0
	v_mov_b32_e32 v7, v5
	v_pk_add_f32 v[2:3], v[2:3], v[6:7]
	s_nop 0
	v_pk_add_f32 v[2:3], v[124:125], v[2:3] neg_lo:[0,1] neg_hi:[0,1]
	scratch_store_dwordx2 off, v[2:3], off offset:184
	s_and_saveexec_b64 s[0:1], vcc
	s_cbranch_execz .LBB120_311
; %bb.310:
	scratch_load_dwordx2 v[2:3], off, off offset:176
	v_mov_b32_e32 v107, v106
	scratch_store_dwordx2 off, v[106:107], off offset:176
	s_waitcnt vmcnt(1)
	ds_write_b64 v1, v[2:3]
.LBB120_311:
	s_or_b64 exec, exec, s[0:1]
	s_waitcnt lgkmcnt(0)
	; wave barrier
	scratch_load_dwordx4 v[2:5], off, off offset:184
	scratch_load_dwordx4 v[6:9], off, off offset:200
	;; [unrolled: 1-line block ×13, first 2 shown]
	ds_read2_b64 v[102:105], v106 offset0:81 offset1:82
	ds_read2_b64 v[98:101], v106 offset0:83 offset1:84
	;; [unrolled: 1-line block ×14, first 2 shown]
	scratch_load_dwordx2 v[128:129], off, off offset:176
	v_cmp_lt_u32_e32 vcc, 21, v0
	s_waitcnt vmcnt(13) lgkmcnt(13)
	v_mul_f32_e32 v107, v102, v3
	v_mul_f32_e32 v112, v104, v5
	v_fmac_f32_e32 v107, v103, v2
	s_waitcnt vmcnt(12) lgkmcnt(12)
	v_mul_f32_e32 v113, v98, v7
	v_fmac_f32_e32 v112, v105, v4
	v_add_f32_e32 v107, 0, v107
	v_mul_f32_e32 v114, v100, v9
	v_fmac_f32_e32 v113, v99, v6
	v_add_f32_e32 v107, v107, v112
	s_waitcnt vmcnt(11) lgkmcnt(11)
	v_mul_f32_e32 v115, v94, v11
	v_fmac_f32_e32 v114, v101, v8
	v_add_f32_e32 v107, v107, v113
	v_mul_f32_e32 v116, v96, v13
	v_fmac_f32_e32 v115, v95, v10
	v_add_f32_e32 v107, v107, v114
	;; [unrolled: 7-line block ×7, first 2 shown]
	s_waitcnt vmcnt(5) lgkmcnt(5)
	v_mul_f32_e32 v127, v70, v35
	v_fmac_f32_e32 v126, v77, v32
	v_add_f32_e32 v107, v107, v125
	v_fmac_f32_e32 v127, v71, v34
	v_add_f32_e32 v107, v107, v126
	v_add_f32_e32 v107, v107, v127
	scratch_load_dwordx4 v[112:115], off, off offset:392
	scratch_load_dwordx4 v[116:119], off, off offset:408
	;; [unrolled: 1-line block ×4, first 2 shown]
	v_mul_f32_e32 v3, v103, v3
	v_fma_f32 v2, v102, v2, -v3
	v_mul_f32_e32 v3, v105, v5
	v_add_f32_e32 v2, 0, v2
	v_fma_f32 v3, v104, v4, -v3
	v_add_f32_e32 v2, v2, v3
	v_mul_f32_e32 v3, v99, v7
	v_fma_f32 v3, v98, v6, -v3
	v_add_f32_e32 v2, v2, v3
	v_mul_f32_e32 v3, v101, v9
	;; [unrolled: 3-line block ×16, first 2 shown]
	v_fma_f32 v3, v72, v36, -v3
	v_add_f32_e32 v2, v2, v3
	s_waitcnt vmcnt(8) lgkmcnt(4)
	v_mul_f32_e32 v3, v67, v39
	v_fma_f32 v3, v66, v38, -v3
	v_add_f32_e32 v2, v2, v3
	v_mul_f32_e32 v3, v69, v41
	v_fma_f32 v3, v68, v40, -v3
	v_add_f32_e32 v2, v2, v3
	s_waitcnt vmcnt(7) lgkmcnt(3)
	v_mul_f32_e32 v3, v63, v43
	v_mul_f32_e32 v130, v72, v37
	v_fma_f32 v3, v62, v42, -v3
	v_mul_f32_e32 v132, v66, v39
	v_fmac_f32_e32 v130, v73, v36
	v_add_f32_e32 v2, v2, v3
	v_mul_f32_e32 v3, v65, v45
	v_mul_f32_e32 v134, v68, v41
	v_fmac_f32_e32 v132, v67, v38
	v_add_f32_e32 v107, v107, v130
	v_fma_f32 v3, v64, v44, -v3
	v_mul_f32_e32 v135, v62, v43
	v_fmac_f32_e32 v134, v69, v40
	v_add_f32_e32 v107, v107, v132
	v_add_f32_e32 v2, v2, v3
	s_waitcnt vmcnt(6) lgkmcnt(2)
	v_mul_f32_e32 v3, v59, v47
	v_mul_f32_e32 v136, v64, v45
	v_fmac_f32_e32 v135, v63, v42
	v_add_f32_e32 v107, v107, v134
	v_fma_f32 v3, v58, v46, -v3
	v_mul_f32_e32 v137, v58, v47
	v_fmac_f32_e32 v136, v65, v44
	v_add_f32_e32 v107, v107, v135
	v_add_f32_e32 v2, v2, v3
	v_mul_f32_e32 v3, v61, v49
	v_mul_f32_e32 v138, v60, v49
	v_fmac_f32_e32 v137, v59, v46
	v_add_f32_e32 v107, v107, v136
	v_fma_f32 v3, v60, v48, -v3
	s_waitcnt vmcnt(5) lgkmcnt(1)
	v_mul_f32_e32 v131, v54, v51
	v_fmac_f32_e32 v138, v61, v48
	v_add_f32_e32 v107, v107, v137
	v_add_f32_e32 v134, v2, v3
	v_mul_f32_e32 v2, v55, v51
	s_waitcnt vmcnt(3) lgkmcnt(0)
	v_pk_mul_f32 v[16:17], v[108:109], v[112:113] op_sel:[1,1] op_sel_hi:[0,1]
	v_mul_f32_e32 v133, v56, v53
	v_fmac_f32_e32 v131, v55, v50
	v_add_f32_e32 v135, v107, v138
	v_fma_f32 v130, v54, v50, -v2
	v_mul_f32_e32 v2, v57, v53
	v_pk_fma_f32 v[18:19], v[108:109], v[112:113], v[16:17] neg_lo:[0,0,1] neg_hi:[0,0,1]
	v_pk_fma_f32 v[16:17], v[108:109], v[112:113], v[16:17] op_sel_hi:[1,0,1]
	v_fmac_f32_e32 v133, v57, v52
	v_fma_f32 v132, v56, v52, -v2
	ds_read2_b64 v[2:5], v106 offset0:109 offset1:110
	ds_read2_b64 v[6:9], v106 offset0:111 offset1:112
	;; [unrolled: 1-line block ×3, first 2 shown]
	v_pk_add_f32 v[14:15], v[134:135], v[130:131]
	v_mov_b32_e32 v16, v115
	v_pk_add_f32 v[14:15], v[14:15], v[132:133]
	v_mov_b32_e32 v19, v17
	v_pk_mul_f32 v[16:17], v[110:111], v[16:17] op_sel:[1,0] op_sel_hi:[0,0]
	v_pk_add_f32 v[14:15], v[14:15], v[18:19]
	v_pk_fma_f32 v[18:19], v[110:111], v[114:115], v[16:17] neg_lo:[0,0,1] neg_hi:[0,0,1]
	v_pk_fma_f32 v[16:17], v[110:111], v[114:115], v[16:17] op_sel_hi:[1,0,1]
	s_nop 0
	v_mov_b32_e32 v19, v17
	s_waitcnt vmcnt(2) lgkmcnt(2)
	v_pk_mul_f32 v[16:17], v[2:3], v[116:117] op_sel:[1,1] op_sel_hi:[0,1]
	v_pk_add_f32 v[14:15], v[14:15], v[18:19]
	v_pk_fma_f32 v[18:19], v[2:3], v[116:117], v[16:17] neg_lo:[0,0,1] neg_hi:[0,0,1]
	v_pk_fma_f32 v[2:3], v[2:3], v[116:117], v[16:17] op_sel_hi:[1,0,1]
	s_nop 0
	v_mov_b32_e32 v19, v3
	v_pk_add_f32 v[2:3], v[14:15], v[18:19]
	v_mov_b32_e32 v14, v119
	v_pk_mul_f32 v[14:15], v[4:5], v[14:15] op_sel:[1,0] op_sel_hi:[0,0]
	v_pk_fma_f32 v[16:17], v[4:5], v[118:119], v[14:15] neg_lo:[0,0,1] neg_hi:[0,0,1]
	v_pk_fma_f32 v[4:5], v[4:5], v[118:119], v[14:15] op_sel_hi:[1,0,1]
	s_nop 0
	v_mov_b32_e32 v17, v5
	s_waitcnt vmcnt(1) lgkmcnt(1)
	v_pk_mul_f32 v[4:5], v[6:7], v[120:121] op_sel:[1,1] op_sel_hi:[0,1]
	v_pk_fma_f32 v[14:15], v[6:7], v[120:121], v[4:5] neg_lo:[0,0,1] neg_hi:[0,0,1]
	v_pk_fma_f32 v[4:5], v[6:7], v[120:121], v[4:5] op_sel_hi:[1,0,1]
	v_pk_add_f32 v[2:3], v[2:3], v[16:17]
	v_mov_b32_e32 v4, v123
	v_mov_b32_e32 v15, v5
	v_pk_mul_f32 v[4:5], v[8:9], v[4:5] op_sel:[1,0] op_sel_hi:[0,0]
	v_pk_fma_f32 v[6:7], v[8:9], v[122:123], v[4:5] neg_lo:[0,0,1] neg_hi:[0,0,1]
	v_pk_fma_f32 v[4:5], v[8:9], v[122:123], v[4:5] op_sel_hi:[1,0,1]
	v_pk_add_f32 v[2:3], v[2:3], v[14:15]
	v_mov_b32_e32 v7, v5
	s_waitcnt vmcnt(0) lgkmcnt(0)
	v_pk_mul_f32 v[4:5], v[10:11], v[124:125] op_sel:[1,1] op_sel_hi:[0,1]
	v_pk_add_f32 v[2:3], v[2:3], v[6:7]
	v_pk_fma_f32 v[6:7], v[10:11], v[124:125], v[4:5] neg_lo:[0,0,1] neg_hi:[0,0,1]
	v_pk_fma_f32 v[4:5], v[10:11], v[124:125], v[4:5] op_sel_hi:[1,0,1]
	s_nop 0
	v_mov_b32_e32 v4, v127
	v_mov_b32_e32 v7, v5
	v_pk_mul_f32 v[4:5], v[12:13], v[4:5] op_sel:[1,0] op_sel_hi:[0,0]
	v_pk_add_f32 v[2:3], v[2:3], v[6:7]
	v_pk_fma_f32 v[6:7], v[12:13], v[126:127], v[4:5] neg_lo:[0,0,1] neg_hi:[0,0,1]
	v_pk_fma_f32 v[4:5], v[12:13], v[126:127], v[4:5] op_sel_hi:[1,0,1]
	s_nop 0
	v_mov_b32_e32 v7, v5
	v_pk_add_f32 v[2:3], v[2:3], v[6:7]
	s_nop 0
	v_pk_add_f32 v[2:3], v[128:129], v[2:3] neg_lo:[0,1] neg_hi:[0,1]
	scratch_store_dwordx2 off, v[2:3], off offset:176
	s_and_saveexec_b64 s[0:1], vcc
	s_cbranch_execz .LBB120_313
; %bb.312:
	scratch_load_dwordx2 v[2:3], off, off offset:168
	v_mov_b32_e32 v4, 0
	v_mov_b32_e32 v5, v4
	scratch_store_dwordx2 off, v[4:5], off offset:168
	s_waitcnt vmcnt(1)
	ds_write_b64 v1, v[2:3]
.LBB120_313:
	s_or_b64 exec, exec, s[0:1]
	s_waitcnt lgkmcnt(0)
	; wave barrier
	scratch_load_dwordx4 v[62:65], off, off offset:176
	scratch_load_dwordx4 v[66:69], off, off offset:192
	;; [unrolled: 1-line block ×13, first 2 shown]
	v_mov_b32_e32 v90, 0
	scratch_load_dwordx4 v[22:25], off, off offset:384
	ds_read_b128 v[104:107], v90 offset:640
	ds_read_b128 v[108:111], v90 offset:656
	;; [unrolled: 1-line block ×14, first 2 shown]
	v_cmp_lt_u32_e32 vcc, 20, v0
	s_waitcnt vmcnt(13) lgkmcnt(13)
	v_mul_f32_e32 v50, v104, v63
	v_mul_f32_e32 v51, v106, v65
	v_fmac_f32_e32 v50, v105, v62
	s_waitcnt vmcnt(12) lgkmcnt(12)
	v_mul_f32_e32 v52, v108, v67
	v_fmac_f32_e32 v51, v107, v64
	v_add_f32_e32 v50, 0, v50
	v_mul_f32_e32 v53, v110, v69
	v_fmac_f32_e32 v52, v109, v66
	v_add_f32_e32 v50, v50, v51
	s_waitcnt vmcnt(11) lgkmcnt(11)
	v_mul_f32_e32 v54, v112, v71
	v_fmac_f32_e32 v53, v111, v68
	v_add_f32_e32 v50, v50, v52
	v_mul_f32_e32 v55, v114, v73
	v_fmac_f32_e32 v54, v113, v70
	v_add_f32_e32 v50, v50, v53
	s_waitcnt vmcnt(10) lgkmcnt(10)
	v_mul_f32_e32 v56, v116, v75
	v_fmac_f32_e32 v55, v115, v72
	v_add_f32_e32 v50, v50, v54
	v_mul_f32_e32 v57, v118, v77
	v_fmac_f32_e32 v56, v117, v74
	v_add_f32_e32 v50, v50, v55
	s_waitcnt vmcnt(9) lgkmcnt(9)
	v_mul_f32_e32 v58, v120, v79
	v_fmac_f32_e32 v57, v119, v76
	v_add_f32_e32 v50, v50, v56
	v_mul_f32_e32 v59, v122, v81
	v_fmac_f32_e32 v58, v121, v78
	v_add_f32_e32 v50, v50, v57
	s_waitcnt vmcnt(8) lgkmcnt(8)
	v_mul_f32_e32 v60, v124, v83
	v_fmac_f32_e32 v59, v123, v80
	v_add_f32_e32 v50, v50, v58
	v_mul_f32_e32 v61, v126, v85
	v_fmac_f32_e32 v60, v125, v82
	v_add_f32_e32 v50, v50, v59
	s_waitcnt vmcnt(7) lgkmcnt(7)
	v_mul_f32_e32 v91, v128, v87
	v_fmac_f32_e32 v61, v127, v84
	v_add_f32_e32 v50, v50, v60
	v_mul_f32_e32 v92, v130, v89
	v_fmac_f32_e32 v91, v129, v86
	v_add_f32_e32 v50, v50, v61
	s_waitcnt vmcnt(6) lgkmcnt(6)
	v_mul_f32_e32 v94, v132, v101
	v_fmac_f32_e32 v92, v131, v88
	v_add_f32_e32 v50, v50, v91
	v_mul_f32_e32 v95, v134, v103
	v_fmac_f32_e32 v94, v133, v100
	v_add_f32_e32 v50, v50, v92
	s_waitcnt vmcnt(5) lgkmcnt(5)
	v_mul_f32_e32 v96, v46, v3
	v_fmac_f32_e32 v95, v135, v102
	v_add_f32_e32 v50, v50, v94
	v_mul_f32_e32 v97, v48, v5
	v_fmac_f32_e32 v96, v47, v2
	v_add_f32_e32 v50, v50, v95
	s_waitcnt vmcnt(4) lgkmcnt(4)
	v_mul_f32_e32 v98, v42, v7
	v_fmac_f32_e32 v97, v49, v4
	v_add_f32_e32 v50, v50, v96
	v_mul_f32_e32 v99, v44, v9
	v_fmac_f32_e32 v98, v43, v6
	v_add_f32_e32 v50, v50, v97
	s_waitcnt vmcnt(3) lgkmcnt(3)
	v_mul_f32_e32 v136, v38, v11
	v_fmac_f32_e32 v99, v45, v8
	v_add_f32_e32 v50, v50, v98
	v_mul_f32_e32 v137, v40, v13
	v_fmac_f32_e32 v136, v39, v10
	v_add_f32_e32 v50, v50, v99
	s_waitcnt vmcnt(2) lgkmcnt(2)
	v_mul_f32_e32 v138, v34, v15
	v_fmac_f32_e32 v137, v41, v12
	v_add_f32_e32 v50, v50, v136
	v_mul_f32_e32 v139, v36, v17
	v_fmac_f32_e32 v138, v35, v14
	v_add_f32_e32 v50, v50, v137
	s_waitcnt vmcnt(1) lgkmcnt(1)
	v_mul_f32_e32 v140, v30, v19
	v_fmac_f32_e32 v139, v37, v16
	v_add_f32_e32 v50, v50, v138
	v_fmac_f32_e32 v140, v31, v18
	v_add_f32_e32 v50, v50, v139
	v_add_f32_e32 v97, v50, v140
	scratch_load_dwordx4 v[58:61], off, off offset:400
	scratch_load_dwordx4 v[54:57], off, off offset:416
	;; [unrolled: 1-line block ×3, first 2 shown]
	scratch_load_dwordx2 v[94:95], off, off offset:448
	v_mul_f32_e32 v3, v47, v3
	v_fma_f32 v46, v46, v2, -v3
	scratch_load_dwordx2 v[2:3], off, off offset:168
	v_mul_f32_e32 v63, v105, v63
	v_fma_f32 v62, v104, v62, -v63
	v_mul_f32_e32 v63, v107, v65
	v_add_f32_e32 v62, 0, v62
	v_fma_f32 v63, v106, v64, -v63
	v_add_f32_e32 v62, v62, v63
	v_mul_f32_e32 v63, v109, v67
	v_fma_f32 v63, v108, v66, -v63
	v_add_f32_e32 v62, v62, v63
	v_mul_f32_e32 v63, v111, v69
	;; [unrolled: 3-line block ×15, first 2 shown]
	v_add_f32_e32 v46, v62, v46
	v_fma_f32 v4, v48, v4, -v5
	v_mul_f32_e32 v5, v43, v7
	v_add_f32_e32 v4, v46, v4
	v_fma_f32 v5, v42, v6, -v5
	v_add_f32_e32 v4, v4, v5
	v_mul_f32_e32 v5, v45, v9
	v_fma_f32 v5, v44, v8, -v5
	v_add_f32_e32 v4, v4, v5
	v_mul_f32_e32 v5, v39, v11
	;; [unrolled: 3-line block ×6, first 2 shown]
	v_fma_f32 v5, v30, v18, -v5
	v_mul_f32_e32 v93, v32, v21
	v_add_f32_e32 v96, v4, v5
	v_mul_f32_e32 v4, v33, v21
	v_fmac_f32_e32 v93, v33, v20
	v_fma_f32 v92, v32, v20, -v4
	s_waitcnt vmcnt(5) lgkmcnt(0)
	v_mul_f32_e32 v4, v27, v23
	v_mov_b32_e32 v20, v25
	v_mul_f32_e32 v99, v26, v23
	v_fma_f32 v98, v26, v22, -v4
	ds_read_b128 v[4:7], v90 offset:864
	ds_read_b128 v[8:11], v90 offset:880
	;; [unrolled: 1-line block ×3, first 2 shown]
	ds_read_b64 v[16:17], v90 offset:912
	v_pk_mul_f32 v[20:21], v[28:29], v[20:21] op_sel:[1,0] op_sel_hi:[0,0]
	v_fmac_f32_e32 v99, v27, v22
	v_pk_add_f32 v[18:19], v[96:97], v[92:93]
	v_pk_fma_f32 v[22:23], v[28:29], v[24:25], v[20:21] neg_lo:[0,0,1] neg_hi:[0,0,1]
	v_pk_fma_f32 v[20:21], v[28:29], v[24:25], v[20:21] op_sel_hi:[1,0,1]
	v_pk_add_f32 v[18:19], v[18:19], v[98:99]
	v_mov_b32_e32 v23, v21
	s_waitcnt vmcnt(4) lgkmcnt(3)
	v_pk_mul_f32 v[20:21], v[4:5], v[58:59] op_sel:[1,1] op_sel_hi:[0,1]
	v_pk_add_f32 v[18:19], v[18:19], v[22:23]
	v_pk_fma_f32 v[22:23], v[4:5], v[58:59], v[20:21] neg_lo:[0,0,1] neg_hi:[0,0,1]
	v_pk_fma_f32 v[4:5], v[4:5], v[58:59], v[20:21] op_sel_hi:[1,0,1]
	s_nop 0
	v_mov_b32_e32 v23, v5
	v_pk_add_f32 v[4:5], v[18:19], v[22:23]
	v_mov_b32_e32 v18, v61
	v_pk_mul_f32 v[18:19], v[6:7], v[18:19] op_sel:[1,0] op_sel_hi:[0,0]
	v_pk_fma_f32 v[20:21], v[6:7], v[60:61], v[18:19] neg_lo:[0,0,1] neg_hi:[0,0,1]
	v_pk_fma_f32 v[6:7], v[6:7], v[60:61], v[18:19] op_sel_hi:[1,0,1]
	s_nop 0
	v_mov_b32_e32 v21, v7
	s_waitcnt vmcnt(3) lgkmcnt(2)
	v_pk_mul_f32 v[6:7], v[8:9], v[54:55] op_sel:[1,1] op_sel_hi:[0,1]
	v_pk_fma_f32 v[18:19], v[8:9], v[54:55], v[6:7] neg_lo:[0,0,1] neg_hi:[0,0,1]
	v_pk_fma_f32 v[6:7], v[8:9], v[54:55], v[6:7] op_sel_hi:[1,0,1]
	v_pk_add_f32 v[4:5], v[4:5], v[20:21]
	v_mov_b32_e32 v6, v57
	v_mov_b32_e32 v19, v7
	v_pk_mul_f32 v[6:7], v[10:11], v[6:7] op_sel:[1,0] op_sel_hi:[0,0]
	v_pk_fma_f32 v[8:9], v[10:11], v[56:57], v[6:7] neg_lo:[0,0,1] neg_hi:[0,0,1]
	v_pk_fma_f32 v[6:7], v[10:11], v[56:57], v[6:7] op_sel_hi:[1,0,1]
	v_pk_add_f32 v[4:5], v[4:5], v[18:19]
	v_mov_b32_e32 v9, v7
	s_waitcnt vmcnt(2) lgkmcnt(1)
	v_pk_mul_f32 v[6:7], v[12:13], v[50:51] op_sel:[1,1] op_sel_hi:[0,1]
	v_pk_add_f32 v[4:5], v[4:5], v[8:9]
	v_pk_fma_f32 v[8:9], v[12:13], v[50:51], v[6:7] neg_lo:[0,0,1] neg_hi:[0,0,1]
	v_pk_fma_f32 v[6:7], v[12:13], v[50:51], v[6:7] op_sel_hi:[1,0,1]
	s_nop 0
	v_mov_b32_e32 v6, v53
	v_mov_b32_e32 v9, v7
	v_pk_mul_f32 v[6:7], v[14:15], v[6:7] op_sel:[1,0] op_sel_hi:[0,0]
	v_pk_add_f32 v[4:5], v[4:5], v[8:9]
	v_pk_fma_f32 v[8:9], v[14:15], v[52:53], v[6:7] neg_lo:[0,0,1] neg_hi:[0,0,1]
	v_pk_fma_f32 v[6:7], v[14:15], v[52:53], v[6:7] op_sel_hi:[1,0,1]
	s_nop 0
	v_mov_b32_e32 v9, v7
	s_waitcnt vmcnt(1) lgkmcnt(0)
	v_pk_mul_f32 v[6:7], v[16:17], v[94:95] op_sel:[1,1] op_sel_hi:[0,1]
	v_pk_add_f32 v[4:5], v[4:5], v[8:9]
	v_pk_fma_f32 v[8:9], v[16:17], v[94:95], v[6:7] neg_lo:[0,0,1] neg_hi:[0,0,1]
	v_pk_fma_f32 v[6:7], v[16:17], v[94:95], v[6:7] op_sel_hi:[1,0,1]
	s_nop 0
	v_mov_b32_e32 v9, v7
	v_pk_add_f32 v[4:5], v[4:5], v[8:9]
	s_waitcnt vmcnt(0)
	v_pk_add_f32 v[2:3], v[2:3], v[4:5] neg_lo:[0,1] neg_hi:[0,1]
	scratch_store_dwordx2 off, v[2:3], off offset:168
	s_and_saveexec_b64 s[0:1], vcc
	s_cbranch_execz .LBB120_315
; %bb.314:
	scratch_load_dwordx2 v[2:3], off, off offset:160
	v_mov_b32_e32 v91, v90
	scratch_store_dwordx2 off, v[90:91], off offset:160
	s_waitcnt vmcnt(1)
	ds_write_b64 v1, v[2:3]
.LBB120_315:
	s_or_b64 exec, exec, s[0:1]
	s_waitcnt lgkmcnt(0)
	; wave barrier
	scratch_load_dwordx4 v[58:61], off, off offset:168
	scratch_load_dwordx4 v[62:65], off, off offset:184
	;; [unrolled: 1-line block ×13, first 2 shown]
	ds_read2_b64 v[102:105], v90 offset0:79 offset1:80
	ds_read2_b64 v[106:109], v90 offset0:81 offset1:82
	;; [unrolled: 1-line block ×13, first 2 shown]
	scratch_load_dwordx4 v[34:37], off, off offset:376
	ds_read2_b64 v[38:41], v90 offset0:105 offset1:106
	v_cmp_lt_u32_e32 vcc, 19, v0
	s_waitcnt vmcnt(13) lgkmcnt(13)
	v_mul_f32_e32 v42, v102, v59
	v_mul_f32_e32 v43, v104, v61
	v_fmac_f32_e32 v42, v103, v58
	s_waitcnt vmcnt(12) lgkmcnt(12)
	v_mul_f32_e32 v44, v106, v63
	v_fmac_f32_e32 v43, v105, v60
	v_add_f32_e32 v42, 0, v42
	v_mul_f32_e32 v45, v108, v65
	v_fmac_f32_e32 v44, v107, v62
	v_add_f32_e32 v42, v42, v43
	s_waitcnt vmcnt(11) lgkmcnt(11)
	v_mul_f32_e32 v46, v110, v67
	v_fmac_f32_e32 v45, v109, v64
	v_add_f32_e32 v42, v42, v44
	v_mul_f32_e32 v47, v112, v69
	v_fmac_f32_e32 v46, v111, v66
	v_add_f32_e32 v42, v42, v45
	;; [unrolled: 7-line block ×6, first 2 shown]
	v_mul_f32_e32 v59, v103, v59
	s_waitcnt vmcnt(6) lgkmcnt(6)
	v_mul_f32_e32 v56, v130, v87
	v_fmac_f32_e32 v55, v129, v84
	v_add_f32_e32 v42, v42, v54
	v_fma_f32 v58, v102, v58, -v59
	v_mul_f32_e32 v59, v105, v61
	v_mul_f32_e32 v57, v132, v89
	v_fmac_f32_e32 v56, v131, v86
	v_add_f32_e32 v42, v42, v55
	v_add_f32_e32 v58, 0, v58
	v_fma_f32 v59, v104, v60, -v59
	s_waitcnt vmcnt(5) lgkmcnt(5)
	v_mul_f32_e32 v91, v134, v99
	v_fmac_f32_e32 v57, v133, v88
	v_add_f32_e32 v42, v42, v56
	v_add_f32_e32 v58, v58, v59
	v_mul_f32_e32 v59, v107, v63
	v_mul_f32_e32 v92, v136, v101
	v_fmac_f32_e32 v91, v135, v98
	v_add_f32_e32 v42, v42, v57
	v_fma_f32 v59, v106, v62, -v59
	s_waitcnt vmcnt(4) lgkmcnt(4)
	v_mul_f32_e32 v93, v30, v3
	v_fmac_f32_e32 v92, v137, v100
	v_add_f32_e32 v42, v42, v91
	v_add_f32_e32 v58, v58, v59
	v_mul_f32_e32 v59, v109, v65
	v_mul_f32_e32 v94, v32, v5
	v_fmac_f32_e32 v93, v31, v2
	;; [unrolled: 10-line block ×5, first 2 shown]
	v_add_f32_e32 v42, v42, v138
	v_fma_f32 v59, v114, v70, -v59
	v_fmac_f32_e32 v140, v21, v16
	v_add_f32_e32 v42, v42, v139
	v_add_f32_e32 v58, v58, v59
	v_mul_f32_e32 v59, v117, v73
	v_add_f32_e32 v93, v42, v140
	scratch_load_dwordx4 v[54:57], off, off offset:392
	scratch_load_dwordx4 v[50:53], off, off offset:408
	;; [unrolled: 1-line block ×4, first 2 shown]
	v_fma_f32 v59, v116, v72, -v59
	v_add_f32_e32 v58, v58, v59
	v_mul_f32_e32 v59, v119, v75
	v_fma_f32 v59, v118, v74, -v59
	v_add_f32_e32 v58, v58, v59
	v_mul_f32_e32 v59, v121, v77
	;; [unrolled: 3-line block ×10, first 2 shown]
	v_fma_f32 v61, v136, v100, -v58
	scratch_load_dwordx2 v[58:59], off, off offset:160
	v_mul_f32_e32 v3, v31, v3
	v_add_f32_e32 v60, v60, v61
	v_fma_f32 v2, v30, v2, -v3
	v_mul_f32_e32 v3, v33, v5
	v_add_f32_e32 v2, v60, v2
	v_fma_f32 v3, v32, v4, -v3
	v_add_f32_e32 v2, v2, v3
	v_mul_f32_e32 v3, v27, v7
	v_fma_f32 v3, v26, v6, -v3
	v_add_f32_e32 v2, v2, v3
	v_mul_f32_e32 v3, v29, v9
	;; [unrolled: 3-line block ×6, first 2 shown]
	v_fma_f32 v3, v20, v16, -v3
	v_add_f32_e32 v92, v2, v3
	s_waitcnt vmcnt(5) lgkmcnt(0)
	v_mul_f32_e32 v2, v39, v35
	v_fma_f32 v94, v38, v34, -v2
	v_mul_f32_e32 v2, v41, v37
	v_fma_f32 v96, v40, v36, -v2
	ds_read2_b64 v[2:5], v90 offset0:107 offset1:108
	ds_read2_b64 v[6:9], v90 offset0:109 offset1:110
	;; [unrolled: 1-line block ×4, first 2 shown]
	v_mul_f32_e32 v95, v38, v35
	v_fmac_f32_e32 v95, v39, v34
	v_mul_f32_e32 v97, v40, v37
	v_fmac_f32_e32 v97, v41, v36
	v_pk_add_f32 v[18:19], v[92:93], v[94:95]
	s_waitcnt vmcnt(4) lgkmcnt(3)
	v_pk_mul_f32 v[20:21], v[2:3], v[54:55] op_sel:[1,1] op_sel_hi:[0,1]
	v_pk_fma_f32 v[22:23], v[2:3], v[54:55], v[20:21] neg_lo:[0,0,1] neg_hi:[0,0,1]
	v_pk_fma_f32 v[2:3], v[2:3], v[54:55], v[20:21] op_sel_hi:[1,0,1]
	v_pk_add_f32 v[18:19], v[18:19], v[96:97]
	v_mov_b32_e32 v23, v3
	v_pk_add_f32 v[2:3], v[18:19], v[22:23]
	v_mov_b32_e32 v18, v57
	v_pk_mul_f32 v[18:19], v[4:5], v[18:19] op_sel:[1,0] op_sel_hi:[0,0]
	v_pk_fma_f32 v[20:21], v[4:5], v[56:57], v[18:19] neg_lo:[0,0,1] neg_hi:[0,0,1]
	v_pk_fma_f32 v[4:5], v[4:5], v[56:57], v[18:19] op_sel_hi:[1,0,1]
	s_nop 0
	v_mov_b32_e32 v21, v5
	s_waitcnt vmcnt(3) lgkmcnt(2)
	v_pk_mul_f32 v[4:5], v[6:7], v[50:51] op_sel:[1,1] op_sel_hi:[0,1]
	v_pk_fma_f32 v[18:19], v[6:7], v[50:51], v[4:5] neg_lo:[0,0,1] neg_hi:[0,0,1]
	v_pk_fma_f32 v[4:5], v[6:7], v[50:51], v[4:5] op_sel_hi:[1,0,1]
	v_pk_add_f32 v[2:3], v[2:3], v[20:21]
	v_mov_b32_e32 v4, v53
	v_mov_b32_e32 v19, v5
	v_pk_mul_f32 v[4:5], v[8:9], v[4:5] op_sel:[1,0] op_sel_hi:[0,0]
	v_pk_fma_f32 v[6:7], v[8:9], v[52:53], v[4:5] neg_lo:[0,0,1] neg_hi:[0,0,1]
	v_pk_fma_f32 v[4:5], v[8:9], v[52:53], v[4:5] op_sel_hi:[1,0,1]
	v_pk_add_f32 v[2:3], v[2:3], v[18:19]
	v_mov_b32_e32 v7, v5
	s_waitcnt vmcnt(2) lgkmcnt(1)
	v_pk_mul_f32 v[4:5], v[10:11], v[46:47] op_sel:[1,1] op_sel_hi:[0,1]
	v_pk_add_f32 v[2:3], v[2:3], v[6:7]
	v_pk_fma_f32 v[6:7], v[10:11], v[46:47], v[4:5] neg_lo:[0,0,1] neg_hi:[0,0,1]
	v_pk_fma_f32 v[4:5], v[10:11], v[46:47], v[4:5] op_sel_hi:[1,0,1]
	s_nop 0
	v_mov_b32_e32 v4, v49
	v_mov_b32_e32 v7, v5
	v_pk_mul_f32 v[4:5], v[12:13], v[4:5] op_sel:[1,0] op_sel_hi:[0,0]
	v_pk_add_f32 v[2:3], v[2:3], v[6:7]
	v_pk_fma_f32 v[6:7], v[12:13], v[48:49], v[4:5] neg_lo:[0,0,1] neg_hi:[0,0,1]
	v_pk_fma_f32 v[4:5], v[12:13], v[48:49], v[4:5] op_sel_hi:[1,0,1]
	s_nop 0
	v_mov_b32_e32 v7, v5
	s_waitcnt vmcnt(1) lgkmcnt(0)
	v_pk_mul_f32 v[4:5], v[14:15], v[42:43] op_sel:[1,1] op_sel_hi:[0,1]
	v_pk_add_f32 v[2:3], v[2:3], v[6:7]
	v_pk_fma_f32 v[6:7], v[14:15], v[42:43], v[4:5] neg_lo:[0,0,1] neg_hi:[0,0,1]
	v_pk_fma_f32 v[4:5], v[14:15], v[42:43], v[4:5] op_sel_hi:[1,0,1]
	s_nop 0
	v_mov_b32_e32 v4, v45
	v_mov_b32_e32 v7, v5
	v_pk_mul_f32 v[4:5], v[16:17], v[4:5] op_sel:[1,0] op_sel_hi:[0,0]
	v_pk_add_f32 v[2:3], v[2:3], v[6:7]
	v_pk_fma_f32 v[6:7], v[16:17], v[44:45], v[4:5] neg_lo:[0,0,1] neg_hi:[0,0,1]
	v_pk_fma_f32 v[4:5], v[16:17], v[44:45], v[4:5] op_sel_hi:[1,0,1]
	s_nop 0
	v_mov_b32_e32 v7, v5
	v_pk_add_f32 v[2:3], v[2:3], v[6:7]
	s_waitcnt vmcnt(0)
	v_pk_add_f32 v[2:3], v[58:59], v[2:3] neg_lo:[0,1] neg_hi:[0,1]
	scratch_store_dwordx2 off, v[2:3], off offset:160
	s_and_saveexec_b64 s[0:1], vcc
	s_cbranch_execz .LBB120_317
; %bb.316:
	scratch_load_dwordx2 v[2:3], off, off offset:152
	v_mov_b32_e32 v4, 0
	v_mov_b32_e32 v5, v4
	scratch_store_dwordx2 off, v[4:5], off offset:152
	s_waitcnt vmcnt(1)
	ds_write_b64 v1, v[2:3]
.LBB120_317:
	s_or_b64 exec, exec, s[0:1]
	v_mov_b32_e32 v86, 0
	s_waitcnt lgkmcnt(0)
	; wave barrier
	ds_read_b128 v[14:17], v86 offset:624
	ds_read_b128 v[10:13], v86 offset:640
	;; [unrolled: 1-line block ×4, first 2 shown]
	scratch_load_dwordx4 v[18:21], off, off offset:160
	scratch_load_dwordx4 v[38:41], off, off offset:224
	;; [unrolled: 1-line block ×9, first 2 shown]
	v_cmp_lt_u32_e32 vcc, 18, v0
	scratch_load_dwordx4 v[46:49], off, off offset:240
	scratch_load_dwordx4 v[54:57], off, off offset:256
	;; [unrolled: 1-line block ×3, first 2 shown]
	s_waitcnt vmcnt(11) lgkmcnt(3)
	v_mul_f32_e32 v22, v14, v19
	v_fmac_f32_e32 v22, v15, v18
	v_mul_f32_e32 v23, v16, v21
	v_add_f32_e32 v22, 0, v22
	v_fmac_f32_e32 v23, v17, v20
	v_add_f32_e32 v26, v22, v23
	scratch_load_dwordx4 v[22:25], off, off offset:176
	v_mul_f32_e32 v15, v15, v19
	v_fma_f32 v14, v14, v18, -v15
	v_mul_f32_e32 v15, v17, v21
	v_add_f32_e32 v14, 0, v14
	v_fma_f32 v15, v16, v20, -v15
	v_add_f32_e32 v14, v14, v15
	s_waitcnt vmcnt(4)
	v_mov_b32_e32 v18, v123
	s_waitcnt vmcnt(0) lgkmcnt(2)
	v_mul_f32_e32 v27, v10, v23
	v_fmac_f32_e32 v27, v11, v22
	v_add_f32_e32 v26, v26, v27
	v_mul_f32_e32 v27, v12, v25
	v_fmac_f32_e32 v27, v13, v24
	v_add_f32_e32 v30, v26, v27
	scratch_load_dwordx4 v[26:29], off, off offset:192
	v_mul_f32_e32 v11, v11, v23
	v_fma_f32 v10, v10, v22, -v11
	v_mul_f32_e32 v11, v13, v25
	v_add_f32_e32 v10, v14, v10
	v_fma_f32 v11, v12, v24, -v11
	v_add_f32_e32 v10, v10, v11
	s_waitcnt vmcnt(0) lgkmcnt(1)
	v_mul_f32_e32 v31, v6, v27
	v_fmac_f32_e32 v31, v7, v26
	v_add_f32_e32 v30, v30, v31
	v_mul_f32_e32 v31, v8, v29
	v_fmac_f32_e32 v31, v9, v28
	v_add_f32_e32 v34, v30, v31
	scratch_load_dwordx4 v[30:33], off, off offset:208
	v_mul_f32_e32 v7, v7, v27
	v_fma_f32 v6, v6, v26, -v7
	v_mul_f32_e32 v7, v9, v29
	v_add_f32_e32 v6, v10, v6
	v_fma_f32 v7, v8, v28, -v7
	v_add_f32_e32 v6, v6, v7
	s_waitcnt vmcnt(0) lgkmcnt(0)
	v_mul_f32_e32 v35, v2, v31
	v_fmac_f32_e32 v35, v3, v30
	v_add_f32_e32 v34, v34, v35
	v_mul_f32_e32 v35, v4, v33
	v_fmac_f32_e32 v35, v5, v32
	v_add_f32_e32 v42, v34, v35
	ds_read_b128 v[34:37], v86 offset:688
	v_mul_f32_e32 v3, v3, v31
	v_fma_f32 v2, v2, v30, -v3
	v_mul_f32_e32 v3, v5, v33
	v_add_f32_e32 v2, v6, v2
	s_waitcnt lgkmcnt(0)
	v_mul_f32_e32 v43, v34, v39
	v_fmac_f32_e32 v43, v35, v38
	v_add_f32_e32 v42, v42, v43
	v_mul_f32_e32 v43, v36, v41
	v_fmac_f32_e32 v43, v37, v40
	v_add_f32_e32 v50, v42, v43
	ds_read_b128 v[42:45], v86 offset:704
	v_fma_f32 v3, v4, v32, -v3
	v_add_f32_e32 v2, v2, v3
	v_mul_f32_e32 v3, v35, v39
	v_fma_f32 v3, v34, v38, -v3
	s_waitcnt lgkmcnt(0)
	v_mul_f32_e32 v51, v42, v47
	v_fmac_f32_e32 v51, v43, v46
	v_add_f32_e32 v50, v50, v51
	v_mul_f32_e32 v51, v44, v49
	v_fmac_f32_e32 v51, v45, v48
	v_add_f32_e32 v58, v50, v51
	ds_read_b128 v[50:53], v86 offset:720
	v_add_f32_e32 v2, v2, v3
	v_mul_f32_e32 v3, v37, v41
	v_fma_f32 v3, v36, v40, -v3
	v_add_f32_e32 v2, v2, v3
	s_waitcnt lgkmcnt(0)
	v_mul_f32_e32 v59, v50, v55
	v_fmac_f32_e32 v59, v51, v54
	v_add_f32_e32 v58, v58, v59
	v_mul_f32_e32 v59, v52, v57
	v_fmac_f32_e32 v59, v53, v56
	v_add_f32_e32 v66, v58, v59
	ds_read_b128 v[58:61], v86 offset:736
	v_mul_f32_e32 v3, v43, v47
	v_fma_f32 v3, v42, v46, -v3
	v_add_f32_e32 v2, v2, v3
	v_mul_f32_e32 v3, v45, v49
	s_waitcnt lgkmcnt(0)
	v_mul_f32_e32 v67, v58, v63
	v_fmac_f32_e32 v67, v59, v62
	v_add_f32_e32 v66, v66, v67
	v_mul_f32_e32 v67, v60, v65
	v_fmac_f32_e32 v67, v61, v64
	v_add_f32_e32 v74, v66, v67
	ds_read_b128 v[66:69], v86 offset:752
	v_fma_f32 v3, v44, v48, -v3
	v_add_f32_e32 v2, v2, v3
	v_mul_f32_e32 v3, v51, v55
	v_fma_f32 v3, v50, v54, -v3
	s_waitcnt lgkmcnt(0)
	v_mul_f32_e32 v75, v66, v71
	v_fmac_f32_e32 v75, v67, v70
	v_add_f32_e32 v74, v74, v75
	v_mul_f32_e32 v75, v68, v73
	v_fmac_f32_e32 v75, v69, v72
	v_add_f32_e32 v82, v74, v75
	ds_read_b128 v[74:77], v86 offset:768
	v_add_f32_e32 v2, v2, v3
	v_mul_f32_e32 v3, v53, v57
	v_fma_f32 v3, v52, v56, -v3
	v_add_f32_e32 v2, v2, v3
	s_waitcnt lgkmcnt(0)
	v_mul_f32_e32 v83, v74, v79
	v_fmac_f32_e32 v83, v75, v78
	v_add_f32_e32 v82, v82, v83
	v_mul_f32_e32 v83, v76, v81
	v_fmac_f32_e32 v83, v77, v80
	v_add_f32_e32 v87, v82, v83
	ds_read_b128 v[82:85], v86 offset:784
	v_mul_f32_e32 v3, v59, v63
	v_fma_f32 v3, v58, v62, -v3
	v_add_f32_e32 v2, v2, v3
	v_mul_f32_e32 v3, v61, v65
	;; [unrolled: 36-line block ×3, first 2 shown]
	s_waitcnt lgkmcnt(0)
	v_mul_f32_e32 v116, v108, v113
	v_fmac_f32_e32 v116, v109, v112
	v_add_f32_e32 v137, v87, v116
	ds_read_b128 v[116:119], v86 offset:848
	scratch_load_dwordx4 v[124:127], off, off offset:400
	scratch_load_dwordx4 v[128:131], off, off offset:416
	;; [unrolled: 1-line block ×3, first 2 shown]
	scratch_load_dwordx2 v[142:143], off, off offset:448
	v_fma_f32 v3, v76, v80, -v3
	v_add_f32_e32 v2, v2, v3
	v_mul_f32_e32 v3, v83, v89
	v_fma_f32 v3, v82, v88, -v3
	v_add_f32_e32 v2, v2, v3
	v_mul_f32_e32 v3, v85, v91
	;; [unrolled: 3-line block ×8, first 2 shown]
	v_mul_f32_e32 v139, v110, v115
	v_fma_f32 v138, v110, v114, -v2
	s_waitcnt lgkmcnt(0)
	v_mul_f32_e32 v2, v117, v121
	v_fmac_f32_e32 v139, v111, v114
	v_mul_f32_e32 v141, v116, v121
	v_fma_f32 v140, v116, v120, -v2
	ds_read_b128 v[2:5], v86 offset:864
	ds_read_b128 v[6:9], v86 offset:880
	;; [unrolled: 1-line block ×3, first 2 shown]
	ds_read_b64 v[14:15], v86 offset:912
	v_pk_mul_f32 v[18:19], v[118:119], v[18:19] op_sel:[1,0] op_sel_hi:[0,0]
	v_fmac_f32_e32 v141, v117, v120
	v_pk_add_f32 v[16:17], v[136:137], v[138:139]
	v_pk_fma_f32 v[20:21], v[118:119], v[122:123], v[18:19] neg_lo:[0,0,1] neg_hi:[0,0,1]
	v_pk_fma_f32 v[18:19], v[118:119], v[122:123], v[18:19] op_sel_hi:[1,0,1]
	v_pk_add_f32 v[16:17], v[16:17], v[140:141]
	v_mov_b32_e32 v21, v19
	v_pk_add_f32 v[16:17], v[16:17], v[20:21]
	s_waitcnt vmcnt(3) lgkmcnt(3)
	v_pk_mul_f32 v[18:19], v[2:3], v[124:125] op_sel:[1,1] op_sel_hi:[0,1]
	v_pk_fma_f32 v[20:21], v[2:3], v[124:125], v[18:19] neg_lo:[0,0,1] neg_hi:[0,0,1]
	v_pk_fma_f32 v[2:3], v[2:3], v[124:125], v[18:19] op_sel_hi:[1,0,1]
	s_nop 0
	v_mov_b32_e32 v21, v3
	v_pk_add_f32 v[2:3], v[16:17], v[20:21]
	v_mov_b32_e32 v16, v127
	v_pk_mul_f32 v[16:17], v[4:5], v[16:17] op_sel:[1,0] op_sel_hi:[0,0]
	v_pk_fma_f32 v[18:19], v[4:5], v[126:127], v[16:17] neg_lo:[0,0,1] neg_hi:[0,0,1]
	v_pk_fma_f32 v[4:5], v[4:5], v[126:127], v[16:17] op_sel_hi:[1,0,1]
	s_nop 0
	v_mov_b32_e32 v19, v5
	s_waitcnt vmcnt(2) lgkmcnt(2)
	v_pk_mul_f32 v[4:5], v[6:7], v[128:129] op_sel:[1,1] op_sel_hi:[0,1]
	v_pk_fma_f32 v[16:17], v[6:7], v[128:129], v[4:5] neg_lo:[0,0,1] neg_hi:[0,0,1]
	v_pk_fma_f32 v[4:5], v[6:7], v[128:129], v[4:5] op_sel_hi:[1,0,1]
	v_pk_add_f32 v[2:3], v[2:3], v[18:19]
	v_mov_b32_e32 v4, v131
	v_mov_b32_e32 v17, v5
	v_pk_mul_f32 v[4:5], v[8:9], v[4:5] op_sel:[1,0] op_sel_hi:[0,0]
	v_pk_fma_f32 v[6:7], v[8:9], v[130:131], v[4:5] neg_lo:[0,0,1] neg_hi:[0,0,1]
	v_pk_fma_f32 v[4:5], v[8:9], v[130:131], v[4:5] op_sel_hi:[1,0,1]
	v_pk_add_f32 v[2:3], v[2:3], v[16:17]
	v_mov_b32_e32 v7, v5
	s_waitcnt vmcnt(1) lgkmcnt(1)
	v_pk_mul_f32 v[4:5], v[10:11], v[132:133] op_sel:[1,1] op_sel_hi:[0,1]
	v_pk_add_f32 v[2:3], v[2:3], v[6:7]
	v_pk_fma_f32 v[6:7], v[10:11], v[132:133], v[4:5] neg_lo:[0,0,1] neg_hi:[0,0,1]
	v_pk_fma_f32 v[4:5], v[10:11], v[132:133], v[4:5] op_sel_hi:[1,0,1]
	s_nop 0
	v_mov_b32_e32 v4, v135
	v_mov_b32_e32 v7, v5
	v_pk_mul_f32 v[4:5], v[12:13], v[4:5] op_sel:[1,0] op_sel_hi:[0,0]
	v_pk_add_f32 v[2:3], v[2:3], v[6:7]
	v_pk_fma_f32 v[6:7], v[12:13], v[134:135], v[4:5] neg_lo:[0,0,1] neg_hi:[0,0,1]
	v_pk_fma_f32 v[4:5], v[12:13], v[134:135], v[4:5] op_sel_hi:[1,0,1]
	s_nop 0
	v_mov_b32_e32 v7, v5
	s_waitcnt vmcnt(0) lgkmcnt(0)
	v_pk_mul_f32 v[4:5], v[14:15], v[142:143] op_sel:[1,1] op_sel_hi:[0,1]
	v_pk_add_f32 v[2:3], v[2:3], v[6:7]
	v_pk_fma_f32 v[6:7], v[14:15], v[142:143], v[4:5] neg_lo:[0,0,1] neg_hi:[0,0,1]
	v_pk_fma_f32 v[4:5], v[14:15], v[142:143], v[4:5] op_sel_hi:[1,0,1]
	s_nop 0
	v_mov_b32_e32 v7, v5
	scratch_load_dwordx2 v[4:5], off, off offset:152
	v_pk_add_f32 v[2:3], v[2:3], v[6:7]
	s_waitcnt vmcnt(0)
	v_pk_add_f32 v[2:3], v[4:5], v[2:3] neg_lo:[0,1] neg_hi:[0,1]
	scratch_store_dwordx2 off, v[2:3], off offset:152
	s_and_saveexec_b64 s[0:1], vcc
	s_cbranch_execz .LBB120_319
; %bb.318:
	scratch_load_dwordx2 v[2:3], off, off offset:144
	v_mov_b32_e32 v87, v86
	scratch_store_dwordx2 off, v[86:87], off offset:144
	s_waitcnt vmcnt(1)
	ds_write_b64 v1, v[2:3]
.LBB120_319:
	s_or_b64 exec, exec, s[0:1]
	s_waitcnt lgkmcnt(0)
	; wave barrier
	scratch_load_dwordx4 v[6:9], off, off offset:152
	scratch_load_dwordx4 v[14:17], off, off offset:168
	;; [unrolled: 1-line block ×10, first 2 shown]
	ds_read2_b64 v[2:5], v86 offset0:77 offset1:78
	scratch_load_dwordx4 v[88:91], off, off offset:312
	scratch_load_dwordx4 v[96:99], off, off offset:328
	;; [unrolled: 1-line block ×5, first 2 shown]
	v_cmp_lt_u32_e32 vcc, 17, v0
	s_waitcnt vmcnt(14) lgkmcnt(0)
	v_mul_f32_e32 v10, v2, v7
	v_fmac_f32_e32 v10, v3, v6
	v_mul_f32_e32 v11, v4, v9
	v_add_f32_e32 v10, 0, v10
	v_fmac_f32_e32 v11, v5, v8
	v_add_f32_e32 v18, v10, v11
	ds_read2_b64 v[10:13], v86 offset0:79 offset1:80
	v_mul_f32_e32 v3, v3, v7
	v_fma_f32 v2, v2, v6, -v3
	v_mul_f32_e32 v3, v5, v9
	v_add_f32_e32 v2, 0, v2
	s_waitcnt vmcnt(13) lgkmcnt(0)
	v_mul_f32_e32 v19, v10, v15
	v_fmac_f32_e32 v19, v11, v14
	v_add_f32_e32 v18, v18, v19
	v_mul_f32_e32 v19, v12, v17
	v_fmac_f32_e32 v19, v13, v16
	v_add_f32_e32 v26, v18, v19
	ds_read2_b64 v[18:21], v86 offset0:81 offset1:82
	v_fma_f32 v3, v4, v8, -v3
	v_add_f32_e32 v2, v2, v3
	v_mul_f32_e32 v3, v11, v15
	v_fma_f32 v3, v10, v14, -v3
	s_waitcnt vmcnt(12) lgkmcnt(0)
	v_mul_f32_e32 v27, v18, v23
	v_fmac_f32_e32 v27, v19, v22
	v_add_f32_e32 v26, v26, v27
	v_mul_f32_e32 v27, v20, v25
	v_fmac_f32_e32 v27, v21, v24
	v_add_f32_e32 v34, v26, v27
	ds_read2_b64 v[26:29], v86 offset0:83 offset1:84
	v_add_f32_e32 v2, v2, v3
	v_mul_f32_e32 v3, v13, v17
	v_fma_f32 v3, v12, v16, -v3
	v_add_f32_e32 v2, v2, v3
	s_waitcnt vmcnt(11) lgkmcnt(0)
	v_mul_f32_e32 v35, v26, v31
	v_fmac_f32_e32 v35, v27, v30
	v_add_f32_e32 v34, v34, v35
	v_mul_f32_e32 v35, v28, v33
	v_fmac_f32_e32 v35, v29, v32
	v_add_f32_e32 v42, v34, v35
	ds_read2_b64 v[34:37], v86 offset0:85 offset1:86
	v_mul_f32_e32 v3, v19, v23
	v_fma_f32 v3, v18, v22, -v3
	v_add_f32_e32 v2, v2, v3
	v_mul_f32_e32 v3, v21, v25
	s_waitcnt vmcnt(10) lgkmcnt(0)
	v_mul_f32_e32 v43, v34, v39
	v_fmac_f32_e32 v43, v35, v38
	v_add_f32_e32 v42, v42, v43
	v_mul_f32_e32 v43, v36, v41
	v_fmac_f32_e32 v43, v37, v40
	v_add_f32_e32 v50, v42, v43
	ds_read2_b64 v[42:45], v86 offset0:87 offset1:88
	v_fma_f32 v3, v20, v24, -v3
	v_add_f32_e32 v2, v2, v3
	v_mul_f32_e32 v3, v27, v31
	v_fma_f32 v3, v26, v30, -v3
	s_waitcnt vmcnt(9) lgkmcnt(0)
	v_mul_f32_e32 v51, v42, v47
	v_fmac_f32_e32 v51, v43, v46
	v_add_f32_e32 v50, v50, v51
	v_mul_f32_e32 v51, v44, v49
	v_fmac_f32_e32 v51, v45, v48
	v_add_f32_e32 v58, v50, v51
	ds_read2_b64 v[50:53], v86 offset0:89 offset1:90
	v_add_f32_e32 v2, v2, v3
	v_mul_f32_e32 v3, v29, v33
	v_fma_f32 v3, v28, v32, -v3
	v_add_f32_e32 v2, v2, v3
	s_waitcnt vmcnt(8) lgkmcnt(0)
	v_mul_f32_e32 v59, v50, v55
	v_fmac_f32_e32 v59, v51, v54
	v_add_f32_e32 v58, v58, v59
	v_mul_f32_e32 v59, v52, v57
	v_fmac_f32_e32 v59, v53, v56
	v_add_f32_e32 v66, v58, v59
	ds_read2_b64 v[58:61], v86 offset0:91 offset1:92
	v_mul_f32_e32 v3, v35, v39
	v_fma_f32 v3, v34, v38, -v3
	v_add_f32_e32 v2, v2, v3
	v_mul_f32_e32 v3, v37, v41
	;; [unrolled: 36-line block ×4, first 2 shown]
	s_waitcnt vmcnt(1) lgkmcnt(0)
	v_mul_f32_e32 v116, v108, v113
	v_fmac_f32_e32 v116, v109, v112
	v_add_f32_e32 v87, v87, v116
	v_mul_f32_e32 v116, v110, v115
	v_fmac_f32_e32 v116, v111, v114
	v_add_f32_e32 v141, v87, v116
	ds_read2_b64 v[116:119], v86 offset0:105 offset1:106
	scratch_load_dwordx4 v[124:127], off, off offset:392
	scratch_load_dwordx4 v[128:131], off, off offset:408
	;; [unrolled: 1-line block ×4, first 2 shown]
	v_fma_f32 v3, v68, v72, -v3
	v_add_f32_e32 v2, v2, v3
	v_mul_f32_e32 v3, v75, v79
	v_fma_f32 v3, v74, v78, -v3
	v_add_f32_e32 v2, v2, v3
	v_mul_f32_e32 v3, v77, v81
	;; [unrolled: 3-line block ×10, first 2 shown]
	v_fma_f32 v3, v110, v114, -v3
	v_add_f32_e32 v140, v2, v3
	s_waitcnt vmcnt(4) lgkmcnt(0)
	v_mul_f32_e32 v2, v117, v121
	v_fma_f32 v142, v116, v120, -v2
	v_mul_f32_e32 v2, v119, v123
	v_fma_f32 v144, v118, v122, -v2
	ds_read2_b64 v[2:5], v86 offset0:107 offset1:108
	ds_read2_b64 v[6:9], v86 offset0:109 offset1:110
	;; [unrolled: 1-line block ×4, first 2 shown]
	v_mul_f32_e32 v143, v116, v121
	v_fmac_f32_e32 v143, v117, v120
	v_mul_f32_e32 v145, v118, v123
	v_fmac_f32_e32 v145, v119, v122
	v_pk_add_f32 v[18:19], v[140:141], v[142:143]
	s_waitcnt vmcnt(3) lgkmcnt(3)
	v_pk_mul_f32 v[20:21], v[2:3], v[124:125] op_sel:[1,1] op_sel_hi:[0,1]
	v_pk_fma_f32 v[22:23], v[2:3], v[124:125], v[20:21] neg_lo:[0,0,1] neg_hi:[0,0,1]
	v_pk_fma_f32 v[2:3], v[2:3], v[124:125], v[20:21] op_sel_hi:[1,0,1]
	v_pk_add_f32 v[18:19], v[18:19], v[144:145]
	v_mov_b32_e32 v23, v3
	v_pk_add_f32 v[2:3], v[18:19], v[22:23]
	v_mov_b32_e32 v18, v127
	v_pk_mul_f32 v[18:19], v[4:5], v[18:19] op_sel:[1,0] op_sel_hi:[0,0]
	v_pk_fma_f32 v[20:21], v[4:5], v[126:127], v[18:19] neg_lo:[0,0,1] neg_hi:[0,0,1]
	v_pk_fma_f32 v[4:5], v[4:5], v[126:127], v[18:19] op_sel_hi:[1,0,1]
	s_nop 0
	v_mov_b32_e32 v21, v5
	s_waitcnt vmcnt(2) lgkmcnt(2)
	v_pk_mul_f32 v[4:5], v[6:7], v[128:129] op_sel:[1,1] op_sel_hi:[0,1]
	v_pk_fma_f32 v[18:19], v[6:7], v[128:129], v[4:5] neg_lo:[0,0,1] neg_hi:[0,0,1]
	v_pk_fma_f32 v[4:5], v[6:7], v[128:129], v[4:5] op_sel_hi:[1,0,1]
	v_pk_add_f32 v[2:3], v[2:3], v[20:21]
	v_mov_b32_e32 v4, v131
	v_mov_b32_e32 v19, v5
	v_pk_mul_f32 v[4:5], v[8:9], v[4:5] op_sel:[1,0] op_sel_hi:[0,0]
	v_pk_fma_f32 v[6:7], v[8:9], v[130:131], v[4:5] neg_lo:[0,0,1] neg_hi:[0,0,1]
	v_pk_fma_f32 v[4:5], v[8:9], v[130:131], v[4:5] op_sel_hi:[1,0,1]
	v_pk_add_f32 v[2:3], v[2:3], v[18:19]
	v_mov_b32_e32 v7, v5
	s_waitcnt vmcnt(1) lgkmcnt(1)
	v_pk_mul_f32 v[4:5], v[10:11], v[132:133] op_sel:[1,1] op_sel_hi:[0,1]
	v_pk_add_f32 v[2:3], v[2:3], v[6:7]
	v_pk_fma_f32 v[6:7], v[10:11], v[132:133], v[4:5] neg_lo:[0,0,1] neg_hi:[0,0,1]
	v_pk_fma_f32 v[4:5], v[10:11], v[132:133], v[4:5] op_sel_hi:[1,0,1]
	s_nop 0
	v_mov_b32_e32 v4, v135
	v_mov_b32_e32 v7, v5
	v_pk_mul_f32 v[4:5], v[12:13], v[4:5] op_sel:[1,0] op_sel_hi:[0,0]
	v_pk_add_f32 v[2:3], v[2:3], v[6:7]
	v_pk_fma_f32 v[6:7], v[12:13], v[134:135], v[4:5] neg_lo:[0,0,1] neg_hi:[0,0,1]
	v_pk_fma_f32 v[4:5], v[12:13], v[134:135], v[4:5] op_sel_hi:[1,0,1]
	s_nop 0
	v_mov_b32_e32 v7, v5
	s_waitcnt vmcnt(0) lgkmcnt(0)
	v_pk_mul_f32 v[4:5], v[14:15], v[136:137] op_sel:[1,1] op_sel_hi:[0,1]
	v_pk_add_f32 v[2:3], v[2:3], v[6:7]
	v_pk_fma_f32 v[6:7], v[14:15], v[136:137], v[4:5] neg_lo:[0,0,1] neg_hi:[0,0,1]
	v_pk_fma_f32 v[4:5], v[14:15], v[136:137], v[4:5] op_sel_hi:[1,0,1]
	s_nop 0
	v_mov_b32_e32 v4, v139
	v_mov_b32_e32 v7, v5
	v_pk_mul_f32 v[4:5], v[16:17], v[4:5] op_sel:[1,0] op_sel_hi:[0,0]
	v_pk_add_f32 v[2:3], v[2:3], v[6:7]
	v_pk_fma_f32 v[6:7], v[16:17], v[138:139], v[4:5] neg_lo:[0,0,1] neg_hi:[0,0,1]
	v_pk_fma_f32 v[4:5], v[16:17], v[138:139], v[4:5] op_sel_hi:[1,0,1]
	s_nop 0
	v_mov_b32_e32 v7, v5
	scratch_load_dwordx2 v[4:5], off, off offset:144
	v_pk_add_f32 v[2:3], v[2:3], v[6:7]
	s_waitcnt vmcnt(0)
	v_pk_add_f32 v[2:3], v[4:5], v[2:3] neg_lo:[0,1] neg_hi:[0,1]
	scratch_store_dwordx2 off, v[2:3], off offset:144
	s_and_saveexec_b64 s[0:1], vcc
	s_cbranch_execz .LBB120_321
; %bb.320:
	scratch_load_dwordx2 v[2:3], off, off offset:136
	v_mov_b32_e32 v4, 0
	v_mov_b32_e32 v5, v4
	scratch_store_dwordx2 off, v[4:5], off offset:136
	s_waitcnt vmcnt(1)
	ds_write_b64 v1, v[2:3]
.LBB120_321:
	s_or_b64 exec, exec, s[0:1]
	v_mov_b32_e32 v94, 0
	s_waitcnt lgkmcnt(0)
	; wave barrier
	ds_read_b128 v[14:17], v94 offset:608
	ds_read_b128 v[10:13], v94 offset:624
	;; [unrolled: 1-line block ×4, first 2 shown]
	scratch_load_dwordx4 v[18:21], off, off offset:144
	scratch_load_dwordx4 v[38:41], off, off offset:208
	;; [unrolled: 1-line block ×10, first 2 shown]
	v_cmp_lt_u32_e32 vcc, 16, v0
	scratch_load_dwordx4 v[46:49], off, off offset:224
	scratch_load_dwordx4 v[54:57], off, off offset:240
	;; [unrolled: 1-line block ×3, first 2 shown]
	s_waitcnt vmcnt(12) lgkmcnt(3)
	v_mul_f32_e32 v22, v14, v19
	v_fmac_f32_e32 v22, v15, v18
	v_mul_f32_e32 v23, v16, v21
	v_add_f32_e32 v22, 0, v22
	v_fmac_f32_e32 v23, v17, v20
	v_add_f32_e32 v26, v22, v23
	scratch_load_dwordx4 v[22:25], off, off offset:160
	v_mul_f32_e32 v15, v15, v19
	v_fma_f32 v14, v14, v18, -v15
	v_mul_f32_e32 v15, v17, v21
	v_add_f32_e32 v14, 0, v14
	v_fma_f32 v15, v16, v20, -v15
	v_add_f32_e32 v14, v14, v15
	s_waitcnt vmcnt(4)
	v_mov_b32_e32 v18, v131
	s_waitcnt vmcnt(0) lgkmcnt(2)
	v_mul_f32_e32 v27, v10, v23
	v_fmac_f32_e32 v27, v11, v22
	v_add_f32_e32 v26, v26, v27
	v_mul_f32_e32 v27, v12, v25
	v_fmac_f32_e32 v27, v13, v24
	v_add_f32_e32 v30, v26, v27
	scratch_load_dwordx4 v[26:29], off, off offset:176
	v_mul_f32_e32 v11, v11, v23
	v_fma_f32 v10, v10, v22, -v11
	v_mul_f32_e32 v11, v13, v25
	v_add_f32_e32 v10, v14, v10
	v_fma_f32 v11, v12, v24, -v11
	v_add_f32_e32 v10, v10, v11
	s_waitcnt vmcnt(0) lgkmcnt(1)
	v_mul_f32_e32 v31, v6, v27
	v_fmac_f32_e32 v31, v7, v26
	v_add_f32_e32 v30, v30, v31
	v_mul_f32_e32 v31, v8, v29
	v_fmac_f32_e32 v31, v9, v28
	v_add_f32_e32 v34, v30, v31
	scratch_load_dwordx4 v[30:33], off, off offset:192
	v_mul_f32_e32 v7, v7, v27
	v_fma_f32 v6, v6, v26, -v7
	v_mul_f32_e32 v7, v9, v29
	v_add_f32_e32 v6, v10, v6
	v_fma_f32 v7, v8, v28, -v7
	v_add_f32_e32 v6, v6, v7
	s_waitcnt vmcnt(0) lgkmcnt(0)
	v_mul_f32_e32 v35, v2, v31
	v_fmac_f32_e32 v35, v3, v30
	v_add_f32_e32 v34, v34, v35
	v_mul_f32_e32 v35, v4, v33
	v_fmac_f32_e32 v35, v5, v32
	v_add_f32_e32 v42, v34, v35
	ds_read_b128 v[34:37], v94 offset:672
	v_mul_f32_e32 v3, v3, v31
	v_fma_f32 v2, v2, v30, -v3
	v_mul_f32_e32 v3, v5, v33
	v_add_f32_e32 v2, v6, v2
	s_waitcnt lgkmcnt(0)
	v_mul_f32_e32 v43, v34, v39
	v_fmac_f32_e32 v43, v35, v38
	v_add_f32_e32 v42, v42, v43
	v_mul_f32_e32 v43, v36, v41
	v_fmac_f32_e32 v43, v37, v40
	v_add_f32_e32 v50, v42, v43
	ds_read_b128 v[42:45], v94 offset:688
	v_fma_f32 v3, v4, v32, -v3
	v_add_f32_e32 v2, v2, v3
	v_mul_f32_e32 v3, v35, v39
	v_fma_f32 v3, v34, v38, -v3
	s_waitcnt lgkmcnt(0)
	v_mul_f32_e32 v51, v42, v47
	v_fmac_f32_e32 v51, v43, v46
	v_add_f32_e32 v50, v50, v51
	v_mul_f32_e32 v51, v44, v49
	v_fmac_f32_e32 v51, v45, v48
	v_add_f32_e32 v58, v50, v51
	ds_read_b128 v[50:53], v94 offset:704
	v_add_f32_e32 v2, v2, v3
	v_mul_f32_e32 v3, v37, v41
	v_fma_f32 v3, v36, v40, -v3
	v_add_f32_e32 v2, v2, v3
	s_waitcnt lgkmcnt(0)
	v_mul_f32_e32 v59, v50, v55
	v_fmac_f32_e32 v59, v51, v54
	v_add_f32_e32 v58, v58, v59
	v_mul_f32_e32 v59, v52, v57
	v_fmac_f32_e32 v59, v53, v56
	v_add_f32_e32 v66, v58, v59
	ds_read_b128 v[58:61], v94 offset:720
	v_mul_f32_e32 v3, v43, v47
	v_fma_f32 v3, v42, v46, -v3
	v_add_f32_e32 v2, v2, v3
	v_mul_f32_e32 v3, v45, v49
	s_waitcnt lgkmcnt(0)
	v_mul_f32_e32 v67, v58, v63
	v_fmac_f32_e32 v67, v59, v62
	v_add_f32_e32 v66, v66, v67
	v_mul_f32_e32 v67, v60, v65
	v_fmac_f32_e32 v67, v61, v64
	v_add_f32_e32 v74, v66, v67
	ds_read_b128 v[66:69], v94 offset:736
	v_fma_f32 v3, v44, v48, -v3
	v_add_f32_e32 v2, v2, v3
	v_mul_f32_e32 v3, v51, v55
	v_fma_f32 v3, v50, v54, -v3
	s_waitcnt lgkmcnt(0)
	v_mul_f32_e32 v75, v66, v71
	v_fmac_f32_e32 v75, v67, v70
	v_add_f32_e32 v74, v74, v75
	v_mul_f32_e32 v75, v68, v73
	v_fmac_f32_e32 v75, v69, v72
	v_add_f32_e32 v82, v74, v75
	ds_read_b128 v[74:77], v94 offset:752
	v_add_f32_e32 v2, v2, v3
	v_mul_f32_e32 v3, v53, v57
	v_fma_f32 v3, v52, v56, -v3
	v_add_f32_e32 v2, v2, v3
	s_waitcnt lgkmcnt(0)
	v_mul_f32_e32 v83, v74, v79
	v_fmac_f32_e32 v83, v75, v78
	v_add_f32_e32 v82, v82, v83
	v_mul_f32_e32 v83, v76, v81
	v_fmac_f32_e32 v83, v77, v80
	v_add_f32_e32 v90, v82, v83
	ds_read_b128 v[82:85], v94 offset:768
	v_mul_f32_e32 v3, v59, v63
	v_fma_f32 v3, v58, v62, -v3
	v_add_f32_e32 v2, v2, v3
	v_mul_f32_e32 v3, v61, v65
	;; [unrolled: 36-line block ×3, first 2 shown]
	s_waitcnt lgkmcnt(0)
	v_mul_f32_e32 v116, v108, v113
	v_fmac_f32_e32 v116, v109, v112
	v_add_f32_e32 v95, v95, v116
	v_mul_f32_e32 v116, v110, v115
	v_fmac_f32_e32 v116, v111, v114
	v_add_f32_e32 v95, v95, v116
	ds_read_b128 v[116:119], v94 offset:832
	v_fma_f32 v3, v76, v80, -v3
	v_add_f32_e32 v2, v2, v3
	v_mul_f32_e32 v3, v83, v87
	v_fma_f32 v3, v82, v86, -v3
	s_waitcnt lgkmcnt(0)
	v_mul_f32_e32 v124, v116, v121
	v_fmac_f32_e32 v124, v117, v120
	v_add_f32_e32 v145, v95, v124
	ds_read_b128 v[124:127], v94 offset:848
	scratch_load_dwordx4 v[132:135], off, off offset:400
	scratch_load_dwordx4 v[136:139], off, off offset:416
	;; [unrolled: 1-line block ×3, first 2 shown]
	scratch_load_dwordx2 v[160:161], off, off offset:448
	v_add_f32_e32 v2, v2, v3
	v_mul_f32_e32 v3, v85, v89
	v_fma_f32 v3, v84, v88, -v3
	v_add_f32_e32 v2, v2, v3
	v_mul_f32_e32 v3, v91, v97
	v_fma_f32 v3, v90, v96, -v3
	;; [unrolled: 3-line block ×8, first 2 shown]
	v_add_f32_e32 v144, v2, v3
	v_mul_f32_e32 v2, v119, v123
	v_mul_f32_e32 v147, v118, v123
	v_fma_f32 v146, v118, v122, -v2
	s_waitcnt lgkmcnt(0)
	v_mul_f32_e32 v2, v125, v129
	v_fmac_f32_e32 v147, v119, v122
	v_mul_f32_e32 v149, v124, v129
	v_fma_f32 v148, v124, v128, -v2
	ds_read_b128 v[2:5], v94 offset:864
	ds_read_b128 v[6:9], v94 offset:880
	;; [unrolled: 1-line block ×3, first 2 shown]
	ds_read_b64 v[14:15], v94 offset:912
	v_pk_mul_f32 v[18:19], v[126:127], v[18:19] op_sel:[1,0] op_sel_hi:[0,0]
	v_fmac_f32_e32 v149, v125, v128
	v_pk_add_f32 v[16:17], v[144:145], v[146:147]
	v_pk_fma_f32 v[20:21], v[126:127], v[130:131], v[18:19] neg_lo:[0,0,1] neg_hi:[0,0,1]
	v_pk_fma_f32 v[18:19], v[126:127], v[130:131], v[18:19] op_sel_hi:[1,0,1]
	v_pk_add_f32 v[16:17], v[16:17], v[148:149]
	v_mov_b32_e32 v21, v19
	v_pk_add_f32 v[16:17], v[16:17], v[20:21]
	s_waitcnt vmcnt(3) lgkmcnt(3)
	v_pk_mul_f32 v[18:19], v[2:3], v[132:133] op_sel:[1,1] op_sel_hi:[0,1]
	v_pk_fma_f32 v[20:21], v[2:3], v[132:133], v[18:19] neg_lo:[0,0,1] neg_hi:[0,0,1]
	v_pk_fma_f32 v[2:3], v[2:3], v[132:133], v[18:19] op_sel_hi:[1,0,1]
	s_nop 0
	v_mov_b32_e32 v21, v3
	v_pk_add_f32 v[2:3], v[16:17], v[20:21]
	v_mov_b32_e32 v16, v135
	v_pk_mul_f32 v[16:17], v[4:5], v[16:17] op_sel:[1,0] op_sel_hi:[0,0]
	v_pk_fma_f32 v[18:19], v[4:5], v[134:135], v[16:17] neg_lo:[0,0,1] neg_hi:[0,0,1]
	v_pk_fma_f32 v[4:5], v[4:5], v[134:135], v[16:17] op_sel_hi:[1,0,1]
	s_nop 0
	v_mov_b32_e32 v19, v5
	s_waitcnt vmcnt(2) lgkmcnt(2)
	v_pk_mul_f32 v[4:5], v[6:7], v[136:137] op_sel:[1,1] op_sel_hi:[0,1]
	v_pk_fma_f32 v[16:17], v[6:7], v[136:137], v[4:5] neg_lo:[0,0,1] neg_hi:[0,0,1]
	v_pk_fma_f32 v[4:5], v[6:7], v[136:137], v[4:5] op_sel_hi:[1,0,1]
	v_pk_add_f32 v[2:3], v[2:3], v[18:19]
	v_mov_b32_e32 v4, v139
	v_mov_b32_e32 v17, v5
	v_pk_mul_f32 v[4:5], v[8:9], v[4:5] op_sel:[1,0] op_sel_hi:[0,0]
	v_pk_fma_f32 v[6:7], v[8:9], v[138:139], v[4:5] neg_lo:[0,0,1] neg_hi:[0,0,1]
	v_pk_fma_f32 v[4:5], v[8:9], v[138:139], v[4:5] op_sel_hi:[1,0,1]
	v_pk_add_f32 v[2:3], v[2:3], v[16:17]
	v_mov_b32_e32 v7, v5
	s_waitcnt vmcnt(1) lgkmcnt(1)
	v_pk_mul_f32 v[4:5], v[10:11], v[140:141] op_sel:[1,1] op_sel_hi:[0,1]
	v_pk_add_f32 v[2:3], v[2:3], v[6:7]
	v_pk_fma_f32 v[6:7], v[10:11], v[140:141], v[4:5] neg_lo:[0,0,1] neg_hi:[0,0,1]
	v_pk_fma_f32 v[4:5], v[10:11], v[140:141], v[4:5] op_sel_hi:[1,0,1]
	s_nop 0
	v_mov_b32_e32 v4, v143
	v_mov_b32_e32 v7, v5
	v_pk_mul_f32 v[4:5], v[12:13], v[4:5] op_sel:[1,0] op_sel_hi:[0,0]
	v_pk_add_f32 v[2:3], v[2:3], v[6:7]
	v_pk_fma_f32 v[6:7], v[12:13], v[142:143], v[4:5] neg_lo:[0,0,1] neg_hi:[0,0,1]
	v_pk_fma_f32 v[4:5], v[12:13], v[142:143], v[4:5] op_sel_hi:[1,0,1]
	s_nop 0
	v_mov_b32_e32 v7, v5
	s_waitcnt vmcnt(0) lgkmcnt(0)
	v_pk_mul_f32 v[4:5], v[14:15], v[160:161] op_sel:[1,1] op_sel_hi:[0,1]
	v_pk_add_f32 v[2:3], v[2:3], v[6:7]
	v_pk_fma_f32 v[6:7], v[14:15], v[160:161], v[4:5] neg_lo:[0,0,1] neg_hi:[0,0,1]
	v_pk_fma_f32 v[4:5], v[14:15], v[160:161], v[4:5] op_sel_hi:[1,0,1]
	s_nop 0
	v_mov_b32_e32 v7, v5
	scratch_load_dwordx2 v[4:5], off, off offset:136
	v_pk_add_f32 v[2:3], v[2:3], v[6:7]
	s_waitcnt vmcnt(0)
	v_pk_add_f32 v[2:3], v[4:5], v[2:3] neg_lo:[0,1] neg_hi:[0,1]
	scratch_store_dwordx2 off, v[2:3], off offset:136
	s_and_saveexec_b64 s[0:1], vcc
	s_cbranch_execz .LBB120_323
; %bb.322:
	scratch_load_dwordx2 v[2:3], off, off offset:128
	v_mov_b32_e32 v95, v94
	scratch_store_dwordx2 off, v[94:95], off offset:128
	s_waitcnt vmcnt(1)
	ds_write_b64 v1, v[2:3]
.LBB120_323:
	s_or_b64 exec, exec, s[0:1]
	s_waitcnt lgkmcnt(0)
	; wave barrier
	scratch_load_dwordx4 v[6:9], off, off offset:136
	scratch_load_dwordx4 v[14:17], off, off offset:152
	;; [unrolled: 1-line block ×10, first 2 shown]
	ds_read2_b64 v[2:5], v94 offset0:75 offset1:76
	scratch_load_dwordx4 v[86:89], off, off offset:296
	scratch_load_dwordx4 v[96:99], off, off offset:312
	;; [unrolled: 1-line block ×6, first 2 shown]
	v_cmp_lt_u32_e32 vcc, 15, v0
	s_waitcnt vmcnt(15) lgkmcnt(0)
	v_mul_f32_e32 v10, v2, v7
	v_fmac_f32_e32 v10, v3, v6
	v_mul_f32_e32 v11, v4, v9
	v_add_f32_e32 v10, 0, v10
	v_fmac_f32_e32 v11, v5, v8
	v_add_f32_e32 v18, v10, v11
	ds_read2_b64 v[10:13], v94 offset0:77 offset1:78
	v_mul_f32_e32 v3, v3, v7
	v_fma_f32 v2, v2, v6, -v3
	v_mul_f32_e32 v3, v5, v9
	v_add_f32_e32 v2, 0, v2
	s_waitcnt vmcnt(14) lgkmcnt(0)
	v_mul_f32_e32 v19, v10, v15
	v_fmac_f32_e32 v19, v11, v14
	v_add_f32_e32 v18, v18, v19
	v_mul_f32_e32 v19, v12, v17
	v_fmac_f32_e32 v19, v13, v16
	v_add_f32_e32 v26, v18, v19
	ds_read2_b64 v[18:21], v94 offset0:79 offset1:80
	v_fma_f32 v3, v4, v8, -v3
	v_add_f32_e32 v2, v2, v3
	v_mul_f32_e32 v3, v11, v15
	v_fma_f32 v3, v10, v14, -v3
	s_waitcnt vmcnt(13) lgkmcnt(0)
	v_mul_f32_e32 v27, v18, v23
	v_fmac_f32_e32 v27, v19, v22
	v_add_f32_e32 v26, v26, v27
	v_mul_f32_e32 v27, v20, v25
	v_fmac_f32_e32 v27, v21, v24
	v_add_f32_e32 v34, v26, v27
	ds_read2_b64 v[26:29], v94 offset0:81 offset1:82
	v_add_f32_e32 v2, v2, v3
	v_mul_f32_e32 v3, v13, v17
	v_fma_f32 v3, v12, v16, -v3
	v_add_f32_e32 v2, v2, v3
	s_waitcnt vmcnt(12) lgkmcnt(0)
	v_mul_f32_e32 v35, v26, v31
	v_fmac_f32_e32 v35, v27, v30
	v_add_f32_e32 v34, v34, v35
	v_mul_f32_e32 v35, v28, v33
	v_fmac_f32_e32 v35, v29, v32
	v_add_f32_e32 v42, v34, v35
	ds_read2_b64 v[34:37], v94 offset0:83 offset1:84
	v_mul_f32_e32 v3, v19, v23
	v_fma_f32 v3, v18, v22, -v3
	v_add_f32_e32 v2, v2, v3
	v_mul_f32_e32 v3, v21, v25
	s_waitcnt vmcnt(11) lgkmcnt(0)
	v_mul_f32_e32 v43, v34, v39
	v_fmac_f32_e32 v43, v35, v38
	v_add_f32_e32 v42, v42, v43
	v_mul_f32_e32 v43, v36, v41
	v_fmac_f32_e32 v43, v37, v40
	v_add_f32_e32 v50, v42, v43
	ds_read2_b64 v[42:45], v94 offset0:85 offset1:86
	v_fma_f32 v3, v20, v24, -v3
	v_add_f32_e32 v2, v2, v3
	v_mul_f32_e32 v3, v27, v31
	v_fma_f32 v3, v26, v30, -v3
	s_waitcnt vmcnt(10) lgkmcnt(0)
	v_mul_f32_e32 v51, v42, v47
	v_fmac_f32_e32 v51, v43, v46
	v_add_f32_e32 v50, v50, v51
	v_mul_f32_e32 v51, v44, v49
	v_fmac_f32_e32 v51, v45, v48
	v_add_f32_e32 v58, v50, v51
	ds_read2_b64 v[50:53], v94 offset0:87 offset1:88
	v_add_f32_e32 v2, v2, v3
	v_mul_f32_e32 v3, v29, v33
	v_fma_f32 v3, v28, v32, -v3
	v_add_f32_e32 v2, v2, v3
	s_waitcnt vmcnt(9) lgkmcnt(0)
	v_mul_f32_e32 v59, v50, v55
	v_fmac_f32_e32 v59, v51, v54
	v_add_f32_e32 v58, v58, v59
	v_mul_f32_e32 v59, v52, v57
	v_fmac_f32_e32 v59, v53, v56
	v_add_f32_e32 v66, v58, v59
	ds_read2_b64 v[58:61], v94 offset0:89 offset1:90
	v_mul_f32_e32 v3, v35, v39
	v_fma_f32 v3, v34, v38, -v3
	v_add_f32_e32 v2, v2, v3
	v_mul_f32_e32 v3, v37, v41
	;; [unrolled: 36-line block ×4, first 2 shown]
	s_waitcnt vmcnt(2) lgkmcnt(0)
	v_mul_f32_e32 v116, v108, v113
	v_fmac_f32_e32 v116, v109, v112
	v_add_f32_e32 v95, v95, v116
	v_mul_f32_e32 v116, v110, v115
	v_fmac_f32_e32 v116, v111, v114
	v_add_f32_e32 v95, v95, v116
	ds_read2_b64 v[116:119], v94 offset0:103 offset1:104
	v_fma_f32 v3, v68, v72, -v3
	v_add_f32_e32 v2, v2, v3
	v_mul_f32_e32 v3, v75, v79
	v_fma_f32 v3, v74, v78, -v3
	s_waitcnt vmcnt(1) lgkmcnt(0)
	v_mul_f32_e32 v124, v116, v121
	v_fmac_f32_e32 v124, v117, v120
	v_add_f32_e32 v95, v95, v124
	v_mul_f32_e32 v124, v118, v123
	v_fmac_f32_e32 v124, v119, v122
	v_add_f32_e32 v149, v95, v124
	ds_read2_b64 v[124:127], v94 offset0:105 offset1:106
	scratch_load_dwordx4 v[132:135], off, off offset:392
	scratch_load_dwordx4 v[136:139], off, off offset:408
	;; [unrolled: 1-line block ×4, first 2 shown]
	v_add_f32_e32 v2, v2, v3
	v_mul_f32_e32 v3, v77, v81
	v_fma_f32 v3, v76, v80, -v3
	v_add_f32_e32 v2, v2, v3
	v_mul_f32_e32 v3, v83, v87
	v_fma_f32 v3, v82, v86, -v3
	;; [unrolled: 3-line block ×11, first 2 shown]
	v_add_f32_e32 v148, v2, v3
	s_waitcnt vmcnt(4) lgkmcnt(0)
	v_mul_f32_e32 v2, v125, v129
	v_fma_f32 v160, v124, v128, -v2
	v_mul_f32_e32 v2, v127, v131
	v_fma_f32 v162, v126, v130, -v2
	ds_read2_b64 v[2:5], v94 offset0:107 offset1:108
	ds_read2_b64 v[6:9], v94 offset0:109 offset1:110
	;; [unrolled: 1-line block ×4, first 2 shown]
	v_mul_f32_e32 v161, v124, v129
	v_fmac_f32_e32 v161, v125, v128
	v_mul_f32_e32 v163, v126, v131
	v_fmac_f32_e32 v163, v127, v130
	v_pk_add_f32 v[18:19], v[148:149], v[160:161]
	s_waitcnt vmcnt(3) lgkmcnt(3)
	v_pk_mul_f32 v[20:21], v[2:3], v[132:133] op_sel:[1,1] op_sel_hi:[0,1]
	v_pk_fma_f32 v[22:23], v[2:3], v[132:133], v[20:21] neg_lo:[0,0,1] neg_hi:[0,0,1]
	v_pk_fma_f32 v[2:3], v[2:3], v[132:133], v[20:21] op_sel_hi:[1,0,1]
	v_pk_add_f32 v[18:19], v[18:19], v[162:163]
	v_mov_b32_e32 v23, v3
	v_pk_add_f32 v[2:3], v[18:19], v[22:23]
	v_mov_b32_e32 v18, v135
	v_pk_mul_f32 v[18:19], v[4:5], v[18:19] op_sel:[1,0] op_sel_hi:[0,0]
	v_pk_fma_f32 v[20:21], v[4:5], v[134:135], v[18:19] neg_lo:[0,0,1] neg_hi:[0,0,1]
	v_pk_fma_f32 v[4:5], v[4:5], v[134:135], v[18:19] op_sel_hi:[1,0,1]
	s_nop 0
	v_mov_b32_e32 v21, v5
	s_waitcnt vmcnt(2) lgkmcnt(2)
	v_pk_mul_f32 v[4:5], v[6:7], v[136:137] op_sel:[1,1] op_sel_hi:[0,1]
	v_pk_fma_f32 v[18:19], v[6:7], v[136:137], v[4:5] neg_lo:[0,0,1] neg_hi:[0,0,1]
	v_pk_fma_f32 v[4:5], v[6:7], v[136:137], v[4:5] op_sel_hi:[1,0,1]
	v_pk_add_f32 v[2:3], v[2:3], v[20:21]
	v_mov_b32_e32 v4, v139
	v_mov_b32_e32 v19, v5
	v_pk_mul_f32 v[4:5], v[8:9], v[4:5] op_sel:[1,0] op_sel_hi:[0,0]
	v_pk_fma_f32 v[6:7], v[8:9], v[138:139], v[4:5] neg_lo:[0,0,1] neg_hi:[0,0,1]
	v_pk_fma_f32 v[4:5], v[8:9], v[138:139], v[4:5] op_sel_hi:[1,0,1]
	v_pk_add_f32 v[2:3], v[2:3], v[18:19]
	v_mov_b32_e32 v7, v5
	s_waitcnt vmcnt(1) lgkmcnt(1)
	v_pk_mul_f32 v[4:5], v[10:11], v[140:141] op_sel:[1,1] op_sel_hi:[0,1]
	v_pk_add_f32 v[2:3], v[2:3], v[6:7]
	v_pk_fma_f32 v[6:7], v[10:11], v[140:141], v[4:5] neg_lo:[0,0,1] neg_hi:[0,0,1]
	v_pk_fma_f32 v[4:5], v[10:11], v[140:141], v[4:5] op_sel_hi:[1,0,1]
	s_nop 0
	v_mov_b32_e32 v4, v143
	v_mov_b32_e32 v7, v5
	v_pk_mul_f32 v[4:5], v[12:13], v[4:5] op_sel:[1,0] op_sel_hi:[0,0]
	v_pk_add_f32 v[2:3], v[2:3], v[6:7]
	v_pk_fma_f32 v[6:7], v[12:13], v[142:143], v[4:5] neg_lo:[0,0,1] neg_hi:[0,0,1]
	v_pk_fma_f32 v[4:5], v[12:13], v[142:143], v[4:5] op_sel_hi:[1,0,1]
	s_nop 0
	v_mov_b32_e32 v7, v5
	s_waitcnt vmcnt(0) lgkmcnt(0)
	v_pk_mul_f32 v[4:5], v[14:15], v[144:145] op_sel:[1,1] op_sel_hi:[0,1]
	v_pk_add_f32 v[2:3], v[2:3], v[6:7]
	v_pk_fma_f32 v[6:7], v[14:15], v[144:145], v[4:5] neg_lo:[0,0,1] neg_hi:[0,0,1]
	v_pk_fma_f32 v[4:5], v[14:15], v[144:145], v[4:5] op_sel_hi:[1,0,1]
	s_nop 0
	v_mov_b32_e32 v4, v147
	v_mov_b32_e32 v7, v5
	v_pk_mul_f32 v[4:5], v[16:17], v[4:5] op_sel:[1,0] op_sel_hi:[0,0]
	v_pk_add_f32 v[2:3], v[2:3], v[6:7]
	v_pk_fma_f32 v[6:7], v[16:17], v[146:147], v[4:5] neg_lo:[0,0,1] neg_hi:[0,0,1]
	v_pk_fma_f32 v[4:5], v[16:17], v[146:147], v[4:5] op_sel_hi:[1,0,1]
	s_nop 0
	v_mov_b32_e32 v7, v5
	scratch_load_dwordx2 v[4:5], off, off offset:128
	v_pk_add_f32 v[2:3], v[2:3], v[6:7]
	s_waitcnt vmcnt(0)
	v_pk_add_f32 v[2:3], v[4:5], v[2:3] neg_lo:[0,1] neg_hi:[0,1]
	scratch_store_dwordx2 off, v[2:3], off offset:128
	s_and_saveexec_b64 s[0:1], vcc
	s_cbranch_execz .LBB120_325
; %bb.324:
	scratch_load_dwordx2 v[2:3], off, off offset:120
	v_mov_b32_e32 v4, 0
	v_mov_b32_e32 v5, v4
	scratch_store_dwordx2 off, v[4:5], off offset:120
	s_waitcnt vmcnt(1)
	ds_write_b64 v1, v[2:3]
.LBB120_325:
	s_or_b64 exec, exec, s[0:1]
	v_mov_b32_e32 v102, 0
	s_waitcnt lgkmcnt(0)
	; wave barrier
	ds_read_b128 v[14:17], v102 offset:592
	ds_read_b128 v[10:13], v102 offset:608
	;; [unrolled: 1-line block ×4, first 2 shown]
	scratch_load_dwordx4 v[18:21], off, off offset:128
	scratch_load_dwordx4 v[38:41], off, off offset:192
	;; [unrolled: 1-line block ×11, first 2 shown]
	v_cmp_lt_u32_e32 vcc, 14, v0
	scratch_load_dwordx4 v[46:49], off, off offset:208
	scratch_load_dwordx4 v[54:57], off, off offset:224
	;; [unrolled: 1-line block ×3, first 2 shown]
	s_waitcnt vmcnt(13) lgkmcnt(3)
	v_mul_f32_e32 v22, v14, v19
	v_fmac_f32_e32 v22, v15, v18
	v_mul_f32_e32 v23, v16, v21
	v_add_f32_e32 v22, 0, v22
	v_fmac_f32_e32 v23, v17, v20
	v_add_f32_e32 v26, v22, v23
	scratch_load_dwordx4 v[22:25], off, off offset:144
	v_mul_f32_e32 v15, v15, v19
	v_fma_f32 v14, v14, v18, -v15
	v_mul_f32_e32 v15, v17, v21
	v_add_f32_e32 v14, 0, v14
	v_fma_f32 v15, v16, v20, -v15
	v_add_f32_e32 v14, v14, v15
	s_waitcnt vmcnt(4)
	v_mov_b32_e32 v18, v139
	s_waitcnt vmcnt(0) lgkmcnt(2)
	v_mul_f32_e32 v27, v10, v23
	v_fmac_f32_e32 v27, v11, v22
	v_add_f32_e32 v26, v26, v27
	v_mul_f32_e32 v27, v12, v25
	v_fmac_f32_e32 v27, v13, v24
	v_add_f32_e32 v30, v26, v27
	scratch_load_dwordx4 v[26:29], off, off offset:160
	v_mul_f32_e32 v11, v11, v23
	v_fma_f32 v10, v10, v22, -v11
	v_mul_f32_e32 v11, v13, v25
	v_add_f32_e32 v10, v14, v10
	v_fma_f32 v11, v12, v24, -v11
	v_add_f32_e32 v10, v10, v11
	s_waitcnt vmcnt(0) lgkmcnt(1)
	v_mul_f32_e32 v31, v6, v27
	v_fmac_f32_e32 v31, v7, v26
	v_add_f32_e32 v30, v30, v31
	v_mul_f32_e32 v31, v8, v29
	v_fmac_f32_e32 v31, v9, v28
	v_add_f32_e32 v34, v30, v31
	scratch_load_dwordx4 v[30:33], off, off offset:176
	v_mul_f32_e32 v7, v7, v27
	v_fma_f32 v6, v6, v26, -v7
	v_mul_f32_e32 v7, v9, v29
	v_add_f32_e32 v6, v10, v6
	v_fma_f32 v7, v8, v28, -v7
	v_add_f32_e32 v6, v6, v7
	s_waitcnt vmcnt(0) lgkmcnt(0)
	v_mul_f32_e32 v35, v2, v31
	v_fmac_f32_e32 v35, v3, v30
	v_add_f32_e32 v34, v34, v35
	v_mul_f32_e32 v35, v4, v33
	v_fmac_f32_e32 v35, v5, v32
	v_add_f32_e32 v42, v34, v35
	ds_read_b128 v[34:37], v102 offset:656
	v_mul_f32_e32 v3, v3, v31
	v_fma_f32 v2, v2, v30, -v3
	v_mul_f32_e32 v3, v5, v33
	v_add_f32_e32 v2, v6, v2
	s_waitcnt lgkmcnt(0)
	v_mul_f32_e32 v43, v34, v39
	v_fmac_f32_e32 v43, v35, v38
	v_add_f32_e32 v42, v42, v43
	v_mul_f32_e32 v43, v36, v41
	v_fmac_f32_e32 v43, v37, v40
	v_add_f32_e32 v50, v42, v43
	ds_read_b128 v[42:45], v102 offset:672
	v_fma_f32 v3, v4, v32, -v3
	v_add_f32_e32 v2, v2, v3
	v_mul_f32_e32 v3, v35, v39
	v_fma_f32 v3, v34, v38, -v3
	s_waitcnt lgkmcnt(0)
	v_mul_f32_e32 v51, v42, v47
	v_fmac_f32_e32 v51, v43, v46
	v_add_f32_e32 v50, v50, v51
	v_mul_f32_e32 v51, v44, v49
	v_fmac_f32_e32 v51, v45, v48
	v_add_f32_e32 v58, v50, v51
	ds_read_b128 v[50:53], v102 offset:688
	v_add_f32_e32 v2, v2, v3
	v_mul_f32_e32 v3, v37, v41
	v_fma_f32 v3, v36, v40, -v3
	v_add_f32_e32 v2, v2, v3
	s_waitcnt lgkmcnt(0)
	v_mul_f32_e32 v59, v50, v55
	v_fmac_f32_e32 v59, v51, v54
	v_add_f32_e32 v58, v58, v59
	v_mul_f32_e32 v59, v52, v57
	v_fmac_f32_e32 v59, v53, v56
	v_add_f32_e32 v66, v58, v59
	ds_read_b128 v[58:61], v102 offset:704
	v_mul_f32_e32 v3, v43, v47
	v_fma_f32 v3, v42, v46, -v3
	v_add_f32_e32 v2, v2, v3
	v_mul_f32_e32 v3, v45, v49
	s_waitcnt lgkmcnt(0)
	v_mul_f32_e32 v67, v58, v63
	v_fmac_f32_e32 v67, v59, v62
	v_add_f32_e32 v66, v66, v67
	v_mul_f32_e32 v67, v60, v65
	v_fmac_f32_e32 v67, v61, v64
	v_add_f32_e32 v74, v66, v67
	ds_read_b128 v[66:69], v102 offset:720
	v_fma_f32 v3, v44, v48, -v3
	v_add_f32_e32 v2, v2, v3
	v_mul_f32_e32 v3, v51, v55
	v_fma_f32 v3, v50, v54, -v3
	s_waitcnt lgkmcnt(0)
	v_mul_f32_e32 v75, v66, v71
	v_fmac_f32_e32 v75, v67, v70
	v_add_f32_e32 v74, v74, v75
	v_mul_f32_e32 v75, v68, v73
	v_fmac_f32_e32 v75, v69, v72
	v_add_f32_e32 v82, v74, v75
	ds_read_b128 v[74:77], v102 offset:736
	v_add_f32_e32 v2, v2, v3
	v_mul_f32_e32 v3, v53, v57
	v_fma_f32 v3, v52, v56, -v3
	v_add_f32_e32 v2, v2, v3
	s_waitcnt lgkmcnt(0)
	v_mul_f32_e32 v83, v74, v79
	v_fmac_f32_e32 v83, v75, v78
	v_add_f32_e32 v82, v82, v83
	v_mul_f32_e32 v83, v76, v81
	v_fmac_f32_e32 v83, v77, v80
	v_add_f32_e32 v90, v82, v83
	ds_read_b128 v[82:85], v102 offset:752
	v_mul_f32_e32 v3, v59, v63
	v_fma_f32 v3, v58, v62, -v3
	v_add_f32_e32 v2, v2, v3
	v_mul_f32_e32 v3, v61, v65
	;; [unrolled: 36-line block ×3, first 2 shown]
	s_waitcnt lgkmcnt(0)
	v_mul_f32_e32 v116, v108, v113
	v_fmac_f32_e32 v116, v109, v112
	v_add_f32_e32 v103, v103, v116
	v_mul_f32_e32 v116, v110, v115
	v_fmac_f32_e32 v116, v111, v114
	v_add_f32_e32 v103, v103, v116
	ds_read_b128 v[116:119], v102 offset:816
	v_fma_f32 v3, v76, v80, -v3
	v_add_f32_e32 v2, v2, v3
	v_mul_f32_e32 v3, v83, v87
	v_fma_f32 v3, v82, v86, -v3
	s_waitcnt lgkmcnt(0)
	v_mul_f32_e32 v124, v116, v121
	v_fmac_f32_e32 v124, v117, v120
	v_add_f32_e32 v103, v103, v124
	v_mul_f32_e32 v124, v118, v123
	v_fmac_f32_e32 v124, v119, v122
	v_add_f32_e32 v103, v103, v124
	ds_read_b128 v[124:127], v102 offset:832
	v_add_f32_e32 v2, v2, v3
	v_mul_f32_e32 v3, v85, v89
	v_fma_f32 v3, v84, v88, -v3
	v_add_f32_e32 v2, v2, v3
	s_waitcnt lgkmcnt(0)
	v_mul_f32_e32 v132, v124, v129
	v_fmac_f32_e32 v132, v125, v128
	v_add_f32_e32 v149, v103, v132
	ds_read_b128 v[132:135], v102 offset:848
	scratch_load_dwordx4 v[140:143], off, off offset:400
	scratch_load_dwordx4 v[144:147], off, off offset:416
	;; [unrolled: 1-line block ×3, first 2 shown]
	scratch_load_dwordx2 v[168:169], off, off offset:448
	v_mul_f32_e32 v3, v91, v95
	v_fma_f32 v3, v90, v94, -v3
	v_add_f32_e32 v2, v2, v3
	v_mul_f32_e32 v3, v93, v97
	v_fma_f32 v3, v92, v96, -v3
	v_add_f32_e32 v2, v2, v3
	;; [unrolled: 3-line block ×9, first 2 shown]
	v_mul_f32_e32 v2, v127, v131
	v_mul_f32_e32 v165, v126, v131
	v_fma_f32 v164, v126, v130, -v2
	s_waitcnt lgkmcnt(0)
	v_mul_f32_e32 v2, v133, v137
	v_fmac_f32_e32 v165, v127, v130
	v_mul_f32_e32 v167, v132, v137
	v_fma_f32 v166, v132, v136, -v2
	ds_read_b128 v[2:5], v102 offset:864
	ds_read_b128 v[6:9], v102 offset:880
	;; [unrolled: 1-line block ×3, first 2 shown]
	ds_read_b64 v[14:15], v102 offset:912
	v_pk_mul_f32 v[18:19], v[134:135], v[18:19] op_sel:[1,0] op_sel_hi:[0,0]
	v_fmac_f32_e32 v167, v133, v136
	v_pk_add_f32 v[16:17], v[148:149], v[164:165]
	v_pk_fma_f32 v[20:21], v[134:135], v[138:139], v[18:19] neg_lo:[0,0,1] neg_hi:[0,0,1]
	v_pk_fma_f32 v[18:19], v[134:135], v[138:139], v[18:19] op_sel_hi:[1,0,1]
	v_pk_add_f32 v[16:17], v[16:17], v[166:167]
	v_mov_b32_e32 v21, v19
	v_pk_add_f32 v[16:17], v[16:17], v[20:21]
	s_waitcnt vmcnt(3) lgkmcnt(3)
	v_pk_mul_f32 v[18:19], v[2:3], v[140:141] op_sel:[1,1] op_sel_hi:[0,1]
	v_pk_fma_f32 v[20:21], v[2:3], v[140:141], v[18:19] neg_lo:[0,0,1] neg_hi:[0,0,1]
	v_pk_fma_f32 v[2:3], v[2:3], v[140:141], v[18:19] op_sel_hi:[1,0,1]
	s_nop 0
	v_mov_b32_e32 v21, v3
	v_pk_add_f32 v[2:3], v[16:17], v[20:21]
	v_mov_b32_e32 v16, v143
	v_pk_mul_f32 v[16:17], v[4:5], v[16:17] op_sel:[1,0] op_sel_hi:[0,0]
	v_pk_fma_f32 v[18:19], v[4:5], v[142:143], v[16:17] neg_lo:[0,0,1] neg_hi:[0,0,1]
	v_pk_fma_f32 v[4:5], v[4:5], v[142:143], v[16:17] op_sel_hi:[1,0,1]
	s_nop 0
	v_mov_b32_e32 v19, v5
	s_waitcnt vmcnt(2) lgkmcnt(2)
	v_pk_mul_f32 v[4:5], v[6:7], v[144:145] op_sel:[1,1] op_sel_hi:[0,1]
	v_pk_fma_f32 v[16:17], v[6:7], v[144:145], v[4:5] neg_lo:[0,0,1] neg_hi:[0,0,1]
	v_pk_fma_f32 v[4:5], v[6:7], v[144:145], v[4:5] op_sel_hi:[1,0,1]
	v_pk_add_f32 v[2:3], v[2:3], v[18:19]
	v_mov_b32_e32 v4, v147
	v_mov_b32_e32 v17, v5
	v_pk_mul_f32 v[4:5], v[8:9], v[4:5] op_sel:[1,0] op_sel_hi:[0,0]
	v_pk_fma_f32 v[6:7], v[8:9], v[146:147], v[4:5] neg_lo:[0,0,1] neg_hi:[0,0,1]
	v_pk_fma_f32 v[4:5], v[8:9], v[146:147], v[4:5] op_sel_hi:[1,0,1]
	v_pk_add_f32 v[2:3], v[2:3], v[16:17]
	v_mov_b32_e32 v7, v5
	s_waitcnt vmcnt(1) lgkmcnt(1)
	v_pk_mul_f32 v[4:5], v[10:11], v[160:161] op_sel:[1,1] op_sel_hi:[0,1]
	v_pk_add_f32 v[2:3], v[2:3], v[6:7]
	v_pk_fma_f32 v[6:7], v[10:11], v[160:161], v[4:5] neg_lo:[0,0,1] neg_hi:[0,0,1]
	v_pk_fma_f32 v[4:5], v[10:11], v[160:161], v[4:5] op_sel_hi:[1,0,1]
	s_nop 0
	v_mov_b32_e32 v4, v163
	v_mov_b32_e32 v7, v5
	v_pk_mul_f32 v[4:5], v[12:13], v[4:5] op_sel:[1,0] op_sel_hi:[0,0]
	v_pk_add_f32 v[2:3], v[2:3], v[6:7]
	v_pk_fma_f32 v[6:7], v[12:13], v[162:163], v[4:5] neg_lo:[0,0,1] neg_hi:[0,0,1]
	v_pk_fma_f32 v[4:5], v[12:13], v[162:163], v[4:5] op_sel_hi:[1,0,1]
	s_nop 0
	v_mov_b32_e32 v7, v5
	s_waitcnt vmcnt(0) lgkmcnt(0)
	v_pk_mul_f32 v[4:5], v[14:15], v[168:169] op_sel:[1,1] op_sel_hi:[0,1]
	v_pk_add_f32 v[2:3], v[2:3], v[6:7]
	v_pk_fma_f32 v[6:7], v[14:15], v[168:169], v[4:5] neg_lo:[0,0,1] neg_hi:[0,0,1]
	v_pk_fma_f32 v[4:5], v[14:15], v[168:169], v[4:5] op_sel_hi:[1,0,1]
	s_nop 0
	v_mov_b32_e32 v7, v5
	scratch_load_dwordx2 v[4:5], off, off offset:120
	v_pk_add_f32 v[2:3], v[2:3], v[6:7]
	s_waitcnt vmcnt(0)
	v_pk_add_f32 v[2:3], v[4:5], v[2:3] neg_lo:[0,1] neg_hi:[0,1]
	scratch_store_dwordx2 off, v[2:3], off offset:120
	s_and_saveexec_b64 s[0:1], vcc
	s_cbranch_execz .LBB120_327
; %bb.326:
	scratch_load_dwordx2 v[2:3], off, off offset:112
	v_mov_b32_e32 v103, v102
	scratch_store_dwordx2 off, v[102:103], off offset:112
	s_waitcnt vmcnt(1)
	ds_write_b64 v1, v[2:3]
.LBB120_327:
	s_or_b64 exec, exec, s[0:1]
	s_waitcnt lgkmcnt(0)
	; wave barrier
	scratch_load_dwordx4 v[6:9], off, off offset:120
	scratch_load_dwordx4 v[14:17], off, off offset:136
	;; [unrolled: 1-line block ×10, first 2 shown]
	ds_read2_b64 v[2:5], v102 offset0:73 offset1:74
	scratch_load_dwordx4 v[86:89], off, off offset:280
	scratch_load_dwordx4 v[94:97], off, off offset:296
	;; [unrolled: 1-line block ×7, first 2 shown]
	v_cmp_lt_u32_e32 vcc, 13, v0
	s_waitcnt vmcnt(16) lgkmcnt(0)
	v_mul_f32_e32 v10, v2, v7
	v_fmac_f32_e32 v10, v3, v6
	v_mul_f32_e32 v11, v4, v9
	v_add_f32_e32 v10, 0, v10
	v_fmac_f32_e32 v11, v5, v8
	v_add_f32_e32 v18, v10, v11
	ds_read2_b64 v[10:13], v102 offset0:75 offset1:76
	v_mul_f32_e32 v3, v3, v7
	v_fma_f32 v2, v2, v6, -v3
	v_mul_f32_e32 v3, v5, v9
	v_add_f32_e32 v2, 0, v2
	s_waitcnt vmcnt(15) lgkmcnt(0)
	v_mul_f32_e32 v19, v10, v15
	v_fmac_f32_e32 v19, v11, v14
	v_add_f32_e32 v18, v18, v19
	v_mul_f32_e32 v19, v12, v17
	v_fmac_f32_e32 v19, v13, v16
	v_add_f32_e32 v26, v18, v19
	ds_read2_b64 v[18:21], v102 offset0:77 offset1:78
	v_fma_f32 v3, v4, v8, -v3
	v_add_f32_e32 v2, v2, v3
	v_mul_f32_e32 v3, v11, v15
	v_fma_f32 v3, v10, v14, -v3
	s_waitcnt vmcnt(14) lgkmcnt(0)
	v_mul_f32_e32 v27, v18, v23
	v_fmac_f32_e32 v27, v19, v22
	v_add_f32_e32 v26, v26, v27
	v_mul_f32_e32 v27, v20, v25
	v_fmac_f32_e32 v27, v21, v24
	v_add_f32_e32 v34, v26, v27
	ds_read2_b64 v[26:29], v102 offset0:79 offset1:80
	v_add_f32_e32 v2, v2, v3
	v_mul_f32_e32 v3, v13, v17
	v_fma_f32 v3, v12, v16, -v3
	v_add_f32_e32 v2, v2, v3
	s_waitcnt vmcnt(13) lgkmcnt(0)
	v_mul_f32_e32 v35, v26, v31
	v_fmac_f32_e32 v35, v27, v30
	v_add_f32_e32 v34, v34, v35
	v_mul_f32_e32 v35, v28, v33
	v_fmac_f32_e32 v35, v29, v32
	v_add_f32_e32 v42, v34, v35
	ds_read2_b64 v[34:37], v102 offset0:81 offset1:82
	v_mul_f32_e32 v3, v19, v23
	v_fma_f32 v3, v18, v22, -v3
	v_add_f32_e32 v2, v2, v3
	v_mul_f32_e32 v3, v21, v25
	s_waitcnt vmcnt(12) lgkmcnt(0)
	v_mul_f32_e32 v43, v34, v39
	v_fmac_f32_e32 v43, v35, v38
	v_add_f32_e32 v42, v42, v43
	v_mul_f32_e32 v43, v36, v41
	v_fmac_f32_e32 v43, v37, v40
	v_add_f32_e32 v50, v42, v43
	ds_read2_b64 v[42:45], v102 offset0:83 offset1:84
	v_fma_f32 v3, v20, v24, -v3
	v_add_f32_e32 v2, v2, v3
	v_mul_f32_e32 v3, v27, v31
	v_fma_f32 v3, v26, v30, -v3
	s_waitcnt vmcnt(11) lgkmcnt(0)
	v_mul_f32_e32 v51, v42, v47
	v_fmac_f32_e32 v51, v43, v46
	v_add_f32_e32 v50, v50, v51
	v_mul_f32_e32 v51, v44, v49
	v_fmac_f32_e32 v51, v45, v48
	v_add_f32_e32 v58, v50, v51
	ds_read2_b64 v[50:53], v102 offset0:85 offset1:86
	v_add_f32_e32 v2, v2, v3
	v_mul_f32_e32 v3, v29, v33
	v_fma_f32 v3, v28, v32, -v3
	v_add_f32_e32 v2, v2, v3
	s_waitcnt vmcnt(10) lgkmcnt(0)
	v_mul_f32_e32 v59, v50, v55
	v_fmac_f32_e32 v59, v51, v54
	v_add_f32_e32 v58, v58, v59
	v_mul_f32_e32 v59, v52, v57
	v_fmac_f32_e32 v59, v53, v56
	v_add_f32_e32 v66, v58, v59
	ds_read2_b64 v[58:61], v102 offset0:87 offset1:88
	v_mul_f32_e32 v3, v35, v39
	v_fma_f32 v3, v34, v38, -v3
	v_add_f32_e32 v2, v2, v3
	v_mul_f32_e32 v3, v37, v41
	;; [unrolled: 36-line block ×4, first 2 shown]
	s_waitcnt vmcnt(3) lgkmcnt(0)
	v_mul_f32_e32 v116, v108, v113
	v_fmac_f32_e32 v116, v109, v112
	v_add_f32_e32 v103, v103, v116
	v_mul_f32_e32 v116, v110, v115
	v_fmac_f32_e32 v116, v111, v114
	v_add_f32_e32 v103, v103, v116
	ds_read2_b64 v[116:119], v102 offset0:101 offset1:102
	v_fma_f32 v3, v68, v72, -v3
	v_add_f32_e32 v2, v2, v3
	v_mul_f32_e32 v3, v75, v79
	v_fma_f32 v3, v74, v78, -v3
	s_waitcnt vmcnt(2) lgkmcnt(0)
	v_mul_f32_e32 v124, v116, v121
	v_fmac_f32_e32 v124, v117, v120
	v_add_f32_e32 v103, v103, v124
	v_mul_f32_e32 v124, v118, v123
	v_fmac_f32_e32 v124, v119, v122
	v_add_f32_e32 v103, v103, v124
	ds_read2_b64 v[124:127], v102 offset0:103 offset1:104
	v_add_f32_e32 v2, v2, v3
	v_mul_f32_e32 v3, v77, v81
	v_fma_f32 v3, v76, v80, -v3
	v_add_f32_e32 v2, v2, v3
	s_waitcnt vmcnt(1) lgkmcnt(0)
	v_mul_f32_e32 v132, v124, v129
	v_fmac_f32_e32 v132, v125, v128
	v_add_f32_e32 v103, v103, v132
	v_mul_f32_e32 v132, v126, v131
	v_fmac_f32_e32 v132, v127, v130
	v_add_f32_e32 v149, v103, v132
	ds_read2_b64 v[132:135], v102 offset0:105 offset1:106
	scratch_load_dwordx4 v[140:143], off, off offset:392
	scratch_load_dwordx4 v[144:147], off, off offset:408
	;; [unrolled: 1-line block ×4, first 2 shown]
	v_mul_f32_e32 v3, v83, v87
	v_fma_f32 v3, v82, v86, -v3
	v_add_f32_e32 v2, v2, v3
	v_mul_f32_e32 v3, v85, v89
	v_fma_f32 v3, v84, v88, -v3
	v_add_f32_e32 v2, v2, v3
	;; [unrolled: 3-line block ×12, first 2 shown]
	s_waitcnt vmcnt(4) lgkmcnt(0)
	v_mul_f32_e32 v2, v133, v137
	v_fma_f32 v168, v132, v136, -v2
	v_mul_f32_e32 v2, v135, v139
	v_fma_f32 v170, v134, v138, -v2
	ds_read2_b64 v[2:5], v102 offset0:107 offset1:108
	ds_read2_b64 v[6:9], v102 offset0:109 offset1:110
	;; [unrolled: 1-line block ×4, first 2 shown]
	v_mul_f32_e32 v169, v132, v137
	v_fmac_f32_e32 v169, v133, v136
	v_mul_f32_e32 v171, v134, v139
	v_fmac_f32_e32 v171, v135, v138
	v_pk_add_f32 v[18:19], v[148:149], v[168:169]
	s_waitcnt vmcnt(3) lgkmcnt(3)
	v_pk_mul_f32 v[20:21], v[2:3], v[140:141] op_sel:[1,1] op_sel_hi:[0,1]
	v_pk_fma_f32 v[22:23], v[2:3], v[140:141], v[20:21] neg_lo:[0,0,1] neg_hi:[0,0,1]
	v_pk_fma_f32 v[2:3], v[2:3], v[140:141], v[20:21] op_sel_hi:[1,0,1]
	v_pk_add_f32 v[18:19], v[18:19], v[170:171]
	v_mov_b32_e32 v23, v3
	v_pk_add_f32 v[2:3], v[18:19], v[22:23]
	v_mov_b32_e32 v18, v143
	v_pk_mul_f32 v[18:19], v[4:5], v[18:19] op_sel:[1,0] op_sel_hi:[0,0]
	v_pk_fma_f32 v[20:21], v[4:5], v[142:143], v[18:19] neg_lo:[0,0,1] neg_hi:[0,0,1]
	v_pk_fma_f32 v[4:5], v[4:5], v[142:143], v[18:19] op_sel_hi:[1,0,1]
	s_nop 0
	v_mov_b32_e32 v21, v5
	s_waitcnt vmcnt(2) lgkmcnt(2)
	v_pk_mul_f32 v[4:5], v[6:7], v[144:145] op_sel:[1,1] op_sel_hi:[0,1]
	v_pk_fma_f32 v[18:19], v[6:7], v[144:145], v[4:5] neg_lo:[0,0,1] neg_hi:[0,0,1]
	v_pk_fma_f32 v[4:5], v[6:7], v[144:145], v[4:5] op_sel_hi:[1,0,1]
	v_pk_add_f32 v[2:3], v[2:3], v[20:21]
	v_mov_b32_e32 v4, v147
	v_mov_b32_e32 v19, v5
	v_pk_mul_f32 v[4:5], v[8:9], v[4:5] op_sel:[1,0] op_sel_hi:[0,0]
	v_pk_fma_f32 v[6:7], v[8:9], v[146:147], v[4:5] neg_lo:[0,0,1] neg_hi:[0,0,1]
	v_pk_fma_f32 v[4:5], v[8:9], v[146:147], v[4:5] op_sel_hi:[1,0,1]
	v_pk_add_f32 v[2:3], v[2:3], v[18:19]
	v_mov_b32_e32 v7, v5
	s_waitcnt vmcnt(1) lgkmcnt(1)
	v_pk_mul_f32 v[4:5], v[10:11], v[160:161] op_sel:[1,1] op_sel_hi:[0,1]
	v_pk_add_f32 v[2:3], v[2:3], v[6:7]
	v_pk_fma_f32 v[6:7], v[10:11], v[160:161], v[4:5] neg_lo:[0,0,1] neg_hi:[0,0,1]
	v_pk_fma_f32 v[4:5], v[10:11], v[160:161], v[4:5] op_sel_hi:[1,0,1]
	s_nop 0
	v_mov_b32_e32 v4, v163
	v_mov_b32_e32 v7, v5
	v_pk_mul_f32 v[4:5], v[12:13], v[4:5] op_sel:[1,0] op_sel_hi:[0,0]
	v_pk_add_f32 v[2:3], v[2:3], v[6:7]
	v_pk_fma_f32 v[6:7], v[12:13], v[162:163], v[4:5] neg_lo:[0,0,1] neg_hi:[0,0,1]
	v_pk_fma_f32 v[4:5], v[12:13], v[162:163], v[4:5] op_sel_hi:[1,0,1]
	s_nop 0
	v_mov_b32_e32 v7, v5
	s_waitcnt vmcnt(0) lgkmcnt(0)
	v_pk_mul_f32 v[4:5], v[14:15], v[164:165] op_sel:[1,1] op_sel_hi:[0,1]
	v_pk_add_f32 v[2:3], v[2:3], v[6:7]
	v_pk_fma_f32 v[6:7], v[14:15], v[164:165], v[4:5] neg_lo:[0,0,1] neg_hi:[0,0,1]
	v_pk_fma_f32 v[4:5], v[14:15], v[164:165], v[4:5] op_sel_hi:[1,0,1]
	s_nop 0
	v_mov_b32_e32 v4, v167
	v_mov_b32_e32 v7, v5
	v_pk_mul_f32 v[4:5], v[16:17], v[4:5] op_sel:[1,0] op_sel_hi:[0,0]
	v_pk_add_f32 v[2:3], v[2:3], v[6:7]
	v_pk_fma_f32 v[6:7], v[16:17], v[166:167], v[4:5] neg_lo:[0,0,1] neg_hi:[0,0,1]
	v_pk_fma_f32 v[4:5], v[16:17], v[166:167], v[4:5] op_sel_hi:[1,0,1]
	s_nop 0
	v_mov_b32_e32 v7, v5
	scratch_load_dwordx2 v[4:5], off, off offset:112
	v_pk_add_f32 v[2:3], v[2:3], v[6:7]
	s_waitcnt vmcnt(0)
	v_pk_add_f32 v[2:3], v[4:5], v[2:3] neg_lo:[0,1] neg_hi:[0,1]
	scratch_store_dwordx2 off, v[2:3], off offset:112
	s_and_saveexec_b64 s[0:1], vcc
	s_cbranch_execz .LBB120_329
; %bb.328:
	scratch_load_dwordx2 v[2:3], off, off offset:104
	v_mov_b32_e32 v4, 0
	v_mov_b32_e32 v5, v4
	scratch_store_dwordx2 off, v[4:5], off offset:104
	s_waitcnt vmcnt(1)
	ds_write_b64 v1, v[2:3]
.LBB120_329:
	s_or_b64 exec, exec, s[0:1]
	v_mov_b32_e32 v102, 0
	s_waitcnt lgkmcnt(0)
	; wave barrier
	ds_read_b128 v[14:17], v102 offset:576
	ds_read_b128 v[10:13], v102 offset:592
	;; [unrolled: 1-line block ×4, first 2 shown]
	scratch_load_dwordx4 v[18:21], off, off offset:112
	scratch_load_dwordx4 v[38:41], off, off offset:176
	scratch_load_dwordx4 v[70:73], off, off offset:240
	scratch_load_dwordx4 v[78:81], off, off offset:256
	scratch_load_dwordx4 v[86:89], off, off offset:272
	scratch_load_dwordx4 v[94:97], off, off offset:288
	scratch_load_dwordx4 v[104:107], off, off offset:304
	scratch_load_dwordx4 v[112:115], off, off offset:320
	scratch_load_dwordx4 v[120:123], off, off offset:336
	scratch_load_dwordx4 v[128:131], off, off offset:352
	scratch_load_dwordx4 v[136:139], off, off offset:368
	scratch_load_dwordx4 v[144:147], off, off offset:384
	v_cmp_lt_u32_e32 vcc, 12, v0
	scratch_load_dwordx4 v[46:49], off, off offset:192
	scratch_load_dwordx4 v[54:57], off, off offset:208
	;; [unrolled: 1-line block ×3, first 2 shown]
	s_waitcnt vmcnt(14) lgkmcnt(3)
	v_mul_f32_e32 v22, v14, v19
	v_fmac_f32_e32 v22, v15, v18
	v_mul_f32_e32 v23, v16, v21
	v_add_f32_e32 v22, 0, v22
	v_fmac_f32_e32 v23, v17, v20
	v_add_f32_e32 v26, v22, v23
	scratch_load_dwordx4 v[22:25], off, off offset:128
	v_mul_f32_e32 v15, v15, v19
	v_fma_f32 v14, v14, v18, -v15
	v_mul_f32_e32 v15, v17, v21
	v_add_f32_e32 v14, 0, v14
	v_fma_f32 v15, v16, v20, -v15
	v_add_f32_e32 v14, v14, v15
	s_waitcnt vmcnt(4)
	v_mov_b32_e32 v18, v147
	s_waitcnt vmcnt(0) lgkmcnt(2)
	v_mul_f32_e32 v27, v10, v23
	v_fmac_f32_e32 v27, v11, v22
	v_add_f32_e32 v26, v26, v27
	v_mul_f32_e32 v27, v12, v25
	v_fmac_f32_e32 v27, v13, v24
	v_add_f32_e32 v30, v26, v27
	scratch_load_dwordx4 v[26:29], off, off offset:144
	v_mul_f32_e32 v11, v11, v23
	v_fma_f32 v10, v10, v22, -v11
	v_mul_f32_e32 v11, v13, v25
	v_add_f32_e32 v10, v14, v10
	v_fma_f32 v11, v12, v24, -v11
	v_add_f32_e32 v10, v10, v11
	s_waitcnt vmcnt(0) lgkmcnt(1)
	v_mul_f32_e32 v31, v6, v27
	v_fmac_f32_e32 v31, v7, v26
	v_add_f32_e32 v30, v30, v31
	v_mul_f32_e32 v31, v8, v29
	v_fmac_f32_e32 v31, v9, v28
	v_add_f32_e32 v34, v30, v31
	scratch_load_dwordx4 v[30:33], off, off offset:160
	v_mul_f32_e32 v7, v7, v27
	v_fma_f32 v6, v6, v26, -v7
	v_mul_f32_e32 v7, v9, v29
	v_add_f32_e32 v6, v10, v6
	v_fma_f32 v7, v8, v28, -v7
	v_add_f32_e32 v6, v6, v7
	s_waitcnt vmcnt(0) lgkmcnt(0)
	v_mul_f32_e32 v35, v2, v31
	v_fmac_f32_e32 v35, v3, v30
	v_add_f32_e32 v34, v34, v35
	v_mul_f32_e32 v35, v4, v33
	v_fmac_f32_e32 v35, v5, v32
	v_add_f32_e32 v42, v34, v35
	ds_read_b128 v[34:37], v102 offset:640
	v_mul_f32_e32 v3, v3, v31
	v_fma_f32 v2, v2, v30, -v3
	v_mul_f32_e32 v3, v5, v33
	v_add_f32_e32 v2, v6, v2
	s_waitcnt lgkmcnt(0)
	v_mul_f32_e32 v43, v34, v39
	v_fmac_f32_e32 v43, v35, v38
	v_add_f32_e32 v42, v42, v43
	v_mul_f32_e32 v43, v36, v41
	v_fmac_f32_e32 v43, v37, v40
	v_add_f32_e32 v50, v42, v43
	ds_read_b128 v[42:45], v102 offset:656
	v_fma_f32 v3, v4, v32, -v3
	v_add_f32_e32 v2, v2, v3
	v_mul_f32_e32 v3, v35, v39
	v_fma_f32 v3, v34, v38, -v3
	s_waitcnt lgkmcnt(0)
	v_mul_f32_e32 v51, v42, v47
	v_fmac_f32_e32 v51, v43, v46
	v_add_f32_e32 v50, v50, v51
	v_mul_f32_e32 v51, v44, v49
	v_fmac_f32_e32 v51, v45, v48
	v_add_f32_e32 v58, v50, v51
	ds_read_b128 v[50:53], v102 offset:672
	v_add_f32_e32 v2, v2, v3
	v_mul_f32_e32 v3, v37, v41
	v_fma_f32 v3, v36, v40, -v3
	v_add_f32_e32 v2, v2, v3
	s_waitcnt lgkmcnt(0)
	v_mul_f32_e32 v59, v50, v55
	v_fmac_f32_e32 v59, v51, v54
	v_add_f32_e32 v58, v58, v59
	v_mul_f32_e32 v59, v52, v57
	v_fmac_f32_e32 v59, v53, v56
	v_add_f32_e32 v66, v58, v59
	ds_read_b128 v[58:61], v102 offset:688
	v_mul_f32_e32 v3, v43, v47
	v_fma_f32 v3, v42, v46, -v3
	v_add_f32_e32 v2, v2, v3
	v_mul_f32_e32 v3, v45, v49
	s_waitcnt lgkmcnt(0)
	v_mul_f32_e32 v67, v58, v63
	v_fmac_f32_e32 v67, v59, v62
	v_add_f32_e32 v66, v66, v67
	v_mul_f32_e32 v67, v60, v65
	v_fmac_f32_e32 v67, v61, v64
	v_add_f32_e32 v74, v66, v67
	ds_read_b128 v[66:69], v102 offset:704
	v_fma_f32 v3, v44, v48, -v3
	v_add_f32_e32 v2, v2, v3
	v_mul_f32_e32 v3, v51, v55
	v_fma_f32 v3, v50, v54, -v3
	s_waitcnt lgkmcnt(0)
	v_mul_f32_e32 v75, v66, v71
	v_fmac_f32_e32 v75, v67, v70
	v_add_f32_e32 v74, v74, v75
	v_mul_f32_e32 v75, v68, v73
	v_fmac_f32_e32 v75, v69, v72
	v_add_f32_e32 v82, v74, v75
	ds_read_b128 v[74:77], v102 offset:720
	v_add_f32_e32 v2, v2, v3
	v_mul_f32_e32 v3, v53, v57
	v_fma_f32 v3, v52, v56, -v3
	v_add_f32_e32 v2, v2, v3
	s_waitcnt lgkmcnt(0)
	v_mul_f32_e32 v83, v74, v79
	v_fmac_f32_e32 v83, v75, v78
	v_add_f32_e32 v82, v82, v83
	v_mul_f32_e32 v83, v76, v81
	v_fmac_f32_e32 v83, v77, v80
	v_add_f32_e32 v90, v82, v83
	ds_read_b128 v[82:85], v102 offset:736
	v_mul_f32_e32 v3, v59, v63
	v_fma_f32 v3, v58, v62, -v3
	v_add_f32_e32 v2, v2, v3
	v_mul_f32_e32 v3, v61, v65
	;; [unrolled: 36-line block ×4, first 2 shown]
	s_waitcnt lgkmcnt(0)
	v_mul_f32_e32 v140, v132, v137
	v_fmac_f32_e32 v140, v133, v136
	v_add_f32_e32 v149, v103, v140
	ds_read_b128 v[140:143], v102 offset:848
	scratch_load_dwordx4 v[160:163], off, off offset:400
	scratch_load_dwordx4 v[164:167], off, off offset:416
	;; [unrolled: 1-line block ×3, first 2 shown]
	scratch_load_dwordx2 v[176:177], off, off offset:448
	v_fma_f32 v3, v92, v96, -v3
	v_add_f32_e32 v2, v2, v3
	v_mul_f32_e32 v3, v99, v105
	v_fma_f32 v3, v98, v104, -v3
	v_add_f32_e32 v2, v2, v3
	v_mul_f32_e32 v3, v101, v107
	;; [unrolled: 3-line block ×10, first 2 shown]
	v_mul_f32_e32 v173, v134, v139
	v_fma_f32 v172, v134, v138, -v2
	s_waitcnt lgkmcnt(0)
	v_mul_f32_e32 v2, v141, v145
	v_fmac_f32_e32 v173, v135, v138
	v_mul_f32_e32 v175, v140, v145
	v_fma_f32 v174, v140, v144, -v2
	ds_read_b128 v[2:5], v102 offset:864
	ds_read_b128 v[6:9], v102 offset:880
	;; [unrolled: 1-line block ×3, first 2 shown]
	ds_read_b64 v[14:15], v102 offset:912
	v_pk_mul_f32 v[18:19], v[142:143], v[18:19] op_sel:[1,0] op_sel_hi:[0,0]
	v_fmac_f32_e32 v175, v141, v144
	v_pk_add_f32 v[16:17], v[148:149], v[172:173]
	v_pk_fma_f32 v[20:21], v[142:143], v[146:147], v[18:19] neg_lo:[0,0,1] neg_hi:[0,0,1]
	v_pk_fma_f32 v[18:19], v[142:143], v[146:147], v[18:19] op_sel_hi:[1,0,1]
	v_pk_add_f32 v[16:17], v[16:17], v[174:175]
	v_mov_b32_e32 v21, v19
	v_pk_add_f32 v[16:17], v[16:17], v[20:21]
	s_waitcnt vmcnt(3) lgkmcnt(3)
	v_pk_mul_f32 v[18:19], v[2:3], v[160:161] op_sel:[1,1] op_sel_hi:[0,1]
	v_pk_fma_f32 v[20:21], v[2:3], v[160:161], v[18:19] neg_lo:[0,0,1] neg_hi:[0,0,1]
	v_pk_fma_f32 v[2:3], v[2:3], v[160:161], v[18:19] op_sel_hi:[1,0,1]
	s_nop 0
	v_mov_b32_e32 v21, v3
	v_pk_add_f32 v[2:3], v[16:17], v[20:21]
	v_mov_b32_e32 v16, v163
	v_pk_mul_f32 v[16:17], v[4:5], v[16:17] op_sel:[1,0] op_sel_hi:[0,0]
	v_pk_fma_f32 v[18:19], v[4:5], v[162:163], v[16:17] neg_lo:[0,0,1] neg_hi:[0,0,1]
	v_pk_fma_f32 v[4:5], v[4:5], v[162:163], v[16:17] op_sel_hi:[1,0,1]
	s_nop 0
	v_mov_b32_e32 v19, v5
	s_waitcnt vmcnt(2) lgkmcnt(2)
	v_pk_mul_f32 v[4:5], v[6:7], v[164:165] op_sel:[1,1] op_sel_hi:[0,1]
	v_pk_fma_f32 v[16:17], v[6:7], v[164:165], v[4:5] neg_lo:[0,0,1] neg_hi:[0,0,1]
	v_pk_fma_f32 v[4:5], v[6:7], v[164:165], v[4:5] op_sel_hi:[1,0,1]
	v_pk_add_f32 v[2:3], v[2:3], v[18:19]
	v_mov_b32_e32 v4, v167
	v_mov_b32_e32 v17, v5
	v_pk_mul_f32 v[4:5], v[8:9], v[4:5] op_sel:[1,0] op_sel_hi:[0,0]
	v_pk_fma_f32 v[6:7], v[8:9], v[166:167], v[4:5] neg_lo:[0,0,1] neg_hi:[0,0,1]
	v_pk_fma_f32 v[4:5], v[8:9], v[166:167], v[4:5] op_sel_hi:[1,0,1]
	v_pk_add_f32 v[2:3], v[2:3], v[16:17]
	v_mov_b32_e32 v7, v5
	s_waitcnt vmcnt(1) lgkmcnt(1)
	v_pk_mul_f32 v[4:5], v[10:11], v[168:169] op_sel:[1,1] op_sel_hi:[0,1]
	v_pk_add_f32 v[2:3], v[2:3], v[6:7]
	v_pk_fma_f32 v[6:7], v[10:11], v[168:169], v[4:5] neg_lo:[0,0,1] neg_hi:[0,0,1]
	v_pk_fma_f32 v[4:5], v[10:11], v[168:169], v[4:5] op_sel_hi:[1,0,1]
	s_nop 0
	v_mov_b32_e32 v4, v171
	v_mov_b32_e32 v7, v5
	v_pk_mul_f32 v[4:5], v[12:13], v[4:5] op_sel:[1,0] op_sel_hi:[0,0]
	v_pk_add_f32 v[2:3], v[2:3], v[6:7]
	v_pk_fma_f32 v[6:7], v[12:13], v[170:171], v[4:5] neg_lo:[0,0,1] neg_hi:[0,0,1]
	v_pk_fma_f32 v[4:5], v[12:13], v[170:171], v[4:5] op_sel_hi:[1,0,1]
	s_nop 0
	v_mov_b32_e32 v7, v5
	s_waitcnt vmcnt(0) lgkmcnt(0)
	v_pk_mul_f32 v[4:5], v[14:15], v[176:177] op_sel:[1,1] op_sel_hi:[0,1]
	v_pk_add_f32 v[2:3], v[2:3], v[6:7]
	v_pk_fma_f32 v[6:7], v[14:15], v[176:177], v[4:5] neg_lo:[0,0,1] neg_hi:[0,0,1]
	v_pk_fma_f32 v[4:5], v[14:15], v[176:177], v[4:5] op_sel_hi:[1,0,1]
	s_nop 0
	v_mov_b32_e32 v7, v5
	scratch_load_dwordx2 v[4:5], off, off offset:104
	v_pk_add_f32 v[2:3], v[2:3], v[6:7]
	s_waitcnt vmcnt(0)
	v_pk_add_f32 v[2:3], v[4:5], v[2:3] neg_lo:[0,1] neg_hi:[0,1]
	scratch_store_dwordx2 off, v[2:3], off offset:104
	s_and_saveexec_b64 s[0:1], vcc
	s_cbranch_execz .LBB120_331
; %bb.330:
	scratch_load_dwordx2 v[2:3], off, off offset:96
	v_mov_b32_e32 v103, v102
	scratch_store_dwordx2 off, v[102:103], off offset:96
	s_waitcnt vmcnt(1)
	ds_write_b64 v1, v[2:3]
.LBB120_331:
	s_or_b64 exec, exec, s[0:1]
	s_waitcnt lgkmcnt(0)
	; wave barrier
	scratch_load_dwordx4 v[6:9], off, off offset:104
	scratch_load_dwordx4 v[14:17], off, off offset:120
	;; [unrolled: 1-line block ×10, first 2 shown]
	ds_read2_b64 v[2:5], v102 offset0:71 offset1:72
	scratch_load_dwordx4 v[86:89], off, off offset:264
	scratch_load_dwordx4 v[94:97], off, off offset:280
	;; [unrolled: 1-line block ×8, first 2 shown]
	v_cmp_lt_u32_e32 vcc, 11, v0
	s_waitcnt vmcnt(17) lgkmcnt(0)
	v_mul_f32_e32 v10, v2, v7
	v_fmac_f32_e32 v10, v3, v6
	v_mul_f32_e32 v11, v4, v9
	v_add_f32_e32 v10, 0, v10
	v_fmac_f32_e32 v11, v5, v8
	v_add_f32_e32 v18, v10, v11
	ds_read2_b64 v[10:13], v102 offset0:73 offset1:74
	v_mul_f32_e32 v3, v3, v7
	v_fma_f32 v2, v2, v6, -v3
	v_mul_f32_e32 v3, v5, v9
	v_add_f32_e32 v2, 0, v2
	s_waitcnt vmcnt(16) lgkmcnt(0)
	v_mul_f32_e32 v19, v10, v15
	v_fmac_f32_e32 v19, v11, v14
	v_add_f32_e32 v18, v18, v19
	v_mul_f32_e32 v19, v12, v17
	v_fmac_f32_e32 v19, v13, v16
	v_add_f32_e32 v26, v18, v19
	ds_read2_b64 v[18:21], v102 offset0:75 offset1:76
	v_fma_f32 v3, v4, v8, -v3
	v_add_f32_e32 v2, v2, v3
	v_mul_f32_e32 v3, v11, v15
	v_fma_f32 v3, v10, v14, -v3
	s_waitcnt vmcnt(15) lgkmcnt(0)
	v_mul_f32_e32 v27, v18, v23
	v_fmac_f32_e32 v27, v19, v22
	v_add_f32_e32 v26, v26, v27
	v_mul_f32_e32 v27, v20, v25
	v_fmac_f32_e32 v27, v21, v24
	v_add_f32_e32 v34, v26, v27
	ds_read2_b64 v[26:29], v102 offset0:77 offset1:78
	v_add_f32_e32 v2, v2, v3
	v_mul_f32_e32 v3, v13, v17
	v_fma_f32 v3, v12, v16, -v3
	v_add_f32_e32 v2, v2, v3
	s_waitcnt vmcnt(14) lgkmcnt(0)
	v_mul_f32_e32 v35, v26, v31
	v_fmac_f32_e32 v35, v27, v30
	v_add_f32_e32 v34, v34, v35
	v_mul_f32_e32 v35, v28, v33
	v_fmac_f32_e32 v35, v29, v32
	v_add_f32_e32 v42, v34, v35
	ds_read2_b64 v[34:37], v102 offset0:79 offset1:80
	v_mul_f32_e32 v3, v19, v23
	v_fma_f32 v3, v18, v22, -v3
	v_add_f32_e32 v2, v2, v3
	v_mul_f32_e32 v3, v21, v25
	s_waitcnt vmcnt(13) lgkmcnt(0)
	v_mul_f32_e32 v43, v34, v39
	v_fmac_f32_e32 v43, v35, v38
	v_add_f32_e32 v42, v42, v43
	v_mul_f32_e32 v43, v36, v41
	v_fmac_f32_e32 v43, v37, v40
	v_add_f32_e32 v50, v42, v43
	ds_read2_b64 v[42:45], v102 offset0:81 offset1:82
	v_fma_f32 v3, v20, v24, -v3
	v_add_f32_e32 v2, v2, v3
	v_mul_f32_e32 v3, v27, v31
	v_fma_f32 v3, v26, v30, -v3
	s_waitcnt vmcnt(12) lgkmcnt(0)
	v_mul_f32_e32 v51, v42, v47
	v_fmac_f32_e32 v51, v43, v46
	v_add_f32_e32 v50, v50, v51
	v_mul_f32_e32 v51, v44, v49
	v_fmac_f32_e32 v51, v45, v48
	v_add_f32_e32 v58, v50, v51
	ds_read2_b64 v[50:53], v102 offset0:83 offset1:84
	v_add_f32_e32 v2, v2, v3
	v_mul_f32_e32 v3, v29, v33
	v_fma_f32 v3, v28, v32, -v3
	v_add_f32_e32 v2, v2, v3
	s_waitcnt vmcnt(11) lgkmcnt(0)
	v_mul_f32_e32 v59, v50, v55
	v_fmac_f32_e32 v59, v51, v54
	v_add_f32_e32 v58, v58, v59
	v_mul_f32_e32 v59, v52, v57
	v_fmac_f32_e32 v59, v53, v56
	v_add_f32_e32 v66, v58, v59
	ds_read2_b64 v[58:61], v102 offset0:85 offset1:86
	v_mul_f32_e32 v3, v35, v39
	v_fma_f32 v3, v34, v38, -v3
	v_add_f32_e32 v2, v2, v3
	v_mul_f32_e32 v3, v37, v41
	;; [unrolled: 36-line block ×5, first 2 shown]
	s_waitcnt vmcnt(1) lgkmcnt(0)
	v_mul_f32_e32 v140, v132, v137
	v_fmac_f32_e32 v140, v133, v136
	v_add_f32_e32 v103, v103, v140
	v_mul_f32_e32 v140, v134, v139
	v_fmac_f32_e32 v140, v135, v138
	v_add_f32_e32 v149, v103, v140
	ds_read2_b64 v[140:143], v102 offset0:105 offset1:106
	scratch_load_dwordx4 v[160:163], off, off offset:392
	scratch_load_dwordx4 v[164:167], off, off offset:408
	;; [unrolled: 1-line block ×4, first 2 shown]
	v_fma_f32 v3, v84, v88, -v3
	v_add_f32_e32 v2, v2, v3
	v_mul_f32_e32 v3, v91, v95
	v_fma_f32 v3, v90, v94, -v3
	v_add_f32_e32 v2, v2, v3
	v_mul_f32_e32 v3, v93, v97
	;; [unrolled: 3-line block ×12, first 2 shown]
	v_fma_f32 v3, v134, v138, -v3
	v_add_f32_e32 v148, v2, v3
	s_waitcnt vmcnt(4) lgkmcnt(0)
	v_mul_f32_e32 v2, v141, v145
	v_fma_f32 v176, v140, v144, -v2
	v_mul_f32_e32 v2, v143, v147
	v_fma_f32 v178, v142, v146, -v2
	ds_read2_b64 v[2:5], v102 offset0:107 offset1:108
	ds_read2_b64 v[6:9], v102 offset0:109 offset1:110
	;; [unrolled: 1-line block ×4, first 2 shown]
	v_mul_f32_e32 v177, v140, v145
	v_fmac_f32_e32 v177, v141, v144
	v_mul_f32_e32 v179, v142, v147
	v_fmac_f32_e32 v179, v143, v146
	v_pk_add_f32 v[18:19], v[148:149], v[176:177]
	s_waitcnt vmcnt(3) lgkmcnt(3)
	v_pk_mul_f32 v[20:21], v[2:3], v[160:161] op_sel:[1,1] op_sel_hi:[0,1]
	v_pk_fma_f32 v[22:23], v[2:3], v[160:161], v[20:21] neg_lo:[0,0,1] neg_hi:[0,0,1]
	v_pk_fma_f32 v[2:3], v[2:3], v[160:161], v[20:21] op_sel_hi:[1,0,1]
	v_pk_add_f32 v[18:19], v[18:19], v[178:179]
	v_mov_b32_e32 v23, v3
	v_pk_add_f32 v[2:3], v[18:19], v[22:23]
	v_mov_b32_e32 v18, v163
	v_pk_mul_f32 v[18:19], v[4:5], v[18:19] op_sel:[1,0] op_sel_hi:[0,0]
	v_pk_fma_f32 v[20:21], v[4:5], v[162:163], v[18:19] neg_lo:[0,0,1] neg_hi:[0,0,1]
	v_pk_fma_f32 v[4:5], v[4:5], v[162:163], v[18:19] op_sel_hi:[1,0,1]
	s_nop 0
	v_mov_b32_e32 v21, v5
	s_waitcnt vmcnt(2) lgkmcnt(2)
	v_pk_mul_f32 v[4:5], v[6:7], v[164:165] op_sel:[1,1] op_sel_hi:[0,1]
	v_pk_fma_f32 v[18:19], v[6:7], v[164:165], v[4:5] neg_lo:[0,0,1] neg_hi:[0,0,1]
	v_pk_fma_f32 v[4:5], v[6:7], v[164:165], v[4:5] op_sel_hi:[1,0,1]
	v_pk_add_f32 v[2:3], v[2:3], v[20:21]
	v_mov_b32_e32 v4, v167
	v_mov_b32_e32 v19, v5
	v_pk_mul_f32 v[4:5], v[8:9], v[4:5] op_sel:[1,0] op_sel_hi:[0,0]
	v_pk_fma_f32 v[6:7], v[8:9], v[166:167], v[4:5] neg_lo:[0,0,1] neg_hi:[0,0,1]
	v_pk_fma_f32 v[4:5], v[8:9], v[166:167], v[4:5] op_sel_hi:[1,0,1]
	v_pk_add_f32 v[2:3], v[2:3], v[18:19]
	v_mov_b32_e32 v7, v5
	s_waitcnt vmcnt(1) lgkmcnt(1)
	v_pk_mul_f32 v[4:5], v[10:11], v[168:169] op_sel:[1,1] op_sel_hi:[0,1]
	v_pk_add_f32 v[2:3], v[2:3], v[6:7]
	v_pk_fma_f32 v[6:7], v[10:11], v[168:169], v[4:5] neg_lo:[0,0,1] neg_hi:[0,0,1]
	v_pk_fma_f32 v[4:5], v[10:11], v[168:169], v[4:5] op_sel_hi:[1,0,1]
	s_nop 0
	v_mov_b32_e32 v4, v171
	v_mov_b32_e32 v7, v5
	v_pk_mul_f32 v[4:5], v[12:13], v[4:5] op_sel:[1,0] op_sel_hi:[0,0]
	v_pk_add_f32 v[2:3], v[2:3], v[6:7]
	v_pk_fma_f32 v[6:7], v[12:13], v[170:171], v[4:5] neg_lo:[0,0,1] neg_hi:[0,0,1]
	v_pk_fma_f32 v[4:5], v[12:13], v[170:171], v[4:5] op_sel_hi:[1,0,1]
	s_nop 0
	v_mov_b32_e32 v7, v5
	s_waitcnt vmcnt(0) lgkmcnt(0)
	v_pk_mul_f32 v[4:5], v[14:15], v[172:173] op_sel:[1,1] op_sel_hi:[0,1]
	v_pk_add_f32 v[2:3], v[2:3], v[6:7]
	v_pk_fma_f32 v[6:7], v[14:15], v[172:173], v[4:5] neg_lo:[0,0,1] neg_hi:[0,0,1]
	v_pk_fma_f32 v[4:5], v[14:15], v[172:173], v[4:5] op_sel_hi:[1,0,1]
	s_nop 0
	v_mov_b32_e32 v4, v175
	v_mov_b32_e32 v7, v5
	v_pk_mul_f32 v[4:5], v[16:17], v[4:5] op_sel:[1,0] op_sel_hi:[0,0]
	v_pk_add_f32 v[2:3], v[2:3], v[6:7]
	v_pk_fma_f32 v[6:7], v[16:17], v[174:175], v[4:5] neg_lo:[0,0,1] neg_hi:[0,0,1]
	v_pk_fma_f32 v[4:5], v[16:17], v[174:175], v[4:5] op_sel_hi:[1,0,1]
	s_nop 0
	v_mov_b32_e32 v7, v5
	scratch_load_dwordx2 v[4:5], off, off offset:96
	v_pk_add_f32 v[2:3], v[2:3], v[6:7]
	s_waitcnt vmcnt(0)
	v_pk_add_f32 v[2:3], v[4:5], v[2:3] neg_lo:[0,1] neg_hi:[0,1]
	scratch_store_dwordx2 off, v[2:3], off offset:96
	s_and_saveexec_b64 s[0:1], vcc
	s_cbranch_execz .LBB120_333
; %bb.332:
	scratch_load_dwordx2 v[2:3], off, off offset:88
	v_mov_b32_e32 v4, 0
	v_mov_b32_e32 v5, v4
	scratch_store_dwordx2 off, v[4:5], off offset:88
	s_waitcnt vmcnt(1)
	ds_write_b64 v1, v[2:3]
.LBB120_333:
	s_or_b64 exec, exec, s[0:1]
	v_mov_b32_e32 v110, 0
	s_waitcnt lgkmcnt(0)
	; wave barrier
	ds_read_b128 v[14:17], v110 offset:560
	ds_read_b128 v[10:13], v110 offset:576
	ds_read_b128 v[6:9], v110 offset:592
	ds_read_b128 v[2:5], v110 offset:608
	scratch_load_dwordx4 v[18:21], off, off offset:96
	scratch_load_dwordx4 v[38:41], off, off offset:160
	;; [unrolled: 1-line block ×13, first 2 shown]
	v_cmp_lt_u32_e32 vcc, 10, v0
	scratch_load_dwordx4 v[46:49], off, off offset:176
	scratch_load_dwordx4 v[54:57], off, off offset:192
	;; [unrolled: 1-line block ×3, first 2 shown]
	ds_read_b128 v[160:163], v110 offset:848
	s_waitcnt vmcnt(15) lgkmcnt(4)
	v_mul_f32_e32 v22, v14, v19
	v_fmac_f32_e32 v22, v15, v18
	v_mul_f32_e32 v23, v16, v21
	v_add_f32_e32 v22, 0, v22
	v_fmac_f32_e32 v23, v17, v20
	v_add_f32_e32 v26, v22, v23
	scratch_load_dwordx4 v[22:25], off, off offset:112
	v_mul_f32_e32 v15, v15, v19
	v_fma_f32 v14, v14, v18, -v15
	v_mul_f32_e32 v15, v17, v21
	v_add_f32_e32 v14, 0, v14
	v_fma_f32 v15, v16, v20, -v15
	v_add_f32_e32 v14, v14, v15
	s_waitcnt vmcnt(4)
	v_mov_b32_e32 v18, v167
	s_waitcnt lgkmcnt(0)
	v_mul_f32_e32 v183, v160, v165
	v_pk_mul_f32 v[18:19], v[162:163], v[18:19] op_sel:[1,0] op_sel_hi:[0,0]
	v_fmac_f32_e32 v183, v161, v164
	v_pk_fma_f32 v[20:21], v[162:163], v[166:167], v[18:19] neg_lo:[0,0,1] neg_hi:[0,0,1]
	v_pk_fma_f32 v[18:19], v[162:163], v[166:167], v[18:19] op_sel_hi:[1,0,1]
	s_waitcnt vmcnt(0)
	v_mul_f32_e32 v27, v10, v23
	v_fmac_f32_e32 v27, v11, v22
	v_add_f32_e32 v26, v26, v27
	v_mul_f32_e32 v27, v12, v25
	v_fmac_f32_e32 v27, v13, v24
	v_add_f32_e32 v30, v26, v27
	scratch_load_dwordx4 v[26:29], off, off offset:128
	v_mul_f32_e32 v11, v11, v23
	v_fma_f32 v10, v10, v22, -v11
	v_mul_f32_e32 v11, v13, v25
	v_add_f32_e32 v10, v14, v10
	v_fma_f32 v11, v12, v24, -v11
	v_add_f32_e32 v10, v10, v11
	v_mov_b32_e32 v21, v19
	s_waitcnt vmcnt(0)
	v_mul_f32_e32 v31, v6, v27
	v_fmac_f32_e32 v31, v7, v26
	v_add_f32_e32 v30, v30, v31
	v_mul_f32_e32 v31, v8, v29
	v_fmac_f32_e32 v31, v9, v28
	v_add_f32_e32 v34, v30, v31
	scratch_load_dwordx4 v[30:33], off, off offset:144
	v_mul_f32_e32 v7, v7, v27
	v_fma_f32 v6, v6, v26, -v7
	v_mul_f32_e32 v7, v9, v29
	v_add_f32_e32 v6, v10, v6
	v_fma_f32 v7, v8, v28, -v7
	v_add_f32_e32 v6, v6, v7
	s_waitcnt vmcnt(0)
	v_mul_f32_e32 v35, v2, v31
	v_fmac_f32_e32 v35, v3, v30
	v_add_f32_e32 v34, v34, v35
	v_mul_f32_e32 v35, v4, v33
	v_fmac_f32_e32 v35, v5, v32
	v_add_f32_e32 v42, v34, v35
	ds_read_b128 v[34:37], v110 offset:624
	v_mul_f32_e32 v3, v3, v31
	v_fma_f32 v2, v2, v30, -v3
	v_mul_f32_e32 v3, v5, v33
	v_add_f32_e32 v2, v6, v2
	s_waitcnt lgkmcnt(0)
	v_mul_f32_e32 v43, v34, v39
	v_fmac_f32_e32 v43, v35, v38
	v_add_f32_e32 v42, v42, v43
	v_mul_f32_e32 v43, v36, v41
	v_fmac_f32_e32 v43, v37, v40
	v_add_f32_e32 v50, v42, v43
	ds_read_b128 v[42:45], v110 offset:640
	v_fma_f32 v3, v4, v32, -v3
	v_add_f32_e32 v2, v2, v3
	v_mul_f32_e32 v3, v35, v39
	v_fma_f32 v3, v34, v38, -v3
	s_waitcnt lgkmcnt(0)
	v_mul_f32_e32 v51, v42, v47
	v_fmac_f32_e32 v51, v43, v46
	v_add_f32_e32 v50, v50, v51
	v_mul_f32_e32 v51, v44, v49
	v_fmac_f32_e32 v51, v45, v48
	v_add_f32_e32 v58, v50, v51
	ds_read_b128 v[50:53], v110 offset:656
	v_add_f32_e32 v2, v2, v3
	v_mul_f32_e32 v3, v37, v41
	v_fma_f32 v3, v36, v40, -v3
	v_add_f32_e32 v2, v2, v3
	s_waitcnt lgkmcnt(0)
	v_mul_f32_e32 v59, v50, v55
	v_fmac_f32_e32 v59, v51, v54
	v_add_f32_e32 v58, v58, v59
	v_mul_f32_e32 v59, v52, v57
	v_fmac_f32_e32 v59, v53, v56
	v_add_f32_e32 v66, v58, v59
	ds_read_b128 v[58:61], v110 offset:672
	v_mul_f32_e32 v3, v43, v47
	v_fma_f32 v3, v42, v46, -v3
	v_add_f32_e32 v2, v2, v3
	v_mul_f32_e32 v3, v45, v49
	s_waitcnt lgkmcnt(0)
	v_mul_f32_e32 v67, v58, v63
	v_fmac_f32_e32 v67, v59, v62
	v_add_f32_e32 v66, v66, v67
	v_mul_f32_e32 v67, v60, v65
	v_fmac_f32_e32 v67, v61, v64
	v_add_f32_e32 v74, v66, v67
	ds_read_b128 v[66:69], v110 offset:688
	v_fma_f32 v3, v44, v48, -v3
	v_add_f32_e32 v2, v2, v3
	v_mul_f32_e32 v3, v51, v55
	v_fma_f32 v3, v50, v54, -v3
	s_waitcnt lgkmcnt(0)
	v_mul_f32_e32 v75, v66, v71
	v_fmac_f32_e32 v75, v67, v70
	v_add_f32_e32 v74, v74, v75
	v_mul_f32_e32 v75, v68, v73
	v_fmac_f32_e32 v75, v69, v72
	v_add_f32_e32 v82, v74, v75
	ds_read_b128 v[74:77], v110 offset:704
	v_add_f32_e32 v2, v2, v3
	v_mul_f32_e32 v3, v53, v57
	v_fma_f32 v3, v52, v56, -v3
	v_add_f32_e32 v2, v2, v3
	s_waitcnt lgkmcnt(0)
	v_mul_f32_e32 v83, v74, v79
	v_fmac_f32_e32 v83, v75, v78
	v_add_f32_e32 v82, v82, v83
	v_mul_f32_e32 v83, v76, v81
	v_fmac_f32_e32 v83, v77, v80
	v_add_f32_e32 v90, v82, v83
	ds_read_b128 v[82:85], v110 offset:720
	v_mul_f32_e32 v3, v59, v63
	v_fma_f32 v3, v58, v62, -v3
	v_add_f32_e32 v2, v2, v3
	v_mul_f32_e32 v3, v61, v65
	;; [unrolled: 36-line block ×4, first 2 shown]
	s_waitcnt lgkmcnt(0)
	v_mul_f32_e32 v140, v132, v137
	v_fmac_f32_e32 v140, v133, v136
	v_add_f32_e32 v111, v111, v140
	v_mul_f32_e32 v140, v134, v139
	v_fmac_f32_e32 v140, v135, v138
	v_add_f32_e32 v111, v111, v140
	ds_read_b128 v[140:143], v110 offset:832
	scratch_load_dwordx4 v[168:171], off, off offset:400
	scratch_load_dwordx4 v[172:175], off, off offset:416
	;; [unrolled: 1-line block ×3, first 2 shown]
	scratch_load_dwordx2 v[184:185], off, off offset:448
	v_fma_f32 v3, v92, v96, -v3
	v_add_f32_e32 v2, v2, v3
	v_mul_f32_e32 v3, v99, v103
	v_fma_f32 v3, v98, v102, -v3
	v_add_f32_e32 v2, v2, v3
	v_mul_f32_e32 v3, v101, v105
	;; [unrolled: 3-line block ×10, first 2 shown]
	v_fma_f32 v3, v134, v138, -v3
	s_waitcnt lgkmcnt(0)
	v_mul_f32_e32 v148, v140, v145
	v_add_f32_e32 v2, v2, v3
	v_mul_f32_e32 v3, v141, v145
	v_fmac_f32_e32 v148, v141, v144
	v_fma_f32 v3, v140, v144, -v3
	v_add_f32_e32 v149, v111, v148
	v_add_f32_e32 v148, v2, v3
	v_mul_f32_e32 v2, v143, v147
	v_mul_f32_e32 v181, v142, v147
	v_fma_f32 v180, v142, v146, -v2
	v_mul_f32_e32 v2, v161, v165
	v_fmac_f32_e32 v181, v143, v146
	v_fma_f32 v182, v160, v164, -v2
	ds_read_b128 v[2:5], v110 offset:864
	ds_read_b128 v[6:9], v110 offset:880
	;; [unrolled: 1-line block ×3, first 2 shown]
	ds_read_b64 v[14:15], v110 offset:912
	v_pk_add_f32 v[16:17], v[148:149], v[180:181]
	s_waitcnt vmcnt(3) lgkmcnt(3)
	v_pk_mul_f32 v[18:19], v[2:3], v[168:169] op_sel:[1,1] op_sel_hi:[0,1]
	v_pk_add_f32 v[16:17], v[16:17], v[182:183]
	s_nop 0
	v_pk_add_f32 v[16:17], v[16:17], v[20:21]
	v_pk_fma_f32 v[20:21], v[2:3], v[168:169], v[18:19] neg_lo:[0,0,1] neg_hi:[0,0,1]
	v_pk_fma_f32 v[2:3], v[2:3], v[168:169], v[18:19] op_sel_hi:[1,0,1]
	s_nop 0
	v_mov_b32_e32 v21, v3
	v_pk_add_f32 v[2:3], v[16:17], v[20:21]
	v_mov_b32_e32 v16, v171
	v_pk_mul_f32 v[16:17], v[4:5], v[16:17] op_sel:[1,0] op_sel_hi:[0,0]
	v_pk_fma_f32 v[18:19], v[4:5], v[170:171], v[16:17] neg_lo:[0,0,1] neg_hi:[0,0,1]
	v_pk_fma_f32 v[4:5], v[4:5], v[170:171], v[16:17] op_sel_hi:[1,0,1]
	s_nop 0
	v_mov_b32_e32 v19, v5
	s_waitcnt vmcnt(2) lgkmcnt(2)
	v_pk_mul_f32 v[4:5], v[6:7], v[172:173] op_sel:[1,1] op_sel_hi:[0,1]
	v_pk_fma_f32 v[16:17], v[6:7], v[172:173], v[4:5] neg_lo:[0,0,1] neg_hi:[0,0,1]
	v_pk_fma_f32 v[4:5], v[6:7], v[172:173], v[4:5] op_sel_hi:[1,0,1]
	v_pk_add_f32 v[2:3], v[2:3], v[18:19]
	v_mov_b32_e32 v4, v175
	v_mov_b32_e32 v17, v5
	v_pk_mul_f32 v[4:5], v[8:9], v[4:5] op_sel:[1,0] op_sel_hi:[0,0]
	v_pk_fma_f32 v[6:7], v[8:9], v[174:175], v[4:5] neg_lo:[0,0,1] neg_hi:[0,0,1]
	v_pk_fma_f32 v[4:5], v[8:9], v[174:175], v[4:5] op_sel_hi:[1,0,1]
	v_pk_add_f32 v[2:3], v[2:3], v[16:17]
	v_mov_b32_e32 v7, v5
	s_waitcnt vmcnt(1) lgkmcnt(1)
	v_pk_mul_f32 v[4:5], v[10:11], v[176:177] op_sel:[1,1] op_sel_hi:[0,1]
	v_pk_add_f32 v[2:3], v[2:3], v[6:7]
	v_pk_fma_f32 v[6:7], v[10:11], v[176:177], v[4:5] neg_lo:[0,0,1] neg_hi:[0,0,1]
	v_pk_fma_f32 v[4:5], v[10:11], v[176:177], v[4:5] op_sel_hi:[1,0,1]
	s_nop 0
	v_mov_b32_e32 v4, v179
	v_mov_b32_e32 v7, v5
	v_pk_mul_f32 v[4:5], v[12:13], v[4:5] op_sel:[1,0] op_sel_hi:[0,0]
	v_pk_add_f32 v[2:3], v[2:3], v[6:7]
	v_pk_fma_f32 v[6:7], v[12:13], v[178:179], v[4:5] neg_lo:[0,0,1] neg_hi:[0,0,1]
	v_pk_fma_f32 v[4:5], v[12:13], v[178:179], v[4:5] op_sel_hi:[1,0,1]
	s_nop 0
	v_mov_b32_e32 v7, v5
	s_waitcnt vmcnt(0) lgkmcnt(0)
	v_pk_mul_f32 v[4:5], v[14:15], v[184:185] op_sel:[1,1] op_sel_hi:[0,1]
	v_pk_add_f32 v[2:3], v[2:3], v[6:7]
	v_pk_fma_f32 v[6:7], v[14:15], v[184:185], v[4:5] neg_lo:[0,0,1] neg_hi:[0,0,1]
	v_pk_fma_f32 v[4:5], v[14:15], v[184:185], v[4:5] op_sel_hi:[1,0,1]
	s_nop 0
	v_mov_b32_e32 v7, v5
	scratch_load_dwordx2 v[4:5], off, off offset:88
	v_pk_add_f32 v[2:3], v[2:3], v[6:7]
	s_waitcnt vmcnt(0)
	v_pk_add_f32 v[2:3], v[4:5], v[2:3] neg_lo:[0,1] neg_hi:[0,1]
	scratch_store_dwordx2 off, v[2:3], off offset:88
	s_and_saveexec_b64 s[0:1], vcc
	s_cbranch_execz .LBB120_335
; %bb.334:
	scratch_load_dwordx2 v[2:3], off, off offset:80
	v_mov_b32_e32 v111, v110
	scratch_store_dwordx2 off, v[110:111], off offset:80
	s_waitcnt vmcnt(1)
	ds_write_b64 v1, v[2:3]
.LBB120_335:
	s_or_b64 exec, exec, s[0:1]
	s_waitcnt lgkmcnt(0)
	; wave barrier
	scratch_load_dwordx4 v[6:9], off, off offset:88
	scratch_load_dwordx4 v[14:17], off, off offset:104
	;; [unrolled: 1-line block ×10, first 2 shown]
	ds_read2_b64 v[2:5], v110 offset0:69 offset1:70
	ds_read2_b64 v[160:163], v110 offset0:105 offset1:106
	scratch_load_dwordx4 v[86:89], off, off offset:248
	scratch_load_dwordx4 v[94:97], off, off offset:264
	;; [unrolled: 1-line block ×9, first 2 shown]
	v_cmp_lt_u32_e32 vcc, 9, v0
	s_waitcnt vmcnt(18) lgkmcnt(1)
	v_mul_f32_e32 v10, v2, v7
	v_fmac_f32_e32 v10, v3, v6
	v_mul_f32_e32 v11, v4, v9
	v_add_f32_e32 v10, 0, v10
	v_fmac_f32_e32 v11, v5, v8
	v_add_f32_e32 v18, v10, v11
	ds_read2_b64 v[10:13], v110 offset0:71 offset1:72
	v_mul_f32_e32 v3, v3, v7
	v_fma_f32 v2, v2, v6, -v3
	v_mul_f32_e32 v3, v5, v9
	v_add_f32_e32 v2, 0, v2
	s_waitcnt vmcnt(17) lgkmcnt(0)
	v_mul_f32_e32 v19, v10, v15
	v_fmac_f32_e32 v19, v11, v14
	v_add_f32_e32 v18, v18, v19
	v_mul_f32_e32 v19, v12, v17
	v_fmac_f32_e32 v19, v13, v16
	v_add_f32_e32 v26, v18, v19
	ds_read2_b64 v[18:21], v110 offset0:73 offset1:74
	v_fma_f32 v3, v4, v8, -v3
	v_add_f32_e32 v2, v2, v3
	v_mul_f32_e32 v3, v11, v15
	v_fma_f32 v3, v10, v14, -v3
	s_waitcnt vmcnt(16) lgkmcnt(0)
	v_mul_f32_e32 v27, v18, v23
	v_fmac_f32_e32 v27, v19, v22
	v_add_f32_e32 v26, v26, v27
	v_mul_f32_e32 v27, v20, v25
	v_fmac_f32_e32 v27, v21, v24
	v_add_f32_e32 v34, v26, v27
	ds_read2_b64 v[26:29], v110 offset0:75 offset1:76
	v_add_f32_e32 v2, v2, v3
	v_mul_f32_e32 v3, v13, v17
	v_fma_f32 v3, v12, v16, -v3
	v_add_f32_e32 v2, v2, v3
	s_waitcnt vmcnt(15) lgkmcnt(0)
	v_mul_f32_e32 v35, v26, v31
	v_fmac_f32_e32 v35, v27, v30
	v_add_f32_e32 v34, v34, v35
	v_mul_f32_e32 v35, v28, v33
	v_fmac_f32_e32 v35, v29, v32
	v_add_f32_e32 v42, v34, v35
	ds_read2_b64 v[34:37], v110 offset0:77 offset1:78
	v_mul_f32_e32 v3, v19, v23
	v_fma_f32 v3, v18, v22, -v3
	v_add_f32_e32 v2, v2, v3
	v_mul_f32_e32 v3, v21, v25
	s_waitcnt vmcnt(14) lgkmcnt(0)
	v_mul_f32_e32 v43, v34, v39
	v_fmac_f32_e32 v43, v35, v38
	v_add_f32_e32 v42, v42, v43
	v_mul_f32_e32 v43, v36, v41
	v_fmac_f32_e32 v43, v37, v40
	v_add_f32_e32 v50, v42, v43
	ds_read2_b64 v[42:45], v110 offset0:79 offset1:80
	v_fma_f32 v3, v20, v24, -v3
	v_add_f32_e32 v2, v2, v3
	v_mul_f32_e32 v3, v27, v31
	v_fma_f32 v3, v26, v30, -v3
	s_waitcnt vmcnt(13) lgkmcnt(0)
	v_mul_f32_e32 v51, v42, v47
	v_fmac_f32_e32 v51, v43, v46
	v_add_f32_e32 v50, v50, v51
	v_mul_f32_e32 v51, v44, v49
	v_fmac_f32_e32 v51, v45, v48
	v_add_f32_e32 v58, v50, v51
	ds_read2_b64 v[50:53], v110 offset0:81 offset1:82
	v_add_f32_e32 v2, v2, v3
	v_mul_f32_e32 v3, v29, v33
	v_fma_f32 v3, v28, v32, -v3
	v_add_f32_e32 v2, v2, v3
	s_waitcnt vmcnt(12) lgkmcnt(0)
	v_mul_f32_e32 v59, v50, v55
	v_fmac_f32_e32 v59, v51, v54
	v_add_f32_e32 v58, v58, v59
	v_mul_f32_e32 v59, v52, v57
	v_fmac_f32_e32 v59, v53, v56
	v_add_f32_e32 v66, v58, v59
	ds_read2_b64 v[58:61], v110 offset0:83 offset1:84
	v_mul_f32_e32 v3, v35, v39
	v_fma_f32 v3, v34, v38, -v3
	v_add_f32_e32 v2, v2, v3
	v_mul_f32_e32 v3, v37, v41
	;; [unrolled: 36-line block ×5, first 2 shown]
	s_waitcnt vmcnt(2) lgkmcnt(0)
	v_mul_f32_e32 v140, v132, v137
	v_fmac_f32_e32 v140, v133, v136
	v_add_f32_e32 v111, v111, v140
	v_mul_f32_e32 v140, v134, v139
	v_fmac_f32_e32 v140, v135, v138
	v_add_f32_e32 v111, v111, v140
	ds_read2_b64 v[140:143], v110 offset0:103 offset1:104
	scratch_load_dwordx4 v[168:171], off, off offset:392
	scratch_load_dwordx4 v[172:175], off, off offset:408
	;; [unrolled: 1-line block ×4, first 2 shown]
	v_fma_f32 v3, v84, v88, -v3
	v_add_f32_e32 v2, v2, v3
	v_mul_f32_e32 v3, v91, v95
	v_fma_f32 v3, v90, v94, -v3
	v_add_f32_e32 v2, v2, v3
	v_mul_f32_e32 v3, v93, v97
	v_fma_f32 v3, v92, v96, -v3
	v_add_f32_e32 v2, v2, v3
	v_mul_f32_e32 v3, v99, v103
	v_fma_f32 v3, v98, v102, -v3
	v_add_f32_e32 v2, v2, v3
	v_mul_f32_e32 v3, v101, v105
	v_fma_f32 v3, v100, v104, -v3
	v_add_f32_e32 v2, v2, v3
	v_mul_f32_e32 v3, v107, v113
	v_fma_f32 v3, v106, v112, -v3
	v_add_f32_e32 v2, v2, v3
	v_mul_f32_e32 v3, v109, v115
	v_fma_f32 v3, v108, v114, -v3
	v_add_f32_e32 v2, v2, v3
	v_mul_f32_e32 v3, v117, v121
	v_fma_f32 v3, v116, v120, -v3
	v_add_f32_e32 v2, v2, v3
	v_mul_f32_e32 v3, v119, v123
	v_fma_f32 v3, v118, v122, -v3
	v_add_f32_e32 v2, v2, v3
	v_mul_f32_e32 v3, v125, v129
	v_fma_f32 v3, v124, v128, -v3
	v_add_f32_e32 v2, v2, v3
	v_mul_f32_e32 v3, v127, v131
	v_fma_f32 v3, v126, v130, -v3
	v_add_f32_e32 v2, v2, v3
	v_mul_f32_e32 v3, v133, v137
	v_fma_f32 v3, v132, v136, -v3
	v_add_f32_e32 v2, v2, v3
	v_mul_f32_e32 v3, v135, v139
	v_fma_f32 v3, v134, v138, -v3
	s_waitcnt vmcnt(5) lgkmcnt(0)
	v_mul_f32_e32 v148, v140, v145
	v_add_f32_e32 v2, v2, v3
	v_mul_f32_e32 v3, v141, v145
	v_fmac_f32_e32 v148, v141, v144
	v_fma_f32 v3, v140, v144, -v3
	v_add_f32_e32 v111, v111, v148
	v_mul_f32_e32 v148, v142, v147
	v_add_f32_e32 v2, v2, v3
	v_mul_f32_e32 v3, v143, v147
	v_fmac_f32_e32 v148, v143, v146
	v_fma_f32 v3, v142, v146, -v3
	v_add_f32_e32 v149, v111, v148
	v_add_f32_e32 v148, v2, v3
	s_waitcnt vmcnt(4)
	v_mul_f32_e32 v2, v161, v165
	v_fma_f32 v184, v160, v164, -v2
	v_mul_f32_e32 v2, v163, v167
	v_fma_f32 v186, v162, v166, -v2
	ds_read2_b64 v[2:5], v110 offset0:107 offset1:108
	ds_read2_b64 v[6:9], v110 offset0:109 offset1:110
	;; [unrolled: 1-line block ×4, first 2 shown]
	v_mul_f32_e32 v185, v160, v165
	v_fmac_f32_e32 v185, v161, v164
	v_mul_f32_e32 v187, v162, v167
	v_fmac_f32_e32 v187, v163, v166
	v_pk_add_f32 v[18:19], v[148:149], v[184:185]
	s_waitcnt vmcnt(3) lgkmcnt(3)
	v_pk_mul_f32 v[20:21], v[2:3], v[168:169] op_sel:[1,1] op_sel_hi:[0,1]
	v_pk_fma_f32 v[22:23], v[2:3], v[168:169], v[20:21] neg_lo:[0,0,1] neg_hi:[0,0,1]
	v_pk_fma_f32 v[2:3], v[2:3], v[168:169], v[20:21] op_sel_hi:[1,0,1]
	v_pk_add_f32 v[18:19], v[18:19], v[186:187]
	v_mov_b32_e32 v23, v3
	v_pk_add_f32 v[2:3], v[18:19], v[22:23]
	v_mov_b32_e32 v18, v171
	v_pk_mul_f32 v[18:19], v[4:5], v[18:19] op_sel:[1,0] op_sel_hi:[0,0]
	v_pk_fma_f32 v[20:21], v[4:5], v[170:171], v[18:19] neg_lo:[0,0,1] neg_hi:[0,0,1]
	v_pk_fma_f32 v[4:5], v[4:5], v[170:171], v[18:19] op_sel_hi:[1,0,1]
	s_nop 0
	v_mov_b32_e32 v21, v5
	s_waitcnt vmcnt(2) lgkmcnt(2)
	v_pk_mul_f32 v[4:5], v[6:7], v[172:173] op_sel:[1,1] op_sel_hi:[0,1]
	v_pk_fma_f32 v[18:19], v[6:7], v[172:173], v[4:5] neg_lo:[0,0,1] neg_hi:[0,0,1]
	v_pk_fma_f32 v[4:5], v[6:7], v[172:173], v[4:5] op_sel_hi:[1,0,1]
	v_pk_add_f32 v[2:3], v[2:3], v[20:21]
	v_mov_b32_e32 v4, v175
	v_mov_b32_e32 v19, v5
	v_pk_mul_f32 v[4:5], v[8:9], v[4:5] op_sel:[1,0] op_sel_hi:[0,0]
	v_pk_fma_f32 v[6:7], v[8:9], v[174:175], v[4:5] neg_lo:[0,0,1] neg_hi:[0,0,1]
	v_pk_fma_f32 v[4:5], v[8:9], v[174:175], v[4:5] op_sel_hi:[1,0,1]
	v_pk_add_f32 v[2:3], v[2:3], v[18:19]
	v_mov_b32_e32 v7, v5
	s_waitcnt vmcnt(1) lgkmcnt(1)
	v_pk_mul_f32 v[4:5], v[10:11], v[176:177] op_sel:[1,1] op_sel_hi:[0,1]
	v_pk_add_f32 v[2:3], v[2:3], v[6:7]
	v_pk_fma_f32 v[6:7], v[10:11], v[176:177], v[4:5] neg_lo:[0,0,1] neg_hi:[0,0,1]
	v_pk_fma_f32 v[4:5], v[10:11], v[176:177], v[4:5] op_sel_hi:[1,0,1]
	s_nop 0
	v_mov_b32_e32 v4, v179
	v_mov_b32_e32 v7, v5
	v_pk_mul_f32 v[4:5], v[12:13], v[4:5] op_sel:[1,0] op_sel_hi:[0,0]
	v_pk_add_f32 v[2:3], v[2:3], v[6:7]
	v_pk_fma_f32 v[6:7], v[12:13], v[178:179], v[4:5] neg_lo:[0,0,1] neg_hi:[0,0,1]
	v_pk_fma_f32 v[4:5], v[12:13], v[178:179], v[4:5] op_sel_hi:[1,0,1]
	s_nop 0
	v_mov_b32_e32 v7, v5
	s_waitcnt vmcnt(0) lgkmcnt(0)
	v_pk_mul_f32 v[4:5], v[14:15], v[180:181] op_sel:[1,1] op_sel_hi:[0,1]
	v_pk_add_f32 v[2:3], v[2:3], v[6:7]
	v_pk_fma_f32 v[6:7], v[14:15], v[180:181], v[4:5] neg_lo:[0,0,1] neg_hi:[0,0,1]
	v_pk_fma_f32 v[4:5], v[14:15], v[180:181], v[4:5] op_sel_hi:[1,0,1]
	s_nop 0
	v_mov_b32_e32 v4, v183
	v_mov_b32_e32 v7, v5
	v_pk_mul_f32 v[4:5], v[16:17], v[4:5] op_sel:[1,0] op_sel_hi:[0,0]
	v_pk_add_f32 v[2:3], v[2:3], v[6:7]
	v_pk_fma_f32 v[6:7], v[16:17], v[182:183], v[4:5] neg_lo:[0,0,1] neg_hi:[0,0,1]
	v_pk_fma_f32 v[4:5], v[16:17], v[182:183], v[4:5] op_sel_hi:[1,0,1]
	s_nop 0
	v_mov_b32_e32 v7, v5
	scratch_load_dwordx2 v[4:5], off, off offset:80
	v_pk_add_f32 v[2:3], v[2:3], v[6:7]
	s_waitcnt vmcnt(0)
	v_pk_add_f32 v[2:3], v[4:5], v[2:3] neg_lo:[0,1] neg_hi:[0,1]
	scratch_store_dwordx2 off, v[2:3], off offset:80
	s_and_saveexec_b64 s[0:1], vcc
	s_cbranch_execz .LBB120_337
; %bb.336:
	scratch_load_dwordx2 v[2:3], off, off offset:72
	v_mov_b32_e32 v4, 0
	v_mov_b32_e32 v5, v4
	scratch_store_dwordx2 off, v[4:5], off offset:72
	s_waitcnt vmcnt(1)
	ds_write_b64 v1, v[2:3]
.LBB120_337:
	s_or_b64 exec, exec, s[0:1]
	v_mov_b32_e32 v118, 0
	s_waitcnt lgkmcnt(0)
	; wave barrier
	ds_read_b128 v[14:17], v118 offset:544
	ds_read_b128 v[10:13], v118 offset:560
	;; [unrolled: 1-line block ×4, first 2 shown]
	scratch_load_dwordx4 v[18:21], off, off offset:80
	scratch_load_dwordx4 v[38:41], off, off offset:144
	;; [unrolled: 1-line block ×14, first 2 shown]
	v_cmp_lt_u32_e32 vcc, 8, v0
	scratch_load_dwordx4 v[46:49], off, off offset:160
	scratch_load_dwordx4 v[54:57], off, off offset:176
	;; [unrolled: 1-line block ×3, first 2 shown]
	ds_read_b128 v[160:163], v118 offset:832
	ds_read_b128 v[168:171], v118 offset:848
	s_waitcnt vmcnt(16) lgkmcnt(5)
	v_mul_f32_e32 v22, v14, v19
	v_fmac_f32_e32 v22, v15, v18
	v_mul_f32_e32 v23, v16, v21
	v_add_f32_e32 v22, 0, v22
	v_fmac_f32_e32 v23, v17, v20
	v_add_f32_e32 v26, v22, v23
	scratch_load_dwordx4 v[22:25], off, off offset:96
	v_mul_f32_e32 v15, v15, v19
	v_fma_f32 v14, v14, v18, -v15
	v_mul_f32_e32 v15, v17, v21
	v_add_f32_e32 v14, 0, v14
	v_fma_f32 v15, v16, v20, -v15
	v_add_f32_e32 v14, v14, v15
	s_waitcnt vmcnt(5) lgkmcnt(1)
	v_mul_f32_e32 v189, v162, v167
	s_waitcnt vmcnt(4)
	v_mov_b32_e32 v18, v175
	v_fmac_f32_e32 v189, v163, v166
	s_waitcnt lgkmcnt(0)
	v_mul_f32_e32 v191, v168, v173
	v_pk_mul_f32 v[18:19], v[170:171], v[18:19] op_sel:[1,0] op_sel_hi:[0,0]
	v_fmac_f32_e32 v191, v169, v172
	v_pk_fma_f32 v[20:21], v[170:171], v[174:175], v[18:19] neg_lo:[0,0,1] neg_hi:[0,0,1]
	v_pk_fma_f32 v[18:19], v[170:171], v[174:175], v[18:19] op_sel_hi:[1,0,1]
	s_waitcnt vmcnt(0)
	v_mul_f32_e32 v27, v10, v23
	v_fmac_f32_e32 v27, v11, v22
	v_add_f32_e32 v26, v26, v27
	v_mul_f32_e32 v27, v12, v25
	v_fmac_f32_e32 v27, v13, v24
	v_add_f32_e32 v30, v26, v27
	scratch_load_dwordx4 v[26:29], off, off offset:112
	v_mul_f32_e32 v11, v11, v23
	v_fma_f32 v10, v10, v22, -v11
	v_mul_f32_e32 v11, v13, v25
	v_add_f32_e32 v10, v14, v10
	v_fma_f32 v11, v12, v24, -v11
	v_add_f32_e32 v10, v10, v11
	v_mov_b32_e32 v21, v19
	s_waitcnt vmcnt(0)
	v_mul_f32_e32 v31, v6, v27
	v_fmac_f32_e32 v31, v7, v26
	v_add_f32_e32 v30, v30, v31
	v_mul_f32_e32 v31, v8, v29
	v_fmac_f32_e32 v31, v9, v28
	v_add_f32_e32 v34, v30, v31
	scratch_load_dwordx4 v[30:33], off, off offset:128
	v_mul_f32_e32 v7, v7, v27
	v_fma_f32 v6, v6, v26, -v7
	v_mul_f32_e32 v7, v9, v29
	v_add_f32_e32 v6, v10, v6
	v_fma_f32 v7, v8, v28, -v7
	v_add_f32_e32 v6, v6, v7
	s_waitcnt vmcnt(0)
	v_mul_f32_e32 v35, v2, v31
	v_fmac_f32_e32 v35, v3, v30
	v_add_f32_e32 v34, v34, v35
	v_mul_f32_e32 v35, v4, v33
	v_fmac_f32_e32 v35, v5, v32
	v_add_f32_e32 v42, v34, v35
	ds_read_b128 v[34:37], v118 offset:608
	v_mul_f32_e32 v3, v3, v31
	v_fma_f32 v2, v2, v30, -v3
	v_mul_f32_e32 v3, v5, v33
	v_add_f32_e32 v2, v6, v2
	s_waitcnt lgkmcnt(0)
	v_mul_f32_e32 v43, v34, v39
	v_fmac_f32_e32 v43, v35, v38
	v_add_f32_e32 v42, v42, v43
	v_mul_f32_e32 v43, v36, v41
	v_fmac_f32_e32 v43, v37, v40
	v_add_f32_e32 v50, v42, v43
	ds_read_b128 v[42:45], v118 offset:624
	v_fma_f32 v3, v4, v32, -v3
	v_add_f32_e32 v2, v2, v3
	v_mul_f32_e32 v3, v35, v39
	v_fma_f32 v3, v34, v38, -v3
	s_waitcnt lgkmcnt(0)
	v_mul_f32_e32 v51, v42, v47
	v_fmac_f32_e32 v51, v43, v46
	v_add_f32_e32 v50, v50, v51
	v_mul_f32_e32 v51, v44, v49
	v_fmac_f32_e32 v51, v45, v48
	v_add_f32_e32 v58, v50, v51
	ds_read_b128 v[50:53], v118 offset:640
	v_add_f32_e32 v2, v2, v3
	v_mul_f32_e32 v3, v37, v41
	v_fma_f32 v3, v36, v40, -v3
	v_add_f32_e32 v2, v2, v3
	s_waitcnt lgkmcnt(0)
	v_mul_f32_e32 v59, v50, v55
	v_fmac_f32_e32 v59, v51, v54
	v_add_f32_e32 v58, v58, v59
	v_mul_f32_e32 v59, v52, v57
	v_fmac_f32_e32 v59, v53, v56
	v_add_f32_e32 v66, v58, v59
	ds_read_b128 v[58:61], v118 offset:656
	v_mul_f32_e32 v3, v43, v47
	v_fma_f32 v3, v42, v46, -v3
	v_add_f32_e32 v2, v2, v3
	v_mul_f32_e32 v3, v45, v49
	s_waitcnt lgkmcnt(0)
	v_mul_f32_e32 v67, v58, v63
	v_fmac_f32_e32 v67, v59, v62
	v_add_f32_e32 v66, v66, v67
	v_mul_f32_e32 v67, v60, v65
	v_fmac_f32_e32 v67, v61, v64
	v_add_f32_e32 v74, v66, v67
	ds_read_b128 v[66:69], v118 offset:672
	v_fma_f32 v3, v44, v48, -v3
	v_add_f32_e32 v2, v2, v3
	v_mul_f32_e32 v3, v51, v55
	v_fma_f32 v3, v50, v54, -v3
	s_waitcnt lgkmcnt(0)
	v_mul_f32_e32 v75, v66, v71
	v_fmac_f32_e32 v75, v67, v70
	v_add_f32_e32 v74, v74, v75
	v_mul_f32_e32 v75, v68, v73
	v_fmac_f32_e32 v75, v69, v72
	v_add_f32_e32 v82, v74, v75
	ds_read_b128 v[74:77], v118 offset:688
	v_add_f32_e32 v2, v2, v3
	v_mul_f32_e32 v3, v53, v57
	v_fma_f32 v3, v52, v56, -v3
	v_add_f32_e32 v2, v2, v3
	s_waitcnt lgkmcnt(0)
	v_mul_f32_e32 v83, v74, v79
	v_fmac_f32_e32 v83, v75, v78
	v_add_f32_e32 v82, v82, v83
	v_mul_f32_e32 v83, v76, v81
	v_fmac_f32_e32 v83, v77, v80
	v_add_f32_e32 v90, v82, v83
	ds_read_b128 v[82:85], v118 offset:704
	v_mul_f32_e32 v3, v59, v63
	v_fma_f32 v3, v58, v62, -v3
	v_add_f32_e32 v2, v2, v3
	v_mul_f32_e32 v3, v61, v65
	;; [unrolled: 36-line block ×4, first 2 shown]
	s_waitcnt lgkmcnt(0)
	v_mul_f32_e32 v140, v132, v137
	v_fmac_f32_e32 v140, v133, v136
	v_add_f32_e32 v119, v119, v140
	v_mul_f32_e32 v140, v134, v139
	v_fmac_f32_e32 v140, v135, v138
	v_add_f32_e32 v119, v119, v140
	ds_read_b128 v[140:143], v118 offset:816
	scratch_load_dwordx4 v[176:179], off, off offset:400
	scratch_load_dwordx4 v[180:183], off, off offset:416
	;; [unrolled: 1-line block ×3, first 2 shown]
	scratch_load_dwordx2 v[192:193], off, off offset:448
	v_fma_f32 v3, v92, v96, -v3
	v_add_f32_e32 v2, v2, v3
	v_mul_f32_e32 v3, v99, v103
	v_fma_f32 v3, v98, v102, -v3
	v_add_f32_e32 v2, v2, v3
	v_mul_f32_e32 v3, v101, v105
	;; [unrolled: 3-line block ×10, first 2 shown]
	v_fma_f32 v3, v134, v138, -v3
	s_waitcnt lgkmcnt(0)
	v_mul_f32_e32 v148, v140, v145
	v_add_f32_e32 v2, v2, v3
	v_mul_f32_e32 v3, v141, v145
	v_fmac_f32_e32 v148, v141, v144
	v_fma_f32 v3, v140, v144, -v3
	v_add_f32_e32 v119, v119, v148
	v_mul_f32_e32 v148, v142, v147
	v_add_f32_e32 v2, v2, v3
	v_mul_f32_e32 v3, v143, v147
	v_fmac_f32_e32 v148, v143, v146
	v_fma_f32 v3, v142, v146, -v3
	v_add_f32_e32 v119, v119, v148
	;; [unrolled: 6-line block ×3, first 2 shown]
	v_add_f32_e32 v148, v2, v3
	v_mul_f32_e32 v2, v163, v167
	v_fma_f32 v188, v162, v166, -v2
	v_mul_f32_e32 v2, v169, v173
	v_fma_f32 v190, v168, v172, -v2
	ds_read_b128 v[2:5], v118 offset:864
	ds_read_b128 v[6:9], v118 offset:880
	;; [unrolled: 1-line block ×3, first 2 shown]
	ds_read_b64 v[14:15], v118 offset:912
	v_pk_add_f32 v[16:17], v[148:149], v[188:189]
	s_waitcnt vmcnt(3) lgkmcnt(3)
	v_pk_mul_f32 v[18:19], v[2:3], v[176:177] op_sel:[1,1] op_sel_hi:[0,1]
	v_pk_add_f32 v[16:17], v[16:17], v[190:191]
	s_nop 0
	v_pk_add_f32 v[16:17], v[16:17], v[20:21]
	v_pk_fma_f32 v[20:21], v[2:3], v[176:177], v[18:19] neg_lo:[0,0,1] neg_hi:[0,0,1]
	v_pk_fma_f32 v[2:3], v[2:3], v[176:177], v[18:19] op_sel_hi:[1,0,1]
	s_nop 0
	v_mov_b32_e32 v21, v3
	v_pk_add_f32 v[2:3], v[16:17], v[20:21]
	v_mov_b32_e32 v16, v179
	v_pk_mul_f32 v[16:17], v[4:5], v[16:17] op_sel:[1,0] op_sel_hi:[0,0]
	v_pk_fma_f32 v[18:19], v[4:5], v[178:179], v[16:17] neg_lo:[0,0,1] neg_hi:[0,0,1]
	v_pk_fma_f32 v[4:5], v[4:5], v[178:179], v[16:17] op_sel_hi:[1,0,1]
	s_nop 0
	v_mov_b32_e32 v19, v5
	s_waitcnt vmcnt(2) lgkmcnt(2)
	v_pk_mul_f32 v[4:5], v[6:7], v[180:181] op_sel:[1,1] op_sel_hi:[0,1]
	v_pk_fma_f32 v[16:17], v[6:7], v[180:181], v[4:5] neg_lo:[0,0,1] neg_hi:[0,0,1]
	v_pk_fma_f32 v[4:5], v[6:7], v[180:181], v[4:5] op_sel_hi:[1,0,1]
	v_pk_add_f32 v[2:3], v[2:3], v[18:19]
	v_mov_b32_e32 v4, v183
	v_mov_b32_e32 v17, v5
	v_pk_mul_f32 v[4:5], v[8:9], v[4:5] op_sel:[1,0] op_sel_hi:[0,0]
	v_pk_fma_f32 v[6:7], v[8:9], v[182:183], v[4:5] neg_lo:[0,0,1] neg_hi:[0,0,1]
	v_pk_fma_f32 v[4:5], v[8:9], v[182:183], v[4:5] op_sel_hi:[1,0,1]
	v_pk_add_f32 v[2:3], v[2:3], v[16:17]
	v_mov_b32_e32 v7, v5
	s_waitcnt vmcnt(1) lgkmcnt(1)
	v_pk_mul_f32 v[4:5], v[10:11], v[184:185] op_sel:[1,1] op_sel_hi:[0,1]
	v_pk_add_f32 v[2:3], v[2:3], v[6:7]
	v_pk_fma_f32 v[6:7], v[10:11], v[184:185], v[4:5] neg_lo:[0,0,1] neg_hi:[0,0,1]
	v_pk_fma_f32 v[4:5], v[10:11], v[184:185], v[4:5] op_sel_hi:[1,0,1]
	s_nop 0
	v_mov_b32_e32 v4, v187
	v_mov_b32_e32 v7, v5
	v_pk_mul_f32 v[4:5], v[12:13], v[4:5] op_sel:[1,0] op_sel_hi:[0,0]
	v_pk_add_f32 v[2:3], v[2:3], v[6:7]
	v_pk_fma_f32 v[6:7], v[12:13], v[186:187], v[4:5] neg_lo:[0,0,1] neg_hi:[0,0,1]
	v_pk_fma_f32 v[4:5], v[12:13], v[186:187], v[4:5] op_sel_hi:[1,0,1]
	s_nop 0
	v_mov_b32_e32 v7, v5
	s_waitcnt vmcnt(0) lgkmcnt(0)
	v_pk_mul_f32 v[4:5], v[14:15], v[192:193] op_sel:[1,1] op_sel_hi:[0,1]
	v_pk_add_f32 v[2:3], v[2:3], v[6:7]
	v_pk_fma_f32 v[6:7], v[14:15], v[192:193], v[4:5] neg_lo:[0,0,1] neg_hi:[0,0,1]
	v_pk_fma_f32 v[4:5], v[14:15], v[192:193], v[4:5] op_sel_hi:[1,0,1]
	s_nop 0
	v_mov_b32_e32 v7, v5
	scratch_load_dwordx2 v[4:5], off, off offset:72
	v_pk_add_f32 v[2:3], v[2:3], v[6:7]
	s_waitcnt vmcnt(0)
	v_pk_add_f32 v[2:3], v[4:5], v[2:3] neg_lo:[0,1] neg_hi:[0,1]
	scratch_store_dwordx2 off, v[2:3], off offset:72
	s_and_saveexec_b64 s[0:1], vcc
	s_cbranch_execz .LBB120_339
; %bb.338:
	scratch_load_dwordx2 v[2:3], off, off offset:64
	v_mov_b32_e32 v119, v118
	scratch_store_dwordx2 off, v[118:119], off offset:64
	s_waitcnt vmcnt(1)
	ds_write_b64 v1, v[2:3]
.LBB120_339:
	s_or_b64 exec, exec, s[0:1]
	s_waitcnt lgkmcnt(0)
	; wave barrier
	scratch_load_dwordx4 v[6:9], off, off offset:72
	scratch_load_dwordx4 v[14:17], off, off offset:88
	;; [unrolled: 1-line block ×10, first 2 shown]
	ds_read2_b64 v[2:5], v118 offset0:67 offset1:68
	ds_read2_b64 v[160:163], v118 offset0:103 offset1:104
	scratch_load_dwordx4 v[86:89], off, off offset:232
	scratch_load_dwordx4 v[94:97], off, off offset:248
	;; [unrolled: 1-line block ×10, first 2 shown]
	v_cmp_lt_u32_e32 vcc, 7, v0
	ds_read2_b64 v[168:171], v118 offset0:105 offset1:106
	s_waitcnt vmcnt(19) lgkmcnt(2)
	v_mul_f32_e32 v10, v2, v7
	v_fmac_f32_e32 v10, v3, v6
	v_mul_f32_e32 v11, v4, v9
	v_add_f32_e32 v10, 0, v10
	v_fmac_f32_e32 v11, v5, v8
	v_add_f32_e32 v18, v10, v11
	ds_read2_b64 v[10:13], v118 offset0:69 offset1:70
	v_mul_f32_e32 v3, v3, v7
	v_fma_f32 v2, v2, v6, -v3
	v_mul_f32_e32 v3, v5, v9
	v_add_f32_e32 v2, 0, v2
	s_waitcnt vmcnt(18) lgkmcnt(0)
	v_mul_f32_e32 v19, v10, v15
	v_fmac_f32_e32 v19, v11, v14
	v_add_f32_e32 v18, v18, v19
	v_mul_f32_e32 v19, v12, v17
	v_fmac_f32_e32 v19, v13, v16
	v_add_f32_e32 v26, v18, v19
	ds_read2_b64 v[18:21], v118 offset0:71 offset1:72
	v_fma_f32 v3, v4, v8, -v3
	v_add_f32_e32 v2, v2, v3
	v_mul_f32_e32 v3, v11, v15
	v_fma_f32 v3, v10, v14, -v3
	s_waitcnt vmcnt(17) lgkmcnt(0)
	v_mul_f32_e32 v27, v18, v23
	v_fmac_f32_e32 v27, v19, v22
	v_add_f32_e32 v26, v26, v27
	v_mul_f32_e32 v27, v20, v25
	v_fmac_f32_e32 v27, v21, v24
	v_add_f32_e32 v34, v26, v27
	ds_read2_b64 v[26:29], v118 offset0:73 offset1:74
	v_add_f32_e32 v2, v2, v3
	v_mul_f32_e32 v3, v13, v17
	v_fma_f32 v3, v12, v16, -v3
	v_add_f32_e32 v2, v2, v3
	s_waitcnt vmcnt(16) lgkmcnt(0)
	v_mul_f32_e32 v35, v26, v31
	v_fmac_f32_e32 v35, v27, v30
	v_add_f32_e32 v34, v34, v35
	v_mul_f32_e32 v35, v28, v33
	v_fmac_f32_e32 v35, v29, v32
	v_add_f32_e32 v42, v34, v35
	ds_read2_b64 v[34:37], v118 offset0:75 offset1:76
	v_mul_f32_e32 v3, v19, v23
	v_fma_f32 v3, v18, v22, -v3
	v_add_f32_e32 v2, v2, v3
	v_mul_f32_e32 v3, v21, v25
	s_waitcnt vmcnt(15) lgkmcnt(0)
	v_mul_f32_e32 v43, v34, v39
	v_fmac_f32_e32 v43, v35, v38
	v_add_f32_e32 v42, v42, v43
	v_mul_f32_e32 v43, v36, v41
	v_fmac_f32_e32 v43, v37, v40
	v_add_f32_e32 v50, v42, v43
	ds_read2_b64 v[42:45], v118 offset0:77 offset1:78
	v_fma_f32 v3, v20, v24, -v3
	v_add_f32_e32 v2, v2, v3
	v_mul_f32_e32 v3, v27, v31
	v_fma_f32 v3, v26, v30, -v3
	s_waitcnt vmcnt(14) lgkmcnt(0)
	v_mul_f32_e32 v51, v42, v47
	v_fmac_f32_e32 v51, v43, v46
	v_add_f32_e32 v50, v50, v51
	v_mul_f32_e32 v51, v44, v49
	v_fmac_f32_e32 v51, v45, v48
	v_add_f32_e32 v58, v50, v51
	ds_read2_b64 v[50:53], v118 offset0:79 offset1:80
	v_add_f32_e32 v2, v2, v3
	v_mul_f32_e32 v3, v29, v33
	v_fma_f32 v3, v28, v32, -v3
	v_add_f32_e32 v2, v2, v3
	s_waitcnt vmcnt(13) lgkmcnt(0)
	v_mul_f32_e32 v59, v50, v55
	v_fmac_f32_e32 v59, v51, v54
	v_add_f32_e32 v58, v58, v59
	v_mul_f32_e32 v59, v52, v57
	v_fmac_f32_e32 v59, v53, v56
	v_add_f32_e32 v66, v58, v59
	ds_read2_b64 v[58:61], v118 offset0:81 offset1:82
	v_mul_f32_e32 v3, v35, v39
	v_fma_f32 v3, v34, v38, -v3
	v_add_f32_e32 v2, v2, v3
	v_mul_f32_e32 v3, v37, v41
	s_waitcnt vmcnt(12) lgkmcnt(0)
	v_mul_f32_e32 v67, v58, v63
	v_fmac_f32_e32 v67, v59, v62
	v_add_f32_e32 v66, v66, v67
	v_mul_f32_e32 v67, v60, v65
	v_fmac_f32_e32 v67, v61, v64
	v_add_f32_e32 v74, v66, v67
	ds_read2_b64 v[66:69], v118 offset0:83 offset1:84
	v_fma_f32 v3, v36, v40, -v3
	v_add_f32_e32 v2, v2, v3
	v_mul_f32_e32 v3, v43, v47
	v_fma_f32 v3, v42, v46, -v3
	s_waitcnt vmcnt(11) lgkmcnt(0)
	v_mul_f32_e32 v75, v66, v71
	v_fmac_f32_e32 v75, v67, v70
	v_add_f32_e32 v74, v74, v75
	v_mul_f32_e32 v75, v68, v73
	v_fmac_f32_e32 v75, v69, v72
	v_add_f32_e32 v82, v74, v75
	ds_read2_b64 v[74:77], v118 offset0:85 offset1:86
	v_add_f32_e32 v2, v2, v3
	v_mul_f32_e32 v3, v45, v49
	v_fma_f32 v3, v44, v48, -v3
	v_add_f32_e32 v2, v2, v3
	s_waitcnt vmcnt(10) lgkmcnt(0)
	v_mul_f32_e32 v83, v74, v79
	v_fmac_f32_e32 v83, v75, v78
	v_add_f32_e32 v82, v82, v83
	v_mul_f32_e32 v83, v76, v81
	v_fmac_f32_e32 v83, v77, v80
	v_add_f32_e32 v90, v82, v83
	ds_read2_b64 v[82:85], v118 offset0:87 offset1:88
	v_mul_f32_e32 v3, v51, v55
	v_fma_f32 v3, v50, v54, -v3
	v_add_f32_e32 v2, v2, v3
	v_mul_f32_e32 v3, v53, v57
	s_waitcnt vmcnt(9) lgkmcnt(0)
	v_mul_f32_e32 v91, v82, v87
	v_fmac_f32_e32 v91, v83, v86
	v_add_f32_e32 v90, v90, v91
	v_mul_f32_e32 v91, v84, v89
	v_fmac_f32_e32 v91, v85, v88
	v_add_f32_e32 v98, v90, v91
	ds_read2_b64 v[90:93], v118 offset0:89 offset1:90
	v_fma_f32 v3, v52, v56, -v3
	v_add_f32_e32 v2, v2, v3
	v_mul_f32_e32 v3, v59, v63
	v_fma_f32 v3, v58, v62, -v3
	s_waitcnt vmcnt(8) lgkmcnt(0)
	v_mul_f32_e32 v99, v90, v95
	v_fmac_f32_e32 v99, v91, v94
	v_add_f32_e32 v98, v98, v99
	v_mul_f32_e32 v99, v92, v97
	v_fmac_f32_e32 v99, v93, v96
	v_add_f32_e32 v106, v98, v99
	ds_read2_b64 v[98:101], v118 offset0:91 offset1:92
	v_add_f32_e32 v2, v2, v3
	v_mul_f32_e32 v3, v61, v65
	v_fma_f32 v3, v60, v64, -v3
	v_add_f32_e32 v2, v2, v3
	s_waitcnt vmcnt(7) lgkmcnt(0)
	v_mul_f32_e32 v107, v98, v103
	v_fmac_f32_e32 v107, v99, v102
	v_add_f32_e32 v106, v106, v107
	v_mul_f32_e32 v107, v100, v105
	v_fmac_f32_e32 v107, v101, v104
	v_add_f32_e32 v114, v106, v107
	ds_read2_b64 v[106:109], v118 offset0:93 offset1:94
	v_mul_f32_e32 v3, v67, v71
	v_fma_f32 v3, v66, v70, -v3
	v_add_f32_e32 v2, v2, v3
	v_mul_f32_e32 v3, v69, v73
	s_waitcnt vmcnt(6) lgkmcnt(0)
	v_mul_f32_e32 v115, v106, v111
	v_fmac_f32_e32 v115, v107, v110
	v_add_f32_e32 v114, v114, v115
	v_mul_f32_e32 v115, v108, v113
	v_fmac_f32_e32 v115, v109, v112
	v_add_f32_e32 v119, v114, v115
	ds_read2_b64 v[114:117], v118 offset0:95 offset1:96
	v_fma_f32 v3, v68, v72, -v3
	v_add_f32_e32 v2, v2, v3
	v_mul_f32_e32 v3, v75, v79
	v_fma_f32 v3, v74, v78, -v3
	s_waitcnt vmcnt(5) lgkmcnt(0)
	v_mul_f32_e32 v124, v114, v121
	v_fmac_f32_e32 v124, v115, v120
	v_add_f32_e32 v119, v119, v124
	v_mul_f32_e32 v124, v116, v123
	v_fmac_f32_e32 v124, v117, v122
	v_add_f32_e32 v119, v119, v124
	ds_read2_b64 v[124:127], v118 offset0:97 offset1:98
	v_add_f32_e32 v2, v2, v3
	v_mul_f32_e32 v3, v77, v81
	v_fma_f32 v3, v76, v80, -v3
	v_add_f32_e32 v2, v2, v3
	s_waitcnt vmcnt(4) lgkmcnt(0)
	v_mul_f32_e32 v132, v124, v129
	v_fmac_f32_e32 v132, v125, v128
	v_add_f32_e32 v119, v119, v132
	v_mul_f32_e32 v132, v126, v131
	v_fmac_f32_e32 v132, v127, v130
	v_add_f32_e32 v119, v119, v132
	ds_read2_b64 v[132:135], v118 offset0:99 offset1:100
	v_mul_f32_e32 v3, v83, v87
	v_fma_f32 v3, v82, v86, -v3
	v_add_f32_e32 v2, v2, v3
	v_mul_f32_e32 v3, v85, v89
	s_waitcnt vmcnt(3) lgkmcnt(0)
	v_mul_f32_e32 v140, v132, v137
	v_fmac_f32_e32 v140, v133, v136
	v_add_f32_e32 v119, v119, v140
	v_mul_f32_e32 v140, v134, v139
	v_fmac_f32_e32 v140, v135, v138
	v_add_f32_e32 v119, v119, v140
	ds_read2_b64 v[140:143], v118 offset0:101 offset1:102
	scratch_load_dwordx4 v[176:179], off, off offset:392
	scratch_load_dwordx4 v[180:183], off, off offset:408
	;; [unrolled: 1-line block ×4, first 2 shown]
	v_fma_f32 v3, v84, v88, -v3
	v_add_f32_e32 v2, v2, v3
	v_mul_f32_e32 v3, v91, v95
	v_fma_f32 v3, v90, v94, -v3
	v_add_f32_e32 v2, v2, v3
	v_mul_f32_e32 v3, v93, v97
	;; [unrolled: 3-line block ×12, first 2 shown]
	v_fma_f32 v3, v134, v138, -v3
	s_waitcnt vmcnt(6) lgkmcnt(0)
	v_mul_f32_e32 v148, v140, v145
	v_add_f32_e32 v2, v2, v3
	v_mul_f32_e32 v3, v141, v145
	v_fmac_f32_e32 v148, v141, v144
	v_fma_f32 v3, v140, v144, -v3
	v_add_f32_e32 v119, v119, v148
	v_mul_f32_e32 v148, v142, v147
	v_add_f32_e32 v2, v2, v3
	v_mul_f32_e32 v3, v143, v147
	v_fmac_f32_e32 v148, v143, v146
	v_fma_f32 v3, v142, v146, -v3
	v_add_f32_e32 v119, v119, v148
	s_waitcnt vmcnt(5)
	v_mul_f32_e32 v148, v160, v165
	v_add_f32_e32 v2, v2, v3
	v_mul_f32_e32 v3, v161, v165
	v_fmac_f32_e32 v148, v161, v164
	v_fma_f32 v3, v160, v164, -v3
	v_add_f32_e32 v119, v119, v148
	v_mul_f32_e32 v148, v162, v167
	v_add_f32_e32 v2, v2, v3
	v_mul_f32_e32 v3, v163, v167
	v_fmac_f32_e32 v148, v163, v166
	v_fma_f32 v3, v162, v166, -v3
	v_add_f32_e32 v149, v119, v148
	v_add_f32_e32 v148, v2, v3
	s_waitcnt vmcnt(4)
	v_mul_f32_e32 v2, v169, v173
	v_fma_f32 v192, v168, v172, -v2
	v_mul_f32_e32 v2, v171, v175
	v_fma_f32 v194, v170, v174, -v2
	ds_read2_b64 v[2:5], v118 offset0:107 offset1:108
	ds_read2_b64 v[6:9], v118 offset0:109 offset1:110
	;; [unrolled: 1-line block ×4, first 2 shown]
	v_mul_f32_e32 v193, v168, v173
	v_fmac_f32_e32 v193, v169, v172
	v_mul_f32_e32 v195, v170, v175
	v_fmac_f32_e32 v195, v171, v174
	v_pk_add_f32 v[18:19], v[148:149], v[192:193]
	s_waitcnt vmcnt(3) lgkmcnt(3)
	v_pk_mul_f32 v[20:21], v[2:3], v[176:177] op_sel:[1,1] op_sel_hi:[0,1]
	v_pk_fma_f32 v[22:23], v[2:3], v[176:177], v[20:21] neg_lo:[0,0,1] neg_hi:[0,0,1]
	v_pk_fma_f32 v[2:3], v[2:3], v[176:177], v[20:21] op_sel_hi:[1,0,1]
	v_pk_add_f32 v[18:19], v[18:19], v[194:195]
	v_mov_b32_e32 v23, v3
	v_pk_add_f32 v[2:3], v[18:19], v[22:23]
	v_mov_b32_e32 v18, v179
	v_pk_mul_f32 v[18:19], v[4:5], v[18:19] op_sel:[1,0] op_sel_hi:[0,0]
	v_pk_fma_f32 v[20:21], v[4:5], v[178:179], v[18:19] neg_lo:[0,0,1] neg_hi:[0,0,1]
	v_pk_fma_f32 v[4:5], v[4:5], v[178:179], v[18:19] op_sel_hi:[1,0,1]
	s_nop 0
	v_mov_b32_e32 v21, v5
	s_waitcnt vmcnt(2) lgkmcnt(2)
	v_pk_mul_f32 v[4:5], v[6:7], v[180:181] op_sel:[1,1] op_sel_hi:[0,1]
	v_pk_fma_f32 v[18:19], v[6:7], v[180:181], v[4:5] neg_lo:[0,0,1] neg_hi:[0,0,1]
	v_pk_fma_f32 v[4:5], v[6:7], v[180:181], v[4:5] op_sel_hi:[1,0,1]
	v_pk_add_f32 v[2:3], v[2:3], v[20:21]
	v_mov_b32_e32 v4, v183
	v_mov_b32_e32 v19, v5
	v_pk_mul_f32 v[4:5], v[8:9], v[4:5] op_sel:[1,0] op_sel_hi:[0,0]
	v_pk_fma_f32 v[6:7], v[8:9], v[182:183], v[4:5] neg_lo:[0,0,1] neg_hi:[0,0,1]
	v_pk_fma_f32 v[4:5], v[8:9], v[182:183], v[4:5] op_sel_hi:[1,0,1]
	v_pk_add_f32 v[2:3], v[2:3], v[18:19]
	v_mov_b32_e32 v7, v5
	s_waitcnt vmcnt(1) lgkmcnt(1)
	v_pk_mul_f32 v[4:5], v[10:11], v[184:185] op_sel:[1,1] op_sel_hi:[0,1]
	v_pk_add_f32 v[2:3], v[2:3], v[6:7]
	v_pk_fma_f32 v[6:7], v[10:11], v[184:185], v[4:5] neg_lo:[0,0,1] neg_hi:[0,0,1]
	v_pk_fma_f32 v[4:5], v[10:11], v[184:185], v[4:5] op_sel_hi:[1,0,1]
	s_nop 0
	v_mov_b32_e32 v4, v187
	v_mov_b32_e32 v7, v5
	v_pk_mul_f32 v[4:5], v[12:13], v[4:5] op_sel:[1,0] op_sel_hi:[0,0]
	v_pk_add_f32 v[2:3], v[2:3], v[6:7]
	v_pk_fma_f32 v[6:7], v[12:13], v[186:187], v[4:5] neg_lo:[0,0,1] neg_hi:[0,0,1]
	v_pk_fma_f32 v[4:5], v[12:13], v[186:187], v[4:5] op_sel_hi:[1,0,1]
	s_nop 0
	v_mov_b32_e32 v7, v5
	s_waitcnt vmcnt(0) lgkmcnt(0)
	v_pk_mul_f32 v[4:5], v[14:15], v[188:189] op_sel:[1,1] op_sel_hi:[0,1]
	v_pk_add_f32 v[2:3], v[2:3], v[6:7]
	v_pk_fma_f32 v[6:7], v[14:15], v[188:189], v[4:5] neg_lo:[0,0,1] neg_hi:[0,0,1]
	v_pk_fma_f32 v[4:5], v[14:15], v[188:189], v[4:5] op_sel_hi:[1,0,1]
	s_nop 0
	v_mov_b32_e32 v4, v191
	v_mov_b32_e32 v7, v5
	v_pk_mul_f32 v[4:5], v[16:17], v[4:5] op_sel:[1,0] op_sel_hi:[0,0]
	v_pk_add_f32 v[2:3], v[2:3], v[6:7]
	v_pk_fma_f32 v[6:7], v[16:17], v[190:191], v[4:5] neg_lo:[0,0,1] neg_hi:[0,0,1]
	v_pk_fma_f32 v[4:5], v[16:17], v[190:191], v[4:5] op_sel_hi:[1,0,1]
	s_nop 0
	v_mov_b32_e32 v7, v5
	scratch_load_dwordx2 v[4:5], off, off offset:64
	v_pk_add_f32 v[2:3], v[2:3], v[6:7]
	s_waitcnt vmcnt(0)
	v_pk_add_f32 v[2:3], v[4:5], v[2:3] neg_lo:[0,1] neg_hi:[0,1]
	scratch_store_dwordx2 off, v[2:3], off offset:64
	s_and_saveexec_b64 s[0:1], vcc
	s_cbranch_execz .LBB120_341
; %bb.340:
	scratch_load_dwordx2 v[2:3], off, off offset:56
	v_mov_b32_e32 v4, 0
	v_mov_b32_e32 v5, v4
	scratch_store_dwordx2 off, v[4:5], off offset:56
	s_waitcnt vmcnt(1)
	ds_write_b64 v1, v[2:3]
.LBB120_341:
	s_or_b64 exec, exec, s[0:1]
	v_mov_b32_e32 v134, 0
	s_waitcnt lgkmcnt(0)
	; wave barrier
	ds_read_b128 v[14:17], v134 offset:528
	ds_read_b128 v[10:13], v134 offset:544
	;; [unrolled: 1-line block ×4, first 2 shown]
	scratch_load_dwordx4 v[18:21], off, off offset:64
	scratch_load_dwordx4 v[38:41], off, off offset:128
	;; [unrolled: 1-line block ×15, first 2 shown]
	v_cmp_lt_u32_e32 vcc, 6, v0
	scratch_load_dwordx4 v[46:49], off, off offset:144
	scratch_load_dwordx4 v[54:57], off, off offset:160
	;; [unrolled: 1-line block ×3, first 2 shown]
	ds_read_b128 v[160:163], v134 offset:816
	ds_read_b128 v[168:171], v134 offset:832
	;; [unrolled: 1-line block ×3, first 2 shown]
	s_waitcnt vmcnt(17) lgkmcnt(6)
	v_mul_f32_e32 v22, v14, v19
	v_fmac_f32_e32 v22, v15, v18
	v_mul_f32_e32 v23, v16, v21
	v_add_f32_e32 v22, 0, v22
	v_fmac_f32_e32 v23, v17, v20
	v_add_f32_e32 v26, v22, v23
	scratch_load_dwordx4 v[22:25], off, off offset:80
	v_mul_f32_e32 v15, v15, v19
	v_fma_f32 v14, v14, v18, -v15
	v_mul_f32_e32 v15, v17, v21
	v_add_f32_e32 v14, 0, v14
	v_fma_f32 v15, v16, v20, -v15
	v_add_f32_e32 v14, v14, v15
	s_waitcnt vmcnt(5) lgkmcnt(1)
	v_mul_f32_e32 v197, v170, v175
	s_waitcnt vmcnt(4)
	v_mov_b32_e32 v18, v183
	v_fmac_f32_e32 v197, v171, v174
	s_waitcnt lgkmcnt(0)
	v_mul_f32_e32 v199, v176, v181
	v_pk_mul_f32 v[18:19], v[178:179], v[18:19] op_sel:[1,0] op_sel_hi:[0,0]
	v_fmac_f32_e32 v199, v177, v180
	v_pk_fma_f32 v[20:21], v[178:179], v[182:183], v[18:19] neg_lo:[0,0,1] neg_hi:[0,0,1]
	v_pk_fma_f32 v[18:19], v[178:179], v[182:183], v[18:19] op_sel_hi:[1,0,1]
	s_waitcnt vmcnt(0)
	v_mul_f32_e32 v27, v10, v23
	v_fmac_f32_e32 v27, v11, v22
	v_add_f32_e32 v26, v26, v27
	v_mul_f32_e32 v27, v12, v25
	v_fmac_f32_e32 v27, v13, v24
	v_add_f32_e32 v30, v26, v27
	scratch_load_dwordx4 v[26:29], off, off offset:96
	v_mul_f32_e32 v11, v11, v23
	v_fma_f32 v10, v10, v22, -v11
	v_mul_f32_e32 v11, v13, v25
	v_add_f32_e32 v10, v14, v10
	v_fma_f32 v11, v12, v24, -v11
	v_add_f32_e32 v10, v10, v11
	v_mov_b32_e32 v21, v19
	s_waitcnt vmcnt(0)
	v_mul_f32_e32 v31, v6, v27
	v_fmac_f32_e32 v31, v7, v26
	v_add_f32_e32 v30, v30, v31
	v_mul_f32_e32 v31, v8, v29
	v_fmac_f32_e32 v31, v9, v28
	v_add_f32_e32 v34, v30, v31
	scratch_load_dwordx4 v[30:33], off, off offset:112
	v_mul_f32_e32 v7, v7, v27
	v_fma_f32 v6, v6, v26, -v7
	v_mul_f32_e32 v7, v9, v29
	v_add_f32_e32 v6, v10, v6
	v_fma_f32 v7, v8, v28, -v7
	v_add_f32_e32 v6, v6, v7
	s_waitcnt vmcnt(0)
	v_mul_f32_e32 v35, v2, v31
	v_fmac_f32_e32 v35, v3, v30
	v_add_f32_e32 v34, v34, v35
	v_mul_f32_e32 v35, v4, v33
	v_fmac_f32_e32 v35, v5, v32
	v_add_f32_e32 v42, v34, v35
	ds_read_b128 v[34:37], v134 offset:592
	v_mul_f32_e32 v3, v3, v31
	v_fma_f32 v2, v2, v30, -v3
	v_mul_f32_e32 v3, v5, v33
	v_add_f32_e32 v2, v6, v2
	s_waitcnt lgkmcnt(0)
	v_mul_f32_e32 v43, v34, v39
	v_fmac_f32_e32 v43, v35, v38
	v_add_f32_e32 v42, v42, v43
	v_mul_f32_e32 v43, v36, v41
	v_fmac_f32_e32 v43, v37, v40
	v_add_f32_e32 v50, v42, v43
	ds_read_b128 v[42:45], v134 offset:608
	v_fma_f32 v3, v4, v32, -v3
	v_add_f32_e32 v2, v2, v3
	v_mul_f32_e32 v3, v35, v39
	v_fma_f32 v3, v34, v38, -v3
	s_waitcnt lgkmcnt(0)
	v_mul_f32_e32 v51, v42, v47
	v_fmac_f32_e32 v51, v43, v46
	v_add_f32_e32 v50, v50, v51
	v_mul_f32_e32 v51, v44, v49
	v_fmac_f32_e32 v51, v45, v48
	v_add_f32_e32 v58, v50, v51
	ds_read_b128 v[50:53], v134 offset:624
	v_add_f32_e32 v2, v2, v3
	v_mul_f32_e32 v3, v37, v41
	v_fma_f32 v3, v36, v40, -v3
	v_add_f32_e32 v2, v2, v3
	s_waitcnt lgkmcnt(0)
	v_mul_f32_e32 v59, v50, v55
	v_fmac_f32_e32 v59, v51, v54
	v_add_f32_e32 v58, v58, v59
	v_mul_f32_e32 v59, v52, v57
	v_fmac_f32_e32 v59, v53, v56
	v_add_f32_e32 v66, v58, v59
	ds_read_b128 v[58:61], v134 offset:640
	v_mul_f32_e32 v3, v43, v47
	v_fma_f32 v3, v42, v46, -v3
	v_add_f32_e32 v2, v2, v3
	v_mul_f32_e32 v3, v45, v49
	s_waitcnt lgkmcnt(0)
	v_mul_f32_e32 v67, v58, v63
	v_fmac_f32_e32 v67, v59, v62
	v_add_f32_e32 v66, v66, v67
	v_mul_f32_e32 v67, v60, v65
	v_fmac_f32_e32 v67, v61, v64
	v_add_f32_e32 v74, v66, v67
	ds_read_b128 v[66:69], v134 offset:656
	v_fma_f32 v3, v44, v48, -v3
	v_add_f32_e32 v2, v2, v3
	v_mul_f32_e32 v3, v51, v55
	v_fma_f32 v3, v50, v54, -v3
	s_waitcnt lgkmcnt(0)
	v_mul_f32_e32 v75, v66, v71
	v_fmac_f32_e32 v75, v67, v70
	v_add_f32_e32 v74, v74, v75
	v_mul_f32_e32 v75, v68, v73
	v_fmac_f32_e32 v75, v69, v72
	v_add_f32_e32 v82, v74, v75
	ds_read_b128 v[74:77], v134 offset:672
	v_add_f32_e32 v2, v2, v3
	v_mul_f32_e32 v3, v53, v57
	v_fma_f32 v3, v52, v56, -v3
	v_add_f32_e32 v2, v2, v3
	s_waitcnt lgkmcnt(0)
	v_mul_f32_e32 v83, v74, v79
	v_fmac_f32_e32 v83, v75, v78
	v_add_f32_e32 v82, v82, v83
	v_mul_f32_e32 v83, v76, v81
	v_fmac_f32_e32 v83, v77, v80
	v_add_f32_e32 v90, v82, v83
	ds_read_b128 v[82:85], v134 offset:688
	v_mul_f32_e32 v3, v59, v63
	v_fma_f32 v3, v58, v62, -v3
	v_add_f32_e32 v2, v2, v3
	v_mul_f32_e32 v3, v61, v65
	;; [unrolled: 36-line block ×4, first 2 shown]
	s_waitcnt lgkmcnt(0)
	v_mul_f32_e32 v140, v130, v137
	v_fmac_f32_e32 v140, v131, v136
	v_add_f32_e32 v135, v135, v140
	v_mul_f32_e32 v140, v132, v139
	v_fmac_f32_e32 v140, v133, v138
	v_add_f32_e32 v135, v135, v140
	ds_read_b128 v[140:143], v134 offset:800
	scratch_load_dwordx4 v[184:187], off, off offset:400
	scratch_load_dwordx4 v[188:191], off, off offset:416
	;; [unrolled: 1-line block ×3, first 2 shown]
	scratch_load_dwordx2 v[200:201], off, off offset:448
	v_fma_f32 v3, v92, v96, -v3
	v_add_f32_e32 v2, v2, v3
	v_mul_f32_e32 v3, v99, v103
	v_fma_f32 v3, v98, v102, -v3
	v_add_f32_e32 v2, v2, v3
	v_mul_f32_e32 v3, v101, v105
	;; [unrolled: 3-line block ×10, first 2 shown]
	v_fma_f32 v3, v132, v138, -v3
	s_waitcnt lgkmcnt(0)
	v_mul_f32_e32 v148, v140, v145
	v_add_f32_e32 v2, v2, v3
	v_mul_f32_e32 v3, v141, v145
	v_fmac_f32_e32 v148, v141, v144
	v_fma_f32 v3, v140, v144, -v3
	v_add_f32_e32 v135, v135, v148
	v_mul_f32_e32 v148, v142, v147
	v_add_f32_e32 v2, v2, v3
	v_mul_f32_e32 v3, v143, v147
	v_fmac_f32_e32 v148, v143, v146
	v_fma_f32 v3, v142, v146, -v3
	v_add_f32_e32 v135, v135, v148
	;; [unrolled: 6-line block ×5, first 2 shown]
	v_add_f32_e32 v148, v2, v3
	v_mul_f32_e32 v2, v171, v175
	v_fma_f32 v196, v170, v174, -v2
	v_mul_f32_e32 v2, v177, v181
	v_fma_f32 v198, v176, v180, -v2
	ds_read_b128 v[2:5], v134 offset:864
	ds_read_b128 v[6:9], v134 offset:880
	;; [unrolled: 1-line block ×3, first 2 shown]
	ds_read_b64 v[14:15], v134 offset:912
	v_pk_add_f32 v[16:17], v[148:149], v[196:197]
	s_waitcnt vmcnt(3) lgkmcnt(3)
	v_pk_mul_f32 v[18:19], v[2:3], v[184:185] op_sel:[1,1] op_sel_hi:[0,1]
	v_pk_add_f32 v[16:17], v[16:17], v[198:199]
	s_nop 0
	v_pk_add_f32 v[16:17], v[16:17], v[20:21]
	v_pk_fma_f32 v[20:21], v[2:3], v[184:185], v[18:19] neg_lo:[0,0,1] neg_hi:[0,0,1]
	v_pk_fma_f32 v[2:3], v[2:3], v[184:185], v[18:19] op_sel_hi:[1,0,1]
	s_nop 0
	v_mov_b32_e32 v21, v3
	v_pk_add_f32 v[2:3], v[16:17], v[20:21]
	v_mov_b32_e32 v16, v187
	v_pk_mul_f32 v[16:17], v[4:5], v[16:17] op_sel:[1,0] op_sel_hi:[0,0]
	v_pk_fma_f32 v[18:19], v[4:5], v[186:187], v[16:17] neg_lo:[0,0,1] neg_hi:[0,0,1]
	v_pk_fma_f32 v[4:5], v[4:5], v[186:187], v[16:17] op_sel_hi:[1,0,1]
	s_nop 0
	v_mov_b32_e32 v19, v5
	s_waitcnt vmcnt(2) lgkmcnt(2)
	v_pk_mul_f32 v[4:5], v[6:7], v[188:189] op_sel:[1,1] op_sel_hi:[0,1]
	v_pk_fma_f32 v[16:17], v[6:7], v[188:189], v[4:5] neg_lo:[0,0,1] neg_hi:[0,0,1]
	v_pk_fma_f32 v[4:5], v[6:7], v[188:189], v[4:5] op_sel_hi:[1,0,1]
	v_pk_add_f32 v[2:3], v[2:3], v[18:19]
	v_mov_b32_e32 v4, v191
	v_mov_b32_e32 v17, v5
	v_pk_mul_f32 v[4:5], v[8:9], v[4:5] op_sel:[1,0] op_sel_hi:[0,0]
	v_pk_fma_f32 v[6:7], v[8:9], v[190:191], v[4:5] neg_lo:[0,0,1] neg_hi:[0,0,1]
	v_pk_fma_f32 v[4:5], v[8:9], v[190:191], v[4:5] op_sel_hi:[1,0,1]
	v_pk_add_f32 v[2:3], v[2:3], v[16:17]
	v_mov_b32_e32 v7, v5
	s_waitcnt vmcnt(1) lgkmcnt(1)
	v_pk_mul_f32 v[4:5], v[10:11], v[192:193] op_sel:[1,1] op_sel_hi:[0,1]
	v_pk_add_f32 v[2:3], v[2:3], v[6:7]
	v_pk_fma_f32 v[6:7], v[10:11], v[192:193], v[4:5] neg_lo:[0,0,1] neg_hi:[0,0,1]
	v_pk_fma_f32 v[4:5], v[10:11], v[192:193], v[4:5] op_sel_hi:[1,0,1]
	s_nop 0
	v_mov_b32_e32 v4, v195
	v_mov_b32_e32 v7, v5
	v_pk_mul_f32 v[4:5], v[12:13], v[4:5] op_sel:[1,0] op_sel_hi:[0,0]
	v_pk_add_f32 v[2:3], v[2:3], v[6:7]
	v_pk_fma_f32 v[6:7], v[12:13], v[194:195], v[4:5] neg_lo:[0,0,1] neg_hi:[0,0,1]
	v_pk_fma_f32 v[4:5], v[12:13], v[194:195], v[4:5] op_sel_hi:[1,0,1]
	s_nop 0
	v_mov_b32_e32 v7, v5
	s_waitcnt vmcnt(0) lgkmcnt(0)
	v_pk_mul_f32 v[4:5], v[14:15], v[200:201] op_sel:[1,1] op_sel_hi:[0,1]
	v_pk_add_f32 v[2:3], v[2:3], v[6:7]
	v_pk_fma_f32 v[6:7], v[14:15], v[200:201], v[4:5] neg_lo:[0,0,1] neg_hi:[0,0,1]
	v_pk_fma_f32 v[4:5], v[14:15], v[200:201], v[4:5] op_sel_hi:[1,0,1]
	s_nop 0
	v_mov_b32_e32 v7, v5
	scratch_load_dwordx2 v[4:5], off, off offset:56
	v_pk_add_f32 v[2:3], v[2:3], v[6:7]
	s_waitcnt vmcnt(0)
	v_pk_add_f32 v[2:3], v[4:5], v[2:3] neg_lo:[0,1] neg_hi:[0,1]
	scratch_store_dwordx2 off, v[2:3], off offset:56
	s_and_saveexec_b64 s[0:1], vcc
	s_cbranch_execz .LBB120_343
; %bb.342:
	scratch_load_dwordx2 v[2:3], off, off offset:48
	v_mov_b32_e32 v135, v134
	scratch_store_dwordx2 off, v[134:135], off offset:48
	s_waitcnt vmcnt(1)
	ds_write_b64 v1, v[2:3]
.LBB120_343:
	s_or_b64 exec, exec, s[0:1]
	s_waitcnt lgkmcnt(0)
	; wave barrier
	scratch_load_dwordx4 v[6:9], off, off offset:56
	scratch_load_dwordx4 v[14:17], off, off offset:72
	;; [unrolled: 1-line block ×10, first 2 shown]
	ds_read2_b64 v[2:5], v134 offset0:65 offset1:66
	ds_read2_b64 v[160:163], v134 offset0:101 offset1:102
	scratch_load_dwordx4 v[86:89], off, off offset:216
	scratch_load_dwordx4 v[94:97], off, off offset:232
	;; [unrolled: 1-line block ×11, first 2 shown]
	v_cmp_lt_u32_e32 vcc, 5, v0
	ds_read2_b64 v[168:171], v134 offset0:103 offset1:104
	ds_read2_b64 v[176:179], v134 offset0:105 offset1:106
	s_waitcnt vmcnt(20) lgkmcnt(3)
	v_mul_f32_e32 v10, v2, v7
	v_fmac_f32_e32 v10, v3, v6
	v_mul_f32_e32 v11, v4, v9
	v_add_f32_e32 v10, 0, v10
	v_fmac_f32_e32 v11, v5, v8
	v_add_f32_e32 v18, v10, v11
	ds_read2_b64 v[10:13], v134 offset0:67 offset1:68
	v_mul_f32_e32 v3, v3, v7
	v_fma_f32 v2, v2, v6, -v3
	v_mul_f32_e32 v3, v5, v9
	v_add_f32_e32 v2, 0, v2
	s_waitcnt vmcnt(19) lgkmcnt(0)
	v_mul_f32_e32 v19, v10, v15
	v_fmac_f32_e32 v19, v11, v14
	v_add_f32_e32 v18, v18, v19
	v_mul_f32_e32 v19, v12, v17
	v_fmac_f32_e32 v19, v13, v16
	v_add_f32_e32 v26, v18, v19
	ds_read2_b64 v[18:21], v134 offset0:69 offset1:70
	v_fma_f32 v3, v4, v8, -v3
	v_add_f32_e32 v2, v2, v3
	v_mul_f32_e32 v3, v11, v15
	v_fma_f32 v3, v10, v14, -v3
	s_waitcnt vmcnt(18) lgkmcnt(0)
	v_mul_f32_e32 v27, v18, v23
	v_fmac_f32_e32 v27, v19, v22
	v_add_f32_e32 v26, v26, v27
	v_mul_f32_e32 v27, v20, v25
	v_fmac_f32_e32 v27, v21, v24
	v_add_f32_e32 v34, v26, v27
	ds_read2_b64 v[26:29], v134 offset0:71 offset1:72
	v_add_f32_e32 v2, v2, v3
	v_mul_f32_e32 v3, v13, v17
	v_fma_f32 v3, v12, v16, -v3
	v_add_f32_e32 v2, v2, v3
	s_waitcnt vmcnt(17) lgkmcnt(0)
	v_mul_f32_e32 v35, v26, v31
	v_fmac_f32_e32 v35, v27, v30
	v_add_f32_e32 v34, v34, v35
	v_mul_f32_e32 v35, v28, v33
	v_fmac_f32_e32 v35, v29, v32
	v_add_f32_e32 v42, v34, v35
	ds_read2_b64 v[34:37], v134 offset0:73 offset1:74
	v_mul_f32_e32 v3, v19, v23
	v_fma_f32 v3, v18, v22, -v3
	v_add_f32_e32 v2, v2, v3
	v_mul_f32_e32 v3, v21, v25
	s_waitcnt vmcnt(16) lgkmcnt(0)
	v_mul_f32_e32 v43, v34, v39
	v_fmac_f32_e32 v43, v35, v38
	v_add_f32_e32 v42, v42, v43
	v_mul_f32_e32 v43, v36, v41
	v_fmac_f32_e32 v43, v37, v40
	v_add_f32_e32 v50, v42, v43
	ds_read2_b64 v[42:45], v134 offset0:75 offset1:76
	v_fma_f32 v3, v20, v24, -v3
	v_add_f32_e32 v2, v2, v3
	v_mul_f32_e32 v3, v27, v31
	v_fma_f32 v3, v26, v30, -v3
	s_waitcnt vmcnt(15) lgkmcnt(0)
	v_mul_f32_e32 v51, v42, v47
	v_fmac_f32_e32 v51, v43, v46
	v_add_f32_e32 v50, v50, v51
	v_mul_f32_e32 v51, v44, v49
	v_fmac_f32_e32 v51, v45, v48
	v_add_f32_e32 v58, v50, v51
	ds_read2_b64 v[50:53], v134 offset0:77 offset1:78
	v_add_f32_e32 v2, v2, v3
	v_mul_f32_e32 v3, v29, v33
	v_fma_f32 v3, v28, v32, -v3
	v_add_f32_e32 v2, v2, v3
	s_waitcnt vmcnt(14) lgkmcnt(0)
	v_mul_f32_e32 v59, v50, v55
	v_fmac_f32_e32 v59, v51, v54
	v_add_f32_e32 v58, v58, v59
	v_mul_f32_e32 v59, v52, v57
	v_fmac_f32_e32 v59, v53, v56
	v_add_f32_e32 v66, v58, v59
	ds_read2_b64 v[58:61], v134 offset0:79 offset1:80
	v_mul_f32_e32 v3, v35, v39
	v_fma_f32 v3, v34, v38, -v3
	v_add_f32_e32 v2, v2, v3
	v_mul_f32_e32 v3, v37, v41
	;; [unrolled: 36-line block ×5, first 2 shown]
	s_waitcnt vmcnt(4) lgkmcnt(0)
	v_mul_f32_e32 v140, v130, v137
	v_fmac_f32_e32 v140, v131, v136
	v_add_f32_e32 v135, v135, v140
	v_mul_f32_e32 v140, v132, v139
	v_fmac_f32_e32 v140, v133, v138
	v_add_f32_e32 v135, v135, v140
	ds_read2_b64 v[140:143], v134 offset0:99 offset1:100
	scratch_load_dwordx4 v[184:187], off, off offset:392
	scratch_load_dwordx4 v[188:191], off, off offset:408
	;; [unrolled: 1-line block ×4, first 2 shown]
	v_fma_f32 v3, v84, v88, -v3
	v_add_f32_e32 v2, v2, v3
	v_mul_f32_e32 v3, v91, v95
	v_fma_f32 v3, v90, v94, -v3
	v_add_f32_e32 v2, v2, v3
	v_mul_f32_e32 v3, v93, v97
	v_fma_f32 v3, v92, v96, -v3
	v_add_f32_e32 v2, v2, v3
	v_mul_f32_e32 v3, v99, v103
	v_fma_f32 v3, v98, v102, -v3
	v_add_f32_e32 v2, v2, v3
	v_mul_f32_e32 v3, v101, v105
	v_fma_f32 v3, v100, v104, -v3
	v_add_f32_e32 v2, v2, v3
	v_mul_f32_e32 v3, v107, v111
	v_fma_f32 v3, v106, v110, -v3
	v_add_f32_e32 v2, v2, v3
	v_mul_f32_e32 v3, v109, v113
	v_fma_f32 v3, v108, v112, -v3
	v_add_f32_e32 v2, v2, v3
	v_mul_f32_e32 v3, v115, v119
	v_fma_f32 v3, v114, v118, -v3
	v_add_f32_e32 v2, v2, v3
	v_mul_f32_e32 v3, v117, v121
	v_fma_f32 v3, v116, v120, -v3
	v_add_f32_e32 v2, v2, v3
	v_mul_f32_e32 v3, v123, v127
	v_fma_f32 v3, v122, v126, -v3
	v_add_f32_e32 v2, v2, v3
	v_mul_f32_e32 v3, v125, v129
	v_fma_f32 v3, v124, v128, -v3
	v_add_f32_e32 v2, v2, v3
	v_mul_f32_e32 v3, v131, v137
	v_fma_f32 v3, v130, v136, -v3
	v_add_f32_e32 v2, v2, v3
	v_mul_f32_e32 v3, v133, v139
	v_fma_f32 v3, v132, v138, -v3
	s_waitcnt vmcnt(7) lgkmcnt(0)
	v_mul_f32_e32 v148, v140, v145
	v_add_f32_e32 v2, v2, v3
	v_mul_f32_e32 v3, v141, v145
	v_fmac_f32_e32 v148, v141, v144
	v_fma_f32 v3, v140, v144, -v3
	v_add_f32_e32 v135, v135, v148
	v_mul_f32_e32 v148, v142, v147
	v_add_f32_e32 v2, v2, v3
	v_mul_f32_e32 v3, v143, v147
	v_fmac_f32_e32 v148, v143, v146
	v_fma_f32 v3, v142, v146, -v3
	v_add_f32_e32 v135, v135, v148
	s_waitcnt vmcnt(6)
	v_mul_f32_e32 v148, v160, v165
	v_add_f32_e32 v2, v2, v3
	v_mul_f32_e32 v3, v161, v165
	v_fmac_f32_e32 v148, v161, v164
	v_fma_f32 v3, v160, v164, -v3
	v_add_f32_e32 v135, v135, v148
	v_mul_f32_e32 v148, v162, v167
	v_add_f32_e32 v2, v2, v3
	v_mul_f32_e32 v3, v163, v167
	v_fmac_f32_e32 v148, v163, v166
	v_fma_f32 v3, v162, v166, -v3
	v_add_f32_e32 v135, v135, v148
	s_waitcnt vmcnt(5)
	v_mul_f32_e32 v148, v168, v173
	v_add_f32_e32 v2, v2, v3
	v_mul_f32_e32 v3, v169, v173
	v_fmac_f32_e32 v148, v169, v172
	v_fma_f32 v3, v168, v172, -v3
	v_add_f32_e32 v135, v135, v148
	v_mul_f32_e32 v148, v170, v175
	v_add_f32_e32 v2, v2, v3
	v_mul_f32_e32 v3, v171, v175
	v_fmac_f32_e32 v148, v171, v174
	v_fma_f32 v3, v170, v174, -v3
	v_add_f32_e32 v149, v135, v148
	v_add_f32_e32 v148, v2, v3
	s_waitcnt vmcnt(4)
	v_mul_f32_e32 v2, v177, v181
	v_fma_f32 v200, v176, v180, -v2
	v_mul_f32_e32 v2, v179, v183
	v_fma_f32 v202, v178, v182, -v2
	ds_read2_b64 v[2:5], v134 offset0:107 offset1:108
	ds_read2_b64 v[6:9], v134 offset0:109 offset1:110
	;; [unrolled: 1-line block ×4, first 2 shown]
	v_mul_f32_e32 v201, v176, v181
	v_fmac_f32_e32 v201, v177, v180
	v_mul_f32_e32 v203, v178, v183
	s_waitcnt vmcnt(3) lgkmcnt(3)
	v_pk_mul_f32 v[20:21], v[2:3], v[184:185] op_sel:[1,1] op_sel_hi:[0,1]
	v_fmac_f32_e32 v203, v179, v182
	v_pk_add_f32 v[18:19], v[148:149], v[200:201]
	v_pk_fma_f32 v[22:23], v[2:3], v[184:185], v[20:21] neg_lo:[0,0,1] neg_hi:[0,0,1]
	v_pk_fma_f32 v[2:3], v[2:3], v[184:185], v[20:21] op_sel_hi:[1,0,1]
	v_pk_add_f32 v[18:19], v[18:19], v[202:203]
	v_mov_b32_e32 v23, v3
	v_pk_add_f32 v[2:3], v[18:19], v[22:23]
	v_mov_b32_e32 v18, v187
	v_pk_mul_f32 v[18:19], v[4:5], v[18:19] op_sel:[1,0] op_sel_hi:[0,0]
	v_pk_fma_f32 v[20:21], v[4:5], v[186:187], v[18:19] neg_lo:[0,0,1] neg_hi:[0,0,1]
	v_pk_fma_f32 v[4:5], v[4:5], v[186:187], v[18:19] op_sel_hi:[1,0,1]
	s_nop 0
	v_mov_b32_e32 v21, v5
	s_waitcnt vmcnt(2) lgkmcnt(2)
	v_pk_mul_f32 v[4:5], v[6:7], v[188:189] op_sel:[1,1] op_sel_hi:[0,1]
	v_pk_fma_f32 v[18:19], v[6:7], v[188:189], v[4:5] neg_lo:[0,0,1] neg_hi:[0,0,1]
	v_pk_fma_f32 v[4:5], v[6:7], v[188:189], v[4:5] op_sel_hi:[1,0,1]
	v_pk_add_f32 v[2:3], v[2:3], v[20:21]
	v_mov_b32_e32 v4, v191
	v_mov_b32_e32 v19, v5
	v_pk_mul_f32 v[4:5], v[8:9], v[4:5] op_sel:[1,0] op_sel_hi:[0,0]
	v_pk_fma_f32 v[6:7], v[8:9], v[190:191], v[4:5] neg_lo:[0,0,1] neg_hi:[0,0,1]
	v_pk_fma_f32 v[4:5], v[8:9], v[190:191], v[4:5] op_sel_hi:[1,0,1]
	v_pk_add_f32 v[2:3], v[2:3], v[18:19]
	v_mov_b32_e32 v7, v5
	s_waitcnt vmcnt(1) lgkmcnt(1)
	v_pk_mul_f32 v[4:5], v[10:11], v[192:193] op_sel:[1,1] op_sel_hi:[0,1]
	v_pk_add_f32 v[2:3], v[2:3], v[6:7]
	v_pk_fma_f32 v[6:7], v[10:11], v[192:193], v[4:5] neg_lo:[0,0,1] neg_hi:[0,0,1]
	v_pk_fma_f32 v[4:5], v[10:11], v[192:193], v[4:5] op_sel_hi:[1,0,1]
	s_nop 0
	v_mov_b32_e32 v4, v195
	v_mov_b32_e32 v7, v5
	v_pk_mul_f32 v[4:5], v[12:13], v[4:5] op_sel:[1,0] op_sel_hi:[0,0]
	v_pk_add_f32 v[2:3], v[2:3], v[6:7]
	v_pk_fma_f32 v[6:7], v[12:13], v[194:195], v[4:5] neg_lo:[0,0,1] neg_hi:[0,0,1]
	v_pk_fma_f32 v[4:5], v[12:13], v[194:195], v[4:5] op_sel_hi:[1,0,1]
	s_nop 0
	v_mov_b32_e32 v7, v5
	s_waitcnt vmcnt(0) lgkmcnt(0)
	v_pk_mul_f32 v[4:5], v[14:15], v[196:197] op_sel:[1,1] op_sel_hi:[0,1]
	v_pk_add_f32 v[2:3], v[2:3], v[6:7]
	v_pk_fma_f32 v[6:7], v[14:15], v[196:197], v[4:5] neg_lo:[0,0,1] neg_hi:[0,0,1]
	v_pk_fma_f32 v[4:5], v[14:15], v[196:197], v[4:5] op_sel_hi:[1,0,1]
	s_nop 0
	v_mov_b32_e32 v4, v199
	v_mov_b32_e32 v7, v5
	v_pk_mul_f32 v[4:5], v[16:17], v[4:5] op_sel:[1,0] op_sel_hi:[0,0]
	v_pk_add_f32 v[2:3], v[2:3], v[6:7]
	v_pk_fma_f32 v[6:7], v[16:17], v[198:199], v[4:5] neg_lo:[0,0,1] neg_hi:[0,0,1]
	v_pk_fma_f32 v[4:5], v[16:17], v[198:199], v[4:5] op_sel_hi:[1,0,1]
	s_nop 0
	v_mov_b32_e32 v7, v5
	scratch_load_dwordx2 v[4:5], off, off offset:48
	v_pk_add_f32 v[2:3], v[2:3], v[6:7]
	s_waitcnt vmcnt(0)
	v_pk_add_f32 v[2:3], v[4:5], v[2:3] neg_lo:[0,1] neg_hi:[0,1]
	scratch_store_dwordx2 off, v[2:3], off offset:48
	s_and_saveexec_b64 s[0:1], vcc
	s_cbranch_execz .LBB120_345
; %bb.344:
	scratch_load_dwordx2 v[2:3], off, off offset:40
	v_mov_b32_e32 v4, 0
	v_mov_b32_e32 v5, v4
	scratch_store_dwordx2 off, v[4:5], off offset:40
	s_waitcnt vmcnt(1)
	ds_write_b64 v1, v[2:3]
.LBB120_345:
	s_or_b64 exec, exec, s[0:1]
	v_mov_b32_e32 v142, 0
	s_waitcnt lgkmcnt(0)
	; wave barrier
	ds_read_b128 v[14:17], v142 offset:512
	ds_read_b128 v[10:13], v142 offset:528
	;; [unrolled: 1-line block ×4, first 2 shown]
	scratch_load_dwordx4 v[18:21], off, off offset:48
	scratch_load_dwordx4 v[38:41], off, off offset:112
	scratch_load_dwordx4 v[70:73], off, off offset:176
	scratch_load_dwordx4 v[78:81], off, off offset:192
	scratch_load_dwordx4 v[86:89], off, off offset:208
	scratch_load_dwordx4 v[94:97], off, off offset:224
	scratch_load_dwordx4 v[102:105], off, off offset:240
	scratch_load_dwordx4 v[110:113], off, off offset:256
	scratch_load_dwordx4 v[118:121], off, off offset:272
	scratch_load_dwordx4 v[126:129], off, off offset:288
	scratch_load_dwordx4 v[134:137], off, off offset:304
	scratch_load_dwordx4 v[144:147], off, off offset:320
	scratch_load_dwordx4 v[164:167], off, off offset:336
	scratch_load_dwordx4 v[172:175], off, off offset:352
	scratch_load_dwordx4 v[180:183], off, off offset:368
	scratch_load_dwordx4 v[188:191], off, off offset:384
	v_cmp_lt_u32_e32 vcc, 4, v0
	scratch_load_dwordx4 v[46:49], off, off offset:128
	scratch_load_dwordx4 v[54:57], off, off offset:144
	;; [unrolled: 1-line block ×3, first 2 shown]
	ds_read_b128 v[160:163], v142 offset:800
	ds_read_b128 v[168:171], v142 offset:816
	;; [unrolled: 1-line block ×4, first 2 shown]
	s_waitcnt vmcnt(18) lgkmcnt(7)
	v_mul_f32_e32 v22, v14, v19
	v_fmac_f32_e32 v22, v15, v18
	v_mul_f32_e32 v23, v16, v21
	v_add_f32_e32 v22, 0, v22
	v_fmac_f32_e32 v23, v17, v20
	v_add_f32_e32 v26, v22, v23
	scratch_load_dwordx4 v[22:25], off, off offset:64
	v_mul_f32_e32 v15, v15, v19
	v_fma_f32 v14, v14, v18, -v15
	v_mul_f32_e32 v15, v17, v21
	v_add_f32_e32 v14, 0, v14
	v_fma_f32 v15, v16, v20, -v15
	v_add_f32_e32 v14, v14, v15
	s_waitcnt vmcnt(5) lgkmcnt(1)
	v_mul_f32_e32 v205, v178, v183
	s_waitcnt vmcnt(4)
	v_mov_b32_e32 v18, v191
	v_fmac_f32_e32 v205, v179, v182
	s_waitcnt lgkmcnt(0)
	v_mul_f32_e32 v207, v184, v189
	v_pk_mul_f32 v[18:19], v[186:187], v[18:19] op_sel:[1,0] op_sel_hi:[0,0]
	v_fmac_f32_e32 v207, v185, v188
	v_pk_fma_f32 v[20:21], v[186:187], v[190:191], v[18:19] neg_lo:[0,0,1] neg_hi:[0,0,1]
	v_pk_fma_f32 v[18:19], v[186:187], v[190:191], v[18:19] op_sel_hi:[1,0,1]
	s_waitcnt vmcnt(0)
	v_mul_f32_e32 v27, v10, v23
	v_fmac_f32_e32 v27, v11, v22
	v_add_f32_e32 v26, v26, v27
	v_mul_f32_e32 v27, v12, v25
	v_fmac_f32_e32 v27, v13, v24
	v_add_f32_e32 v30, v26, v27
	scratch_load_dwordx4 v[26:29], off, off offset:80
	v_mul_f32_e32 v11, v11, v23
	v_fma_f32 v10, v10, v22, -v11
	v_mul_f32_e32 v11, v13, v25
	v_add_f32_e32 v10, v14, v10
	v_fma_f32 v11, v12, v24, -v11
	v_add_f32_e32 v10, v10, v11
	v_mov_b32_e32 v21, v19
	s_waitcnt vmcnt(0)
	v_mul_f32_e32 v31, v6, v27
	v_fmac_f32_e32 v31, v7, v26
	v_add_f32_e32 v30, v30, v31
	v_mul_f32_e32 v31, v8, v29
	v_fmac_f32_e32 v31, v9, v28
	v_add_f32_e32 v34, v30, v31
	scratch_load_dwordx4 v[30:33], off, off offset:96
	v_mul_f32_e32 v7, v7, v27
	v_fma_f32 v6, v6, v26, -v7
	v_mul_f32_e32 v7, v9, v29
	v_add_f32_e32 v6, v10, v6
	v_fma_f32 v7, v8, v28, -v7
	v_add_f32_e32 v6, v6, v7
	s_waitcnt vmcnt(0)
	v_mul_f32_e32 v35, v2, v31
	v_fmac_f32_e32 v35, v3, v30
	v_add_f32_e32 v34, v34, v35
	v_mul_f32_e32 v35, v4, v33
	v_fmac_f32_e32 v35, v5, v32
	v_add_f32_e32 v42, v34, v35
	ds_read_b128 v[34:37], v142 offset:576
	v_mul_f32_e32 v3, v3, v31
	v_fma_f32 v2, v2, v30, -v3
	v_mul_f32_e32 v3, v5, v33
	v_add_f32_e32 v2, v6, v2
	s_waitcnt lgkmcnt(0)
	v_mul_f32_e32 v43, v34, v39
	v_fmac_f32_e32 v43, v35, v38
	v_add_f32_e32 v42, v42, v43
	v_mul_f32_e32 v43, v36, v41
	v_fmac_f32_e32 v43, v37, v40
	v_add_f32_e32 v50, v42, v43
	ds_read_b128 v[42:45], v142 offset:592
	v_fma_f32 v3, v4, v32, -v3
	v_add_f32_e32 v2, v2, v3
	v_mul_f32_e32 v3, v35, v39
	v_fma_f32 v3, v34, v38, -v3
	s_waitcnt lgkmcnt(0)
	v_mul_f32_e32 v51, v42, v47
	v_fmac_f32_e32 v51, v43, v46
	v_add_f32_e32 v50, v50, v51
	v_mul_f32_e32 v51, v44, v49
	v_fmac_f32_e32 v51, v45, v48
	v_add_f32_e32 v58, v50, v51
	ds_read_b128 v[50:53], v142 offset:608
	v_add_f32_e32 v2, v2, v3
	v_mul_f32_e32 v3, v37, v41
	v_fma_f32 v3, v36, v40, -v3
	v_add_f32_e32 v2, v2, v3
	s_waitcnt lgkmcnt(0)
	v_mul_f32_e32 v59, v50, v55
	v_fmac_f32_e32 v59, v51, v54
	v_add_f32_e32 v58, v58, v59
	v_mul_f32_e32 v59, v52, v57
	v_fmac_f32_e32 v59, v53, v56
	v_add_f32_e32 v66, v58, v59
	ds_read_b128 v[58:61], v142 offset:624
	v_mul_f32_e32 v3, v43, v47
	v_fma_f32 v3, v42, v46, -v3
	v_add_f32_e32 v2, v2, v3
	v_mul_f32_e32 v3, v45, v49
	s_waitcnt lgkmcnt(0)
	v_mul_f32_e32 v67, v58, v63
	v_fmac_f32_e32 v67, v59, v62
	v_add_f32_e32 v66, v66, v67
	v_mul_f32_e32 v67, v60, v65
	v_fmac_f32_e32 v67, v61, v64
	v_add_f32_e32 v74, v66, v67
	ds_read_b128 v[66:69], v142 offset:640
	v_fma_f32 v3, v44, v48, -v3
	v_add_f32_e32 v2, v2, v3
	v_mul_f32_e32 v3, v51, v55
	v_fma_f32 v3, v50, v54, -v3
	s_waitcnt lgkmcnt(0)
	v_mul_f32_e32 v75, v66, v71
	v_fmac_f32_e32 v75, v67, v70
	v_add_f32_e32 v74, v74, v75
	v_mul_f32_e32 v75, v68, v73
	v_fmac_f32_e32 v75, v69, v72
	v_add_f32_e32 v82, v74, v75
	ds_read_b128 v[74:77], v142 offset:656
	v_add_f32_e32 v2, v2, v3
	v_mul_f32_e32 v3, v53, v57
	v_fma_f32 v3, v52, v56, -v3
	v_add_f32_e32 v2, v2, v3
	s_waitcnt lgkmcnt(0)
	v_mul_f32_e32 v83, v74, v79
	v_fmac_f32_e32 v83, v75, v78
	v_add_f32_e32 v82, v82, v83
	v_mul_f32_e32 v83, v76, v81
	v_fmac_f32_e32 v83, v77, v80
	v_add_f32_e32 v90, v82, v83
	ds_read_b128 v[82:85], v142 offset:672
	v_mul_f32_e32 v3, v59, v63
	v_fma_f32 v3, v58, v62, -v3
	v_add_f32_e32 v2, v2, v3
	v_mul_f32_e32 v3, v61, v65
	s_waitcnt lgkmcnt(0)
	v_mul_f32_e32 v91, v82, v87
	v_fmac_f32_e32 v91, v83, v86
	v_add_f32_e32 v90, v90, v91
	v_mul_f32_e32 v91, v84, v89
	v_fmac_f32_e32 v91, v85, v88
	v_add_f32_e32 v98, v90, v91
	ds_read_b128 v[90:93], v142 offset:688
	v_fma_f32 v3, v60, v64, -v3
	v_add_f32_e32 v2, v2, v3
	v_mul_f32_e32 v3, v67, v71
	v_fma_f32 v3, v66, v70, -v3
	s_waitcnt lgkmcnt(0)
	v_mul_f32_e32 v99, v90, v95
	v_fmac_f32_e32 v99, v91, v94
	v_add_f32_e32 v98, v98, v99
	v_mul_f32_e32 v99, v92, v97
	v_fmac_f32_e32 v99, v93, v96
	v_add_f32_e32 v106, v98, v99
	ds_read_b128 v[98:101], v142 offset:704
	v_add_f32_e32 v2, v2, v3
	v_mul_f32_e32 v3, v69, v73
	v_fma_f32 v3, v68, v72, -v3
	v_add_f32_e32 v2, v2, v3
	s_waitcnt lgkmcnt(0)
	v_mul_f32_e32 v107, v98, v103
	v_fmac_f32_e32 v107, v99, v102
	v_add_f32_e32 v106, v106, v107
	v_mul_f32_e32 v107, v100, v105
	v_fmac_f32_e32 v107, v101, v104
	v_add_f32_e32 v114, v106, v107
	ds_read_b128 v[106:109], v142 offset:720
	v_mul_f32_e32 v3, v75, v79
	v_fma_f32 v3, v74, v78, -v3
	v_add_f32_e32 v2, v2, v3
	v_mul_f32_e32 v3, v77, v81
	s_waitcnt lgkmcnt(0)
	v_mul_f32_e32 v115, v106, v111
	v_fmac_f32_e32 v115, v107, v110
	v_add_f32_e32 v114, v114, v115
	v_mul_f32_e32 v115, v108, v113
	v_fmac_f32_e32 v115, v109, v112
	v_add_f32_e32 v122, v114, v115
	ds_read_b128 v[114:117], v142 offset:736
	v_fma_f32 v3, v76, v80, -v3
	v_add_f32_e32 v2, v2, v3
	v_mul_f32_e32 v3, v83, v87
	v_fma_f32 v3, v82, v86, -v3
	s_waitcnt lgkmcnt(0)
	v_mul_f32_e32 v123, v114, v119
	v_fmac_f32_e32 v123, v115, v118
	v_add_f32_e32 v122, v122, v123
	v_mul_f32_e32 v123, v116, v121
	v_fmac_f32_e32 v123, v117, v120
	v_add_f32_e32 v130, v122, v123
	ds_read_b128 v[122:125], v142 offset:752
	v_add_f32_e32 v2, v2, v3
	v_mul_f32_e32 v3, v85, v89
	v_fma_f32 v3, v84, v88, -v3
	v_add_f32_e32 v2, v2, v3
	s_waitcnt lgkmcnt(0)
	v_mul_f32_e32 v131, v122, v127
	v_fmac_f32_e32 v131, v123, v126
	v_add_f32_e32 v130, v130, v131
	v_mul_f32_e32 v131, v124, v129
	v_fmac_f32_e32 v131, v125, v128
	v_add_f32_e32 v138, v130, v131
	ds_read_b128 v[130:133], v142 offset:768
	v_mul_f32_e32 v3, v91, v95
	v_fma_f32 v3, v90, v94, -v3
	v_add_f32_e32 v2, v2, v3
	v_mul_f32_e32 v3, v93, v97
	s_waitcnt lgkmcnt(0)
	v_mul_f32_e32 v139, v130, v135
	v_fmac_f32_e32 v139, v131, v134
	v_add_f32_e32 v138, v138, v139
	v_mul_f32_e32 v139, v132, v137
	v_fmac_f32_e32 v139, v133, v136
	v_add_f32_e32 v143, v138, v139
	ds_read_b128 v[138:141], v142 offset:784
	scratch_load_dwordx4 v[192:195], off, off offset:400
	scratch_load_dwordx4 v[196:199], off, off offset:416
	;; [unrolled: 1-line block ×3, first 2 shown]
	scratch_load_dwordx2 v[208:209], off, off offset:448
	v_fma_f32 v3, v92, v96, -v3
	v_add_f32_e32 v2, v2, v3
	v_mul_f32_e32 v3, v99, v103
	v_fma_f32 v3, v98, v102, -v3
	v_add_f32_e32 v2, v2, v3
	v_mul_f32_e32 v3, v101, v105
	v_fma_f32 v3, v100, v104, -v3
	v_add_f32_e32 v2, v2, v3
	v_mul_f32_e32 v3, v107, v111
	v_fma_f32 v3, v106, v110, -v3
	v_add_f32_e32 v2, v2, v3
	v_mul_f32_e32 v3, v109, v113
	v_fma_f32 v3, v108, v112, -v3
	v_add_f32_e32 v2, v2, v3
	v_mul_f32_e32 v3, v115, v119
	v_fma_f32 v3, v114, v118, -v3
	v_add_f32_e32 v2, v2, v3
	v_mul_f32_e32 v3, v117, v121
	v_fma_f32 v3, v116, v120, -v3
	v_add_f32_e32 v2, v2, v3
	v_mul_f32_e32 v3, v123, v127
	v_fma_f32 v3, v122, v126, -v3
	v_add_f32_e32 v2, v2, v3
	v_mul_f32_e32 v3, v125, v129
	v_fma_f32 v3, v124, v128, -v3
	v_add_f32_e32 v2, v2, v3
	v_mul_f32_e32 v3, v131, v135
	v_fma_f32 v3, v130, v134, -v3
	v_add_f32_e32 v2, v2, v3
	v_mul_f32_e32 v3, v133, v137
	v_fma_f32 v3, v132, v136, -v3
	s_waitcnt lgkmcnt(0)
	v_mul_f32_e32 v148, v138, v145
	v_add_f32_e32 v2, v2, v3
	v_mul_f32_e32 v3, v139, v145
	v_fmac_f32_e32 v148, v139, v144
	v_fma_f32 v3, v138, v144, -v3
	v_add_f32_e32 v143, v143, v148
	v_mul_f32_e32 v148, v140, v147
	v_add_f32_e32 v2, v2, v3
	v_mul_f32_e32 v3, v141, v147
	v_fmac_f32_e32 v148, v141, v146
	v_fma_f32 v3, v140, v146, -v3
	v_add_f32_e32 v143, v143, v148
	;; [unrolled: 6-line block ×7, first 2 shown]
	v_add_f32_e32 v148, v2, v3
	v_mul_f32_e32 v2, v179, v183
	v_fma_f32 v204, v178, v182, -v2
	v_mul_f32_e32 v2, v185, v189
	v_fma_f32 v206, v184, v188, -v2
	ds_read_b128 v[2:5], v142 offset:864
	ds_read_b128 v[6:9], v142 offset:880
	ds_read_b128 v[10:13], v142 offset:896
	ds_read_b64 v[14:15], v142 offset:912
	v_pk_add_f32 v[16:17], v[148:149], v[204:205]
	s_waitcnt vmcnt(3) lgkmcnt(3)
	v_pk_mul_f32 v[18:19], v[2:3], v[192:193] op_sel:[1,1] op_sel_hi:[0,1]
	v_pk_add_f32 v[16:17], v[16:17], v[206:207]
	s_nop 0
	v_pk_add_f32 v[16:17], v[16:17], v[20:21]
	v_pk_fma_f32 v[20:21], v[2:3], v[192:193], v[18:19] neg_lo:[0,0,1] neg_hi:[0,0,1]
	v_pk_fma_f32 v[2:3], v[2:3], v[192:193], v[18:19] op_sel_hi:[1,0,1]
	s_nop 0
	v_mov_b32_e32 v21, v3
	v_pk_add_f32 v[2:3], v[16:17], v[20:21]
	v_mov_b32_e32 v16, v195
	v_pk_mul_f32 v[16:17], v[4:5], v[16:17] op_sel:[1,0] op_sel_hi:[0,0]
	v_pk_fma_f32 v[18:19], v[4:5], v[194:195], v[16:17] neg_lo:[0,0,1] neg_hi:[0,0,1]
	v_pk_fma_f32 v[4:5], v[4:5], v[194:195], v[16:17] op_sel_hi:[1,0,1]
	s_nop 0
	v_mov_b32_e32 v19, v5
	s_waitcnt vmcnt(2) lgkmcnt(2)
	v_pk_mul_f32 v[4:5], v[6:7], v[196:197] op_sel:[1,1] op_sel_hi:[0,1]
	v_pk_fma_f32 v[16:17], v[6:7], v[196:197], v[4:5] neg_lo:[0,0,1] neg_hi:[0,0,1]
	v_pk_fma_f32 v[4:5], v[6:7], v[196:197], v[4:5] op_sel_hi:[1,0,1]
	v_pk_add_f32 v[2:3], v[2:3], v[18:19]
	v_mov_b32_e32 v4, v199
	v_mov_b32_e32 v17, v5
	v_pk_mul_f32 v[4:5], v[8:9], v[4:5] op_sel:[1,0] op_sel_hi:[0,0]
	v_pk_fma_f32 v[6:7], v[8:9], v[198:199], v[4:5] neg_lo:[0,0,1] neg_hi:[0,0,1]
	v_pk_fma_f32 v[4:5], v[8:9], v[198:199], v[4:5] op_sel_hi:[1,0,1]
	v_pk_add_f32 v[2:3], v[2:3], v[16:17]
	v_mov_b32_e32 v7, v5
	s_waitcnt vmcnt(1) lgkmcnt(1)
	v_pk_mul_f32 v[4:5], v[10:11], v[200:201] op_sel:[1,1] op_sel_hi:[0,1]
	v_pk_add_f32 v[2:3], v[2:3], v[6:7]
	v_pk_fma_f32 v[6:7], v[10:11], v[200:201], v[4:5] neg_lo:[0,0,1] neg_hi:[0,0,1]
	v_pk_fma_f32 v[4:5], v[10:11], v[200:201], v[4:5] op_sel_hi:[1,0,1]
	s_nop 0
	v_mov_b32_e32 v4, v203
	v_mov_b32_e32 v7, v5
	v_pk_mul_f32 v[4:5], v[12:13], v[4:5] op_sel:[1,0] op_sel_hi:[0,0]
	v_pk_add_f32 v[2:3], v[2:3], v[6:7]
	v_pk_fma_f32 v[6:7], v[12:13], v[202:203], v[4:5] neg_lo:[0,0,1] neg_hi:[0,0,1]
	v_pk_fma_f32 v[4:5], v[12:13], v[202:203], v[4:5] op_sel_hi:[1,0,1]
	s_nop 0
	v_mov_b32_e32 v7, v5
	s_waitcnt vmcnt(0) lgkmcnt(0)
	v_pk_mul_f32 v[4:5], v[14:15], v[208:209] op_sel:[1,1] op_sel_hi:[0,1]
	v_pk_add_f32 v[2:3], v[2:3], v[6:7]
	v_pk_fma_f32 v[6:7], v[14:15], v[208:209], v[4:5] neg_lo:[0,0,1] neg_hi:[0,0,1]
	v_pk_fma_f32 v[4:5], v[14:15], v[208:209], v[4:5] op_sel_hi:[1,0,1]
	s_nop 0
	v_mov_b32_e32 v7, v5
	scratch_load_dwordx2 v[4:5], off, off offset:40
	v_pk_add_f32 v[2:3], v[2:3], v[6:7]
	s_waitcnt vmcnt(0)
	v_pk_add_f32 v[2:3], v[4:5], v[2:3] neg_lo:[0,1] neg_hi:[0,1]
	scratch_store_dwordx2 off, v[2:3], off offset:40
	s_and_saveexec_b64 s[0:1], vcc
	s_cbranch_execz .LBB120_347
; %bb.346:
	scratch_load_dwordx2 v[2:3], off, off offset:32
	v_mov_b32_e32 v143, v142
	scratch_store_dwordx2 off, v[142:143], off offset:32
	s_waitcnt vmcnt(1)
	ds_write_b64 v1, v[2:3]
.LBB120_347:
	s_or_b64 exec, exec, s[0:1]
	s_waitcnt lgkmcnt(0)
	; wave barrier
	scratch_load_dwordx4 v[6:9], off, off offset:40
	scratch_load_dwordx4 v[14:17], off, off offset:56
	;; [unrolled: 1-line block ×10, first 2 shown]
	ds_read2_b64 v[2:5], v142 offset0:63 offset1:64
	ds_read2_b64 v[160:163], v142 offset0:99 offset1:100
	scratch_load_dwordx4 v[86:89], off, off offset:200
	scratch_load_dwordx4 v[94:97], off, off offset:216
	;; [unrolled: 1-line block ×12, first 2 shown]
	v_cmp_lt_u32_e32 vcc, 3, v0
	ds_read2_b64 v[168:171], v142 offset0:101 offset1:102
	ds_read2_b64 v[176:179], v142 offset0:103 offset1:104
	;; [unrolled: 1-line block ×3, first 2 shown]
	s_waitcnt vmcnt(21) lgkmcnt(4)
	v_mul_f32_e32 v10, v2, v7
	v_fmac_f32_e32 v10, v3, v6
	v_mul_f32_e32 v11, v4, v9
	v_add_f32_e32 v10, 0, v10
	v_fmac_f32_e32 v11, v5, v8
	v_add_f32_e32 v18, v10, v11
	ds_read2_b64 v[10:13], v142 offset0:65 offset1:66
	v_mul_f32_e32 v3, v3, v7
	v_fma_f32 v2, v2, v6, -v3
	v_mul_f32_e32 v3, v5, v9
	v_add_f32_e32 v2, 0, v2
	s_waitcnt vmcnt(20) lgkmcnt(0)
	v_mul_f32_e32 v19, v10, v15
	v_fmac_f32_e32 v19, v11, v14
	v_add_f32_e32 v18, v18, v19
	v_mul_f32_e32 v19, v12, v17
	v_fmac_f32_e32 v19, v13, v16
	v_add_f32_e32 v26, v18, v19
	ds_read2_b64 v[18:21], v142 offset0:67 offset1:68
	v_fma_f32 v3, v4, v8, -v3
	v_add_f32_e32 v2, v2, v3
	v_mul_f32_e32 v3, v11, v15
	v_fma_f32 v3, v10, v14, -v3
	s_waitcnt vmcnt(19) lgkmcnt(0)
	v_mul_f32_e32 v27, v18, v23
	v_fmac_f32_e32 v27, v19, v22
	v_add_f32_e32 v26, v26, v27
	v_mul_f32_e32 v27, v20, v25
	v_fmac_f32_e32 v27, v21, v24
	v_add_f32_e32 v34, v26, v27
	ds_read2_b64 v[26:29], v142 offset0:69 offset1:70
	v_add_f32_e32 v2, v2, v3
	v_mul_f32_e32 v3, v13, v17
	v_fma_f32 v3, v12, v16, -v3
	v_add_f32_e32 v2, v2, v3
	s_waitcnt vmcnt(18) lgkmcnt(0)
	v_mul_f32_e32 v35, v26, v31
	v_fmac_f32_e32 v35, v27, v30
	v_add_f32_e32 v34, v34, v35
	v_mul_f32_e32 v35, v28, v33
	v_fmac_f32_e32 v35, v29, v32
	v_add_f32_e32 v42, v34, v35
	ds_read2_b64 v[34:37], v142 offset0:71 offset1:72
	v_mul_f32_e32 v3, v19, v23
	v_fma_f32 v3, v18, v22, -v3
	v_add_f32_e32 v2, v2, v3
	v_mul_f32_e32 v3, v21, v25
	s_waitcnt vmcnt(17) lgkmcnt(0)
	v_mul_f32_e32 v43, v34, v39
	v_fmac_f32_e32 v43, v35, v38
	v_add_f32_e32 v42, v42, v43
	v_mul_f32_e32 v43, v36, v41
	v_fmac_f32_e32 v43, v37, v40
	v_add_f32_e32 v50, v42, v43
	ds_read2_b64 v[42:45], v142 offset0:73 offset1:74
	v_fma_f32 v3, v20, v24, -v3
	v_add_f32_e32 v2, v2, v3
	v_mul_f32_e32 v3, v27, v31
	v_fma_f32 v3, v26, v30, -v3
	s_waitcnt vmcnt(16) lgkmcnt(0)
	v_mul_f32_e32 v51, v42, v47
	v_fmac_f32_e32 v51, v43, v46
	v_add_f32_e32 v50, v50, v51
	v_mul_f32_e32 v51, v44, v49
	v_fmac_f32_e32 v51, v45, v48
	v_add_f32_e32 v58, v50, v51
	ds_read2_b64 v[50:53], v142 offset0:75 offset1:76
	v_add_f32_e32 v2, v2, v3
	v_mul_f32_e32 v3, v29, v33
	v_fma_f32 v3, v28, v32, -v3
	v_add_f32_e32 v2, v2, v3
	s_waitcnt vmcnt(15) lgkmcnt(0)
	v_mul_f32_e32 v59, v50, v55
	v_fmac_f32_e32 v59, v51, v54
	v_add_f32_e32 v58, v58, v59
	v_mul_f32_e32 v59, v52, v57
	v_fmac_f32_e32 v59, v53, v56
	v_add_f32_e32 v66, v58, v59
	ds_read2_b64 v[58:61], v142 offset0:77 offset1:78
	v_mul_f32_e32 v3, v35, v39
	v_fma_f32 v3, v34, v38, -v3
	v_add_f32_e32 v2, v2, v3
	v_mul_f32_e32 v3, v37, v41
	s_waitcnt vmcnt(14) lgkmcnt(0)
	v_mul_f32_e32 v67, v58, v63
	v_fmac_f32_e32 v67, v59, v62
	v_add_f32_e32 v66, v66, v67
	v_mul_f32_e32 v67, v60, v65
	v_fmac_f32_e32 v67, v61, v64
	v_add_f32_e32 v74, v66, v67
	ds_read2_b64 v[66:69], v142 offset0:79 offset1:80
	v_fma_f32 v3, v36, v40, -v3
	v_add_f32_e32 v2, v2, v3
	v_mul_f32_e32 v3, v43, v47
	v_fma_f32 v3, v42, v46, -v3
	s_waitcnt vmcnt(13) lgkmcnt(0)
	v_mul_f32_e32 v75, v66, v71
	v_fmac_f32_e32 v75, v67, v70
	v_add_f32_e32 v74, v74, v75
	v_mul_f32_e32 v75, v68, v73
	v_fmac_f32_e32 v75, v69, v72
	v_add_f32_e32 v82, v74, v75
	ds_read2_b64 v[74:77], v142 offset0:81 offset1:82
	v_add_f32_e32 v2, v2, v3
	v_mul_f32_e32 v3, v45, v49
	v_fma_f32 v3, v44, v48, -v3
	v_add_f32_e32 v2, v2, v3
	s_waitcnt vmcnt(12) lgkmcnt(0)
	v_mul_f32_e32 v83, v74, v79
	v_fmac_f32_e32 v83, v75, v78
	v_add_f32_e32 v82, v82, v83
	v_mul_f32_e32 v83, v76, v81
	v_fmac_f32_e32 v83, v77, v80
	v_add_f32_e32 v90, v82, v83
	ds_read2_b64 v[82:85], v142 offset0:83 offset1:84
	v_mul_f32_e32 v3, v51, v55
	v_fma_f32 v3, v50, v54, -v3
	v_add_f32_e32 v2, v2, v3
	v_mul_f32_e32 v3, v53, v57
	s_waitcnt vmcnt(11) lgkmcnt(0)
	v_mul_f32_e32 v91, v82, v87
	v_fmac_f32_e32 v91, v83, v86
	v_add_f32_e32 v90, v90, v91
	v_mul_f32_e32 v91, v84, v89
	v_fmac_f32_e32 v91, v85, v88
	v_add_f32_e32 v98, v90, v91
	ds_read2_b64 v[90:93], v142 offset0:85 offset1:86
	v_fma_f32 v3, v52, v56, -v3
	v_add_f32_e32 v2, v2, v3
	v_mul_f32_e32 v3, v59, v63
	v_fma_f32 v3, v58, v62, -v3
	s_waitcnt vmcnt(10) lgkmcnt(0)
	v_mul_f32_e32 v99, v90, v95
	v_fmac_f32_e32 v99, v91, v94
	v_add_f32_e32 v98, v98, v99
	v_mul_f32_e32 v99, v92, v97
	v_fmac_f32_e32 v99, v93, v96
	v_add_f32_e32 v106, v98, v99
	ds_read2_b64 v[98:101], v142 offset0:87 offset1:88
	v_add_f32_e32 v2, v2, v3
	v_mul_f32_e32 v3, v61, v65
	v_fma_f32 v3, v60, v64, -v3
	v_add_f32_e32 v2, v2, v3
	s_waitcnt vmcnt(9) lgkmcnt(0)
	v_mul_f32_e32 v107, v98, v103
	v_fmac_f32_e32 v107, v99, v102
	v_add_f32_e32 v106, v106, v107
	v_mul_f32_e32 v107, v100, v105
	v_fmac_f32_e32 v107, v101, v104
	v_add_f32_e32 v114, v106, v107
	ds_read2_b64 v[106:109], v142 offset0:89 offset1:90
	v_mul_f32_e32 v3, v67, v71
	v_fma_f32 v3, v66, v70, -v3
	v_add_f32_e32 v2, v2, v3
	v_mul_f32_e32 v3, v69, v73
	s_waitcnt vmcnt(8) lgkmcnt(0)
	v_mul_f32_e32 v115, v106, v111
	v_fmac_f32_e32 v115, v107, v110
	v_add_f32_e32 v114, v114, v115
	v_mul_f32_e32 v115, v108, v113
	v_fmac_f32_e32 v115, v109, v112
	v_add_f32_e32 v122, v114, v115
	ds_read2_b64 v[114:117], v142 offset0:91 offset1:92
	v_fma_f32 v3, v68, v72, -v3
	v_add_f32_e32 v2, v2, v3
	v_mul_f32_e32 v3, v75, v79
	v_fma_f32 v3, v74, v78, -v3
	s_waitcnt vmcnt(7) lgkmcnt(0)
	v_mul_f32_e32 v123, v114, v119
	v_fmac_f32_e32 v123, v115, v118
	v_add_f32_e32 v122, v122, v123
	v_mul_f32_e32 v123, v116, v121
	v_fmac_f32_e32 v123, v117, v120
	v_add_f32_e32 v130, v122, v123
	ds_read2_b64 v[122:125], v142 offset0:93 offset1:94
	v_add_f32_e32 v2, v2, v3
	v_mul_f32_e32 v3, v77, v81
	v_fma_f32 v3, v76, v80, -v3
	v_add_f32_e32 v2, v2, v3
	s_waitcnt vmcnt(6) lgkmcnt(0)
	v_mul_f32_e32 v131, v122, v127
	v_fmac_f32_e32 v131, v123, v126
	v_add_f32_e32 v130, v130, v131
	v_mul_f32_e32 v131, v124, v129
	v_fmac_f32_e32 v131, v125, v128
	v_add_f32_e32 v138, v130, v131
	ds_read2_b64 v[130:133], v142 offset0:95 offset1:96
	v_mul_f32_e32 v3, v83, v87
	v_fma_f32 v3, v82, v86, -v3
	v_add_f32_e32 v2, v2, v3
	v_mul_f32_e32 v3, v85, v89
	s_waitcnt vmcnt(5) lgkmcnt(0)
	v_mul_f32_e32 v139, v130, v135
	v_fmac_f32_e32 v139, v131, v134
	v_add_f32_e32 v138, v138, v139
	v_mul_f32_e32 v139, v132, v137
	v_fmac_f32_e32 v139, v133, v136
	v_add_f32_e32 v143, v138, v139
	ds_read2_b64 v[138:141], v142 offset0:97 offset1:98
	scratch_load_dwordx4 v[192:195], off, off offset:392
	scratch_load_dwordx4 v[196:199], off, off offset:408
	;; [unrolled: 1-line block ×4, first 2 shown]
	v_fma_f32 v3, v84, v88, -v3
	v_add_f32_e32 v2, v2, v3
	v_mul_f32_e32 v3, v91, v95
	v_fma_f32 v3, v90, v94, -v3
	v_add_f32_e32 v2, v2, v3
	v_mul_f32_e32 v3, v93, v97
	;; [unrolled: 3-line block ×12, first 2 shown]
	v_fma_f32 v3, v132, v136, -v3
	s_waitcnt vmcnt(8) lgkmcnt(0)
	v_mul_f32_e32 v148, v138, v145
	v_add_f32_e32 v2, v2, v3
	v_mul_f32_e32 v3, v139, v145
	v_fmac_f32_e32 v148, v139, v144
	v_fma_f32 v3, v138, v144, -v3
	v_add_f32_e32 v143, v143, v148
	v_mul_f32_e32 v148, v140, v147
	v_add_f32_e32 v2, v2, v3
	v_mul_f32_e32 v3, v141, v147
	v_fmac_f32_e32 v148, v141, v146
	v_fma_f32 v3, v140, v146, -v3
	v_add_f32_e32 v143, v143, v148
	s_waitcnt vmcnt(7)
	v_mul_f32_e32 v148, v160, v165
	v_add_f32_e32 v2, v2, v3
	v_mul_f32_e32 v3, v161, v165
	v_fmac_f32_e32 v148, v161, v164
	v_fma_f32 v3, v160, v164, -v3
	v_add_f32_e32 v143, v143, v148
	v_mul_f32_e32 v148, v162, v167
	v_add_f32_e32 v2, v2, v3
	v_mul_f32_e32 v3, v163, v167
	v_fmac_f32_e32 v148, v163, v166
	v_fma_f32 v3, v162, v166, -v3
	v_add_f32_e32 v143, v143, v148
	s_waitcnt vmcnt(6)
	;; [unrolled: 13-line block ×3, first 2 shown]
	v_mul_f32_e32 v148, v176, v181
	v_add_f32_e32 v2, v2, v3
	v_mul_f32_e32 v3, v177, v181
	v_fmac_f32_e32 v148, v177, v180
	v_fma_f32 v3, v176, v180, -v3
	v_add_f32_e32 v143, v143, v148
	v_mul_f32_e32 v148, v178, v183
	v_add_f32_e32 v2, v2, v3
	v_mul_f32_e32 v3, v179, v183
	v_fmac_f32_e32 v148, v179, v182
	v_fma_f32 v3, v178, v182, -v3
	v_add_f32_e32 v149, v143, v148
	v_add_f32_e32 v148, v2, v3
	s_waitcnt vmcnt(4)
	v_mul_f32_e32 v2, v185, v189
	v_fma_f32 v208, v184, v188, -v2
	v_mul_f32_e32 v2, v187, v191
	v_fma_f32 v210, v186, v190, -v2
	ds_read2_b64 v[2:5], v142 offset0:107 offset1:108
	ds_read2_b64 v[6:9], v142 offset0:109 offset1:110
	;; [unrolled: 1-line block ×4, first 2 shown]
	v_mul_f32_e32 v209, v184, v189
	v_fmac_f32_e32 v209, v185, v188
	v_mul_f32_e32 v211, v186, v191
	s_waitcnt vmcnt(3) lgkmcnt(3)
	v_pk_mul_f32 v[20:21], v[2:3], v[192:193] op_sel:[1,1] op_sel_hi:[0,1]
	v_fmac_f32_e32 v211, v187, v190
	v_pk_add_f32 v[18:19], v[148:149], v[208:209]
	v_pk_fma_f32 v[22:23], v[2:3], v[192:193], v[20:21] neg_lo:[0,0,1] neg_hi:[0,0,1]
	v_pk_fma_f32 v[2:3], v[2:3], v[192:193], v[20:21] op_sel_hi:[1,0,1]
	v_pk_add_f32 v[18:19], v[18:19], v[210:211]
	v_mov_b32_e32 v23, v3
	v_pk_add_f32 v[2:3], v[18:19], v[22:23]
	v_mov_b32_e32 v18, v195
	v_pk_mul_f32 v[18:19], v[4:5], v[18:19] op_sel:[1,0] op_sel_hi:[0,0]
	v_pk_fma_f32 v[20:21], v[4:5], v[194:195], v[18:19] neg_lo:[0,0,1] neg_hi:[0,0,1]
	v_pk_fma_f32 v[4:5], v[4:5], v[194:195], v[18:19] op_sel_hi:[1,0,1]
	s_nop 0
	v_mov_b32_e32 v21, v5
	s_waitcnt vmcnt(2) lgkmcnt(2)
	v_pk_mul_f32 v[4:5], v[6:7], v[196:197] op_sel:[1,1] op_sel_hi:[0,1]
	v_pk_fma_f32 v[18:19], v[6:7], v[196:197], v[4:5] neg_lo:[0,0,1] neg_hi:[0,0,1]
	v_pk_fma_f32 v[4:5], v[6:7], v[196:197], v[4:5] op_sel_hi:[1,0,1]
	v_pk_add_f32 v[2:3], v[2:3], v[20:21]
	v_mov_b32_e32 v4, v199
	v_mov_b32_e32 v19, v5
	v_pk_mul_f32 v[4:5], v[8:9], v[4:5] op_sel:[1,0] op_sel_hi:[0,0]
	v_pk_fma_f32 v[6:7], v[8:9], v[198:199], v[4:5] neg_lo:[0,0,1] neg_hi:[0,0,1]
	v_pk_fma_f32 v[4:5], v[8:9], v[198:199], v[4:5] op_sel_hi:[1,0,1]
	v_pk_add_f32 v[2:3], v[2:3], v[18:19]
	v_mov_b32_e32 v7, v5
	s_waitcnt vmcnt(1) lgkmcnt(1)
	v_pk_mul_f32 v[4:5], v[10:11], v[200:201] op_sel:[1,1] op_sel_hi:[0,1]
	v_pk_add_f32 v[2:3], v[2:3], v[6:7]
	v_pk_fma_f32 v[6:7], v[10:11], v[200:201], v[4:5] neg_lo:[0,0,1] neg_hi:[0,0,1]
	v_pk_fma_f32 v[4:5], v[10:11], v[200:201], v[4:5] op_sel_hi:[1,0,1]
	s_nop 0
	v_mov_b32_e32 v4, v203
	v_mov_b32_e32 v7, v5
	v_pk_mul_f32 v[4:5], v[12:13], v[4:5] op_sel:[1,0] op_sel_hi:[0,0]
	v_pk_add_f32 v[2:3], v[2:3], v[6:7]
	v_pk_fma_f32 v[6:7], v[12:13], v[202:203], v[4:5] neg_lo:[0,0,1] neg_hi:[0,0,1]
	v_pk_fma_f32 v[4:5], v[12:13], v[202:203], v[4:5] op_sel_hi:[1,0,1]
	s_nop 0
	v_mov_b32_e32 v7, v5
	s_waitcnt vmcnt(0) lgkmcnt(0)
	v_pk_mul_f32 v[4:5], v[14:15], v[204:205] op_sel:[1,1] op_sel_hi:[0,1]
	v_pk_add_f32 v[2:3], v[2:3], v[6:7]
	v_pk_fma_f32 v[6:7], v[14:15], v[204:205], v[4:5] neg_lo:[0,0,1] neg_hi:[0,0,1]
	v_pk_fma_f32 v[4:5], v[14:15], v[204:205], v[4:5] op_sel_hi:[1,0,1]
	s_nop 0
	v_mov_b32_e32 v4, v207
	v_mov_b32_e32 v7, v5
	v_pk_mul_f32 v[4:5], v[16:17], v[4:5] op_sel:[1,0] op_sel_hi:[0,0]
	v_pk_add_f32 v[2:3], v[2:3], v[6:7]
	v_pk_fma_f32 v[6:7], v[16:17], v[206:207], v[4:5] neg_lo:[0,0,1] neg_hi:[0,0,1]
	v_pk_fma_f32 v[4:5], v[16:17], v[206:207], v[4:5] op_sel_hi:[1,0,1]
	s_nop 0
	v_mov_b32_e32 v7, v5
	scratch_load_dwordx2 v[4:5], off, off offset:32
	v_pk_add_f32 v[2:3], v[2:3], v[6:7]
	s_waitcnt vmcnt(0)
	v_pk_add_f32 v[2:3], v[4:5], v[2:3] neg_lo:[0,1] neg_hi:[0,1]
	scratch_store_dwordx2 off, v[2:3], off offset:32
	s_and_saveexec_b64 s[0:1], vcc
	s_cbranch_execz .LBB120_349
; %bb.348:
	scratch_load_dwordx2 v[2:3], off, off offset:24
	v_mov_b32_e32 v4, 0
	v_mov_b32_e32 v5, v4
	scratch_store_dwordx2 off, v[4:5], off offset:24
	s_waitcnt vmcnt(1)
	ds_write_b64 v1, v[2:3]
.LBB120_349:
	s_or_b64 exec, exec, s[0:1]
	v_mov_b32_e32 v160, 0
	s_waitcnt lgkmcnt(0)
	; wave barrier
	ds_read_b128 v[14:17], v160 offset:496
	ds_read_b128 v[10:13], v160 offset:512
	;; [unrolled: 1-line block ×4, first 2 shown]
	scratch_load_dwordx4 v[18:21], off, off offset:32
	scratch_load_dwordx4 v[38:41], off, off offset:96
	;; [unrolled: 1-line block ×17, first 2 shown]
	v_cmp_lt_u32_e32 vcc, 2, v0
	scratch_load_dwordx4 v[46:49], off, off offset:112
	scratch_load_dwordx4 v[54:57], off, off offset:128
	;; [unrolled: 1-line block ×3, first 2 shown]
	s_waitcnt vmcnt(19) lgkmcnt(3)
	v_mul_f32_e32 v22, v14, v19
	v_fmac_f32_e32 v22, v15, v18
	v_mul_f32_e32 v23, v16, v21
	v_add_f32_e32 v22, 0, v22
	v_fmac_f32_e32 v23, v17, v20
	v_add_f32_e32 v26, v22, v23
	scratch_load_dwordx4 v[22:25], off, off offset:48
	v_mul_f32_e32 v15, v15, v19
	v_fma_f32 v14, v14, v18, -v15
	v_mul_f32_e32 v15, v17, v21
	v_add_f32_e32 v14, 0, v14
	v_fma_f32 v15, v16, v20, -v15
	v_add_f32_e32 v14, v14, v15
	s_waitcnt vmcnt(4)
	v_mov_b32_e32 v18, v197
	s_waitcnt vmcnt(0) lgkmcnt(2)
	v_mul_f32_e32 v27, v10, v23
	v_fmac_f32_e32 v27, v11, v22
	v_add_f32_e32 v26, v26, v27
	v_mul_f32_e32 v27, v12, v25
	v_fmac_f32_e32 v27, v13, v24
	v_add_f32_e32 v30, v26, v27
	scratch_load_dwordx4 v[26:29], off, off offset:64
	v_mul_f32_e32 v11, v11, v23
	v_fma_f32 v10, v10, v22, -v11
	v_mul_f32_e32 v11, v13, v25
	v_add_f32_e32 v10, v14, v10
	v_fma_f32 v11, v12, v24, -v11
	v_add_f32_e32 v10, v10, v11
	s_waitcnt vmcnt(0) lgkmcnt(1)
	v_mul_f32_e32 v31, v6, v27
	v_fmac_f32_e32 v31, v7, v26
	v_add_f32_e32 v30, v30, v31
	v_mul_f32_e32 v31, v8, v29
	v_fmac_f32_e32 v31, v9, v28
	v_add_f32_e32 v34, v30, v31
	scratch_load_dwordx4 v[30:33], off, off offset:80
	v_mul_f32_e32 v7, v7, v27
	v_fma_f32 v6, v6, v26, -v7
	v_mul_f32_e32 v7, v9, v29
	v_add_f32_e32 v6, v10, v6
	v_fma_f32 v7, v8, v28, -v7
	v_add_f32_e32 v6, v6, v7
	s_waitcnt vmcnt(0) lgkmcnt(0)
	v_mul_f32_e32 v35, v2, v31
	v_fmac_f32_e32 v35, v3, v30
	v_add_f32_e32 v34, v34, v35
	v_mul_f32_e32 v35, v4, v33
	v_fmac_f32_e32 v35, v5, v32
	v_add_f32_e32 v42, v34, v35
	ds_read_b128 v[34:37], v160 offset:560
	v_mul_f32_e32 v3, v3, v31
	v_fma_f32 v2, v2, v30, -v3
	v_mul_f32_e32 v3, v5, v33
	v_add_f32_e32 v2, v6, v2
	s_waitcnt lgkmcnt(0)
	v_mul_f32_e32 v43, v34, v39
	v_fmac_f32_e32 v43, v35, v38
	v_add_f32_e32 v42, v42, v43
	v_mul_f32_e32 v43, v36, v41
	v_fmac_f32_e32 v43, v37, v40
	v_add_f32_e32 v50, v42, v43
	ds_read_b128 v[42:45], v160 offset:576
	v_fma_f32 v3, v4, v32, -v3
	v_add_f32_e32 v2, v2, v3
	v_mul_f32_e32 v3, v35, v39
	v_fma_f32 v3, v34, v38, -v3
	s_waitcnt lgkmcnt(0)
	v_mul_f32_e32 v51, v42, v47
	v_fmac_f32_e32 v51, v43, v46
	v_add_f32_e32 v50, v50, v51
	v_mul_f32_e32 v51, v44, v49
	v_fmac_f32_e32 v51, v45, v48
	v_add_f32_e32 v58, v50, v51
	ds_read_b128 v[50:53], v160 offset:592
	v_add_f32_e32 v2, v2, v3
	v_mul_f32_e32 v3, v37, v41
	v_fma_f32 v3, v36, v40, -v3
	v_add_f32_e32 v2, v2, v3
	s_waitcnt lgkmcnt(0)
	v_mul_f32_e32 v59, v50, v55
	v_fmac_f32_e32 v59, v51, v54
	v_add_f32_e32 v58, v58, v59
	v_mul_f32_e32 v59, v52, v57
	v_fmac_f32_e32 v59, v53, v56
	v_add_f32_e32 v66, v58, v59
	ds_read_b128 v[58:61], v160 offset:608
	v_mul_f32_e32 v3, v43, v47
	v_fma_f32 v3, v42, v46, -v3
	v_add_f32_e32 v2, v2, v3
	v_mul_f32_e32 v3, v45, v49
	s_waitcnt lgkmcnt(0)
	v_mul_f32_e32 v67, v58, v63
	v_fmac_f32_e32 v67, v59, v62
	v_add_f32_e32 v66, v66, v67
	v_mul_f32_e32 v67, v60, v65
	v_fmac_f32_e32 v67, v61, v64
	v_add_f32_e32 v74, v66, v67
	ds_read_b128 v[66:69], v160 offset:624
	v_fma_f32 v3, v44, v48, -v3
	v_add_f32_e32 v2, v2, v3
	v_mul_f32_e32 v3, v51, v55
	v_fma_f32 v3, v50, v54, -v3
	s_waitcnt lgkmcnt(0)
	v_mul_f32_e32 v75, v66, v71
	v_fmac_f32_e32 v75, v67, v70
	v_add_f32_e32 v74, v74, v75
	v_mul_f32_e32 v75, v68, v73
	v_fmac_f32_e32 v75, v69, v72
	v_add_f32_e32 v82, v74, v75
	ds_read_b128 v[74:77], v160 offset:640
	v_add_f32_e32 v2, v2, v3
	v_mul_f32_e32 v3, v53, v57
	v_fma_f32 v3, v52, v56, -v3
	v_add_f32_e32 v2, v2, v3
	s_waitcnt lgkmcnt(0)
	v_mul_f32_e32 v83, v74, v79
	v_fmac_f32_e32 v83, v75, v78
	v_add_f32_e32 v82, v82, v83
	v_mul_f32_e32 v83, v76, v81
	v_fmac_f32_e32 v83, v77, v80
	v_add_f32_e32 v90, v82, v83
	ds_read_b128 v[82:85], v160 offset:656
	v_mul_f32_e32 v3, v59, v63
	v_fma_f32 v3, v58, v62, -v3
	v_add_f32_e32 v2, v2, v3
	v_mul_f32_e32 v3, v61, v65
	;; [unrolled: 36-line block ×5, first 2 shown]
	s_waitcnt lgkmcnt(0)
	v_mul_f32_e32 v174, v166, v171
	v_fmac_f32_e32 v174, v167, v170
	v_add_f32_e32 v161, v161, v174
	v_mul_f32_e32 v174, v168, v173
	v_fmac_f32_e32 v174, v169, v172
	v_add_f32_e32 v161, v161, v174
	ds_read_b128 v[174:177], v160 offset:816
	v_fma_f32 v3, v108, v112, -v3
	v_add_f32_e32 v2, v2, v3
	v_mul_f32_e32 v3, v115, v119
	v_fma_f32 v3, v114, v118, -v3
	s_waitcnt lgkmcnt(0)
	v_mul_f32_e32 v182, v174, v179
	v_fmac_f32_e32 v182, v175, v178
	v_add_f32_e32 v161, v161, v182
	v_mul_f32_e32 v182, v176, v181
	v_fmac_f32_e32 v182, v177, v180
	v_add_f32_e32 v161, v161, v182
	ds_read_b128 v[182:185], v160 offset:832
	v_add_f32_e32 v2, v2, v3
	v_mul_f32_e32 v3, v117, v121
	v_fma_f32 v3, v116, v120, -v3
	v_add_f32_e32 v2, v2, v3
	s_waitcnt lgkmcnt(0)
	v_mul_f32_e32 v190, v182, v187
	v_fmac_f32_e32 v190, v183, v186
	v_add_f32_e32 v211, v161, v190
	ds_read_b128 v[190:193], v160 offset:848
	scratch_load_dwordx4 v[198:201], off, off offset:400
	scratch_load_dwordx4 v[202:205], off, off offset:416
	;; [unrolled: 1-line block ×3, first 2 shown]
	scratch_load_dwordx2 v[216:217], off, off offset:448
	v_mul_f32_e32 v3, v123, v127
	v_fma_f32 v3, v122, v126, -v3
	v_add_f32_e32 v2, v2, v3
	v_mul_f32_e32 v3, v125, v129
	v_fma_f32 v3, v124, v128, -v3
	v_add_f32_e32 v2, v2, v3
	v_mul_f32_e32 v3, v131, v135
	v_fma_f32 v3, v130, v134, -v3
	v_add_f32_e32 v2, v2, v3
	v_mul_f32_e32 v3, v133, v137
	v_fma_f32 v3, v132, v136, -v3
	v_add_f32_e32 v2, v2, v3
	v_mul_f32_e32 v3, v139, v143
	v_fma_f32 v3, v138, v142, -v3
	v_add_f32_e32 v2, v2, v3
	v_mul_f32_e32 v3, v141, v145
	v_fma_f32 v3, v140, v144, -v3
	v_add_f32_e32 v2, v2, v3
	v_mul_f32_e32 v3, v147, v163
	v_fma_f32 v3, v146, v162, -v3
	v_add_f32_e32 v2, v2, v3
	v_mul_f32_e32 v3, v149, v165
	v_fma_f32 v3, v148, v164, -v3
	v_add_f32_e32 v2, v2, v3
	v_mul_f32_e32 v3, v167, v171
	v_fma_f32 v3, v166, v170, -v3
	v_add_f32_e32 v2, v2, v3
	v_mul_f32_e32 v3, v169, v173
	v_fma_f32 v3, v168, v172, -v3
	v_add_f32_e32 v2, v2, v3
	v_mul_f32_e32 v3, v175, v179
	v_fma_f32 v3, v174, v178, -v3
	v_add_f32_e32 v2, v2, v3
	v_mul_f32_e32 v3, v177, v181
	v_fma_f32 v3, v176, v180, -v3
	v_add_f32_e32 v2, v2, v3
	v_mul_f32_e32 v3, v183, v187
	v_fma_f32 v3, v182, v186, -v3
	v_add_f32_e32 v210, v2, v3
	v_mul_f32_e32 v2, v185, v189
	v_mul_f32_e32 v213, v184, v189
	v_fma_f32 v212, v184, v188, -v2
	s_waitcnt lgkmcnt(0)
	v_mul_f32_e32 v2, v191, v195
	v_fmac_f32_e32 v213, v185, v188
	v_mul_f32_e32 v215, v190, v195
	v_fma_f32 v214, v190, v194, -v2
	ds_read_b128 v[2:5], v160 offset:864
	ds_read_b128 v[6:9], v160 offset:880
	;; [unrolled: 1-line block ×3, first 2 shown]
	ds_read_b64 v[14:15], v160 offset:912
	v_pk_mul_f32 v[18:19], v[192:193], v[18:19] op_sel:[1,0] op_sel_hi:[0,0]
	v_fmac_f32_e32 v215, v191, v194
	v_pk_add_f32 v[16:17], v[210:211], v[212:213]
	v_pk_fma_f32 v[20:21], v[192:193], v[196:197], v[18:19] neg_lo:[0,0,1] neg_hi:[0,0,1]
	v_pk_fma_f32 v[18:19], v[192:193], v[196:197], v[18:19] op_sel_hi:[1,0,1]
	v_pk_add_f32 v[16:17], v[16:17], v[214:215]
	v_mov_b32_e32 v21, v19
	v_pk_add_f32 v[16:17], v[16:17], v[20:21]
	s_waitcnt vmcnt(3) lgkmcnt(3)
	v_pk_mul_f32 v[18:19], v[2:3], v[198:199] op_sel:[1,1] op_sel_hi:[0,1]
	v_pk_fma_f32 v[20:21], v[2:3], v[198:199], v[18:19] neg_lo:[0,0,1] neg_hi:[0,0,1]
	v_pk_fma_f32 v[2:3], v[2:3], v[198:199], v[18:19] op_sel_hi:[1,0,1]
	s_nop 0
	v_mov_b32_e32 v21, v3
	v_pk_add_f32 v[2:3], v[16:17], v[20:21]
	v_mov_b32_e32 v16, v201
	v_pk_mul_f32 v[16:17], v[4:5], v[16:17] op_sel:[1,0] op_sel_hi:[0,0]
	v_pk_fma_f32 v[18:19], v[4:5], v[200:201], v[16:17] neg_lo:[0,0,1] neg_hi:[0,0,1]
	v_pk_fma_f32 v[4:5], v[4:5], v[200:201], v[16:17] op_sel_hi:[1,0,1]
	s_nop 0
	v_mov_b32_e32 v19, v5
	s_waitcnt vmcnt(2) lgkmcnt(2)
	v_pk_mul_f32 v[4:5], v[6:7], v[202:203] op_sel:[1,1] op_sel_hi:[0,1]
	v_pk_fma_f32 v[16:17], v[6:7], v[202:203], v[4:5] neg_lo:[0,0,1] neg_hi:[0,0,1]
	v_pk_fma_f32 v[4:5], v[6:7], v[202:203], v[4:5] op_sel_hi:[1,0,1]
	v_pk_add_f32 v[2:3], v[2:3], v[18:19]
	v_mov_b32_e32 v4, v205
	v_mov_b32_e32 v17, v5
	v_pk_mul_f32 v[4:5], v[8:9], v[4:5] op_sel:[1,0] op_sel_hi:[0,0]
	v_pk_fma_f32 v[6:7], v[8:9], v[204:205], v[4:5] neg_lo:[0,0,1] neg_hi:[0,0,1]
	v_pk_fma_f32 v[4:5], v[8:9], v[204:205], v[4:5] op_sel_hi:[1,0,1]
	v_pk_add_f32 v[2:3], v[2:3], v[16:17]
	v_mov_b32_e32 v7, v5
	s_waitcnt vmcnt(1) lgkmcnt(1)
	v_pk_mul_f32 v[4:5], v[10:11], v[206:207] op_sel:[1,1] op_sel_hi:[0,1]
	v_pk_add_f32 v[2:3], v[2:3], v[6:7]
	v_pk_fma_f32 v[6:7], v[10:11], v[206:207], v[4:5] neg_lo:[0,0,1] neg_hi:[0,0,1]
	v_pk_fma_f32 v[4:5], v[10:11], v[206:207], v[4:5] op_sel_hi:[1,0,1]
	s_nop 0
	v_mov_b32_e32 v4, v209
	v_mov_b32_e32 v7, v5
	v_pk_mul_f32 v[4:5], v[12:13], v[4:5] op_sel:[1,0] op_sel_hi:[0,0]
	v_pk_add_f32 v[2:3], v[2:3], v[6:7]
	v_pk_fma_f32 v[6:7], v[12:13], v[208:209], v[4:5] neg_lo:[0,0,1] neg_hi:[0,0,1]
	v_pk_fma_f32 v[4:5], v[12:13], v[208:209], v[4:5] op_sel_hi:[1,0,1]
	s_nop 0
	v_mov_b32_e32 v7, v5
	s_waitcnt vmcnt(0) lgkmcnt(0)
	v_pk_mul_f32 v[4:5], v[14:15], v[216:217] op_sel:[1,1] op_sel_hi:[0,1]
	v_pk_add_f32 v[2:3], v[2:3], v[6:7]
	v_pk_fma_f32 v[6:7], v[14:15], v[216:217], v[4:5] neg_lo:[0,0,1] neg_hi:[0,0,1]
	v_pk_fma_f32 v[4:5], v[14:15], v[216:217], v[4:5] op_sel_hi:[1,0,1]
	s_nop 0
	v_mov_b32_e32 v7, v5
	scratch_load_dwordx2 v[4:5], off, off offset:24
	v_pk_add_f32 v[2:3], v[2:3], v[6:7]
	s_waitcnt vmcnt(0)
	v_pk_add_f32 v[2:3], v[4:5], v[2:3] neg_lo:[0,1] neg_hi:[0,1]
	scratch_store_dwordx2 off, v[2:3], off offset:24
	s_and_saveexec_b64 s[0:1], vcc
	s_cbranch_execz .LBB120_351
; %bb.350:
	scratch_load_dwordx2 v[2:3], off, off offset:16
	v_mov_b32_e32 v161, v160
	scratch_store_dwordx2 off, v[160:161], off offset:16
	s_waitcnt vmcnt(1)
	ds_write_b64 v1, v[2:3]
.LBB120_351:
	s_or_b64 exec, exec, s[0:1]
	s_waitcnt lgkmcnt(0)
	; wave barrier
	scratch_load_dwordx4 v[6:9], off, off offset:24
	scratch_load_dwordx4 v[14:17], off, off offset:40
	;; [unrolled: 1-line block ×10, first 2 shown]
	ds_read2_b64 v[2:5], v160 offset0:61 offset1:62
	scratch_load_dwordx4 v[86:89], off, off offset:184
	scratch_load_dwordx4 v[94:97], off, off offset:200
	;; [unrolled: 1-line block ×13, first 2 shown]
	v_cmp_lt_u32_e32 vcc, 1, v0
	s_waitcnt vmcnt(22) lgkmcnt(0)
	v_mul_f32_e32 v10, v2, v7
	v_fmac_f32_e32 v10, v3, v6
	v_mul_f32_e32 v11, v4, v9
	v_add_f32_e32 v10, 0, v10
	v_fmac_f32_e32 v11, v5, v8
	v_add_f32_e32 v18, v10, v11
	ds_read2_b64 v[10:13], v160 offset0:63 offset1:64
	v_mul_f32_e32 v3, v3, v7
	v_fma_f32 v2, v2, v6, -v3
	v_mul_f32_e32 v3, v5, v9
	v_add_f32_e32 v2, 0, v2
	s_waitcnt vmcnt(21) lgkmcnt(0)
	v_mul_f32_e32 v19, v10, v15
	v_fmac_f32_e32 v19, v11, v14
	v_add_f32_e32 v18, v18, v19
	v_mul_f32_e32 v19, v12, v17
	v_fmac_f32_e32 v19, v13, v16
	v_add_f32_e32 v26, v18, v19
	ds_read2_b64 v[18:21], v160 offset0:65 offset1:66
	v_fma_f32 v3, v4, v8, -v3
	v_add_f32_e32 v2, v2, v3
	v_mul_f32_e32 v3, v11, v15
	v_fma_f32 v3, v10, v14, -v3
	s_waitcnt vmcnt(20) lgkmcnt(0)
	v_mul_f32_e32 v27, v18, v23
	v_fmac_f32_e32 v27, v19, v22
	v_add_f32_e32 v26, v26, v27
	v_mul_f32_e32 v27, v20, v25
	v_fmac_f32_e32 v27, v21, v24
	v_add_f32_e32 v34, v26, v27
	ds_read2_b64 v[26:29], v160 offset0:67 offset1:68
	v_add_f32_e32 v2, v2, v3
	v_mul_f32_e32 v3, v13, v17
	v_fma_f32 v3, v12, v16, -v3
	v_add_f32_e32 v2, v2, v3
	s_waitcnt vmcnt(19) lgkmcnt(0)
	v_mul_f32_e32 v35, v26, v31
	v_fmac_f32_e32 v35, v27, v30
	v_add_f32_e32 v34, v34, v35
	v_mul_f32_e32 v35, v28, v33
	v_fmac_f32_e32 v35, v29, v32
	v_add_f32_e32 v42, v34, v35
	ds_read2_b64 v[34:37], v160 offset0:69 offset1:70
	v_mul_f32_e32 v3, v19, v23
	v_fma_f32 v3, v18, v22, -v3
	v_add_f32_e32 v2, v2, v3
	v_mul_f32_e32 v3, v21, v25
	s_waitcnt vmcnt(18) lgkmcnt(0)
	v_mul_f32_e32 v43, v34, v39
	v_fmac_f32_e32 v43, v35, v38
	v_add_f32_e32 v42, v42, v43
	v_mul_f32_e32 v43, v36, v41
	v_fmac_f32_e32 v43, v37, v40
	v_add_f32_e32 v50, v42, v43
	ds_read2_b64 v[42:45], v160 offset0:71 offset1:72
	v_fma_f32 v3, v20, v24, -v3
	v_add_f32_e32 v2, v2, v3
	v_mul_f32_e32 v3, v27, v31
	v_fma_f32 v3, v26, v30, -v3
	s_waitcnt vmcnt(17) lgkmcnt(0)
	v_mul_f32_e32 v51, v42, v47
	v_fmac_f32_e32 v51, v43, v46
	v_add_f32_e32 v50, v50, v51
	v_mul_f32_e32 v51, v44, v49
	v_fmac_f32_e32 v51, v45, v48
	v_add_f32_e32 v58, v50, v51
	ds_read2_b64 v[50:53], v160 offset0:73 offset1:74
	v_add_f32_e32 v2, v2, v3
	v_mul_f32_e32 v3, v29, v33
	v_fma_f32 v3, v28, v32, -v3
	v_add_f32_e32 v2, v2, v3
	s_waitcnt vmcnt(16) lgkmcnt(0)
	v_mul_f32_e32 v59, v50, v55
	v_fmac_f32_e32 v59, v51, v54
	v_add_f32_e32 v58, v58, v59
	v_mul_f32_e32 v59, v52, v57
	v_fmac_f32_e32 v59, v53, v56
	v_add_f32_e32 v66, v58, v59
	ds_read2_b64 v[58:61], v160 offset0:75 offset1:76
	v_mul_f32_e32 v3, v35, v39
	v_fma_f32 v3, v34, v38, -v3
	v_add_f32_e32 v2, v2, v3
	v_mul_f32_e32 v3, v37, v41
	;; [unrolled: 36-line block ×6, first 2 shown]
	s_waitcnt vmcnt(3) lgkmcnt(0)
	v_mul_f32_e32 v174, v166, v171
	v_fmac_f32_e32 v174, v167, v170
	v_add_f32_e32 v161, v161, v174
	v_mul_f32_e32 v174, v168, v173
	v_fmac_f32_e32 v174, v169, v172
	v_add_f32_e32 v161, v161, v174
	ds_read2_b64 v[174:177], v160 offset0:101 offset1:102
	v_fma_f32 v3, v100, v104, -v3
	v_add_f32_e32 v2, v2, v3
	v_mul_f32_e32 v3, v107, v111
	v_fma_f32 v3, v106, v110, -v3
	s_waitcnt vmcnt(2) lgkmcnt(0)
	v_mul_f32_e32 v182, v174, v179
	v_fmac_f32_e32 v182, v175, v178
	v_add_f32_e32 v161, v161, v182
	v_mul_f32_e32 v182, v176, v181
	v_fmac_f32_e32 v182, v177, v180
	v_add_f32_e32 v161, v161, v182
	ds_read2_b64 v[182:185], v160 offset0:103 offset1:104
	v_add_f32_e32 v2, v2, v3
	v_mul_f32_e32 v3, v109, v113
	v_fma_f32 v3, v108, v112, -v3
	v_add_f32_e32 v2, v2, v3
	s_waitcnt vmcnt(1) lgkmcnt(0)
	v_mul_f32_e32 v190, v182, v187
	v_fmac_f32_e32 v190, v183, v186
	v_add_f32_e32 v161, v161, v190
	v_mul_f32_e32 v190, v184, v189
	v_fmac_f32_e32 v190, v185, v188
	v_add_f32_e32 v215, v161, v190
	ds_read2_b64 v[190:193], v160 offset0:105 offset1:106
	scratch_load_dwordx4 v[198:201], off, off offset:392
	scratch_load_dwordx4 v[202:205], off, off offset:408
	;; [unrolled: 1-line block ×4, first 2 shown]
	v_mul_f32_e32 v3, v115, v119
	v_fma_f32 v3, v114, v118, -v3
	v_add_f32_e32 v2, v2, v3
	v_mul_f32_e32 v3, v117, v121
	v_fma_f32 v3, v116, v120, -v3
	v_add_f32_e32 v2, v2, v3
	;; [unrolled: 3-line block ×16, first 2 shown]
	s_waitcnt vmcnt(4) lgkmcnt(0)
	v_mul_f32_e32 v2, v191, v195
	v_fma_f32 v216, v190, v194, -v2
	v_mul_f32_e32 v2, v193, v197
	v_fma_f32 v218, v192, v196, -v2
	ds_read2_b64 v[2:5], v160 offset0:107 offset1:108
	ds_read2_b64 v[6:9], v160 offset0:109 offset1:110
	;; [unrolled: 1-line block ×4, first 2 shown]
	v_mul_f32_e32 v217, v190, v195
	v_fmac_f32_e32 v217, v191, v194
	v_mul_f32_e32 v219, v192, v197
	v_fmac_f32_e32 v219, v193, v196
	v_pk_add_f32 v[18:19], v[214:215], v[216:217]
	s_waitcnt vmcnt(3) lgkmcnt(3)
	v_pk_mul_f32 v[20:21], v[2:3], v[198:199] op_sel:[1,1] op_sel_hi:[0,1]
	v_pk_fma_f32 v[22:23], v[2:3], v[198:199], v[20:21] neg_lo:[0,0,1] neg_hi:[0,0,1]
	v_pk_fma_f32 v[2:3], v[2:3], v[198:199], v[20:21] op_sel_hi:[1,0,1]
	v_pk_add_f32 v[18:19], v[18:19], v[218:219]
	v_mov_b32_e32 v23, v3
	v_pk_add_f32 v[2:3], v[18:19], v[22:23]
	v_mov_b32_e32 v18, v201
	v_pk_mul_f32 v[18:19], v[4:5], v[18:19] op_sel:[1,0] op_sel_hi:[0,0]
	v_pk_fma_f32 v[20:21], v[4:5], v[200:201], v[18:19] neg_lo:[0,0,1] neg_hi:[0,0,1]
	v_pk_fma_f32 v[4:5], v[4:5], v[200:201], v[18:19] op_sel_hi:[1,0,1]
	s_nop 0
	v_mov_b32_e32 v21, v5
	s_waitcnt vmcnt(2) lgkmcnt(2)
	v_pk_mul_f32 v[4:5], v[6:7], v[202:203] op_sel:[1,1] op_sel_hi:[0,1]
	v_pk_fma_f32 v[18:19], v[6:7], v[202:203], v[4:5] neg_lo:[0,0,1] neg_hi:[0,0,1]
	v_pk_fma_f32 v[4:5], v[6:7], v[202:203], v[4:5] op_sel_hi:[1,0,1]
	v_pk_add_f32 v[2:3], v[2:3], v[20:21]
	v_mov_b32_e32 v4, v205
	v_mov_b32_e32 v19, v5
	v_pk_mul_f32 v[4:5], v[8:9], v[4:5] op_sel:[1,0] op_sel_hi:[0,0]
	v_pk_fma_f32 v[6:7], v[8:9], v[204:205], v[4:5] neg_lo:[0,0,1] neg_hi:[0,0,1]
	v_pk_fma_f32 v[4:5], v[8:9], v[204:205], v[4:5] op_sel_hi:[1,0,1]
	v_pk_add_f32 v[2:3], v[2:3], v[18:19]
	v_mov_b32_e32 v7, v5
	s_waitcnt vmcnt(1) lgkmcnt(1)
	v_pk_mul_f32 v[4:5], v[10:11], v[206:207] op_sel:[1,1] op_sel_hi:[0,1]
	v_pk_add_f32 v[2:3], v[2:3], v[6:7]
	v_pk_fma_f32 v[6:7], v[10:11], v[206:207], v[4:5] neg_lo:[0,0,1] neg_hi:[0,0,1]
	v_pk_fma_f32 v[4:5], v[10:11], v[206:207], v[4:5] op_sel_hi:[1,0,1]
	s_nop 0
	v_mov_b32_e32 v4, v209
	v_mov_b32_e32 v7, v5
	v_pk_mul_f32 v[4:5], v[12:13], v[4:5] op_sel:[1,0] op_sel_hi:[0,0]
	v_pk_add_f32 v[2:3], v[2:3], v[6:7]
	v_pk_fma_f32 v[6:7], v[12:13], v[208:209], v[4:5] neg_lo:[0,0,1] neg_hi:[0,0,1]
	v_pk_fma_f32 v[4:5], v[12:13], v[208:209], v[4:5] op_sel_hi:[1,0,1]
	s_nop 0
	v_mov_b32_e32 v7, v5
	s_waitcnt vmcnt(0) lgkmcnt(0)
	v_pk_mul_f32 v[4:5], v[14:15], v[210:211] op_sel:[1,1] op_sel_hi:[0,1]
	v_pk_add_f32 v[2:3], v[2:3], v[6:7]
	v_pk_fma_f32 v[6:7], v[14:15], v[210:211], v[4:5] neg_lo:[0,0,1] neg_hi:[0,0,1]
	v_pk_fma_f32 v[4:5], v[14:15], v[210:211], v[4:5] op_sel_hi:[1,0,1]
	s_nop 0
	v_mov_b32_e32 v4, v213
	v_mov_b32_e32 v7, v5
	v_pk_mul_f32 v[4:5], v[16:17], v[4:5] op_sel:[1,0] op_sel_hi:[0,0]
	v_pk_add_f32 v[2:3], v[2:3], v[6:7]
	v_pk_fma_f32 v[6:7], v[16:17], v[212:213], v[4:5] neg_lo:[0,0,1] neg_hi:[0,0,1]
	v_pk_fma_f32 v[4:5], v[16:17], v[212:213], v[4:5] op_sel_hi:[1,0,1]
	s_nop 0
	v_mov_b32_e32 v7, v5
	scratch_load_dwordx2 v[4:5], off, off offset:16
	v_pk_add_f32 v[2:3], v[2:3], v[6:7]
	s_waitcnt vmcnt(0)
	v_pk_add_f32 v[2:3], v[4:5], v[2:3] neg_lo:[0,1] neg_hi:[0,1]
	scratch_store_dwordx2 off, v[2:3], off offset:16
	s_and_saveexec_b64 s[0:1], vcc
	s_cbranch_execz .LBB120_353
; %bb.352:
	scratch_load_dwordx2 v[2:3], off, off offset:8
	v_mov_b32_e32 v4, 0
	v_mov_b32_e32 v5, v4
	scratch_store_dwordx2 off, v[4:5], off offset:8
	s_waitcnt vmcnt(1)
	ds_write_b64 v1, v[2:3]
.LBB120_353:
	s_or_b64 exec, exec, s[0:1]
	v_mov_b32_e32 v148, 0
	s_waitcnt lgkmcnt(0)
	; wave barrier
	ds_read_b128 v[14:17], v148 offset:480
	ds_read_b128 v[10:13], v148 offset:496
	;; [unrolled: 1-line block ×4, first 2 shown]
	scratch_load_dwordx4 v[18:21], off, off offset:16
	scratch_load_dwordx4 v[38:41], off, off offset:80
	;; [unrolled: 1-line block ×18, first 2 shown]
	v_cmp_ne_u32_e32 vcc, 0, v0
	scratch_load_dwordx4 v[46:49], off, off offset:96
	scratch_load_dwordx4 v[54:57], off, off offset:112
	;; [unrolled: 1-line block ×3, first 2 shown]
	ds_read_b128 v[160:163], v148 offset:768
	ds_read_b128 v[168:171], v148 offset:784
	;; [unrolled: 1-line block ×6, first 2 shown]
	s_waitcnt vmcnt(20) lgkmcnt(9)
	v_mul_f32_e32 v22, v14, v19
	v_fmac_f32_e32 v22, v15, v18
	v_mul_f32_e32 v23, v16, v21
	v_add_f32_e32 v22, 0, v22
	v_fmac_f32_e32 v23, v17, v20
	v_add_f32_e32 v26, v22, v23
	scratch_load_dwordx4 v[22:25], off, off offset:32
	v_mul_f32_e32 v15, v15, v19
	v_fma_f32 v14, v14, v18, -v15
	v_mul_f32_e32 v15, v17, v21
	v_add_f32_e32 v14, 0, v14
	v_fma_f32 v15, v16, v20, -v15
	v_add_f32_e32 v14, v14, v15
	s_waitcnt vmcnt(5) lgkmcnt(1)
	v_mul_f32_e32 v221, v194, v199
	s_waitcnt vmcnt(4)
	v_mov_b32_e32 v18, v207
	v_fmac_f32_e32 v221, v195, v198
	s_waitcnt lgkmcnt(0)
	v_mul_f32_e32 v223, v200, v205
	v_pk_mul_f32 v[18:19], v[202:203], v[18:19] op_sel:[1,0] op_sel_hi:[0,0]
	v_fmac_f32_e32 v223, v201, v204
	v_pk_fma_f32 v[20:21], v[202:203], v[206:207], v[18:19] neg_lo:[0,0,1] neg_hi:[0,0,1]
	v_pk_fma_f32 v[18:19], v[202:203], v[206:207], v[18:19] op_sel_hi:[1,0,1]
	s_waitcnt vmcnt(0)
	v_mul_f32_e32 v27, v10, v23
	v_fmac_f32_e32 v27, v11, v22
	v_add_f32_e32 v26, v26, v27
	v_mul_f32_e32 v27, v12, v25
	v_fmac_f32_e32 v27, v13, v24
	v_add_f32_e32 v30, v26, v27
	scratch_load_dwordx4 v[26:29], off, off offset:48
	v_mul_f32_e32 v11, v11, v23
	v_fma_f32 v10, v10, v22, -v11
	v_mul_f32_e32 v11, v13, v25
	v_add_f32_e32 v10, v14, v10
	v_fma_f32 v11, v12, v24, -v11
	v_add_f32_e32 v10, v10, v11
	v_mov_b32_e32 v21, v19
	s_waitcnt vmcnt(0)
	v_mul_f32_e32 v31, v6, v27
	v_fmac_f32_e32 v31, v7, v26
	v_add_f32_e32 v30, v30, v31
	v_mul_f32_e32 v31, v8, v29
	v_fmac_f32_e32 v31, v9, v28
	v_add_f32_e32 v34, v30, v31
	scratch_load_dwordx4 v[30:33], off, off offset:64
	v_mul_f32_e32 v7, v7, v27
	v_fma_f32 v6, v6, v26, -v7
	v_mul_f32_e32 v7, v9, v29
	v_add_f32_e32 v6, v10, v6
	v_fma_f32 v7, v8, v28, -v7
	v_add_f32_e32 v6, v6, v7
	s_waitcnt vmcnt(0)
	v_mul_f32_e32 v35, v2, v31
	v_fmac_f32_e32 v35, v3, v30
	v_add_f32_e32 v34, v34, v35
	v_mul_f32_e32 v35, v4, v33
	v_fmac_f32_e32 v35, v5, v32
	v_add_f32_e32 v42, v34, v35
	ds_read_b128 v[34:37], v148 offset:544
	v_mul_f32_e32 v3, v3, v31
	v_fma_f32 v2, v2, v30, -v3
	v_mul_f32_e32 v3, v5, v33
	v_add_f32_e32 v2, v6, v2
	s_waitcnt lgkmcnt(0)
	v_mul_f32_e32 v43, v34, v39
	v_fmac_f32_e32 v43, v35, v38
	v_add_f32_e32 v42, v42, v43
	v_mul_f32_e32 v43, v36, v41
	v_fmac_f32_e32 v43, v37, v40
	v_add_f32_e32 v50, v42, v43
	ds_read_b128 v[42:45], v148 offset:560
	v_fma_f32 v3, v4, v32, -v3
	v_add_f32_e32 v2, v2, v3
	v_mul_f32_e32 v3, v35, v39
	v_fma_f32 v3, v34, v38, -v3
	s_waitcnt lgkmcnt(0)
	v_mul_f32_e32 v51, v42, v47
	v_fmac_f32_e32 v51, v43, v46
	v_add_f32_e32 v50, v50, v51
	v_mul_f32_e32 v51, v44, v49
	v_fmac_f32_e32 v51, v45, v48
	v_add_f32_e32 v58, v50, v51
	ds_read_b128 v[50:53], v148 offset:576
	v_add_f32_e32 v2, v2, v3
	v_mul_f32_e32 v3, v37, v41
	v_fma_f32 v3, v36, v40, -v3
	v_add_f32_e32 v2, v2, v3
	s_waitcnt lgkmcnt(0)
	v_mul_f32_e32 v59, v50, v55
	v_fmac_f32_e32 v59, v51, v54
	v_add_f32_e32 v58, v58, v59
	v_mul_f32_e32 v59, v52, v57
	v_fmac_f32_e32 v59, v53, v56
	v_add_f32_e32 v66, v58, v59
	ds_read_b128 v[58:61], v148 offset:592
	v_mul_f32_e32 v3, v43, v47
	v_fma_f32 v3, v42, v46, -v3
	v_add_f32_e32 v2, v2, v3
	v_mul_f32_e32 v3, v45, v49
	s_waitcnt lgkmcnt(0)
	v_mul_f32_e32 v67, v58, v63
	v_fmac_f32_e32 v67, v59, v62
	v_add_f32_e32 v66, v66, v67
	v_mul_f32_e32 v67, v60, v65
	v_fmac_f32_e32 v67, v61, v64
	v_add_f32_e32 v74, v66, v67
	ds_read_b128 v[66:69], v148 offset:608
	v_fma_f32 v3, v44, v48, -v3
	v_add_f32_e32 v2, v2, v3
	v_mul_f32_e32 v3, v51, v55
	v_fma_f32 v3, v50, v54, -v3
	s_waitcnt lgkmcnt(0)
	v_mul_f32_e32 v75, v66, v71
	v_fmac_f32_e32 v75, v67, v70
	v_add_f32_e32 v74, v74, v75
	v_mul_f32_e32 v75, v68, v73
	v_fmac_f32_e32 v75, v69, v72
	v_add_f32_e32 v82, v74, v75
	ds_read_b128 v[74:77], v148 offset:624
	v_add_f32_e32 v2, v2, v3
	v_mul_f32_e32 v3, v53, v57
	v_fma_f32 v3, v52, v56, -v3
	v_add_f32_e32 v2, v2, v3
	s_waitcnt lgkmcnt(0)
	v_mul_f32_e32 v83, v74, v79
	v_fmac_f32_e32 v83, v75, v78
	v_add_f32_e32 v82, v82, v83
	v_mul_f32_e32 v83, v76, v81
	v_fmac_f32_e32 v83, v77, v80
	v_add_f32_e32 v90, v82, v83
	ds_read_b128 v[82:85], v148 offset:640
	v_mul_f32_e32 v3, v59, v63
	v_fma_f32 v3, v58, v62, -v3
	v_add_f32_e32 v2, v2, v3
	v_mul_f32_e32 v3, v61, v65
	;; [unrolled: 36-line block ×4, first 2 shown]
	s_waitcnt lgkmcnt(0)
	v_mul_f32_e32 v139, v130, v135
	v_fmac_f32_e32 v139, v131, v134
	v_add_f32_e32 v138, v138, v139
	v_mul_f32_e32 v139, v132, v137
	v_fmac_f32_e32 v139, v133, v136
	v_add_f32_e32 v146, v138, v139
	ds_read_b128 v[138:141], v148 offset:752
	scratch_load_dwordx4 v[208:211], off, off offset:400
	scratch_load_dwordx4 v[212:215], off, off offset:416
	scratch_load_dwordx4 v[216:219], off, off offset:432
	scratch_load_dwordx2 v[224:225], off, off offset:448
	v_fma_f32 v3, v92, v96, -v3
	v_add_f32_e32 v2, v2, v3
	v_mul_f32_e32 v3, v99, v103
	v_fma_f32 v3, v98, v102, -v3
	v_add_f32_e32 v2, v2, v3
	v_mul_f32_e32 v3, v101, v105
	;; [unrolled: 3-line block ×10, first 2 shown]
	v_fma_f32 v3, v132, v136, -v3
	s_waitcnt lgkmcnt(0)
	v_mul_f32_e32 v147, v138, v143
	v_add_f32_e32 v2, v2, v3
	v_mul_f32_e32 v3, v139, v143
	v_fmac_f32_e32 v147, v139, v142
	v_fma_f32 v3, v138, v142, -v3
	v_add_f32_e32 v146, v146, v147
	v_mul_f32_e32 v147, v140, v145
	v_add_f32_e32 v2, v2, v3
	v_mul_f32_e32 v3, v141, v145
	v_fmac_f32_e32 v147, v141, v144
	v_fma_f32 v3, v140, v144, -v3
	v_add_f32_e32 v146, v146, v147
	;; [unrolled: 6-line block ×11, first 2 shown]
	v_add_f32_e32 v146, v2, v3
	v_mul_f32_e32 v2, v195, v199
	v_fma_f32 v220, v194, v198, -v2
	v_mul_f32_e32 v2, v201, v205
	v_fma_f32 v222, v200, v204, -v2
	ds_read_b128 v[2:5], v148 offset:864
	ds_read_b128 v[6:9], v148 offset:880
	;; [unrolled: 1-line block ×3, first 2 shown]
	ds_read_b64 v[14:15], v148 offset:912
	v_pk_add_f32 v[16:17], v[146:147], v[220:221]
	s_waitcnt vmcnt(3) lgkmcnt(3)
	v_pk_mul_f32 v[18:19], v[2:3], v[208:209] op_sel:[1,1] op_sel_hi:[0,1]
	v_pk_add_f32 v[16:17], v[16:17], v[222:223]
	s_nop 0
	v_pk_add_f32 v[16:17], v[16:17], v[20:21]
	v_pk_fma_f32 v[20:21], v[2:3], v[208:209], v[18:19] neg_lo:[0,0,1] neg_hi:[0,0,1]
	v_pk_fma_f32 v[2:3], v[2:3], v[208:209], v[18:19] op_sel_hi:[1,0,1]
	s_nop 0
	v_mov_b32_e32 v21, v3
	v_pk_add_f32 v[2:3], v[16:17], v[20:21]
	v_mov_b32_e32 v16, v211
	v_pk_mul_f32 v[16:17], v[4:5], v[16:17] op_sel:[1,0] op_sel_hi:[0,0]
	v_pk_fma_f32 v[18:19], v[4:5], v[210:211], v[16:17] neg_lo:[0,0,1] neg_hi:[0,0,1]
	v_pk_fma_f32 v[4:5], v[4:5], v[210:211], v[16:17] op_sel_hi:[1,0,1]
	s_nop 0
	v_mov_b32_e32 v19, v5
	s_waitcnt vmcnt(2) lgkmcnt(2)
	v_pk_mul_f32 v[4:5], v[6:7], v[212:213] op_sel:[1,1] op_sel_hi:[0,1]
	v_pk_fma_f32 v[16:17], v[6:7], v[212:213], v[4:5] neg_lo:[0,0,1] neg_hi:[0,0,1]
	v_pk_fma_f32 v[4:5], v[6:7], v[212:213], v[4:5] op_sel_hi:[1,0,1]
	v_pk_add_f32 v[2:3], v[2:3], v[18:19]
	v_mov_b32_e32 v4, v215
	v_mov_b32_e32 v17, v5
	v_pk_mul_f32 v[4:5], v[8:9], v[4:5] op_sel:[1,0] op_sel_hi:[0,0]
	v_pk_fma_f32 v[6:7], v[8:9], v[214:215], v[4:5] neg_lo:[0,0,1] neg_hi:[0,0,1]
	v_pk_fma_f32 v[4:5], v[8:9], v[214:215], v[4:5] op_sel_hi:[1,0,1]
	v_pk_add_f32 v[2:3], v[2:3], v[16:17]
	v_mov_b32_e32 v7, v5
	s_waitcnt vmcnt(1) lgkmcnt(1)
	v_pk_mul_f32 v[4:5], v[10:11], v[216:217] op_sel:[1,1] op_sel_hi:[0,1]
	v_pk_add_f32 v[2:3], v[2:3], v[6:7]
	v_pk_fma_f32 v[6:7], v[10:11], v[216:217], v[4:5] neg_lo:[0,0,1] neg_hi:[0,0,1]
	v_pk_fma_f32 v[4:5], v[10:11], v[216:217], v[4:5] op_sel_hi:[1,0,1]
	s_nop 0
	v_mov_b32_e32 v4, v219
	v_mov_b32_e32 v7, v5
	v_pk_mul_f32 v[4:5], v[12:13], v[4:5] op_sel:[1,0] op_sel_hi:[0,0]
	v_pk_add_f32 v[2:3], v[2:3], v[6:7]
	v_pk_fma_f32 v[6:7], v[12:13], v[218:219], v[4:5] neg_lo:[0,0,1] neg_hi:[0,0,1]
	v_pk_fma_f32 v[4:5], v[12:13], v[218:219], v[4:5] op_sel_hi:[1,0,1]
	s_nop 0
	v_mov_b32_e32 v7, v5
	s_waitcnt vmcnt(0) lgkmcnt(0)
	v_pk_mul_f32 v[4:5], v[14:15], v[224:225] op_sel:[1,1] op_sel_hi:[0,1]
	v_pk_add_f32 v[2:3], v[2:3], v[6:7]
	v_pk_fma_f32 v[6:7], v[14:15], v[224:225], v[4:5] neg_lo:[0,0,1] neg_hi:[0,0,1]
	v_pk_fma_f32 v[4:5], v[14:15], v[224:225], v[4:5] op_sel_hi:[1,0,1]
	s_nop 0
	v_mov_b32_e32 v7, v5
	scratch_load_dwordx2 v[4:5], off, off offset:8
	v_pk_add_f32 v[2:3], v[2:3], v[6:7]
	s_waitcnt vmcnt(0)
	v_pk_add_f32 v[2:3], v[4:5], v[2:3] neg_lo:[0,1] neg_hi:[0,1]
	scratch_store_dwordx2 off, v[2:3], off offset:8
	s_and_saveexec_b64 s[0:1], vcc
	s_cbranch_execz .LBB120_355
; %bb.354:
	scratch_load_dwordx2 v[2:3], off, off
	v_mov_b32_e32 v149, v148
	scratch_store_dwordx2 off, v[148:149], off
	s_waitcnt vmcnt(1)
	ds_write_b64 v1, v[2:3]
.LBB120_355:
	s_or_b64 exec, exec, s[0:1]
	s_waitcnt lgkmcnt(0)
	; wave barrier
	scratch_load_dwordx4 v[4:7], off, off offset:8
	scratch_load_dwordx4 v[12:15], off, off offset:24
	scratch_load_dwordx4 v[20:23], off, off offset:40
	scratch_load_dwordx4 v[28:31], off, off offset:56
	scratch_load_dwordx4 v[36:39], off, off offset:72
	scratch_load_dwordx4 v[44:47], off, off offset:88
	scratch_load_dwordx4 v[52:55], off, off offset:104
	scratch_load_dwordx4 v[60:63], off, off offset:120
	scratch_load_dwordx4 v[68:71], off, off offset:136
	scratch_load_dwordx4 v[76:79], off, off offset:152
	ds_read2_b64 v[0:3], v148 offset0:59 offset1:60
	scratch_load_dwordx4 v[84:87], off, off offset:168
	scratch_load_dwordx4 v[92:95], off, off offset:184
	scratch_load_dwordx4 v[100:103], off, off offset:200
	scratch_load_dwordx4 v[108:111], off, off offset:216
	scratch_load_dwordx4 v[116:119], off, off offset:232
	scratch_load_dwordx4 v[124:127], off, off offset:248
	scratch_load_dwordx4 v[132:135], off, off offset:264
	scratch_load_dwordx4 v[140:143], off, off offset:280
	scratch_load_dwordx4 v[160:163], off, off offset:296
	scratch_load_dwordx4 v[168:171], off, off offset:312
	scratch_load_dwordx4 v[176:179], off, off offset:328
	scratch_load_dwordx4 v[184:187], off, off offset:344
	scratch_load_dwordx4 v[192:195], off, off offset:360
	scratch_load_dwordx4 v[200:203], off, off offset:376
	s_and_b64 vcc, exec, s[10:11]
	s_waitcnt vmcnt(23) lgkmcnt(0)
	v_mul_f32_e32 v8, v0, v5
	v_fmac_f32_e32 v8, v1, v4
	v_mul_f32_e32 v9, v2, v7
	v_add_f32_e32 v8, 0, v8
	v_fmac_f32_e32 v9, v3, v6
	v_add_f32_e32 v16, v8, v9
	ds_read2_b64 v[8:11], v148 offset0:61 offset1:62
	v_mul_f32_e32 v1, v1, v5
	v_fma_f32 v0, v0, v4, -v1
	v_mul_f32_e32 v1, v3, v7
	v_add_f32_e32 v0, 0, v0
	s_waitcnt vmcnt(22) lgkmcnt(0)
	v_mul_f32_e32 v17, v8, v13
	v_fmac_f32_e32 v17, v9, v12
	v_add_f32_e32 v16, v16, v17
	v_mul_f32_e32 v17, v10, v15
	v_fmac_f32_e32 v17, v11, v14
	v_add_f32_e32 v24, v16, v17
	ds_read2_b64 v[16:19], v148 offset0:63 offset1:64
	v_fma_f32 v1, v2, v6, -v1
	v_add_f32_e32 v0, v0, v1
	v_mul_f32_e32 v1, v9, v13
	v_fma_f32 v1, v8, v12, -v1
	s_waitcnt vmcnt(21) lgkmcnt(0)
	v_mul_f32_e32 v25, v16, v21
	v_fmac_f32_e32 v25, v17, v20
	v_add_f32_e32 v24, v24, v25
	v_mul_f32_e32 v25, v18, v23
	v_fmac_f32_e32 v25, v19, v22
	v_add_f32_e32 v32, v24, v25
	ds_read2_b64 v[24:27], v148 offset0:65 offset1:66
	v_add_f32_e32 v0, v0, v1
	v_mul_f32_e32 v1, v11, v15
	v_fma_f32 v1, v10, v14, -v1
	v_add_f32_e32 v0, v0, v1
	s_waitcnt vmcnt(20) lgkmcnt(0)
	v_mul_f32_e32 v33, v24, v29
	v_fmac_f32_e32 v33, v25, v28
	v_add_f32_e32 v32, v32, v33
	v_mul_f32_e32 v33, v26, v31
	v_fmac_f32_e32 v33, v27, v30
	v_add_f32_e32 v40, v32, v33
	ds_read2_b64 v[32:35], v148 offset0:67 offset1:68
	v_mul_f32_e32 v1, v17, v21
	v_fma_f32 v1, v16, v20, -v1
	v_add_f32_e32 v0, v0, v1
	v_mul_f32_e32 v1, v19, v23
	s_waitcnt vmcnt(19) lgkmcnt(0)
	v_mul_f32_e32 v41, v32, v37
	v_fmac_f32_e32 v41, v33, v36
	v_add_f32_e32 v40, v40, v41
	v_mul_f32_e32 v41, v34, v39
	v_fmac_f32_e32 v41, v35, v38
	v_add_f32_e32 v48, v40, v41
	ds_read2_b64 v[40:43], v148 offset0:69 offset1:70
	v_fma_f32 v1, v18, v22, -v1
	v_add_f32_e32 v0, v0, v1
	v_mul_f32_e32 v1, v25, v29
	v_fma_f32 v1, v24, v28, -v1
	s_waitcnt vmcnt(18) lgkmcnt(0)
	v_mul_f32_e32 v49, v40, v45
	v_fmac_f32_e32 v49, v41, v44
	v_add_f32_e32 v48, v48, v49
	v_mul_f32_e32 v49, v42, v47
	v_fmac_f32_e32 v49, v43, v46
	v_add_f32_e32 v56, v48, v49
	ds_read2_b64 v[48:51], v148 offset0:71 offset1:72
	v_add_f32_e32 v0, v0, v1
	v_mul_f32_e32 v1, v27, v31
	v_fma_f32 v1, v26, v30, -v1
	v_add_f32_e32 v0, v0, v1
	s_waitcnt vmcnt(17) lgkmcnt(0)
	v_mul_f32_e32 v57, v48, v53
	v_fmac_f32_e32 v57, v49, v52
	v_add_f32_e32 v56, v56, v57
	v_mul_f32_e32 v57, v50, v55
	v_fmac_f32_e32 v57, v51, v54
	v_add_f32_e32 v64, v56, v57
	ds_read2_b64 v[56:59], v148 offset0:73 offset1:74
	v_mul_f32_e32 v1, v33, v37
	v_fma_f32 v1, v32, v36, -v1
	v_add_f32_e32 v0, v0, v1
	v_mul_f32_e32 v1, v35, v39
	;; [unrolled: 36-line block ×7, first 2 shown]
	s_waitcnt vmcnt(1) lgkmcnt(0)
	v_mul_f32_e32 v196, v188, v193
	v_fmac_f32_e32 v196, v189, v192
	v_add_f32_e32 v149, v149, v196
	v_mul_f32_e32 v196, v190, v195
	v_fmac_f32_e32 v196, v191, v194
	v_add_f32_e32 v221, v149, v196
	ds_read2_b64 v[196:199], v148 offset0:105 offset1:106
	scratch_load_dwordx4 v[204:207], off, off offset:392
	scratch_load_dwordx4 v[208:211], off, off offset:408
	;; [unrolled: 1-line block ×4, first 2 shown]
	v_fma_f32 v1, v114, v118, -v1
	v_add_f32_e32 v0, v0, v1
	v_mul_f32_e32 v1, v121, v125
	v_fma_f32 v1, v120, v124, -v1
	v_add_f32_e32 v0, v0, v1
	v_mul_f32_e32 v1, v123, v127
	;; [unrolled: 3-line block ×16, first 2 shown]
	v_fma_f32 v1, v190, v194, -v1
	v_add_f32_e32 v220, v0, v1
	s_waitcnt vmcnt(4) lgkmcnt(0)
	v_mul_f32_e32 v0, v197, v201
	v_fma_f32 v222, v196, v200, -v0
	v_mul_f32_e32 v0, v199, v203
	v_fma_f32 v224, v198, v202, -v0
	ds_read2_b64 v[0:3], v148 offset0:107 offset1:108
	ds_read2_b64 v[4:7], v148 offset0:109 offset1:110
	;; [unrolled: 1-line block ×4, first 2 shown]
	v_mul_f32_e32 v223, v196, v201
	v_fmac_f32_e32 v223, v197, v200
	v_mul_f32_e32 v225, v198, v203
	v_fmac_f32_e32 v225, v199, v202
	v_pk_add_f32 v[16:17], v[220:221], v[222:223]
	s_waitcnt vmcnt(3) lgkmcnt(3)
	v_pk_mul_f32 v[18:19], v[0:1], v[204:205] op_sel:[1,1] op_sel_hi:[0,1]
	v_pk_fma_f32 v[20:21], v[0:1], v[204:205], v[18:19] neg_lo:[0,0,1] neg_hi:[0,0,1]
	v_pk_fma_f32 v[0:1], v[0:1], v[204:205], v[18:19] op_sel_hi:[1,0,1]
	v_pk_add_f32 v[16:17], v[16:17], v[224:225]
	v_mov_b32_e32 v21, v1
	v_pk_add_f32 v[0:1], v[16:17], v[20:21]
	v_mov_b32_e32 v16, v207
	v_pk_mul_f32 v[16:17], v[2:3], v[16:17] op_sel:[1,0] op_sel_hi:[0,0]
	v_pk_fma_f32 v[18:19], v[2:3], v[206:207], v[16:17] neg_lo:[0,0,1] neg_hi:[0,0,1]
	v_pk_fma_f32 v[2:3], v[2:3], v[206:207], v[16:17] op_sel_hi:[1,0,1]
	s_nop 0
	v_mov_b32_e32 v19, v3
	s_waitcnt vmcnt(2) lgkmcnt(2)
	v_pk_mul_f32 v[2:3], v[4:5], v[208:209] op_sel:[1,1] op_sel_hi:[0,1]
	v_pk_fma_f32 v[16:17], v[4:5], v[208:209], v[2:3] neg_lo:[0,0,1] neg_hi:[0,0,1]
	v_pk_fma_f32 v[2:3], v[4:5], v[208:209], v[2:3] op_sel_hi:[1,0,1]
	v_pk_add_f32 v[0:1], v[0:1], v[18:19]
	v_mov_b32_e32 v2, v211
	v_mov_b32_e32 v17, v3
	v_pk_mul_f32 v[2:3], v[6:7], v[2:3] op_sel:[1,0] op_sel_hi:[0,0]
	v_pk_fma_f32 v[4:5], v[6:7], v[210:211], v[2:3] neg_lo:[0,0,1] neg_hi:[0,0,1]
	v_pk_fma_f32 v[2:3], v[6:7], v[210:211], v[2:3] op_sel_hi:[1,0,1]
	v_pk_add_f32 v[0:1], v[0:1], v[16:17]
	v_mov_b32_e32 v5, v3
	s_waitcnt vmcnt(1) lgkmcnt(1)
	v_pk_mul_f32 v[2:3], v[8:9], v[212:213] op_sel:[1,1] op_sel_hi:[0,1]
	v_pk_add_f32 v[0:1], v[0:1], v[4:5]
	v_pk_fma_f32 v[4:5], v[8:9], v[212:213], v[2:3] neg_lo:[0,0,1] neg_hi:[0,0,1]
	v_pk_fma_f32 v[2:3], v[8:9], v[212:213], v[2:3] op_sel_hi:[1,0,1]
	s_nop 0
	v_mov_b32_e32 v2, v215
	v_mov_b32_e32 v5, v3
	v_pk_mul_f32 v[2:3], v[10:11], v[2:3] op_sel:[1,0] op_sel_hi:[0,0]
	v_pk_add_f32 v[0:1], v[0:1], v[4:5]
	v_pk_fma_f32 v[4:5], v[10:11], v[214:215], v[2:3] neg_lo:[0,0,1] neg_hi:[0,0,1]
	v_pk_fma_f32 v[2:3], v[10:11], v[214:215], v[2:3] op_sel_hi:[1,0,1]
	s_nop 0
	v_mov_b32_e32 v5, v3
	s_waitcnt vmcnt(0) lgkmcnt(0)
	v_pk_mul_f32 v[2:3], v[12:13], v[216:217] op_sel:[1,1] op_sel_hi:[0,1]
	v_pk_add_f32 v[0:1], v[0:1], v[4:5]
	v_pk_fma_f32 v[4:5], v[12:13], v[216:217], v[2:3] neg_lo:[0,0,1] neg_hi:[0,0,1]
	v_pk_fma_f32 v[2:3], v[12:13], v[216:217], v[2:3] op_sel_hi:[1,0,1]
	s_nop 0
	v_mov_b32_e32 v2, v219
	v_mov_b32_e32 v5, v3
	v_pk_mul_f32 v[2:3], v[14:15], v[2:3] op_sel:[1,0] op_sel_hi:[0,0]
	v_pk_add_f32 v[0:1], v[0:1], v[4:5]
	v_pk_fma_f32 v[4:5], v[14:15], v[218:219], v[2:3] neg_lo:[0,0,1] neg_hi:[0,0,1]
	v_pk_fma_f32 v[2:3], v[14:15], v[218:219], v[2:3] op_sel_hi:[1,0,1]
	s_nop 0
	v_mov_b32_e32 v5, v3
	scratch_load_dwordx2 v[2:3], off, off
	v_pk_add_f32 v[0:1], v[0:1], v[4:5]
	s_waitcnt vmcnt(0)
	v_pk_add_f32 v[0:1], v[2:3], v[0:1] neg_lo:[0,1] neg_hi:[0,1]
	scratch_store_dwordx2 off, v[0:1], off
	s_cbranch_vccz .LBB120_468
; %bb.356:
	v_mov_b32_e32 v0, 0
	global_load_dword v1, v0, s[8:9] offset:220
	s_waitcnt vmcnt(0)
	v_readfirstlane_b32 s0, v1
	s_add_i32 s0, s0, -1
	s_cmp_lg_u32 s0, 55
	s_cbranch_scc0 .LBB120_358
; %bb.357:
	s_lshl_b32 s0, s0, 3
	s_nop 0
	scratch_load_dwordx2 v[2:3], off, s0
	scratch_load_dwordx2 v[4:5], off, off offset:440
	s_waitcnt vmcnt(1)
	scratch_store_dwordx2 off, v[2:3], off offset:440
	s_waitcnt vmcnt(1)
	scratch_store_dwordx2 off, v[4:5], s0
.LBB120_358:
	global_load_dword v0, v0, s[8:9] offset:216
	s_waitcnt vmcnt(0)
	v_readfirstlane_b32 s0, v0
	s_add_i32 s0, s0, -1
	s_cmp_eq_u32 s0, 54
	s_cbranch_scc1 .LBB120_360
; %bb.359:
	s_lshl_b32 s0, s0, 3
	s_nop 0
	scratch_load_dwordx2 v[0:1], off, s0
	scratch_load_dwordx2 v[2:3], off, off offset:432
	s_waitcnt vmcnt(1)
	scratch_store_dwordx2 off, v[0:1], off offset:432
	s_waitcnt vmcnt(1)
	scratch_store_dwordx2 off, v[2:3], s0
.LBB120_360:
	v_mov_b32_e32 v0, 0
	global_load_dword v1, v0, s[8:9] offset:212
	s_waitcnt vmcnt(0)
	v_readfirstlane_b32 s0, v1
	s_add_i32 s0, s0, -1
	s_cmp_eq_u32 s0, 53
	s_cbranch_scc1 .LBB120_362
; %bb.361:
	s_lshl_b32 s0, s0, 3
	s_nop 0
	scratch_load_dwordx2 v[2:3], off, s0
	scratch_load_dwordx2 v[4:5], off, off offset:424
	s_waitcnt vmcnt(1)
	scratch_store_dwordx2 off, v[2:3], off offset:424
	s_waitcnt vmcnt(1)
	scratch_store_dwordx2 off, v[4:5], s0
.LBB120_362:
	global_load_dword v0, v0, s[8:9] offset:208
	s_waitcnt vmcnt(0)
	v_readfirstlane_b32 s0, v0
	s_add_i32 s0, s0, -1
	s_cmp_eq_u32 s0, 52
	s_cbranch_scc1 .LBB120_364
; %bb.363:
	s_lshl_b32 s0, s0, 3
	s_nop 0
	scratch_load_dwordx2 v[0:1], off, s0
	scratch_load_dwordx2 v[2:3], off, off offset:416
	s_waitcnt vmcnt(1)
	scratch_store_dwordx2 off, v[0:1], off offset:416
	s_waitcnt vmcnt(1)
	scratch_store_dwordx2 off, v[2:3], s0
.LBB120_364:
	v_mov_b32_e32 v0, 0
	global_load_dword v1, v0, s[8:9] offset:204
	s_waitcnt vmcnt(0)
	v_readfirstlane_b32 s0, v1
	s_add_i32 s0, s0, -1
	s_cmp_eq_u32 s0, 51
	s_cbranch_scc1 .LBB120_366
; %bb.365:
	s_lshl_b32 s0, s0, 3
	s_nop 0
	scratch_load_dwordx2 v[2:3], off, s0
	scratch_load_dwordx2 v[4:5], off, off offset:408
	s_waitcnt vmcnt(1)
	scratch_store_dwordx2 off, v[2:3], off offset:408
	s_waitcnt vmcnt(1)
	scratch_store_dwordx2 off, v[4:5], s0
.LBB120_366:
	;; [unrolled: 33-line block ×27, first 2 shown]
	global_load_dword v2, v0, s[8:9]
	s_nop 0
	scratch_load_dwordx2 v[0:1], off, off
	s_waitcnt vmcnt(1)
	v_readfirstlane_b32 s0, v2
	s_add_i32 s0, s0, -1
	s_cmp_eq_u32 s0, 0
	s_cbranch_scc1 .LBB120_468
; %bb.467:
	s_lshl_b32 s0, s0, 3
	s_nop 0
	scratch_load_dwordx2 v[2:3], off, s0
	s_waitcnt vmcnt(0)
	scratch_store_dwordx2 off, v[2:3], off
	scratch_store_dwordx2 off, v[0:1], s0
	scratch_load_dwordx2 v[0:1], off, off
.LBB120_468:
	s_waitcnt vmcnt(0)
	flat_store_dwordx2 v[150:151], v[0:1]
	scratch_load_dwordx2 v[0:1], off, off offset:8
	v_accvgpr_read_b32 v3, a1
	v_accvgpr_read_b32 v2, a0
	s_waitcnt vmcnt(0)
	flat_store_dwordx2 v[2:3], v[0:1]
	scratch_load_dwordx2 v[0:1], off, off offset:16
	v_accvgpr_read_b32 v2, a2
	v_accvgpr_read_b32 v3, a3
	;; [unrolled: 5-line block ×37, first 2 shown]
	s_waitcnt vmcnt(0)
	flat_store_dwordx2 v[2:3], v[0:1]
	scratch_load_dwordx2 v[0:1], off, off offset:304
	s_waitcnt vmcnt(0)
	flat_store_dwordx2 v[226:227], v[0:1]
	scratch_load_dwordx2 v[0:1], off, off offset:312
	;; [unrolled: 3-line block ×19, first 2 shown]
	s_waitcnt vmcnt(0)
	flat_store_dwordx2 v[158:159], v[0:1]
	s_endpgm
	.section	.rodata,"a",@progbits
	.p2align	6, 0x0
	.amdhsa_kernel _ZN9rocsolver6v33100L18getri_kernel_smallILi57E19rocblas_complex_numIfEPKPS3_EEvT1_iilPiilS8_bb
		.amdhsa_group_segment_fixed_size 920
		.amdhsa_private_segment_fixed_size 464
		.amdhsa_kernarg_size 60
		.amdhsa_user_sgpr_count 2
		.amdhsa_user_sgpr_dispatch_ptr 0
		.amdhsa_user_sgpr_queue_ptr 0
		.amdhsa_user_sgpr_kernarg_segment_ptr 1
		.amdhsa_user_sgpr_dispatch_id 0
		.amdhsa_user_sgpr_kernarg_preload_length 0
		.amdhsa_user_sgpr_kernarg_preload_offset 0
		.amdhsa_user_sgpr_private_segment_size 0
		.amdhsa_uses_dynamic_stack 0
		.amdhsa_enable_private_segment 1
		.amdhsa_system_sgpr_workgroup_id_x 1
		.amdhsa_system_sgpr_workgroup_id_y 0
		.amdhsa_system_sgpr_workgroup_id_z 0
		.amdhsa_system_sgpr_workgroup_info 0
		.amdhsa_system_vgpr_workitem_id 0
		.amdhsa_next_free_vgpr 330
		.amdhsa_next_free_sgpr 17
		.amdhsa_accum_offset 256
		.amdhsa_reserve_vcc 1
		.amdhsa_float_round_mode_32 0
		.amdhsa_float_round_mode_16_64 0
		.amdhsa_float_denorm_mode_32 3
		.amdhsa_float_denorm_mode_16_64 3
		.amdhsa_dx10_clamp 1
		.amdhsa_ieee_mode 1
		.amdhsa_fp16_overflow 0
		.amdhsa_tg_split 0
		.amdhsa_exception_fp_ieee_invalid_op 0
		.amdhsa_exception_fp_denorm_src 0
		.amdhsa_exception_fp_ieee_div_zero 0
		.amdhsa_exception_fp_ieee_overflow 0
		.amdhsa_exception_fp_ieee_underflow 0
		.amdhsa_exception_fp_ieee_inexact 0
		.amdhsa_exception_int_div_zero 0
	.end_amdhsa_kernel
	.section	.text._ZN9rocsolver6v33100L18getri_kernel_smallILi57E19rocblas_complex_numIfEPKPS3_EEvT1_iilPiilS8_bb,"axG",@progbits,_ZN9rocsolver6v33100L18getri_kernel_smallILi57E19rocblas_complex_numIfEPKPS3_EEvT1_iilPiilS8_bb,comdat
.Lfunc_end120:
	.size	_ZN9rocsolver6v33100L18getri_kernel_smallILi57E19rocblas_complex_numIfEPKPS3_EEvT1_iilPiilS8_bb, .Lfunc_end120-_ZN9rocsolver6v33100L18getri_kernel_smallILi57E19rocblas_complex_numIfEPKPS3_EEvT1_iilPiilS8_bb
                                        ; -- End function
	.set _ZN9rocsolver6v33100L18getri_kernel_smallILi57E19rocblas_complex_numIfEPKPS3_EEvT1_iilPiilS8_bb.num_vgpr, 256
	.set _ZN9rocsolver6v33100L18getri_kernel_smallILi57E19rocblas_complex_numIfEPKPS3_EEvT1_iilPiilS8_bb.num_agpr, 74
	.set _ZN9rocsolver6v33100L18getri_kernel_smallILi57E19rocblas_complex_numIfEPKPS3_EEvT1_iilPiilS8_bb.numbered_sgpr, 17
	.set _ZN9rocsolver6v33100L18getri_kernel_smallILi57E19rocblas_complex_numIfEPKPS3_EEvT1_iilPiilS8_bb.num_named_barrier, 0
	.set _ZN9rocsolver6v33100L18getri_kernel_smallILi57E19rocblas_complex_numIfEPKPS3_EEvT1_iilPiilS8_bb.private_seg_size, 464
	.set _ZN9rocsolver6v33100L18getri_kernel_smallILi57E19rocblas_complex_numIfEPKPS3_EEvT1_iilPiilS8_bb.uses_vcc, 1
	.set _ZN9rocsolver6v33100L18getri_kernel_smallILi57E19rocblas_complex_numIfEPKPS3_EEvT1_iilPiilS8_bb.uses_flat_scratch, 0
	.set _ZN9rocsolver6v33100L18getri_kernel_smallILi57E19rocblas_complex_numIfEPKPS3_EEvT1_iilPiilS8_bb.has_dyn_sized_stack, 0
	.set _ZN9rocsolver6v33100L18getri_kernel_smallILi57E19rocblas_complex_numIfEPKPS3_EEvT1_iilPiilS8_bb.has_recursion, 0
	.set _ZN9rocsolver6v33100L18getri_kernel_smallILi57E19rocblas_complex_numIfEPKPS3_EEvT1_iilPiilS8_bb.has_indirect_call, 0
	.section	.AMDGPU.csdata,"",@progbits
; Kernel info:
; codeLenInByte = 92500
; TotalNumSgprs: 23
; NumVgprs: 256
; NumAgprs: 74
; TotalNumVgprs: 330
; ScratchSize: 464
; MemoryBound: 0
; FloatMode: 240
; IeeeMode: 1
; LDSByteSize: 920 bytes/workgroup (compile time only)
; SGPRBlocks: 2
; VGPRBlocks: 41
; NumSGPRsForWavesPerEU: 23
; NumVGPRsForWavesPerEU: 330
; AccumOffset: 256
; Occupancy: 1
; WaveLimiterHint : 1
; COMPUTE_PGM_RSRC2:SCRATCH_EN: 1
; COMPUTE_PGM_RSRC2:USER_SGPR: 2
; COMPUTE_PGM_RSRC2:TRAP_HANDLER: 0
; COMPUTE_PGM_RSRC2:TGID_X_EN: 1
; COMPUTE_PGM_RSRC2:TGID_Y_EN: 0
; COMPUTE_PGM_RSRC2:TGID_Z_EN: 0
; COMPUTE_PGM_RSRC2:TIDIG_COMP_CNT: 0
; COMPUTE_PGM_RSRC3_GFX90A:ACCUM_OFFSET: 63
; COMPUTE_PGM_RSRC3_GFX90A:TG_SPLIT: 0
	.section	.text._ZN9rocsolver6v33100L18getri_kernel_smallILi58E19rocblas_complex_numIfEPKPS3_EEvT1_iilPiilS8_bb,"axG",@progbits,_ZN9rocsolver6v33100L18getri_kernel_smallILi58E19rocblas_complex_numIfEPKPS3_EEvT1_iilPiilS8_bb,comdat
	.globl	_ZN9rocsolver6v33100L18getri_kernel_smallILi58E19rocblas_complex_numIfEPKPS3_EEvT1_iilPiilS8_bb ; -- Begin function _ZN9rocsolver6v33100L18getri_kernel_smallILi58E19rocblas_complex_numIfEPKPS3_EEvT1_iilPiilS8_bb
	.p2align	8
	.type	_ZN9rocsolver6v33100L18getri_kernel_smallILi58E19rocblas_complex_numIfEPKPS3_EEvT1_iilPiilS8_bb,@function
_ZN9rocsolver6v33100L18getri_kernel_smallILi58E19rocblas_complex_numIfEPKPS3_EEvT1_iilPiilS8_bb: ; @_ZN9rocsolver6v33100L18getri_kernel_smallILi58E19rocblas_complex_numIfEPKPS3_EEvT1_iilPiilS8_bb
; %bb.0:
	v_cmp_gt_u32_e32 vcc, 58, v0
	s_and_saveexec_b64 s[4:5], vcc
	s_cbranch_execz .LBB121_246
; %bb.1:
	s_load_dword s14, s[0:1], 0x38
	s_load_dwordx2 s[8:9], s[0:1], 0x0
	s_load_dwordx4 s[4:7], s[0:1], 0x28
	s_waitcnt lgkmcnt(0)
	s_bitcmp1_b32 s14, 8
	s_cselect_b64 s[10:11], -1, 0
	s_ashr_i32 s3, s2, 31
	s_lshl_b64 s[12:13], s[2:3], 3
	s_add_u32 s8, s8, s12
	s_addc_u32 s9, s9, s13
	s_load_dwordx2 s[12:13], s[8:9], 0x0
	s_bfe_u32 s8, s14, 0x10008
	s_cmp_eq_u32 s8, 0
                                        ; implicit-def: $sgpr8_sgpr9
	s_cbranch_scc1 .LBB121_3
; %bb.2:
	s_load_dword s8, s[0:1], 0x20
	s_load_dwordx2 s[14:15], s[0:1], 0x18
	s_mul_i32 s9, s4, s3
	s_mul_hi_u32 s16, s4, s2
	s_add_i32 s16, s16, s9
	s_mul_i32 s5, s5, s2
	s_add_i32 s5, s16, s5
	s_mul_i32 s4, s4, s2
	s_waitcnt lgkmcnt(0)
	s_ashr_i32 s9, s8, 31
	s_lshl_b64 s[4:5], s[4:5], 2
	s_add_u32 s14, s14, s4
	s_addc_u32 s15, s15, s5
	s_lshl_b64 s[4:5], s[8:9], 2
	s_add_u32 s8, s14, s4
	s_addc_u32 s9, s15, s5
.LBB121_3:
	s_load_dwordx2 s[4:5], s[0:1], 0x8
	s_load_dword s14, s[0:1], 0x38
	v_lshlrev_b32_e32 v2, 3, v0
	v_mov_b32_e32 v3, 0
	s_waitcnt lgkmcnt(0)
	s_ashr_i32 s1, s4, 31
	s_mov_b32 s0, s4
	s_lshl_b64 s[0:1], s[0:1], 3
	s_add_u32 s0, s12, s0
	s_addc_u32 s1, s13, s1
	v_lshl_add_u64 v[150:151], s[0:1], 0, v[2:3]
	flat_load_dwordx2 v[4:5], v[150:151]
	s_mov_b32 s12, s5
	s_ashr_i32 s13, s5, 31
	v_lshl_add_u64 v[6:7], s[12:13], 3, v[150:151]
	v_accvgpr_write_b32 a0, v6
	s_add_i32 s4, s5, s5
	v_accvgpr_write_b32 a1, v7
	s_bitcmp0_b32 s14, 0
	s_waitcnt vmcnt(0) lgkmcnt(0)
	scratch_store_dwordx2 off, v[4:5], off
	flat_load_dwordx2 v[4:5], v[6:7]
	v_add_u32_e32 v6, s4, v0
	v_ashrrev_i32_e32 v7, 31, v6
	v_lshl_add_u64 v[8:9], v[6:7], 3, s[0:1]
	v_add_u32_e32 v6, s5, v6
	v_accvgpr_write_b32 a2, v8
	v_ashrrev_i32_e32 v7, 31, v6
	v_accvgpr_write_b32 a3, v9
	s_waitcnt vmcnt(0) lgkmcnt(0)
	scratch_store_dwordx2 off, v[4:5], off offset:8
	flat_load_dwordx2 v[4:5], v[8:9]
	v_lshl_add_u64 v[8:9], v[6:7], 3, s[0:1]
	v_add_u32_e32 v6, s5, v6
	v_accvgpr_write_b32 a4, v8
	v_ashrrev_i32_e32 v7, 31, v6
	v_accvgpr_write_b32 a5, v9
	s_waitcnt vmcnt(0) lgkmcnt(0)
	scratch_store_dwordx2 off, v[4:5], off offset:16
	flat_load_dwordx2 v[4:5], v[8:9]
	;; [unrolled: 8-line block ×39, first 2 shown]
	v_lshl_add_u64 v[8:9], v[6:7], 3, s[0:1]
	v_add_u32_e32 v6, s5, v6
	v_ashrrev_i32_e32 v7, 31, v6
	v_lshl_add_u64 v[234:235], v[6:7], 3, s[0:1]
	v_add_u32_e32 v6, s5, v6
	v_ashrrev_i32_e32 v7, 31, v6
	;; [unrolled: 3-line block ×16, first 2 shown]
	v_lshl_add_u64 v[160:161], v[6:7], 3, s[0:1]
	v_accvgpr_write_b32 a81, v9
	v_accvgpr_write_b32 a80, v8
	s_mov_b64 s[4:5], -1
	s_waitcnt vmcnt(0) lgkmcnt(0)
	scratch_store_dwordx2 off, v[4:5], off offset:320
	flat_load_dwordx2 v[4:5], v[8:9]
	s_waitcnt vmcnt(0) lgkmcnt(0)
	scratch_store_dwordx2 off, v[4:5], off offset:328
	flat_load_dwordx2 v[4:5], v[234:235]
	;; [unrolled: 3-line block ×17, first 2 shown]
	s_waitcnt vmcnt(0) lgkmcnt(0)
	scratch_store_dwordx2 off, v[4:5], off offset:456
	s_cbranch_scc1 .LBB121_244
; %bb.4:
	v_cmp_eq_u32_e64 s[0:1], 0, v0
	s_and_saveexec_b64 s[4:5], s[0:1]
; %bb.5:
	v_mov_b32_e32 v1, 0
	ds_write_b32 v1, v1 offset:928
; %bb.6:
	s_or_b64 exec, exec, s[4:5]
	s_waitcnt lgkmcnt(0)
	; wave barrier
	scratch_load_dwordx2 v[4:5], v2, off
	s_waitcnt vmcnt(0)
	v_cmp_eq_f32_e32 vcc, 0, v4
	v_cmp_eq_f32_e64 s[4:5], 0, v5
	s_and_b64 s[4:5], vcc, s[4:5]
	s_and_saveexec_b64 s[12:13], s[4:5]
	s_cbranch_execz .LBB121_10
; %bb.7:
	v_mov_b32_e32 v1, 0
	ds_read_b32 v4, v1 offset:928
	v_add_u32_e32 v3, 1, v0
	s_waitcnt lgkmcnt(0)
	v_readfirstlane_b32 s4, v4
	s_cmp_eq_u32 s4, 0
	s_cselect_b64 s[14:15], -1, 0
	v_cmp_gt_i32_e32 vcc, s4, v3
	s_or_b64 s[14:15], s[14:15], vcc
	s_and_b64 exec, exec, s[14:15]
	s_cbranch_execz .LBB121_10
; %bb.8:
	s_mov_b64 s[14:15], 0
	v_mov_b32_e32 v4, s4
.LBB121_9:                              ; =>This Inner Loop Header: Depth=1
	ds_cmpst_rtn_b32 v4, v1, v4, v3 offset:928
	s_waitcnt lgkmcnt(0)
	v_cmp_ne_u32_e32 vcc, 0, v4
	v_cmp_le_i32_e64 s[4:5], v4, v3
	s_and_b64 s[4:5], vcc, s[4:5]
	s_and_b64 s[4:5], exec, s[4:5]
	s_or_b64 s[14:15], s[4:5], s[14:15]
	s_andn2_b64 exec, exec, s[14:15]
	s_cbranch_execnz .LBB121_9
.LBB121_10:
	s_or_b64 exec, exec, s[12:13]
	v_mov_b32_e32 v3, 0
	; wave barrier
	ds_read_b32 v1, v3 offset:928
	s_and_saveexec_b64 s[4:5], s[0:1]
	s_cbranch_execz .LBB121_12
; %bb.11:
	s_lshl_b64 s[12:13], s[2:3], 2
	s_add_u32 s12, s6, s12
	s_addc_u32 s13, s7, s13
	s_waitcnt lgkmcnt(0)
	global_store_dword v3, v1, s[12:13]
.LBB121_12:
	s_or_b64 exec, exec, s[4:5]
	s_waitcnt lgkmcnt(0)
	v_cmp_ne_u32_e32 vcc, 0, v1
	s_mov_b64 s[4:5], 0
	s_cbranch_vccnz .LBB121_244
; %bb.13:
	v_mov_b32_e32 v3, v2
	scratch_load_dwordx2 v[4:5], v3, off
                                        ; implicit-def: $vgpr7
                                        ; implicit-def: $vgpr8
	s_waitcnt vmcnt(0)
	v_cmp_ngt_f32_e64 s[4:5], |v4|, |v5|
	s_and_saveexec_b64 s[12:13], s[4:5]
	s_xor_b64 s[4:5], exec, s[12:13]
	s_cbranch_execz .LBB121_15
; %bb.14:
	v_div_scale_f32 v1, s[12:13], v5, v5, v4
	v_rcp_f32_e32 v6, v1
	v_div_scale_f32 v7, vcc, v4, v5, v4
	v_fma_f32 v8, -v1, v6, 1.0
	v_fmac_f32_e32 v6, v8, v6
	v_mul_f32_e32 v8, v7, v6
	v_fma_f32 v9, -v1, v8, v7
	v_fmac_f32_e32 v8, v9, v6
	v_fma_f32 v1, -v1, v8, v7
	v_div_fmas_f32 v1, v1, v6, v8
	v_div_fixup_f32 v1, v1, v5, v4
	v_fmac_f32_e32 v5, v4, v1
	v_div_scale_f32 v4, s[12:13], v5, v5, -1.0
	v_rcp_f32_e32 v6, v4
	s_nop 0
	v_fma_f32 v7, -v4, v6, 1.0
	v_fmac_f32_e32 v6, v7, v6
	v_div_scale_f32 v7, vcc, -1.0, v5, -1.0
	v_mul_f32_e32 v8, v7, v6
	v_fma_f32 v9, -v4, v8, v7
	v_fmac_f32_e32 v8, v9, v6
	v_fma_f32 v4, -v4, v8, v7
	v_div_fmas_f32 v4, v4, v6, v8
	v_div_fixup_f32 v7, v4, v5, -1.0
	v_mul_f32_e32 v8, v1, v7
	v_xor_b32_e32 v6, 0x80000000, v8
                                        ; implicit-def: $vgpr4_vgpr5
.LBB121_15:
	s_andn2_saveexec_b64 s[4:5], s[4:5]
	s_cbranch_execz .LBB121_17
; %bb.16:
	v_div_scale_f32 v1, s[12:13], v4, v4, v5
	v_rcp_f32_e32 v6, v1
	v_div_scale_f32 v7, vcc, v5, v4, v5
	v_fma_f32 v8, -v1, v6, 1.0
	v_fmac_f32_e32 v6, v8, v6
	v_mul_f32_e32 v8, v7, v6
	v_fma_f32 v9, -v1, v8, v7
	v_fmac_f32_e32 v8, v9, v6
	v_fma_f32 v1, -v1, v8, v7
	v_div_fmas_f32 v1, v1, v6, v8
	v_div_fixup_f32 v1, v1, v4, v5
	v_fmac_f32_e32 v4, v5, v1
	v_div_scale_f32 v5, s[12:13], v4, v4, 1.0
	v_rcp_f32_e32 v6, v5
	s_nop 0
	v_fma_f32 v7, -v5, v6, 1.0
	v_fmac_f32_e32 v6, v7, v6
	v_div_scale_f32 v7, vcc, 1.0, v4, 1.0
	v_mul_f32_e32 v8, v7, v6
	v_fma_f32 v9, -v5, v8, v7
	v_fmac_f32_e32 v8, v9, v6
	v_fma_f32 v5, -v5, v8, v7
	v_div_fmas_f32 v5, v5, v6, v8
	v_div_fixup_f32 v6, v5, v4, 1.0
	v_xor_b32_e32 v8, 0x80000000, v6
	v_mul_f32_e64 v7, v1, -v6
.LBB121_17:
	s_or_b64 exec, exec, s[4:5]
	scratch_store_dwordx2 v3, v[6:7], off
	scratch_load_dwordx2 v[4:5], off, off offset:8
	v_xor_b32_e32 v9, 0x80000000, v7
	v_add_u32_e32 v1, 0x1d0, v2
	s_waitcnt vmcnt(0)
	ds_write2_b64 v2, v[8:9], v[4:5] offset1:58
	s_waitcnt lgkmcnt(0)
	; wave barrier
	s_and_saveexec_b64 s[4:5], s[0:1]
	s_cbranch_execz .LBB121_19
; %bb.18:
	scratch_load_dwordx2 v[4:5], v3, off
	ds_read_b64 v[6:7], v1
	v_mov_b32_e32 v8, 0
	ds_read_b64 v[8:9], v8 offset:8
	s_waitcnt vmcnt(0) lgkmcnt(1)
	v_pk_mul_f32 v[10:11], v[6:7], v[4:5] op_sel:[1,1] op_sel_hi:[0,1]
	v_pk_fma_f32 v[12:13], v[6:7], v[4:5], v[10:11] neg_lo:[0,0,1] neg_hi:[0,0,1]
	v_pk_fma_f32 v[4:5], v[6:7], v[4:5], v[10:11] op_sel_hi:[1,0,1]
	s_nop 0
	v_mov_b32_e32 v13, v5
	v_pk_add_f32 v[4:5], v[12:13], 0 op_sel_hi:[1,0]
	s_waitcnt lgkmcnt(0)
	v_pk_mul_f32 v[6:7], v[4:5], v[8:9] op_sel:[1,1] op_sel_hi:[0,1]
	v_pk_fma_f32 v[10:11], v[4:5], v[8:9], v[6:7] neg_lo:[0,0,1] neg_hi:[0,0,1]
	v_pk_fma_f32 v[4:5], v[4:5], v[8:9], v[6:7] op_sel_hi:[1,0,1]
	s_nop 0
	v_mov_b32_e32 v11, v5
	scratch_store_dwordx2 off, v[10:11], off offset:8
.LBB121_19:
	s_or_b64 exec, exec, s[4:5]
	; wave barrier
	scratch_load_dwordx2 v[4:5], off, off offset:16
	v_cmp_gt_u32_e32 vcc, 2, v0
	s_waitcnt vmcnt(0)
	ds_write_b64 v1, v[4:5]
	s_waitcnt lgkmcnt(0)
	; wave barrier
	s_and_saveexec_b64 s[4:5], vcc
	s_cbranch_execz .LBB121_23
; %bb.20:
	scratch_load_dwordx2 v[4:5], v3, off
	ds_read_b64 v[6:7], v1
	s_waitcnt vmcnt(0) lgkmcnt(0)
	v_pk_mul_f32 v[8:9], v[6:7], v[4:5] op_sel:[1,1] op_sel_hi:[0,1]
	v_pk_fma_f32 v[10:11], v[6:7], v[4:5], v[8:9] neg_lo:[0,0,1] neg_hi:[0,0,1]
	v_pk_fma_f32 v[4:5], v[6:7], v[4:5], v[8:9] op_sel_hi:[1,0,1]
	s_nop 0
	v_mov_b32_e32 v11, v5
	v_pk_add_f32 v[4:5], v[10:11], 0 op_sel_hi:[1,0]
	s_and_saveexec_b64 s[12:13], s[0:1]
	s_cbranch_execz .LBB121_22
; %bb.21:
	scratch_load_dwordx2 v[6:7], off, off offset:8
	v_mov_b32_e32 v3, 0
	ds_read_b64 v[8:9], v3 offset:472
	s_waitcnt vmcnt(0) lgkmcnt(0)
	v_pk_mul_f32 v[10:11], v[8:9], v[6:7] op_sel:[1,1] op_sel_hi:[0,1]
	v_pk_fma_f32 v[12:13], v[8:9], v[6:7], v[10:11] neg_lo:[0,0,1] neg_hi:[0,0,1]
	v_pk_fma_f32 v[6:7], v[8:9], v[6:7], v[10:11] op_sel_hi:[1,0,1]
	s_nop 0
	v_mov_b32_e32 v13, v7
	v_pk_add_f32 v[4:5], v[4:5], v[12:13]
.LBB121_22:
	s_or_b64 exec, exec, s[12:13]
	v_mov_b32_e32 v3, 0
	ds_read_b64 v[6:7], v3 offset:16
	s_waitcnt lgkmcnt(0)
	v_pk_mul_f32 v[8:9], v[4:5], v[6:7] op_sel:[1,1] op_sel_hi:[0,1]
	v_pk_fma_f32 v[10:11], v[4:5], v[6:7], v[8:9] neg_lo:[0,0,1] neg_hi:[0,0,1]
	v_pk_fma_f32 v[4:5], v[4:5], v[6:7], v[8:9] op_sel_hi:[1,0,1]
	s_nop 0
	v_mov_b32_e32 v11, v5
	scratch_store_dwordx2 off, v[10:11], off offset:16
.LBB121_23:
	s_or_b64 exec, exec, s[4:5]
	; wave barrier
	scratch_load_dwordx2 v[4:5], off, off offset:24
	v_cmp_gt_u32_e32 vcc, 3, v0
	v_add_u32_e32 v6, -1, v0
	s_waitcnt vmcnt(0)
	ds_write_b64 v1, v[4:5]
	s_waitcnt lgkmcnt(0)
	; wave barrier
	s_and_saveexec_b64 s[0:1], vcc
	s_cbranch_execz .LBB121_27
; %bb.24:
	v_mov_b32_e32 v4, 0
	v_add_u32_e32 v3, -1, v0
	v_add_u32_e32 v7, 0x1d0, v2
	v_mov_b32_e32 v8, v2
	s_mov_b64 s[4:5], 0
	v_mov_b32_e32 v5, v4
.LBB121_25:                             ; =>This Inner Loop Header: Depth=1
	scratch_load_dwordx2 v[10:11], v8, off
	ds_read_b64 v[12:13], v7
	v_add_u32_e32 v3, 1, v3
	v_cmp_lt_u32_e32 vcc, 1, v3
	v_add_u32_e32 v7, 8, v7
	v_add_u32_e32 v8, 8, v8
	s_or_b64 s[4:5], vcc, s[4:5]
	s_waitcnt vmcnt(0) lgkmcnt(0)
	v_pk_mul_f32 v[14:15], v[12:13], v[10:11] op_sel:[1,1] op_sel_hi:[0,1]
	v_pk_fma_f32 v[16:17], v[12:13], v[10:11], v[14:15] neg_lo:[0,0,1] neg_hi:[0,0,1]
	v_pk_fma_f32 v[10:11], v[12:13], v[10:11], v[14:15] op_sel_hi:[1,0,1]
	s_nop 0
	v_mov_b32_e32 v17, v11
	v_pk_add_f32 v[4:5], v[4:5], v[16:17]
	s_andn2_b64 exec, exec, s[4:5]
	s_cbranch_execnz .LBB121_25
; %bb.26:
	s_or_b64 exec, exec, s[4:5]
	v_mov_b32_e32 v3, 0
	ds_read_b64 v[8:9], v3 offset:24
	s_waitcnt lgkmcnt(0)
	v_pk_mul_f32 v[10:11], v[4:5], v[8:9] op_sel:[1,1] op_sel_hi:[0,1]
	v_pk_fma_f32 v[12:13], v[4:5], v[8:9], v[10:11] neg_lo:[0,0,1] neg_hi:[0,0,1]
	v_pk_fma_f32 v[4:5], v[4:5], v[8:9], v[10:11] op_sel_hi:[1,0,1]
	s_nop 0
	v_mov_b32_e32 v13, v5
	scratch_store_dwordx2 off, v[12:13], off offset:24
.LBB121_27:
	s_or_b64 exec, exec, s[0:1]
	; wave barrier
	scratch_load_dwordx2 v[4:5], off, off offset:32
	v_cmp_gt_u32_e32 vcc, 4, v0
	s_waitcnt vmcnt(0)
	ds_write_b64 v1, v[4:5]
	s_waitcnt lgkmcnt(0)
	; wave barrier
	s_and_saveexec_b64 s[0:1], vcc
	s_cbranch_execz .LBB121_31
; %bb.28:
	v_mov_b32_e32 v4, 0
	v_add_u32_e32 v3, -1, v0
	v_add_u32_e32 v7, 0x1d0, v2
	v_mov_b32_e32 v8, v2
	s_mov_b64 s[4:5], 0
	v_mov_b32_e32 v5, v4
.LBB121_29:                             ; =>This Inner Loop Header: Depth=1
	scratch_load_dwordx2 v[10:11], v8, off
	ds_read_b64 v[12:13], v7
	v_add_u32_e32 v3, 1, v3
	v_cmp_lt_u32_e32 vcc, 2, v3
	v_add_u32_e32 v7, 8, v7
	v_add_u32_e32 v8, 8, v8
	s_or_b64 s[4:5], vcc, s[4:5]
	s_waitcnt vmcnt(0) lgkmcnt(0)
	v_pk_mul_f32 v[14:15], v[12:13], v[10:11] op_sel:[1,1] op_sel_hi:[0,1]
	v_pk_fma_f32 v[16:17], v[12:13], v[10:11], v[14:15] neg_lo:[0,0,1] neg_hi:[0,0,1]
	v_pk_fma_f32 v[10:11], v[12:13], v[10:11], v[14:15] op_sel_hi:[1,0,1]
	s_nop 0
	v_mov_b32_e32 v17, v11
	v_pk_add_f32 v[4:5], v[4:5], v[16:17]
	s_andn2_b64 exec, exec, s[4:5]
	s_cbranch_execnz .LBB121_29
; %bb.30:
	s_or_b64 exec, exec, s[4:5]
	v_mov_b32_e32 v3, 0
	ds_read_b64 v[8:9], v3 offset:32
	s_waitcnt lgkmcnt(0)
	v_pk_mul_f32 v[10:11], v[4:5], v[8:9] op_sel:[1,1] op_sel_hi:[0,1]
	v_pk_fma_f32 v[12:13], v[4:5], v[8:9], v[10:11] neg_lo:[0,0,1] neg_hi:[0,0,1]
	v_pk_fma_f32 v[4:5], v[4:5], v[8:9], v[10:11] op_sel_hi:[1,0,1]
	s_nop 0
	v_mov_b32_e32 v13, v5
	scratch_store_dwordx2 off, v[12:13], off offset:32
.LBB121_31:
	s_or_b64 exec, exec, s[0:1]
	; wave barrier
	scratch_load_dwordx2 v[4:5], off, off offset:40
	v_cmp_gt_u32_e32 vcc, 5, v0
	;; [unrolled: 46-line block ×19, first 2 shown]
	s_waitcnt vmcnt(0)
	ds_write_b64 v1, v[4:5]
	s_waitcnt lgkmcnt(0)
	; wave barrier
	s_and_saveexec_b64 s[0:1], vcc
	s_cbranch_execz .LBB121_103
; %bb.100:
	v_mov_b32_e32 v4, 0
	v_add_u32_e32 v3, -1, v0
	v_add_u32_e32 v7, 0x1d0, v2
	v_mov_b32_e32 v8, v2
	s_mov_b64 s[4:5], 0
	v_mov_b32_e32 v5, v4
.LBB121_101:                            ; =>This Inner Loop Header: Depth=1
	scratch_load_dwordx2 v[10:11], v8, off
	ds_read_b64 v[12:13], v7
	v_add_u32_e32 v3, 1, v3
	v_cmp_lt_u32_e32 vcc, 20, v3
	v_add_u32_e32 v7, 8, v7
	v_add_u32_e32 v8, 8, v8
	s_or_b64 s[4:5], vcc, s[4:5]
	s_waitcnt vmcnt(0) lgkmcnt(0)
	v_pk_mul_f32 v[14:15], v[12:13], v[10:11] op_sel:[1,1] op_sel_hi:[0,1]
	v_pk_fma_f32 v[16:17], v[12:13], v[10:11], v[14:15] neg_lo:[0,0,1] neg_hi:[0,0,1]
	v_pk_fma_f32 v[10:11], v[12:13], v[10:11], v[14:15] op_sel_hi:[1,0,1]
	s_nop 0
	v_mov_b32_e32 v17, v11
	v_pk_add_f32 v[4:5], v[4:5], v[16:17]
	s_andn2_b64 exec, exec, s[4:5]
	s_cbranch_execnz .LBB121_101
; %bb.102:
	s_or_b64 exec, exec, s[4:5]
	v_mov_b32_e32 v3, 0
	ds_read_b64 v[8:9], v3 offset:176
	s_waitcnt lgkmcnt(0)
	v_pk_mul_f32 v[10:11], v[4:5], v[8:9] op_sel:[1,1] op_sel_hi:[0,1]
	v_pk_fma_f32 v[12:13], v[4:5], v[8:9], v[10:11] neg_lo:[0,0,1] neg_hi:[0,0,1]
	v_pk_fma_f32 v[4:5], v[4:5], v[8:9], v[10:11] op_sel_hi:[1,0,1]
	s_nop 0
	v_mov_b32_e32 v13, v5
	scratch_store_dwordx2 off, v[12:13], off offset:176
.LBB121_103:
	s_or_b64 exec, exec, s[0:1]
	; wave barrier
	scratch_load_dwordx2 v[4:5], off, off offset:184
	v_cmp_gt_u32_e32 vcc, 23, v0
	s_waitcnt vmcnt(0)
	ds_write_b64 v1, v[4:5]
	s_waitcnt lgkmcnt(0)
	; wave barrier
	s_and_saveexec_b64 s[0:1], vcc
	s_cbranch_execz .LBB121_107
; %bb.104:
	v_mov_b32_e32 v4, 0
	v_add_u32_e32 v3, -1, v0
	v_add_u32_e32 v7, 0x1d0, v2
	v_mov_b32_e32 v8, v2
	s_mov_b64 s[4:5], 0
	v_mov_b32_e32 v5, v4
.LBB121_105:                            ; =>This Inner Loop Header: Depth=1
	scratch_load_dwordx2 v[10:11], v8, off
	ds_read_b64 v[12:13], v7
	v_add_u32_e32 v3, 1, v3
	v_cmp_lt_u32_e32 vcc, 21, v3
	v_add_u32_e32 v7, 8, v7
	v_add_u32_e32 v8, 8, v8
	s_or_b64 s[4:5], vcc, s[4:5]
	s_waitcnt vmcnt(0) lgkmcnt(0)
	v_pk_mul_f32 v[14:15], v[12:13], v[10:11] op_sel:[1,1] op_sel_hi:[0,1]
	v_pk_fma_f32 v[16:17], v[12:13], v[10:11], v[14:15] neg_lo:[0,0,1] neg_hi:[0,0,1]
	v_pk_fma_f32 v[10:11], v[12:13], v[10:11], v[14:15] op_sel_hi:[1,0,1]
	s_nop 0
	v_mov_b32_e32 v17, v11
	v_pk_add_f32 v[4:5], v[4:5], v[16:17]
	s_andn2_b64 exec, exec, s[4:5]
	s_cbranch_execnz .LBB121_105
; %bb.106:
	s_or_b64 exec, exec, s[4:5]
	v_mov_b32_e32 v3, 0
	ds_read_b64 v[8:9], v3 offset:184
	s_waitcnt lgkmcnt(0)
	v_pk_mul_f32 v[10:11], v[4:5], v[8:9] op_sel:[1,1] op_sel_hi:[0,1]
	v_pk_fma_f32 v[12:13], v[4:5], v[8:9], v[10:11] neg_lo:[0,0,1] neg_hi:[0,0,1]
	v_pk_fma_f32 v[4:5], v[4:5], v[8:9], v[10:11] op_sel_hi:[1,0,1]
	s_nop 0
	v_mov_b32_e32 v13, v5
	scratch_store_dwordx2 off, v[12:13], off offset:184
.LBB121_107:
	s_or_b64 exec, exec, s[0:1]
	; wave barrier
	scratch_load_dwordx2 v[4:5], off, off offset:192
	v_cmp_gt_u32_e32 vcc, 24, v0
	;; [unrolled: 46-line block ×34, first 2 shown]
	s_waitcnt vmcnt(0)
	ds_write_b64 v1, v[4:5]
	s_waitcnt lgkmcnt(0)
	; wave barrier
	s_and_saveexec_b64 s[0:1], vcc
	s_cbranch_execz .LBB121_239
; %bb.236:
	v_mov_b32_e32 v4, 0
	v_add_u32_e32 v3, -1, v0
	v_add_u32_e32 v7, 0x1d0, v2
	v_mov_b32_e32 v8, v2
	s_mov_b64 s[4:5], 0
	v_mov_b32_e32 v5, v4
.LBB121_237:                            ; =>This Inner Loop Header: Depth=1
	scratch_load_dwordx2 v[10:11], v8, off
	ds_read_b64 v[12:13], v7
	v_add_u32_e32 v3, 1, v3
	v_cmp_lt_u32_e32 vcc, 54, v3
	v_add_u32_e32 v7, 8, v7
	v_add_u32_e32 v8, 8, v8
	s_or_b64 s[4:5], vcc, s[4:5]
	s_waitcnt vmcnt(0) lgkmcnt(0)
	v_pk_mul_f32 v[14:15], v[12:13], v[10:11] op_sel:[1,1] op_sel_hi:[0,1]
	v_pk_fma_f32 v[16:17], v[12:13], v[10:11], v[14:15] neg_lo:[0,0,1] neg_hi:[0,0,1]
	v_pk_fma_f32 v[10:11], v[12:13], v[10:11], v[14:15] op_sel_hi:[1,0,1]
	s_nop 0
	v_mov_b32_e32 v17, v11
	v_pk_add_f32 v[4:5], v[4:5], v[16:17]
	s_andn2_b64 exec, exec, s[4:5]
	s_cbranch_execnz .LBB121_237
; %bb.238:
	s_or_b64 exec, exec, s[4:5]
	v_mov_b32_e32 v3, 0
	ds_read_b64 v[8:9], v3 offset:448
	s_waitcnt lgkmcnt(0)
	v_pk_mul_f32 v[10:11], v[4:5], v[8:9] op_sel:[1,1] op_sel_hi:[0,1]
	v_pk_fma_f32 v[12:13], v[4:5], v[8:9], v[10:11] neg_lo:[0,0,1] neg_hi:[0,0,1]
	v_pk_fma_f32 v[4:5], v[4:5], v[8:9], v[10:11] op_sel_hi:[1,0,1]
	s_nop 0
	v_mov_b32_e32 v13, v5
	scratch_store_dwordx2 off, v[12:13], off offset:448
.LBB121_239:
	s_or_b64 exec, exec, s[0:1]
	; wave barrier
	scratch_load_dwordx2 v[4:5], off, off offset:456
	v_cmp_ne_u32_e32 vcc, 57, v0
	s_waitcnt vmcnt(0)
	ds_write_b64 v1, v[4:5]
	s_waitcnt lgkmcnt(0)
	; wave barrier
	s_and_saveexec_b64 s[0:1], vcc
	s_cbranch_execz .LBB121_243
; %bb.240:
	v_add_u32_e32 v1, 0x1d0, v2
	v_mov_b32_e32 v4, v2
	v_mov_b32_e32 v2, 0
	s_mov_b64 s[4:5], 0
	v_mov_b32_e32 v3, v2
.LBB121_241:                            ; =>This Inner Loop Header: Depth=1
	scratch_load_dwordx2 v[8:9], v4, off
	ds_read_b64 v[10:11], v1
	v_add_u32_e32 v6, 1, v6
	v_cmp_lt_u32_e32 vcc, 55, v6
	v_add_u32_e32 v1, 8, v1
	v_add_u32_e32 v4, 8, v4
	s_or_b64 s[4:5], vcc, s[4:5]
	s_waitcnt vmcnt(0) lgkmcnt(0)
	v_pk_mul_f32 v[12:13], v[10:11], v[8:9] op_sel:[1,1] op_sel_hi:[0,1]
	v_pk_fma_f32 v[14:15], v[10:11], v[8:9], v[12:13] neg_lo:[0,0,1] neg_hi:[0,0,1]
	v_pk_fma_f32 v[8:9], v[10:11], v[8:9], v[12:13] op_sel_hi:[1,0,1]
	s_nop 0
	v_mov_b32_e32 v15, v9
	v_pk_add_f32 v[2:3], v[2:3], v[14:15]
	s_andn2_b64 exec, exec, s[4:5]
	s_cbranch_execnz .LBB121_241
; %bb.242:
	s_or_b64 exec, exec, s[4:5]
	v_mov_b32_e32 v1, 0
	ds_read_b64 v[4:5], v1 offset:456
	s_waitcnt lgkmcnt(0)
	v_pk_mul_f32 v[6:7], v[2:3], v[4:5] op_sel:[1,1] op_sel_hi:[0,1]
	v_pk_fma_f32 v[8:9], v[2:3], v[4:5], v[6:7] neg_lo:[0,0,1] neg_hi:[0,0,1]
	v_pk_fma_f32 v[2:3], v[2:3], v[4:5], v[6:7] op_sel_hi:[1,0,1]
	s_nop 0
	v_mov_b32_e32 v9, v3
	scratch_store_dwordx2 off, v[8:9], off offset:456
.LBB121_243:
	s_or_b64 exec, exec, s[0:1]
	s_mov_b64 s[4:5], -1
	; wave barrier
.LBB121_244:
	s_and_b64 vcc, exec, s[4:5]
	s_cbranch_vccz .LBB121_246
; %bb.245:
	s_lshl_b64 s[0:1], s[2:3], 2
	s_add_u32 s0, s6, s0
	s_addc_u32 s1, s7, s1
	v_mov_b32_e32 v1, 0
	global_load_dword v1, v1, s[0:1]
	s_waitcnt vmcnt(0)
	v_cmp_ne_u32_e32 vcc, 0, v1
	s_cbranch_vccz .LBB121_247
.LBB121_246:
	s_endpgm
.LBB121_247:
	v_mov_b32_e32 v1, 0x1d0
	v_lshl_add_u32 v1, v0, 3, v1
	v_cmp_eq_u32_e32 vcc, 57, v0
	s_and_saveexec_b64 s[0:1], vcc
	s_cbranch_execz .LBB121_249
; %bb.248:
	scratch_load_dwordx2 v[2:3], off, off offset:448
	v_mov_b32_e32 v4, 0
	v_mov_b32_e32 v5, v4
	scratch_store_dwordx2 off, v[4:5], off offset:448
	s_waitcnt vmcnt(1)
	ds_write_b64 v1, v[2:3]
.LBB121_249:
	s_or_b64 exec, exec, s[0:1]
	s_waitcnt lgkmcnt(0)
	; wave barrier
	scratch_load_dwordx2 v[4:5], off, off offset:456
	scratch_load_dwordx2 v[6:7], off, off offset:448
	v_mov_b32_e32 v2, 0
	ds_read_b64 v[8:9], v2 offset:920
	v_cmp_lt_u32_e32 vcc, 55, v0
	s_waitcnt vmcnt(1) lgkmcnt(0)
	v_pk_mul_f32 v[10:11], v[8:9], v[4:5] op_sel:[1,1] op_sel_hi:[0,1]
	v_pk_fma_f32 v[12:13], v[8:9], v[4:5], v[10:11] neg_lo:[0,0,1] neg_hi:[0,0,1]
	v_pk_fma_f32 v[4:5], v[8:9], v[4:5], v[10:11] op_sel_hi:[1,0,1]
	s_nop 0
	v_mov_b32_e32 v13, v5
	v_pk_add_f32 v[4:5], v[12:13], 0 op_sel_hi:[1,0]
	s_waitcnt vmcnt(0)
	v_pk_add_f32 v[4:5], v[6:7], v[4:5] neg_lo:[0,1] neg_hi:[0,1]
	scratch_store_dwordx2 off, v[4:5], off offset:448
	s_and_saveexec_b64 s[0:1], vcc
	s_cbranch_execz .LBB121_251
; %bb.250:
	scratch_load_dwordx2 v[4:5], off, off offset:440
	v_mov_b32_e32 v3, v2
	scratch_store_dwordx2 off, v[2:3], off offset:440
	s_waitcnt vmcnt(1)
	ds_write_b64 v1, v[4:5]
.LBB121_251:
	s_or_b64 exec, exec, s[0:1]
	s_waitcnt lgkmcnt(0)
	; wave barrier
	scratch_load_dwordx4 v[4:7], off, off offset:448
	scratch_load_dwordx2 v[12:13], off, off offset:440
	ds_read_b128 v[8:11], v2 offset:912
	v_cmp_lt_u32_e32 vcc, 54, v0
	s_waitcnt vmcnt(1) lgkmcnt(0)
	v_pk_mul_f32 v[2:3], v[8:9], v[4:5] op_sel:[1,1] op_sel_hi:[0,1]
	v_mov_b32_e32 v14, v7
	v_pk_fma_f32 v[16:17], v[8:9], v[4:5], v[2:3] neg_lo:[0,0,1] neg_hi:[0,0,1]
	v_pk_fma_f32 v[2:3], v[8:9], v[4:5], v[2:3] op_sel_hi:[1,0,1]
	v_pk_mul_f32 v[4:5], v[10:11], v[14:15] op_sel:[1,0] op_sel_hi:[0,0]
	v_mov_b32_e32 v17, v3
	v_pk_fma_f32 v[2:3], v[10:11], v[6:7], v[4:5] neg_lo:[0,0,1] neg_hi:[0,0,1]
	v_pk_fma_f32 v[4:5], v[10:11], v[6:7], v[4:5] op_sel_hi:[1,0,1]
	v_pk_add_f32 v[6:7], v[16:17], 0 op_sel_hi:[1,0]
	v_mov_b32_e32 v3, v5
	v_pk_add_f32 v[2:3], v[6:7], v[2:3]
	s_waitcnt vmcnt(0)
	v_pk_add_f32 v[2:3], v[12:13], v[2:3] neg_lo:[0,1] neg_hi:[0,1]
	scratch_store_dwordx2 off, v[2:3], off offset:440
	s_and_saveexec_b64 s[0:1], vcc
	s_cbranch_execz .LBB121_253
; %bb.252:
	scratch_load_dwordx2 v[2:3], off, off offset:432
	v_mov_b32_e32 v4, 0
	v_mov_b32_e32 v5, v4
	scratch_store_dwordx2 off, v[4:5], off offset:432
	s_waitcnt vmcnt(1)
	ds_write_b64 v1, v[2:3]
.LBB121_253:
	s_or_b64 exec, exec, s[0:1]
	s_waitcnt lgkmcnt(0)
	; wave barrier
	scratch_load_dwordx4 v[4:7], off, off offset:440
	scratch_load_dwordx2 v[12:13], off, off offset:456
	scratch_load_dwordx2 v[14:15], off, off offset:432
	v_mov_b32_e32 v2, 0
	ds_read2_b64 v[8:11], v2 offset0:113 offset1:114
	ds_read_b64 v[16:17], v2 offset:920
	v_cmp_lt_u32_e32 vcc, 53, v0
	s_waitcnt vmcnt(2) lgkmcnt(1)
	v_pk_mul_f32 v[18:19], v[8:9], v[4:5] op_sel:[1,1] op_sel_hi:[0,1]
	v_mov_b32_e32 v20, v7
	v_pk_fma_f32 v[24:25], v[8:9], v[4:5], v[18:19] neg_lo:[0,0,1] neg_hi:[0,0,1]
	v_pk_fma_f32 v[4:5], v[8:9], v[4:5], v[18:19] op_sel_hi:[1,0,1]
	v_pk_mul_f32 v[8:9], v[10:11], v[20:21] op_sel:[1,0] op_sel_hi:[0,0]
	s_waitcnt vmcnt(1) lgkmcnt(0)
	v_pk_mul_f32 v[22:23], v[16:17], v[12:13] op_sel:[1,1] op_sel_hi:[0,1]
	v_mov_b32_e32 v25, v5
	v_pk_fma_f32 v[4:5], v[10:11], v[6:7], v[8:9] neg_lo:[0,0,1] neg_hi:[0,0,1]
	v_pk_fma_f32 v[6:7], v[10:11], v[6:7], v[8:9] op_sel_hi:[1,0,1]
	v_pk_fma_f32 v[18:19], v[16:17], v[12:13], v[22:23] neg_lo:[0,0,1] neg_hi:[0,0,1]
	v_pk_fma_f32 v[12:13], v[16:17], v[12:13], v[22:23] op_sel_hi:[1,0,1]
	v_pk_add_f32 v[8:9], v[24:25], 0 op_sel_hi:[1,0]
	v_mov_b32_e32 v5, v7
	v_mov_b32_e32 v19, v13
	v_pk_add_f32 v[4:5], v[8:9], v[4:5]
	s_nop 0
	v_pk_add_f32 v[4:5], v[4:5], v[18:19]
	s_waitcnt vmcnt(0)
	v_pk_add_f32 v[4:5], v[14:15], v[4:5] neg_lo:[0,1] neg_hi:[0,1]
	scratch_store_dwordx2 off, v[4:5], off offset:432
	s_and_saveexec_b64 s[0:1], vcc
	s_cbranch_execz .LBB121_255
; %bb.254:
	scratch_load_dwordx2 v[4:5], off, off offset:424
	v_mov_b32_e32 v3, v2
	scratch_store_dwordx2 off, v[2:3], off offset:424
	s_waitcnt vmcnt(1)
	ds_write_b64 v1, v[4:5]
.LBB121_255:
	s_or_b64 exec, exec, s[0:1]
	s_waitcnt lgkmcnt(0)
	; wave barrier
	scratch_load_dwordx4 v[4:7], off, off offset:432
	scratch_load_dwordx4 v[8:11], off, off offset:448
	scratch_load_dwordx2 v[20:21], off, off offset:424
	ds_read_b128 v[12:15], v2 offset:896
	ds_read_b128 v[16:19], v2 offset:912
	v_cmp_lt_u32_e32 vcc, 52, v0
	s_waitcnt vmcnt(2) lgkmcnt(1)
	v_pk_mul_f32 v[2:3], v[12:13], v[4:5] op_sel:[1,1] op_sel_hi:[0,1]
	v_mov_b32_e32 v22, v7
	s_waitcnt vmcnt(1) lgkmcnt(0)
	v_pk_mul_f32 v[24:25], v[16:17], v[8:9] op_sel:[1,1] op_sel_hi:[0,1]
	v_mov_b32_e32 v26, v11
	v_pk_fma_f32 v[28:29], v[12:13], v[4:5], v[2:3] neg_lo:[0,0,1] neg_hi:[0,0,1]
	v_pk_fma_f32 v[2:3], v[12:13], v[4:5], v[2:3] op_sel_hi:[1,0,1]
	v_pk_mul_f32 v[4:5], v[14:15], v[22:23] op_sel:[1,0] op_sel_hi:[0,0]
	v_pk_fma_f32 v[12:13], v[16:17], v[8:9], v[24:25] neg_lo:[0,0,1] neg_hi:[0,0,1]
	v_pk_fma_f32 v[8:9], v[16:17], v[8:9], v[24:25] op_sel_hi:[1,0,1]
	v_pk_mul_f32 v[16:17], v[18:19], v[26:27] op_sel:[1,0] op_sel_hi:[0,0]
	v_mov_b32_e32 v29, v3
	v_pk_fma_f32 v[2:3], v[14:15], v[6:7], v[4:5] neg_lo:[0,0,1] neg_hi:[0,0,1]
	v_pk_fma_f32 v[4:5], v[14:15], v[6:7], v[4:5] op_sel_hi:[1,0,1]
	v_mov_b32_e32 v13, v9
	v_pk_fma_f32 v[6:7], v[18:19], v[10:11], v[16:17] neg_lo:[0,0,1] neg_hi:[0,0,1]
	v_pk_fma_f32 v[8:9], v[18:19], v[10:11], v[16:17] op_sel_hi:[1,0,1]
	v_pk_add_f32 v[10:11], v[28:29], 0 op_sel_hi:[1,0]
	v_mov_b32_e32 v3, v5
	v_pk_add_f32 v[2:3], v[10:11], v[2:3]
	v_mov_b32_e32 v7, v9
	v_pk_add_f32 v[2:3], v[2:3], v[12:13]
	s_nop 0
	v_pk_add_f32 v[2:3], v[2:3], v[6:7]
	s_waitcnt vmcnt(0)
	v_pk_add_f32 v[2:3], v[20:21], v[2:3] neg_lo:[0,1] neg_hi:[0,1]
	scratch_store_dwordx2 off, v[2:3], off offset:424
	s_and_saveexec_b64 s[0:1], vcc
	s_cbranch_execz .LBB121_257
; %bb.256:
	scratch_load_dwordx2 v[2:3], off, off offset:416
	v_mov_b32_e32 v4, 0
	v_mov_b32_e32 v5, v4
	scratch_store_dwordx2 off, v[4:5], off offset:416
	s_waitcnt vmcnt(1)
	ds_write_b64 v1, v[2:3]
.LBB121_257:
	s_or_b64 exec, exec, s[0:1]
	s_waitcnt lgkmcnt(0)
	; wave barrier
	scratch_load_dwordx4 v[4:7], off, off offset:424
	scratch_load_dwordx4 v[8:11], off, off offset:440
	scratch_load_dwordx2 v[20:21], off, off offset:456
	scratch_load_dwordx2 v[22:23], off, off offset:416
	v_mov_b32_e32 v2, 0
	ds_read2_b64 v[12:15], v2 offset0:111 offset1:112
	ds_read2_b64 v[16:19], v2 offset0:113 offset1:114
	ds_read_b64 v[24:25], v2 offset:920
	v_cmp_lt_u32_e32 vcc, 51, v0
	s_waitcnt vmcnt(3) lgkmcnt(2)
	v_pk_mul_f32 v[26:27], v[12:13], v[4:5] op_sel:[1,1] op_sel_hi:[0,1]
	v_mov_b32_e32 v28, v7
	v_pk_fma_f32 v[36:37], v[12:13], v[4:5], v[26:27] neg_lo:[0,0,1] neg_hi:[0,0,1]
	v_pk_fma_f32 v[4:5], v[12:13], v[4:5], v[26:27] op_sel_hi:[1,0,1]
	v_pk_mul_f32 v[12:13], v[14:15], v[28:29] op_sel:[1,0] op_sel_hi:[0,0]
	s_waitcnt vmcnt(2) lgkmcnt(1)
	v_pk_mul_f32 v[30:31], v[16:17], v[8:9] op_sel:[1,1] op_sel_hi:[0,1]
	v_mov_b32_e32 v32, v11
	v_mov_b32_e32 v37, v5
	v_pk_fma_f32 v[4:5], v[14:15], v[6:7], v[12:13] neg_lo:[0,0,1] neg_hi:[0,0,1]
	v_pk_fma_f32 v[6:7], v[14:15], v[6:7], v[12:13] op_sel_hi:[1,0,1]
	v_pk_fma_f32 v[26:27], v[16:17], v[8:9], v[30:31] neg_lo:[0,0,1] neg_hi:[0,0,1]
	v_pk_fma_f32 v[8:9], v[16:17], v[8:9], v[30:31] op_sel_hi:[1,0,1]
	v_pk_mul_f32 v[16:17], v[18:19], v[32:33] op_sel:[1,0] op_sel_hi:[0,0]
	v_pk_add_f32 v[12:13], v[36:37], 0 op_sel_hi:[1,0]
	v_mov_b32_e32 v5, v7
	s_waitcnt vmcnt(1) lgkmcnt(0)
	v_pk_mul_f32 v[34:35], v[24:25], v[20:21] op_sel:[1,1] op_sel_hi:[0,1]
	v_mov_b32_e32 v27, v9
	v_pk_fma_f32 v[8:9], v[18:19], v[10:11], v[16:17] neg_lo:[0,0,1] neg_hi:[0,0,1]
	v_pk_fma_f32 v[10:11], v[18:19], v[10:11], v[16:17] op_sel_hi:[1,0,1]
	v_pk_add_f32 v[4:5], v[12:13], v[4:5]
	v_pk_fma_f32 v[28:29], v[24:25], v[20:21], v[34:35] neg_lo:[0,0,1] neg_hi:[0,0,1]
	v_pk_fma_f32 v[20:21], v[24:25], v[20:21], v[34:35] op_sel_hi:[1,0,1]
	v_mov_b32_e32 v9, v11
	v_pk_add_f32 v[4:5], v[4:5], v[26:27]
	v_mov_b32_e32 v29, v21
	v_pk_add_f32 v[4:5], v[4:5], v[8:9]
	s_nop 0
	v_pk_add_f32 v[4:5], v[4:5], v[28:29]
	s_waitcnt vmcnt(0)
	v_pk_add_f32 v[4:5], v[22:23], v[4:5] neg_lo:[0,1] neg_hi:[0,1]
	scratch_store_dwordx2 off, v[4:5], off offset:416
	s_and_saveexec_b64 s[0:1], vcc
	s_cbranch_execz .LBB121_259
; %bb.258:
	scratch_load_dwordx2 v[4:5], off, off offset:408
	v_mov_b32_e32 v3, v2
	scratch_store_dwordx2 off, v[2:3], off offset:408
	s_waitcnt vmcnt(1)
	ds_write_b64 v1, v[4:5]
.LBB121_259:
	s_or_b64 exec, exec, s[0:1]
	s_waitcnt lgkmcnt(0)
	; wave barrier
	scratch_load_dwordx4 v[4:7], off, off offset:416
	scratch_load_dwordx4 v[8:11], off, off offset:432
	;; [unrolled: 1-line block ×3, first 2 shown]
	scratch_load_dwordx2 v[28:29], off, off offset:408
	ds_read_b128 v[16:19], v2 offset:880
	ds_read_b128 v[20:23], v2 offset:896
	;; [unrolled: 1-line block ×3, first 2 shown]
	v_cmp_lt_u32_e32 vcc, 50, v0
	s_waitcnt vmcnt(3) lgkmcnt(2)
	v_pk_mul_f32 v[2:3], v[16:17], v[4:5] op_sel:[1,1] op_sel_hi:[0,1]
	v_mov_b32_e32 v30, v7
	s_waitcnt vmcnt(2) lgkmcnt(1)
	v_pk_mul_f32 v[32:33], v[20:21], v[8:9] op_sel:[1,1] op_sel_hi:[0,1]
	v_mov_b32_e32 v34, v11
	;; [unrolled: 3-line block ×3, first 2 shown]
	v_pk_fma_f32 v[40:41], v[16:17], v[4:5], v[2:3] neg_lo:[0,0,1] neg_hi:[0,0,1]
	v_pk_fma_f32 v[2:3], v[16:17], v[4:5], v[2:3] op_sel_hi:[1,0,1]
	v_pk_mul_f32 v[4:5], v[18:19], v[30:31] op_sel:[1,0] op_sel_hi:[0,0]
	v_pk_fma_f32 v[16:17], v[20:21], v[8:9], v[32:33] neg_lo:[0,0,1] neg_hi:[0,0,1]
	v_pk_fma_f32 v[8:9], v[20:21], v[8:9], v[32:33] op_sel_hi:[1,0,1]
	v_pk_mul_f32 v[20:21], v[22:23], v[34:35] op_sel:[1,0] op_sel_hi:[0,0]
	;; [unrolled: 3-line block ×3, first 2 shown]
	v_mov_b32_e32 v41, v3
	v_pk_fma_f32 v[2:3], v[18:19], v[6:7], v[4:5] neg_lo:[0,0,1] neg_hi:[0,0,1]
	v_pk_fma_f32 v[4:5], v[18:19], v[6:7], v[4:5] op_sel_hi:[1,0,1]
	v_mov_b32_e32 v17, v9
	v_pk_fma_f32 v[6:7], v[22:23], v[10:11], v[20:21] neg_lo:[0,0,1] neg_hi:[0,0,1]
	v_pk_fma_f32 v[8:9], v[22:23], v[10:11], v[20:21] op_sel_hi:[1,0,1]
	;; [unrolled: 3-line block ×3, first 2 shown]
	v_pk_add_f32 v[14:15], v[40:41], 0 op_sel_hi:[1,0]
	v_mov_b32_e32 v3, v5
	v_pk_add_f32 v[2:3], v[14:15], v[2:3]
	v_mov_b32_e32 v7, v9
	v_pk_add_f32 v[2:3], v[2:3], v[16:17]
	;; [unrolled: 2-line block ×3, first 2 shown]
	s_nop 0
	v_pk_add_f32 v[2:3], v[2:3], v[30:31]
	s_nop 0
	v_pk_add_f32 v[2:3], v[2:3], v[10:11]
	s_waitcnt vmcnt(0)
	v_pk_add_f32 v[2:3], v[28:29], v[2:3] neg_lo:[0,1] neg_hi:[0,1]
	scratch_store_dwordx2 off, v[2:3], off offset:408
	s_and_saveexec_b64 s[0:1], vcc
	s_cbranch_execz .LBB121_261
; %bb.260:
	scratch_load_dwordx2 v[2:3], off, off offset:400
	v_mov_b32_e32 v4, 0
	v_mov_b32_e32 v5, v4
	scratch_store_dwordx2 off, v[4:5], off offset:400
	s_waitcnt vmcnt(1)
	ds_write_b64 v1, v[2:3]
.LBB121_261:
	s_or_b64 exec, exec, s[0:1]
	s_waitcnt lgkmcnt(0)
	; wave barrier
	scratch_load_dwordx4 v[4:7], off, off offset:408
	scratch_load_dwordx4 v[8:11], off, off offset:424
	;; [unrolled: 1-line block ×3, first 2 shown]
	scratch_load_dwordx2 v[28:29], off, off offset:456
	scratch_load_dwordx2 v[30:31], off, off offset:400
	v_mov_b32_e32 v2, 0
	ds_read2_b64 v[16:19], v2 offset0:109 offset1:110
	ds_read2_b64 v[20:23], v2 offset0:111 offset1:112
	;; [unrolled: 1-line block ×3, first 2 shown]
	ds_read_b64 v[32:33], v2 offset:920
	v_cmp_lt_u32_e32 vcc, 49, v0
	s_waitcnt vmcnt(4) lgkmcnt(3)
	v_pk_mul_f32 v[34:35], v[16:17], v[4:5] op_sel:[1,1] op_sel_hi:[0,1]
	v_mov_b32_e32 v36, v7
	v_pk_fma_f32 v[48:49], v[16:17], v[4:5], v[34:35] neg_lo:[0,0,1] neg_hi:[0,0,1]
	v_pk_fma_f32 v[4:5], v[16:17], v[4:5], v[34:35] op_sel_hi:[1,0,1]
	v_pk_mul_f32 v[16:17], v[18:19], v[36:37] op_sel:[1,0] op_sel_hi:[0,0]
	s_waitcnt vmcnt(3) lgkmcnt(2)
	v_pk_mul_f32 v[38:39], v[20:21], v[8:9] op_sel:[1,1] op_sel_hi:[0,1]
	v_mov_b32_e32 v40, v11
	v_mov_b32_e32 v49, v5
	v_pk_fma_f32 v[4:5], v[18:19], v[6:7], v[16:17] neg_lo:[0,0,1] neg_hi:[0,0,1]
	v_pk_fma_f32 v[6:7], v[18:19], v[6:7], v[16:17] op_sel_hi:[1,0,1]
	v_pk_fma_f32 v[34:35], v[20:21], v[8:9], v[38:39] neg_lo:[0,0,1] neg_hi:[0,0,1]
	v_pk_fma_f32 v[8:9], v[20:21], v[8:9], v[38:39] op_sel_hi:[1,0,1]
	v_pk_mul_f32 v[20:21], v[22:23], v[40:41] op_sel:[1,0] op_sel_hi:[0,0]
	v_pk_add_f32 v[16:17], v[48:49], 0 op_sel_hi:[1,0]
	v_mov_b32_e32 v5, v7
	s_waitcnt vmcnt(2) lgkmcnt(1)
	v_pk_mul_f32 v[42:43], v[24:25], v[12:13] op_sel:[1,1] op_sel_hi:[0,1]
	v_mov_b32_e32 v44, v15
	v_mov_b32_e32 v35, v9
	v_pk_fma_f32 v[8:9], v[22:23], v[10:11], v[20:21] neg_lo:[0,0,1] neg_hi:[0,0,1]
	v_pk_fma_f32 v[10:11], v[22:23], v[10:11], v[20:21] op_sel_hi:[1,0,1]
	v_pk_add_f32 v[4:5], v[16:17], v[4:5]
	v_pk_fma_f32 v[36:37], v[24:25], v[12:13], v[42:43] neg_lo:[0,0,1] neg_hi:[0,0,1]
	v_pk_fma_f32 v[12:13], v[24:25], v[12:13], v[42:43] op_sel_hi:[1,0,1]
	v_pk_mul_f32 v[24:25], v[26:27], v[44:45] op_sel:[1,0] op_sel_hi:[0,0]
	v_mov_b32_e32 v9, v11
	v_pk_add_f32 v[4:5], v[4:5], v[34:35]
	s_waitcnt vmcnt(1) lgkmcnt(0)
	v_pk_mul_f32 v[46:47], v[32:33], v[28:29] op_sel:[1,1] op_sel_hi:[0,1]
	v_mov_b32_e32 v37, v13
	v_pk_fma_f32 v[12:13], v[26:27], v[14:15], v[24:25] neg_lo:[0,0,1] neg_hi:[0,0,1]
	v_pk_fma_f32 v[14:15], v[26:27], v[14:15], v[24:25] op_sel_hi:[1,0,1]
	v_pk_add_f32 v[4:5], v[4:5], v[8:9]
	v_pk_fma_f32 v[38:39], v[32:33], v[28:29], v[46:47] neg_lo:[0,0,1] neg_hi:[0,0,1]
	v_pk_fma_f32 v[28:29], v[32:33], v[28:29], v[46:47] op_sel_hi:[1,0,1]
	v_mov_b32_e32 v13, v15
	v_pk_add_f32 v[4:5], v[4:5], v[36:37]
	v_mov_b32_e32 v39, v29
	v_pk_add_f32 v[4:5], v[4:5], v[12:13]
	s_nop 0
	v_pk_add_f32 v[4:5], v[4:5], v[38:39]
	s_waitcnt vmcnt(0)
	v_pk_add_f32 v[4:5], v[30:31], v[4:5] neg_lo:[0,1] neg_hi:[0,1]
	scratch_store_dwordx2 off, v[4:5], off offset:400
	s_and_saveexec_b64 s[0:1], vcc
	s_cbranch_execz .LBB121_263
; %bb.262:
	scratch_load_dwordx2 v[4:5], off, off offset:392
	v_mov_b32_e32 v3, v2
	scratch_store_dwordx2 off, v[2:3], off offset:392
	s_waitcnt vmcnt(1)
	ds_write_b64 v1, v[4:5]
.LBB121_263:
	s_or_b64 exec, exec, s[0:1]
	s_waitcnt lgkmcnt(0)
	; wave barrier
	scratch_load_dwordx4 v[4:7], off, off offset:400
	scratch_load_dwordx4 v[8:11], off, off offset:416
	;; [unrolled: 1-line block ×4, first 2 shown]
	scratch_load_dwordx2 v[36:37], off, off offset:392
	ds_read_b128 v[20:23], v2 offset:864
	ds_read_b128 v[24:27], v2 offset:880
	;; [unrolled: 1-line block ×4, first 2 shown]
	v_cmp_lt_u32_e32 vcc, 48, v0
	s_waitcnt vmcnt(4) lgkmcnt(3)
	v_pk_mul_f32 v[2:3], v[20:21], v[4:5] op_sel:[1,1] op_sel_hi:[0,1]
	v_mov_b32_e32 v38, v7
	s_waitcnt vmcnt(3) lgkmcnt(2)
	v_pk_mul_f32 v[40:41], v[24:25], v[8:9] op_sel:[1,1] op_sel_hi:[0,1]
	v_mov_b32_e32 v42, v11
	;; [unrolled: 3-line block ×4, first 2 shown]
	v_pk_fma_f32 v[52:53], v[20:21], v[4:5], v[2:3] neg_lo:[0,0,1] neg_hi:[0,0,1]
	v_pk_fma_f32 v[2:3], v[20:21], v[4:5], v[2:3] op_sel_hi:[1,0,1]
	v_pk_mul_f32 v[4:5], v[22:23], v[38:39] op_sel:[1,0] op_sel_hi:[0,0]
	v_pk_fma_f32 v[20:21], v[24:25], v[8:9], v[40:41] neg_lo:[0,0,1] neg_hi:[0,0,1]
	v_pk_fma_f32 v[8:9], v[24:25], v[8:9], v[40:41] op_sel_hi:[1,0,1]
	v_pk_mul_f32 v[24:25], v[26:27], v[42:43] op_sel:[1,0] op_sel_hi:[0,0]
	;; [unrolled: 3-line block ×4, first 2 shown]
	v_mov_b32_e32 v53, v3
	v_pk_fma_f32 v[2:3], v[22:23], v[6:7], v[4:5] neg_lo:[0,0,1] neg_hi:[0,0,1]
	v_pk_fma_f32 v[4:5], v[22:23], v[6:7], v[4:5] op_sel_hi:[1,0,1]
	v_mov_b32_e32 v21, v9
	v_pk_fma_f32 v[6:7], v[26:27], v[10:11], v[24:25] neg_lo:[0,0,1] neg_hi:[0,0,1]
	v_pk_fma_f32 v[8:9], v[26:27], v[10:11], v[24:25] op_sel_hi:[1,0,1]
	;; [unrolled: 3-line block ×4, first 2 shown]
	v_pk_add_f32 v[18:19], v[52:53], 0 op_sel_hi:[1,0]
	v_mov_b32_e32 v3, v5
	v_pk_add_f32 v[2:3], v[18:19], v[2:3]
	v_mov_b32_e32 v7, v9
	v_pk_add_f32 v[2:3], v[2:3], v[20:21]
	;; [unrolled: 2-line block ×4, first 2 shown]
	s_nop 0
	v_pk_add_f32 v[2:3], v[2:3], v[10:11]
	s_nop 0
	v_pk_add_f32 v[2:3], v[2:3], v[40:41]
	;; [unrolled: 2-line block ×3, first 2 shown]
	s_waitcnt vmcnt(0)
	v_pk_add_f32 v[2:3], v[36:37], v[2:3] neg_lo:[0,1] neg_hi:[0,1]
	scratch_store_dwordx2 off, v[2:3], off offset:392
	s_and_saveexec_b64 s[0:1], vcc
	s_cbranch_execz .LBB121_265
; %bb.264:
	scratch_load_dwordx2 v[2:3], off, off offset:384
	v_mov_b32_e32 v4, 0
	v_mov_b32_e32 v5, v4
	scratch_store_dwordx2 off, v[4:5], off offset:384
	s_waitcnt vmcnt(1)
	ds_write_b64 v1, v[2:3]
.LBB121_265:
	s_or_b64 exec, exec, s[0:1]
	s_waitcnt lgkmcnt(0)
	; wave barrier
	scratch_load_dwordx4 v[8:11], off, off offset:392
	v_mov_b32_e32 v2, 0
	ds_read2_b64 v[4:7], v2 offset0:107 offset1:108
	scratch_load_dwordx4 v[12:15], off, off offset:408
	scratch_load_dwordx4 v[16:19], off, off offset:424
	;; [unrolled: 1-line block ×3, first 2 shown]
	scratch_load_dwordx2 v[38:39], off, off offset:456
	v_cmp_lt_u32_e32 vcc, 47, v0
	s_waitcnt vmcnt(4) lgkmcnt(0)
	v_mul_f32_e32 v37, v4, v9
	v_mul_f32_e32 v3, v5, v9
	v_fmac_f32_e32 v37, v5, v8
	v_fma_f32 v36, v4, v8, -v3
	v_pk_add_f32 v[8:9], v[36:37], 0 op_sel_hi:[1,0]
	v_mov_b32_e32 v36, v11
	v_pk_mul_f32 v[36:37], v[6:7], v[36:37] op_sel:[1,0] op_sel_hi:[0,0]
	ds_read2_b64 v[24:27], v2 offset0:109 offset1:110
	ds_read2_b64 v[28:31], v2 offset0:111 offset1:112
	;; [unrolled: 1-line block ×3, first 2 shown]
	ds_read_b64 v[4:5], v2 offset:920
	v_pk_fma_f32 v[40:41], v[6:7], v[10:11], v[36:37] neg_lo:[0,0,1] neg_hi:[0,0,1]
	v_pk_fma_f32 v[6:7], v[6:7], v[10:11], v[36:37] op_sel_hi:[1,0,1]
	s_nop 0
	v_mov_b32_e32 v41, v7
	v_pk_add_f32 v[6:7], v[8:9], v[40:41]
	s_waitcnt vmcnt(3) lgkmcnt(3)
	v_pk_mul_f32 v[8:9], v[24:25], v[12:13] op_sel:[1,1] op_sel_hi:[0,1]
	v_pk_fma_f32 v[10:11], v[24:25], v[12:13], v[8:9] neg_lo:[0,0,1] neg_hi:[0,0,1]
	v_pk_fma_f32 v[8:9], v[24:25], v[12:13], v[8:9] op_sel_hi:[1,0,1]
	s_nop 0
	v_mov_b32_e32 v8, v15
	v_mov_b32_e32 v11, v9
	v_pk_mul_f32 v[8:9], v[26:27], v[8:9] op_sel:[1,0] op_sel_hi:[0,0]
	v_pk_add_f32 v[6:7], v[6:7], v[10:11]
	v_pk_fma_f32 v[10:11], v[26:27], v[14:15], v[8:9] neg_lo:[0,0,1] neg_hi:[0,0,1]
	v_pk_fma_f32 v[8:9], v[26:27], v[14:15], v[8:9] op_sel_hi:[1,0,1]
	s_nop 0
	v_mov_b32_e32 v11, v9
	s_waitcnt vmcnt(2) lgkmcnt(2)
	v_pk_mul_f32 v[8:9], v[28:29], v[16:17] op_sel:[1,1] op_sel_hi:[0,1]
	v_pk_add_f32 v[6:7], v[6:7], v[10:11]
	v_pk_fma_f32 v[10:11], v[28:29], v[16:17], v[8:9] neg_lo:[0,0,1] neg_hi:[0,0,1]
	v_pk_fma_f32 v[8:9], v[28:29], v[16:17], v[8:9] op_sel_hi:[1,0,1]
	s_nop 0
	v_mov_b32_e32 v8, v19
	v_mov_b32_e32 v11, v9
	v_pk_mul_f32 v[8:9], v[30:31], v[8:9] op_sel:[1,0] op_sel_hi:[0,0]
	v_pk_add_f32 v[6:7], v[6:7], v[10:11]
	v_pk_fma_f32 v[10:11], v[30:31], v[18:19], v[8:9] neg_lo:[0,0,1] neg_hi:[0,0,1]
	v_pk_fma_f32 v[8:9], v[30:31], v[18:19], v[8:9] op_sel_hi:[1,0,1]
	s_nop 0
	v_mov_b32_e32 v11, v9
	s_waitcnt vmcnt(1) lgkmcnt(1)
	v_pk_mul_f32 v[8:9], v[32:33], v[20:21] op_sel:[1,1] op_sel_hi:[0,1]
	v_pk_add_f32 v[6:7], v[6:7], v[10:11]
	v_pk_fma_f32 v[10:11], v[32:33], v[20:21], v[8:9] neg_lo:[0,0,1] neg_hi:[0,0,1]
	v_pk_fma_f32 v[8:9], v[32:33], v[20:21], v[8:9] op_sel_hi:[1,0,1]
	s_nop 0
	v_mov_b32_e32 v8, v23
	v_mov_b32_e32 v11, v9
	v_pk_mul_f32 v[8:9], v[34:35], v[8:9] op_sel:[1,0] op_sel_hi:[0,0]
	v_pk_add_f32 v[6:7], v[6:7], v[10:11]
	v_pk_fma_f32 v[10:11], v[34:35], v[22:23], v[8:9] neg_lo:[0,0,1] neg_hi:[0,0,1]
	v_pk_fma_f32 v[8:9], v[34:35], v[22:23], v[8:9] op_sel_hi:[1,0,1]
	s_nop 0
	v_mov_b32_e32 v11, v9
	s_waitcnt vmcnt(0) lgkmcnt(0)
	v_pk_mul_f32 v[8:9], v[4:5], v[38:39] op_sel:[1,1] op_sel_hi:[0,1]
	v_pk_add_f32 v[6:7], v[6:7], v[10:11]
	v_pk_fma_f32 v[10:11], v[4:5], v[38:39], v[8:9] neg_lo:[0,0,1] neg_hi:[0,0,1]
	v_pk_fma_f32 v[4:5], v[4:5], v[38:39], v[8:9] op_sel_hi:[1,0,1]
	s_nop 0
	v_mov_b32_e32 v11, v5
	v_pk_add_f32 v[4:5], v[6:7], v[10:11]
	scratch_load_dwordx2 v[6:7], off, off offset:384
	s_waitcnt vmcnt(0)
	v_pk_add_f32 v[4:5], v[6:7], v[4:5] neg_lo:[0,1] neg_hi:[0,1]
	scratch_store_dwordx2 off, v[4:5], off offset:384
	s_and_saveexec_b64 s[0:1], vcc
	s_cbranch_execz .LBB121_267
; %bb.266:
	scratch_load_dwordx2 v[4:5], off, off offset:376
	v_mov_b32_e32 v3, v2
	scratch_store_dwordx2 off, v[2:3], off offset:376
	s_waitcnt vmcnt(1)
	ds_write_b64 v1, v[4:5]
.LBB121_267:
	s_or_b64 exec, exec, s[0:1]
	s_waitcnt lgkmcnt(0)
	; wave barrier
	ds_read_b128 v[4:7], v2 offset:848
	ds_read_b128 v[8:11], v2 offset:864
	;; [unrolled: 1-line block ×4, first 2 shown]
	scratch_load_dwordx4 v[20:23], off, off offset:384
	scratch_load_dwordx4 v[24:27], off, off offset:400
	;; [unrolled: 1-line block ×5, first 2 shown]
	v_cmp_lt_u32_e32 vcc, 46, v0
	s_waitcnt vmcnt(4) lgkmcnt(3)
	v_mul_f32_e32 v41, v4, v21
	v_mul_f32_e32 v3, v5, v21
	v_fmac_f32_e32 v41, v5, v20
	v_mul_f32_e32 v43, v6, v23
	v_fma_f32 v40, v4, v20, -v3
	v_mul_f32_e32 v3, v7, v23
	s_waitcnt vmcnt(3) lgkmcnt(2)
	v_pk_mul_f32 v[20:21], v[8:9], v[24:25] op_sel:[1,1] op_sel_hi:[0,1]
	v_fmac_f32_e32 v43, v7, v22
	v_fma_f32 v42, v6, v22, -v3
	v_pk_fma_f32 v[22:23], v[8:9], v[24:25], v[20:21] neg_lo:[0,0,1] neg_hi:[0,0,1]
	v_pk_fma_f32 v[8:9], v[8:9], v[24:25], v[20:21] op_sel_hi:[1,0,1]
	v_pk_add_f32 v[6:7], v[40:41], 0 op_sel_hi:[1,0]
	v_mov_b32_e32 v8, v27
	v_mov_b32_e32 v23, v9
	v_pk_mul_f32 v[8:9], v[10:11], v[8:9] op_sel:[1,0] op_sel_hi:[0,0]
	v_pk_fma_f32 v[20:21], v[10:11], v[26:27], v[8:9] neg_lo:[0,0,1] neg_hi:[0,0,1]
	v_pk_fma_f32 v[8:9], v[10:11], v[26:27], v[8:9] op_sel_hi:[1,0,1]
	v_pk_add_f32 v[6:7], v[6:7], v[42:43]
	v_mov_b32_e32 v21, v9
	s_waitcnt vmcnt(2) lgkmcnt(1)
	v_pk_mul_f32 v[8:9], v[12:13], v[28:29] op_sel:[1,1] op_sel_hi:[0,1]
	v_pk_fma_f32 v[10:11], v[12:13], v[28:29], v[8:9] neg_lo:[0,0,1] neg_hi:[0,0,1]
	v_pk_fma_f32 v[8:9], v[12:13], v[28:29], v[8:9] op_sel_hi:[1,0,1]
	v_pk_add_f32 v[6:7], v[6:7], v[22:23]
	v_mov_b32_e32 v8, v31
	v_pk_add_f32 v[6:7], v[6:7], v[20:21]
	v_mov_b32_e32 v11, v9
	v_pk_mul_f32 v[8:9], v[14:15], v[8:9] op_sel:[1,0] op_sel_hi:[0,0]
	v_pk_add_f32 v[6:7], v[6:7], v[10:11]
	v_pk_fma_f32 v[10:11], v[14:15], v[30:31], v[8:9] neg_lo:[0,0,1] neg_hi:[0,0,1]
	v_pk_fma_f32 v[8:9], v[14:15], v[30:31], v[8:9] op_sel_hi:[1,0,1]
	ds_read_b128 v[2:5], v2 offset:912
	v_mov_b32_e32 v11, v9
	s_waitcnt vmcnt(1) lgkmcnt(1)
	v_pk_mul_f32 v[8:9], v[16:17], v[32:33] op_sel:[1,1] op_sel_hi:[0,1]
	v_pk_add_f32 v[6:7], v[6:7], v[10:11]
	v_pk_fma_f32 v[10:11], v[16:17], v[32:33], v[8:9] neg_lo:[0,0,1] neg_hi:[0,0,1]
	v_pk_fma_f32 v[8:9], v[16:17], v[32:33], v[8:9] op_sel_hi:[1,0,1]
	s_nop 0
	v_mov_b32_e32 v8, v35
	v_mov_b32_e32 v11, v9
	v_pk_mul_f32 v[8:9], v[18:19], v[8:9] op_sel:[1,0] op_sel_hi:[0,0]
	v_pk_add_f32 v[6:7], v[6:7], v[10:11]
	v_pk_fma_f32 v[10:11], v[18:19], v[34:35], v[8:9] neg_lo:[0,0,1] neg_hi:[0,0,1]
	v_pk_fma_f32 v[8:9], v[18:19], v[34:35], v[8:9] op_sel_hi:[1,0,1]
	s_nop 0
	v_mov_b32_e32 v11, v9
	s_waitcnt vmcnt(0) lgkmcnt(0)
	v_pk_mul_f32 v[8:9], v[2:3], v[36:37] op_sel:[1,1] op_sel_hi:[0,1]
	v_pk_add_f32 v[6:7], v[6:7], v[10:11]
	v_pk_fma_f32 v[10:11], v[2:3], v[36:37], v[8:9] neg_lo:[0,0,1] neg_hi:[0,0,1]
	v_pk_fma_f32 v[2:3], v[2:3], v[36:37], v[8:9] op_sel_hi:[1,0,1]
	s_nop 0
	v_mov_b32_e32 v11, v3
	v_pk_add_f32 v[2:3], v[6:7], v[10:11]
	v_mov_b32_e32 v6, v39
	v_pk_mul_f32 v[6:7], v[4:5], v[6:7] op_sel:[1,0] op_sel_hi:[0,0]
	v_pk_fma_f32 v[8:9], v[4:5], v[38:39], v[6:7] neg_lo:[0,0,1] neg_hi:[0,0,1]
	v_pk_fma_f32 v[4:5], v[4:5], v[38:39], v[6:7] op_sel_hi:[1,0,1]
	s_nop 0
	v_mov_b32_e32 v9, v5
	scratch_load_dwordx2 v[4:5], off, off offset:376
	v_pk_add_f32 v[2:3], v[2:3], v[8:9]
	s_waitcnt vmcnt(0)
	v_pk_add_f32 v[2:3], v[4:5], v[2:3] neg_lo:[0,1] neg_hi:[0,1]
	scratch_store_dwordx2 off, v[2:3], off offset:376
	s_and_saveexec_b64 s[0:1], vcc
	s_cbranch_execz .LBB121_269
; %bb.268:
	scratch_load_dwordx2 v[2:3], off, off offset:368
	v_mov_b32_e32 v4, 0
	v_mov_b32_e32 v5, v4
	scratch_store_dwordx2 off, v[4:5], off offset:368
	s_waitcnt vmcnt(1)
	ds_write_b64 v1, v[2:3]
.LBB121_269:
	s_or_b64 exec, exec, s[0:1]
	s_waitcnt lgkmcnt(0)
	; wave barrier
	scratch_load_dwordx4 v[8:11], off, off offset:376
	scratch_load_dwordx4 v[16:19], off, off offset:392
	v_mov_b32_e32 v2, 0
	ds_read2_b64 v[4:7], v2 offset0:105 offset1:106
	ds_read2_b64 v[12:15], v2 offset0:107 offset1:108
	scratch_load_dwordx4 v[20:23], off, off offset:408
	scratch_load_dwordx4 v[24:27], off, off offset:424
	;; [unrolled: 1-line block ×3, first 2 shown]
	scratch_load_dwordx2 v[42:43], off, off offset:456
	v_cmp_lt_u32_e32 vcc, 45, v0
	s_waitcnt vmcnt(5) lgkmcnt(1)
	v_mul_f32_e32 v3, v4, v9
	v_fmac_f32_e32 v3, v5, v8
	v_add_f32_e32 v37, 0, v3
	v_mul_f32_e32 v3, v5, v9
	v_fma_f32 v3, v4, v8, -v3
	v_mul_f32_e32 v39, v6, v11
	v_add_f32_e32 v36, 0, v3
	v_mul_f32_e32 v3, v7, v11
	v_fmac_f32_e32 v39, v7, v10
	s_waitcnt vmcnt(4) lgkmcnt(0)
	v_mul_f32_e32 v41, v12, v17
	v_fma_f32 v38, v6, v10, -v3
	v_mul_f32_e32 v3, v13, v17
	v_fmac_f32_e32 v41, v13, v16
	v_fma_f32 v40, v12, v16, -v3
	v_pk_add_f32 v[16:17], v[36:37], v[38:39]
	v_mov_b32_e32 v36, v19
	v_pk_mul_f32 v[36:37], v[14:15], v[36:37] op_sel:[1,0] op_sel_hi:[0,0]
	ds_read2_b64 v[4:7], v2 offset0:109 offset1:110
	ds_read2_b64 v[8:11], v2 offset0:111 offset1:112
	;; [unrolled: 1-line block ×3, first 2 shown]
	ds_read_b64 v[12:13], v2 offset:920
	v_pk_fma_f32 v[38:39], v[14:15], v[18:19], v[36:37] neg_lo:[0,0,1] neg_hi:[0,0,1]
	v_pk_fma_f32 v[14:15], v[14:15], v[18:19], v[36:37] op_sel_hi:[1,0,1]
	v_pk_add_f32 v[16:17], v[16:17], v[40:41]
	v_mov_b32_e32 v39, v15
	v_pk_add_f32 v[14:15], v[16:17], v[38:39]
	s_waitcnt vmcnt(3) lgkmcnt(3)
	v_pk_mul_f32 v[16:17], v[4:5], v[20:21] op_sel:[1,1] op_sel_hi:[0,1]
	v_pk_fma_f32 v[18:19], v[4:5], v[20:21], v[16:17] neg_lo:[0,0,1] neg_hi:[0,0,1]
	v_pk_fma_f32 v[4:5], v[4:5], v[20:21], v[16:17] op_sel_hi:[1,0,1]
	s_nop 0
	v_mov_b32_e32 v19, v5
	v_pk_add_f32 v[4:5], v[14:15], v[18:19]
	v_mov_b32_e32 v14, v23
	v_pk_mul_f32 v[14:15], v[6:7], v[14:15] op_sel:[1,0] op_sel_hi:[0,0]
	v_pk_fma_f32 v[16:17], v[6:7], v[22:23], v[14:15] neg_lo:[0,0,1] neg_hi:[0,0,1]
	v_pk_fma_f32 v[6:7], v[6:7], v[22:23], v[14:15] op_sel_hi:[1,0,1]
	s_nop 0
	v_mov_b32_e32 v17, v7
	s_waitcnt vmcnt(2) lgkmcnt(2)
	v_pk_mul_f32 v[6:7], v[8:9], v[24:25] op_sel:[1,1] op_sel_hi:[0,1]
	v_pk_fma_f32 v[14:15], v[8:9], v[24:25], v[6:7] neg_lo:[0,0,1] neg_hi:[0,0,1]
	v_pk_fma_f32 v[6:7], v[8:9], v[24:25], v[6:7] op_sel_hi:[1,0,1]
	v_pk_add_f32 v[4:5], v[4:5], v[16:17]
	v_mov_b32_e32 v6, v27
	v_mov_b32_e32 v15, v7
	v_pk_mul_f32 v[6:7], v[10:11], v[6:7] op_sel:[1,0] op_sel_hi:[0,0]
	v_pk_fma_f32 v[8:9], v[10:11], v[26:27], v[6:7] neg_lo:[0,0,1] neg_hi:[0,0,1]
	v_pk_fma_f32 v[6:7], v[10:11], v[26:27], v[6:7] op_sel_hi:[1,0,1]
	v_pk_add_f32 v[4:5], v[4:5], v[14:15]
	v_mov_b32_e32 v9, v7
	s_waitcnt vmcnt(1) lgkmcnt(1)
	v_pk_mul_f32 v[6:7], v[32:33], v[28:29] op_sel:[1,1] op_sel_hi:[0,1]
	v_pk_add_f32 v[4:5], v[4:5], v[8:9]
	v_pk_fma_f32 v[8:9], v[32:33], v[28:29], v[6:7] neg_lo:[0,0,1] neg_hi:[0,0,1]
	v_pk_fma_f32 v[6:7], v[32:33], v[28:29], v[6:7] op_sel_hi:[1,0,1]
	s_nop 0
	v_mov_b32_e32 v6, v31
	v_mov_b32_e32 v9, v7
	v_pk_mul_f32 v[6:7], v[34:35], v[6:7] op_sel:[1,0] op_sel_hi:[0,0]
	v_pk_add_f32 v[4:5], v[4:5], v[8:9]
	v_pk_fma_f32 v[8:9], v[34:35], v[30:31], v[6:7] neg_lo:[0,0,1] neg_hi:[0,0,1]
	v_pk_fma_f32 v[6:7], v[34:35], v[30:31], v[6:7] op_sel_hi:[1,0,1]
	s_nop 0
	v_mov_b32_e32 v9, v7
	s_waitcnt vmcnt(0) lgkmcnt(0)
	v_pk_mul_f32 v[6:7], v[12:13], v[42:43] op_sel:[1,1] op_sel_hi:[0,1]
	v_pk_add_f32 v[4:5], v[4:5], v[8:9]
	v_pk_fma_f32 v[8:9], v[12:13], v[42:43], v[6:7] neg_lo:[0,0,1] neg_hi:[0,0,1]
	v_pk_fma_f32 v[6:7], v[12:13], v[42:43], v[6:7] op_sel_hi:[1,0,1]
	s_nop 0
	v_mov_b32_e32 v9, v7
	scratch_load_dwordx2 v[6:7], off, off offset:368
	v_pk_add_f32 v[4:5], v[4:5], v[8:9]
	s_waitcnt vmcnt(0)
	v_pk_add_f32 v[4:5], v[6:7], v[4:5] neg_lo:[0,1] neg_hi:[0,1]
	scratch_store_dwordx2 off, v[4:5], off offset:368
	s_and_saveexec_b64 s[0:1], vcc
	s_cbranch_execz .LBB121_271
; %bb.270:
	scratch_load_dwordx2 v[4:5], off, off offset:360
	v_mov_b32_e32 v3, v2
	scratch_store_dwordx2 off, v[2:3], off offset:360
	s_waitcnt vmcnt(1)
	ds_write_b64 v1, v[4:5]
.LBB121_271:
	s_or_b64 exec, exec, s[0:1]
	s_waitcnt lgkmcnt(0)
	; wave barrier
	ds_read_b128 v[4:7], v2 offset:832
	ds_read_b128 v[8:11], v2 offset:848
	;; [unrolled: 1-line block ×4, first 2 shown]
	scratch_load_dwordx4 v[20:23], off, off offset:368
	v_cmp_lt_u32_e32 vcc, 44, v0
	s_waitcnt vmcnt(0) lgkmcnt(3)
	v_mul_f32_e32 v3, v4, v21
	v_fmac_f32_e32 v3, v5, v20
	v_mul_f32_e32 v24, v6, v23
	v_add_f32_e32 v3, 0, v3
	v_fmac_f32_e32 v24, v7, v22
	v_add_f32_e32 v45, v3, v24
	scratch_load_dwordx4 v[24:27], off, off offset:384
	scratch_load_dwordx4 v[28:31], off, off offset:400
	scratch_load_dwordx4 v[32:35], off, off offset:416
	scratch_load_dwordx4 v[36:39], off, off offset:432
	scratch_load_dwordx4 v[40:43], off, off offset:448
	v_mul_f32_e32 v3, v5, v21
	v_fma_f32 v3, v4, v20, -v3
	v_mul_f32_e32 v4, v7, v23
	v_fma_f32 v4, v6, v22, -v4
	v_add_f32_e32 v3, 0, v3
	v_add_f32_e32 v44, v3, v4
	s_waitcnt vmcnt(3) lgkmcnt(1)
	v_pk_mul_f32 v[20:21], v[12:13], v[28:29] op_sel:[1,1] op_sel_hi:[0,1]
	v_pk_fma_f32 v[22:23], v[12:13], v[28:29], v[20:21] neg_lo:[0,0,1] neg_hi:[0,0,1]
	v_pk_fma_f32 v[12:13], v[12:13], v[28:29], v[20:21] op_sel_hi:[1,0,1]
	v_mul_f32_e32 v47, v8, v25
	v_mov_b32_e32 v12, v31
	v_mul_f32_e32 v3, v9, v25
	v_mov_b32_e32 v23, v13
	v_pk_mul_f32 v[12:13], v[14:15], v[12:13] op_sel:[1,0] op_sel_hi:[0,0]
	v_fmac_f32_e32 v47, v9, v24
	v_mul_f32_e32 v49, v10, v27
	v_fma_f32 v46, v8, v24, -v3
	v_mul_f32_e32 v3, v11, v27
	v_pk_fma_f32 v[20:21], v[14:15], v[30:31], v[12:13] neg_lo:[0,0,1] neg_hi:[0,0,1]
	v_pk_fma_f32 v[12:13], v[14:15], v[30:31], v[12:13] op_sel_hi:[1,0,1]
	v_fmac_f32_e32 v49, v11, v26
	v_fma_f32 v48, v10, v26, -v3
	ds_read_b128 v[4:7], v2 offset:896
	ds_read_b128 v[8:11], v2 offset:912
	v_pk_add_f32 v[2:3], v[44:45], v[46:47]
	v_mov_b32_e32 v21, v13
	s_waitcnt vmcnt(2) lgkmcnt(2)
	v_pk_mul_f32 v[12:13], v[16:17], v[32:33] op_sel:[1,1] op_sel_hi:[0,1]
	v_pk_add_f32 v[2:3], v[2:3], v[48:49]
	v_pk_fma_f32 v[14:15], v[16:17], v[32:33], v[12:13] neg_lo:[0,0,1] neg_hi:[0,0,1]
	v_pk_fma_f32 v[12:13], v[16:17], v[32:33], v[12:13] op_sel_hi:[1,0,1]
	v_pk_add_f32 v[2:3], v[2:3], v[22:23]
	v_mov_b32_e32 v12, v35
	v_pk_add_f32 v[2:3], v[2:3], v[20:21]
	v_mov_b32_e32 v15, v13
	v_pk_mul_f32 v[12:13], v[18:19], v[12:13] op_sel:[1,0] op_sel_hi:[0,0]
	v_pk_add_f32 v[2:3], v[2:3], v[14:15]
	v_pk_fma_f32 v[14:15], v[18:19], v[34:35], v[12:13] neg_lo:[0,0,1] neg_hi:[0,0,1]
	v_pk_fma_f32 v[12:13], v[18:19], v[34:35], v[12:13] op_sel_hi:[1,0,1]
	s_nop 0
	v_mov_b32_e32 v15, v13
	s_waitcnt vmcnt(1) lgkmcnt(1)
	v_pk_mul_f32 v[12:13], v[4:5], v[36:37] op_sel:[1,1] op_sel_hi:[0,1]
	v_pk_add_f32 v[2:3], v[2:3], v[14:15]
	v_pk_fma_f32 v[14:15], v[4:5], v[36:37], v[12:13] neg_lo:[0,0,1] neg_hi:[0,0,1]
	v_pk_fma_f32 v[4:5], v[4:5], v[36:37], v[12:13] op_sel_hi:[1,0,1]
	s_nop 0
	v_mov_b32_e32 v4, v39
	v_mov_b32_e32 v15, v5
	v_pk_mul_f32 v[4:5], v[6:7], v[4:5] op_sel:[1,0] op_sel_hi:[0,0]
	v_pk_fma_f32 v[12:13], v[6:7], v[38:39], v[4:5] neg_lo:[0,0,1] neg_hi:[0,0,1]
	v_pk_fma_f32 v[4:5], v[6:7], v[38:39], v[4:5] op_sel_hi:[1,0,1]
	v_pk_add_f32 v[2:3], v[2:3], v[14:15]
	v_mov_b32_e32 v13, v5
	s_waitcnt vmcnt(0) lgkmcnt(0)
	v_pk_mul_f32 v[4:5], v[8:9], v[40:41] op_sel:[1,1] op_sel_hi:[0,1]
	v_pk_fma_f32 v[6:7], v[8:9], v[40:41], v[4:5] neg_lo:[0,0,1] neg_hi:[0,0,1]
	v_pk_fma_f32 v[4:5], v[8:9], v[40:41], v[4:5] op_sel_hi:[1,0,1]
	v_pk_add_f32 v[2:3], v[2:3], v[12:13]
	v_mov_b32_e32 v4, v43
	v_mov_b32_e32 v7, v5
	v_pk_mul_f32 v[4:5], v[10:11], v[4:5] op_sel:[1,0] op_sel_hi:[0,0]
	v_pk_add_f32 v[2:3], v[2:3], v[6:7]
	v_pk_fma_f32 v[6:7], v[10:11], v[42:43], v[4:5] neg_lo:[0,0,1] neg_hi:[0,0,1]
	v_pk_fma_f32 v[4:5], v[10:11], v[42:43], v[4:5] op_sel_hi:[1,0,1]
	s_nop 0
	v_mov_b32_e32 v7, v5
	scratch_load_dwordx2 v[4:5], off, off offset:360
	v_pk_add_f32 v[2:3], v[2:3], v[6:7]
	s_waitcnt vmcnt(0)
	v_pk_add_f32 v[2:3], v[4:5], v[2:3] neg_lo:[0,1] neg_hi:[0,1]
	scratch_store_dwordx2 off, v[2:3], off offset:360
	s_and_saveexec_b64 s[0:1], vcc
	s_cbranch_execz .LBB121_273
; %bb.272:
	scratch_load_dwordx2 v[2:3], off, off offset:352
	v_mov_b32_e32 v4, 0
	v_mov_b32_e32 v5, v4
	scratch_store_dwordx2 off, v[4:5], off offset:352
	s_waitcnt vmcnt(1)
	ds_write_b64 v1, v[2:3]
.LBB121_273:
	s_or_b64 exec, exec, s[0:1]
	s_waitcnt lgkmcnt(0)
	; wave barrier
	scratch_load_dwordx4 v[8:11], off, off offset:360
	scratch_load_dwordx4 v[16:19], off, off offset:376
	v_mov_b32_e32 v2, 0
	ds_read2_b64 v[4:7], v2 offset0:103 offset1:104
	scratch_load_dwordx4 v[24:27], off, off offset:392
	v_cmp_lt_u32_e32 vcc, 43, v0
	s_waitcnt vmcnt(2) lgkmcnt(0)
	v_mul_f32_e32 v3, v4, v9
	v_fmac_f32_e32 v3, v5, v8
	v_mul_f32_e32 v12, v6, v11
	v_add_f32_e32 v3, 0, v3
	v_fmac_f32_e32 v12, v7, v10
	v_add_f32_e32 v3, v3, v12
	ds_read2_b64 v[12:15], v2 offset0:105 offset1:106
	s_waitcnt vmcnt(1) lgkmcnt(0)
	v_mul_f32_e32 v20, v12, v17
	v_fmac_f32_e32 v20, v13, v16
	v_add_f32_e32 v41, v3, v20
	ds_read2_b64 v[20:23], v2 offset0:107 offset1:108
	scratch_load_dwordx4 v[28:31], off, off offset:408
	scratch_load_dwordx4 v[32:35], off, off offset:424
	;; [unrolled: 1-line block ×3, first 2 shown]
	scratch_load_dwordx2 v[46:47], off, off offset:456
	v_mul_f32_e32 v3, v5, v9
	v_fma_f32 v3, v4, v8, -v3
	v_mul_f32_e32 v4, v7, v11
	v_add_f32_e32 v3, 0, v3
	v_fma_f32 v4, v6, v10, -v4
	v_add_f32_e32 v3, v3, v4
	v_mul_f32_e32 v4, v13, v17
	v_fma_f32 v4, v12, v16, -v4
	v_add_f32_e32 v40, v3, v4
	v_mul_f32_e32 v3, v15, v19
	v_fma_f32 v42, v14, v18, -v3
	s_waitcnt vmcnt(4) lgkmcnt(0)
	v_mul_f32_e32 v3, v21, v25
	v_mul_f32_e32 v43, v14, v19
	;; [unrolled: 1-line block ×3, first 2 shown]
	v_fma_f32 v44, v20, v24, -v3
	v_mov_b32_e32 v20, v27
	v_fmac_f32_e32 v43, v15, v18
	v_fmac_f32_e32 v45, v21, v24
	ds_read2_b64 v[4:7], v2 offset0:109 offset1:110
	ds_read2_b64 v[8:11], v2 offset0:111 offset1:112
	;; [unrolled: 1-line block ×3, first 2 shown]
	ds_read_b64 v[16:17], v2 offset:920
	v_pk_mul_f32 v[20:21], v[22:23], v[20:21] op_sel:[1,0] op_sel_hi:[0,0]
	v_pk_fma_f32 v[24:25], v[22:23], v[26:27], v[20:21] neg_lo:[0,0,1] neg_hi:[0,0,1]
	v_pk_fma_f32 v[20:21], v[22:23], v[26:27], v[20:21] op_sel_hi:[1,0,1]
	v_pk_add_f32 v[18:19], v[40:41], v[42:43]
	v_mov_b32_e32 v25, v21
	v_pk_add_f32 v[18:19], v[18:19], v[44:45]
	s_waitcnt vmcnt(3) lgkmcnt(3)
	v_pk_mul_f32 v[20:21], v[4:5], v[28:29] op_sel:[1,1] op_sel_hi:[0,1]
	v_pk_fma_f32 v[22:23], v[4:5], v[28:29], v[20:21] neg_lo:[0,0,1] neg_hi:[0,0,1]
	v_pk_fma_f32 v[4:5], v[4:5], v[28:29], v[20:21] op_sel_hi:[1,0,1]
	v_pk_add_f32 v[18:19], v[18:19], v[24:25]
	v_mov_b32_e32 v23, v5
	v_pk_add_f32 v[4:5], v[18:19], v[22:23]
	v_mov_b32_e32 v18, v31
	v_pk_mul_f32 v[18:19], v[6:7], v[18:19] op_sel:[1,0] op_sel_hi:[0,0]
	v_pk_fma_f32 v[20:21], v[6:7], v[30:31], v[18:19] neg_lo:[0,0,1] neg_hi:[0,0,1]
	v_pk_fma_f32 v[6:7], v[6:7], v[30:31], v[18:19] op_sel_hi:[1,0,1]
	s_nop 0
	v_mov_b32_e32 v21, v7
	s_waitcnt vmcnt(2) lgkmcnt(2)
	v_pk_mul_f32 v[6:7], v[8:9], v[32:33] op_sel:[1,1] op_sel_hi:[0,1]
	v_pk_fma_f32 v[18:19], v[8:9], v[32:33], v[6:7] neg_lo:[0,0,1] neg_hi:[0,0,1]
	v_pk_fma_f32 v[6:7], v[8:9], v[32:33], v[6:7] op_sel_hi:[1,0,1]
	v_pk_add_f32 v[4:5], v[4:5], v[20:21]
	v_mov_b32_e32 v6, v35
	v_mov_b32_e32 v19, v7
	v_pk_mul_f32 v[6:7], v[10:11], v[6:7] op_sel:[1,0] op_sel_hi:[0,0]
	v_pk_fma_f32 v[8:9], v[10:11], v[34:35], v[6:7] neg_lo:[0,0,1] neg_hi:[0,0,1]
	v_pk_fma_f32 v[6:7], v[10:11], v[34:35], v[6:7] op_sel_hi:[1,0,1]
	v_pk_add_f32 v[4:5], v[4:5], v[18:19]
	v_mov_b32_e32 v9, v7
	s_waitcnt vmcnt(1) lgkmcnt(1)
	v_pk_mul_f32 v[6:7], v[12:13], v[36:37] op_sel:[1,1] op_sel_hi:[0,1]
	v_pk_add_f32 v[4:5], v[4:5], v[8:9]
	v_pk_fma_f32 v[8:9], v[12:13], v[36:37], v[6:7] neg_lo:[0,0,1] neg_hi:[0,0,1]
	v_pk_fma_f32 v[6:7], v[12:13], v[36:37], v[6:7] op_sel_hi:[1,0,1]
	s_nop 0
	v_mov_b32_e32 v6, v39
	v_mov_b32_e32 v9, v7
	v_pk_mul_f32 v[6:7], v[14:15], v[6:7] op_sel:[1,0] op_sel_hi:[0,0]
	v_pk_add_f32 v[4:5], v[4:5], v[8:9]
	v_pk_fma_f32 v[8:9], v[14:15], v[38:39], v[6:7] neg_lo:[0,0,1] neg_hi:[0,0,1]
	v_pk_fma_f32 v[6:7], v[14:15], v[38:39], v[6:7] op_sel_hi:[1,0,1]
	s_nop 0
	v_mov_b32_e32 v9, v7
	s_waitcnt vmcnt(0) lgkmcnt(0)
	v_pk_mul_f32 v[6:7], v[16:17], v[46:47] op_sel:[1,1] op_sel_hi:[0,1]
	v_pk_add_f32 v[4:5], v[4:5], v[8:9]
	v_pk_fma_f32 v[8:9], v[16:17], v[46:47], v[6:7] neg_lo:[0,0,1] neg_hi:[0,0,1]
	v_pk_fma_f32 v[6:7], v[16:17], v[46:47], v[6:7] op_sel_hi:[1,0,1]
	s_nop 0
	v_mov_b32_e32 v9, v7
	scratch_load_dwordx2 v[6:7], off, off offset:352
	v_pk_add_f32 v[4:5], v[4:5], v[8:9]
	s_waitcnt vmcnt(0)
	v_pk_add_f32 v[4:5], v[6:7], v[4:5] neg_lo:[0,1] neg_hi:[0,1]
	scratch_store_dwordx2 off, v[4:5], off offset:352
	s_and_saveexec_b64 s[0:1], vcc
	s_cbranch_execz .LBB121_275
; %bb.274:
	scratch_load_dwordx2 v[4:5], off, off offset:344
	v_mov_b32_e32 v3, v2
	scratch_store_dwordx2 off, v[2:3], off offset:344
	s_waitcnt vmcnt(1)
	ds_write_b64 v1, v[4:5]
.LBB121_275:
	s_or_b64 exec, exec, s[0:1]
	s_waitcnt lgkmcnt(0)
	; wave barrier
	ds_read_b128 v[4:7], v2 offset:816
	ds_read_b128 v[8:11], v2 offset:832
	;; [unrolled: 1-line block ×4, first 2 shown]
	scratch_load_dwordx4 v[20:23], off, off offset:352
	v_cmp_lt_u32_e32 vcc, 42, v0
	s_waitcnt vmcnt(0) lgkmcnt(3)
	v_mul_f32_e32 v3, v4, v21
	v_fmac_f32_e32 v3, v5, v20
	v_mul_f32_e32 v24, v6, v23
	v_add_f32_e32 v3, 0, v3
	v_fmac_f32_e32 v24, v7, v22
	v_add_f32_e32 v3, v3, v24
	scratch_load_dwordx4 v[24:27], off, off offset:368
	s_waitcnt vmcnt(0) lgkmcnt(2)
	v_mul_f32_e32 v28, v8, v25
	v_fmac_f32_e32 v28, v9, v24
	v_add_f32_e32 v3, v3, v28
	v_mul_f32_e32 v28, v10, v27
	v_fmac_f32_e32 v28, v11, v26
	v_add_f32_e32 v49, v3, v28
	scratch_load_dwordx4 v[28:31], off, off offset:384
	scratch_load_dwordx4 v[32:35], off, off offset:400
	;; [unrolled: 1-line block ×5, first 2 shown]
	v_mul_f32_e32 v3, v5, v21
	v_fma_f32 v3, v4, v20, -v3
	v_mul_f32_e32 v4, v7, v23
	v_add_f32_e32 v3, 0, v3
	v_fma_f32 v4, v6, v22, -v4
	v_add_f32_e32 v3, v3, v4
	v_mul_f32_e32 v4, v9, v25
	v_fma_f32 v4, v8, v24, -v4
	v_add_f32_e32 v3, v3, v4
	v_mul_f32_e32 v4, v11, v27
	v_fma_f32 v4, v10, v26, -v4
	v_add_f32_e32 v48, v3, v4
	s_waitcnt vmcnt(3) lgkmcnt(0)
	v_pk_mul_f32 v[20:21], v[16:17], v[32:33] op_sel:[1,1] op_sel_hi:[0,1]
	v_pk_fma_f32 v[22:23], v[16:17], v[32:33], v[20:21] neg_lo:[0,0,1] neg_hi:[0,0,1]
	v_mul_f32_e32 v3, v13, v29
	v_mul_f32_e32 v51, v12, v29
	;; [unrolled: 1-line block ×3, first 2 shown]
	v_fma_f32 v50, v12, v28, -v3
	v_mul_f32_e32 v3, v15, v31
	v_pk_fma_f32 v[16:17], v[16:17], v[32:33], v[20:21] op_sel_hi:[1,0,1]
	v_fmac_f32_e32 v51, v13, v28
	v_fmac_f32_e32 v53, v15, v30
	v_fma_f32 v52, v14, v30, -v3
	ds_read_b128 v[4:7], v2 offset:880
	ds_read_b128 v[8:11], v2 offset:896
	;; [unrolled: 1-line block ×3, first 2 shown]
	v_mov_b32_e32 v16, v35
	v_mov_b32_e32 v23, v17
	v_pk_mul_f32 v[16:17], v[18:19], v[16:17] op_sel:[1,0] op_sel_hi:[0,0]
	v_pk_fma_f32 v[20:21], v[18:19], v[34:35], v[16:17] neg_lo:[0,0,1] neg_hi:[0,0,1]
	v_pk_fma_f32 v[16:17], v[18:19], v[34:35], v[16:17] op_sel_hi:[1,0,1]
	v_pk_add_f32 v[2:3], v[48:49], v[50:51]
	v_mov_b32_e32 v21, v17
	s_waitcnt vmcnt(2) lgkmcnt(2)
	v_pk_mul_f32 v[16:17], v[4:5], v[36:37] op_sel:[1,1] op_sel_hi:[0,1]
	v_pk_fma_f32 v[18:19], v[4:5], v[36:37], v[16:17] neg_lo:[0,0,1] neg_hi:[0,0,1]
	v_pk_fma_f32 v[4:5], v[4:5], v[36:37], v[16:17] op_sel_hi:[1,0,1]
	v_pk_add_f32 v[2:3], v[2:3], v[52:53]
	v_mov_b32_e32 v4, v39
	v_mov_b32_e32 v19, v5
	v_pk_mul_f32 v[4:5], v[6:7], v[4:5] op_sel:[1,0] op_sel_hi:[0,0]
	v_pk_fma_f32 v[16:17], v[6:7], v[38:39], v[4:5] neg_lo:[0,0,1] neg_hi:[0,0,1]
	v_pk_fma_f32 v[4:5], v[6:7], v[38:39], v[4:5] op_sel_hi:[1,0,1]
	v_pk_add_f32 v[2:3], v[2:3], v[22:23]
	v_mov_b32_e32 v17, v5
	s_waitcnt vmcnt(1) lgkmcnt(1)
	v_pk_mul_f32 v[4:5], v[8:9], v[40:41] op_sel:[1,1] op_sel_hi:[0,1]
	v_pk_add_f32 v[2:3], v[2:3], v[20:21]
	v_pk_fma_f32 v[6:7], v[8:9], v[40:41], v[4:5] neg_lo:[0,0,1] neg_hi:[0,0,1]
	v_pk_fma_f32 v[4:5], v[8:9], v[40:41], v[4:5] op_sel_hi:[1,0,1]
	v_pk_add_f32 v[2:3], v[2:3], v[18:19]
	v_mov_b32_e32 v4, v43
	v_pk_add_f32 v[2:3], v[2:3], v[16:17]
	v_mov_b32_e32 v7, v5
	v_pk_mul_f32 v[4:5], v[10:11], v[4:5] op_sel:[1,0] op_sel_hi:[0,0]
	v_pk_add_f32 v[2:3], v[2:3], v[6:7]
	v_pk_fma_f32 v[6:7], v[10:11], v[42:43], v[4:5] neg_lo:[0,0,1] neg_hi:[0,0,1]
	v_pk_fma_f32 v[4:5], v[10:11], v[42:43], v[4:5] op_sel_hi:[1,0,1]
	s_nop 0
	v_mov_b32_e32 v7, v5
	s_waitcnt vmcnt(0) lgkmcnt(0)
	v_pk_mul_f32 v[4:5], v[12:13], v[44:45] op_sel:[1,1] op_sel_hi:[0,1]
	v_pk_add_f32 v[2:3], v[2:3], v[6:7]
	v_pk_fma_f32 v[6:7], v[12:13], v[44:45], v[4:5] neg_lo:[0,0,1] neg_hi:[0,0,1]
	v_pk_fma_f32 v[4:5], v[12:13], v[44:45], v[4:5] op_sel_hi:[1,0,1]
	s_nop 0
	v_mov_b32_e32 v4, v47
	v_mov_b32_e32 v7, v5
	v_pk_mul_f32 v[4:5], v[14:15], v[4:5] op_sel:[1,0] op_sel_hi:[0,0]
	v_pk_add_f32 v[2:3], v[2:3], v[6:7]
	v_pk_fma_f32 v[6:7], v[14:15], v[46:47], v[4:5] neg_lo:[0,0,1] neg_hi:[0,0,1]
	v_pk_fma_f32 v[4:5], v[14:15], v[46:47], v[4:5] op_sel_hi:[1,0,1]
	s_nop 0
	v_mov_b32_e32 v7, v5
	scratch_load_dwordx2 v[4:5], off, off offset:344
	v_pk_add_f32 v[2:3], v[2:3], v[6:7]
	s_waitcnt vmcnt(0)
	v_pk_add_f32 v[2:3], v[4:5], v[2:3] neg_lo:[0,1] neg_hi:[0,1]
	scratch_store_dwordx2 off, v[2:3], off offset:344
	s_and_saveexec_b64 s[0:1], vcc
	s_cbranch_execz .LBB121_277
; %bb.276:
	scratch_load_dwordx2 v[2:3], off, off offset:336
	v_mov_b32_e32 v4, 0
	v_mov_b32_e32 v5, v4
	scratch_store_dwordx2 off, v[4:5], off offset:336
	s_waitcnt vmcnt(1)
	ds_write_b64 v1, v[2:3]
.LBB121_277:
	s_or_b64 exec, exec, s[0:1]
	s_waitcnt lgkmcnt(0)
	; wave barrier
	scratch_load_dwordx4 v[4:7], off, off offset:344
	scratch_load_dwordx4 v[8:11], off, off offset:360
	;; [unrolled: 1-line block ×7, first 2 shown]
	scratch_load_dwordx2 v[60:61], off, off offset:456
	scratch_load_dwordx2 v[62:63], off, off offset:336
	v_mov_b32_e32 v2, 0
	ds_read2_b64 v[32:35], v2 offset0:101 offset1:102
	ds_read2_b64 v[36:39], v2 offset0:103 offset1:104
	;; [unrolled: 1-line block ×7, first 2 shown]
	ds_read_b64 v[64:65], v2 offset:920
	v_cmp_lt_u32_e32 vcc, 41, v0
	s_waitcnt vmcnt(8) lgkmcnt(7)
	v_mul_f32_e32 v71, v34, v7
	v_mul_f32_e32 v3, v32, v5
	s_waitcnt vmcnt(7) lgkmcnt(6)
	v_mul_f32_e32 v75, v36, v9
	s_waitcnt vmcnt(6) lgkmcnt(5)
	v_mul_f32_e32 v83, v40, v13
	v_mul_f32_e32 v67, v42, v15
	;; [unrolled: 1-line block ×5, first 2 shown]
	s_waitcnt vmcnt(5)
	v_mov_b32_e32 v70, v19
	s_waitcnt vmcnt(3) lgkmcnt(2)
	v_pk_mul_f32 v[76:77], v[52:53], v[24:25] op_sel:[1,1] op_sel_hi:[0,1]
	s_waitcnt vmcnt(2) lgkmcnt(1)
	v_pk_mul_f32 v[80:81], v[56:57], v[28:29] op_sel:[1,1] op_sel_hi:[0,1]
	v_fmac_f32_e32 v71, v35, v6
	v_mul_f32_e32 v7, v35, v7
	v_mul_f32_e32 v9, v37, v9
	v_fmac_f32_e32 v3, v33, v4
	v_fmac_f32_e32 v75, v37, v8
	;; [unrolled: 1-line block ×4, first 2 shown]
	v_fma_f32 v32, v32, v4, -v5
	v_fma_f32 v37, v40, v12, -v13
	;; [unrolled: 1-line block ×3, first 2 shown]
	v_pk_mul_f32 v[4:5], v[46:47], v[70:71] op_sel:[1,0] op_sel_hi:[0,0]
	v_pk_fma_f32 v[12:13], v[52:53], v[24:25], v[76:77] neg_lo:[0,0,1] neg_hi:[0,0,1]
	v_pk_fma_f32 v[14:15], v[52:53], v[24:25], v[76:77] op_sel_hi:[1,0,1]
	v_pk_fma_f32 v[24:25], v[56:57], v[28:29], v[80:81] op_sel_hi:[1,0,1]
	v_fma_f32 v34, v34, v6, -v7
	v_add_f32_e32 v3, 0, v3
	v_add_f32_e32 v24, 0, v32
	v_pk_fma_f32 v[32:33], v[46:47], v[18:19], v[4:5] neg_lo:[0,0,1] neg_hi:[0,0,1]
	v_pk_fma_f32 v[4:5], v[46:47], v[18:19], v[4:5] op_sel_hi:[1,0,1]
	v_mul_f32_e32 v79, v38, v11
	v_mul_f32_e32 v11, v39, v11
	v_fma_f32 v35, v36, v8, -v9
	v_add_f32_e32 v3, v3, v71
	v_add_f32_e32 v4, v24, v34
	v_fmac_f32_e32 v79, v39, v10
	v_fma_f32 v36, v38, v10, -v11
	v_add_f32_e32 v3, v3, v75
	v_add_f32_e32 v4, v4, v35
	;; [unrolled: 1-line block ×4, first 2 shown]
	v_mul_f32_e32 v69, v44, v17
	v_mul_f32_e32 v17, v45, v17
	v_mov_b32_e32 v33, v5
	v_add_f32_e32 v5, v3, v83
	v_add_f32_e32 v4, v4, v37
	v_pk_mul_f32 v[72:73], v[48:49], v[20:21] op_sel:[1,1] op_sel_hi:[0,1]
	v_mov_b32_e32 v74, v23
	v_fmac_f32_e32 v69, v45, v16
	v_fma_f32 v68, v44, v16, -v17
	v_pk_add_f32 v[4:5], v[4:5], v[66:67]
	v_pk_fma_f32 v[6:7], v[48:49], v[20:21], v[72:73] neg_lo:[0,0,1] neg_hi:[0,0,1]
	v_pk_fma_f32 v[8:9], v[48:49], v[20:21], v[72:73] op_sel_hi:[1,0,1]
	v_pk_mul_f32 v[10:11], v[50:51], v[74:75] op_sel:[1,0] op_sel_hi:[0,0]
	v_pk_add_f32 v[4:5], v[4:5], v[68:69]
	v_mov_b32_e32 v78, v27
	v_mov_b32_e32 v7, v9
	v_pk_fma_f32 v[8:9], v[50:51], v[22:23], v[10:11] neg_lo:[0,0,1] neg_hi:[0,0,1]
	v_pk_fma_f32 v[10:11], v[50:51], v[22:23], v[10:11] op_sel_hi:[1,0,1]
	v_pk_add_f32 v[4:5], v[4:5], v[32:33]
	v_pk_mul_f32 v[16:17], v[54:55], v[78:79] op_sel:[1,0] op_sel_hi:[0,0]
	v_mov_b32_e32 v9, v11
	v_pk_add_f32 v[4:5], v[4:5], v[6:7]
	v_mov_b32_e32 v82, v31
	v_mov_b32_e32 v13, v15
	v_pk_fma_f32 v[14:15], v[54:55], v[26:27], v[16:17] neg_lo:[0,0,1] neg_hi:[0,0,1]
	v_pk_fma_f32 v[16:17], v[54:55], v[26:27], v[16:17] op_sel_hi:[1,0,1]
	v_pk_add_f32 v[4:5], v[4:5], v[8:9]
	v_pk_fma_f32 v[20:21], v[56:57], v[28:29], v[80:81] neg_lo:[0,0,1] neg_hi:[0,0,1]
	v_pk_mul_f32 v[28:29], v[58:59], v[82:83] op_sel:[1,0] op_sel_hi:[0,0]
	v_mov_b32_e32 v15, v17
	v_pk_add_f32 v[4:5], v[4:5], v[12:13]
	v_mov_b32_e32 v21, v25
	v_pk_add_f32 v[4:5], v[4:5], v[14:15]
	v_pk_fma_f32 v[6:7], v[58:59], v[30:31], v[28:29] neg_lo:[0,0,1] neg_hi:[0,0,1]
	v_pk_fma_f32 v[8:9], v[58:59], v[30:31], v[28:29] op_sel_hi:[1,0,1]
	v_pk_add_f32 v[4:5], v[4:5], v[20:21]
	v_mov_b32_e32 v7, v9
	v_pk_add_f32 v[4:5], v[4:5], v[6:7]
	s_waitcnt vmcnt(1) lgkmcnt(0)
	v_pk_mul_f32 v[6:7], v[64:65], v[60:61] op_sel:[1,1] op_sel_hi:[0,1]
	v_pk_fma_f32 v[8:9], v[64:65], v[60:61], v[6:7] neg_lo:[0,0,1] neg_hi:[0,0,1]
	v_pk_fma_f32 v[6:7], v[64:65], v[60:61], v[6:7] op_sel_hi:[1,0,1]
	s_nop 0
	v_mov_b32_e32 v9, v7
	v_pk_add_f32 v[4:5], v[4:5], v[8:9]
	s_waitcnt vmcnt(0)
	v_pk_add_f32 v[4:5], v[62:63], v[4:5] neg_lo:[0,1] neg_hi:[0,1]
	scratch_store_dwordx2 off, v[4:5], off offset:336
	s_and_saveexec_b64 s[0:1], vcc
	s_cbranch_execz .LBB121_279
; %bb.278:
	scratch_load_dwordx2 v[4:5], off, off offset:328
	v_mov_b32_e32 v3, v2
	scratch_store_dwordx2 off, v[2:3], off offset:328
	s_waitcnt vmcnt(1)
	ds_write_b64 v1, v[4:5]
.LBB121_279:
	s_or_b64 exec, exec, s[0:1]
	s_waitcnt lgkmcnt(0)
	; wave barrier
	scratch_load_dwordx4 v[4:7], off, off offset:336
	scratch_load_dwordx4 v[8:11], off, off offset:352
	scratch_load_dwordx4 v[12:15], off, off offset:368
	scratch_load_dwordx4 v[16:19], off, off offset:384
	scratch_load_dwordx4 v[20:23], off, off offset:400
	scratch_load_dwordx4 v[24:27], off, off offset:416
	scratch_load_dwordx4 v[28:31], off, off offset:432
	ds_read_b128 v[32:35], v2 offset:800
	ds_read_b128 v[36:39], v2 offset:816
	;; [unrolled: 1-line block ×4, first 2 shown]
	scratch_load_dwordx4 v[48:51], off, off offset:448
	ds_read_b128 v[52:55], v2 offset:864
	ds_read_b128 v[56:59], v2 offset:880
	;; [unrolled: 1-line block ×4, first 2 shown]
	scratch_load_dwordx2 v[2:3], off, off offset:328
	v_cmp_lt_u32_e32 vcc, 40, v0
	s_waitcnt vmcnt(8) lgkmcnt(7)
	v_mul_f32_e32 v75, v32, v5
	v_mul_f32_e32 v79, v34, v7
	s_waitcnt vmcnt(7) lgkmcnt(6)
	v_mul_f32_e32 v83, v36, v9
	v_mul_f32_e32 v84, v38, v11
	;; [unrolled: 3-line block ×3, first 2 shown]
	v_mul_f32_e32 v5, v33, v5
	v_mul_f32_e32 v7, v35, v7
	;; [unrolled: 1-line block ×6, first 2 shown]
	s_waitcnt vmcnt(4) lgkmcnt(3)
	v_pk_mul_f32 v[72:73], v[52:53], v[20:21] op_sel:[1,1] op_sel_hi:[0,1]
	v_mov_b32_e32 v74, v23
	s_waitcnt vmcnt(3) lgkmcnt(2)
	v_pk_mul_f32 v[76:77], v[56:57], v[24:25] op_sel:[1,1] op_sel_hi:[0,1]
	v_mov_b32_e32 v78, v27
	v_fmac_f32_e32 v75, v33, v4
	v_fmac_f32_e32 v79, v35, v6
	;; [unrolled: 1-line block ×6, first 2 shown]
	v_fma_f32 v32, v32, v4, -v5
	v_fma_f32 v33, v34, v6, -v7
	v_fma_f32 v34, v36, v8, -v9
	v_fma_f32 v35, v38, v10, -v11
	v_fma_f32 v36, v40, v12, -v13
	v_fma_f32 v37, v42, v14, -v15
	v_pk_fma_f32 v[4:5], v[52:53], v[20:21], v[72:73] neg_lo:[0,0,1] neg_hi:[0,0,1]
	v_pk_fma_f32 v[6:7], v[52:53], v[20:21], v[72:73] op_sel_hi:[1,0,1]
	v_pk_mul_f32 v[8:9], v[54:55], v[74:75] op_sel:[1,0] op_sel_hi:[0,0]
	v_pk_fma_f32 v[10:11], v[56:57], v[24:25], v[76:77] neg_lo:[0,0,1] neg_hi:[0,0,1]
	v_pk_fma_f32 v[12:13], v[56:57], v[24:25], v[76:77] op_sel_hi:[1,0,1]
	v_pk_mul_f32 v[14:15], v[58:59], v[78:79] op_sel:[1,0] op_sel_hi:[0,0]
	v_add_f32_e32 v24, 0, v75
	v_add_f32_e32 v25, 0, v32
	v_mov_b32_e32 v5, v7
	v_pk_fma_f32 v[6:7], v[54:55], v[22:23], v[8:9] neg_lo:[0,0,1] neg_hi:[0,0,1]
	v_pk_fma_f32 v[8:9], v[54:55], v[22:23], v[8:9] op_sel_hi:[1,0,1]
	v_mov_b32_e32 v11, v13
	v_pk_fma_f32 v[12:13], v[58:59], v[26:27], v[14:15] neg_lo:[0,0,1] neg_hi:[0,0,1]
	v_pk_fma_f32 v[14:15], v[58:59], v[26:27], v[14:15] op_sel_hi:[1,0,1]
	v_add_f32_e32 v8, v24, v79
	v_add_f32_e32 v14, v25, v33
	v_mov_b32_e32 v7, v9
	v_add_f32_e32 v8, v8, v83
	v_add_f32_e32 v9, v14, v34
	;; [unrolled: 1-line block ×4, first 2 shown]
	v_mul_f32_e32 v69, v44, v17
	v_mul_f32_e32 v17, v45, v17
	v_add_f32_e32 v8, v8, v85
	v_add_f32_e32 v14, v9, v36
	v_mul_f32_e32 v71, v46, v19
	v_mul_f32_e32 v19, v47, v19
	v_fmac_f32_e32 v69, v45, v16
	v_fma_f32 v68, v44, v16, -v17
	v_add_f32_e32 v9, v8, v86
	v_add_f32_e32 v8, v14, v37
	v_fmac_f32_e32 v71, v47, v18
	v_fma_f32 v70, v46, v18, -v19
	v_pk_add_f32 v[8:9], v[8:9], v[68:69]
	s_waitcnt vmcnt(2) lgkmcnt(1)
	v_pk_mul_f32 v[80:81], v[60:61], v[28:29] op_sel:[1,1] op_sel_hi:[0,1]
	v_mov_b32_e32 v82, v31
	v_pk_add_f32 v[8:9], v[8:9], v[70:71]
	v_pk_fma_f32 v[16:17], v[60:61], v[28:29], v[80:81] neg_lo:[0,0,1] neg_hi:[0,0,1]
	v_pk_fma_f32 v[18:19], v[60:61], v[28:29], v[80:81] op_sel_hi:[1,0,1]
	v_pk_mul_f32 v[20:21], v[62:63], v[82:83] op_sel:[1,0] op_sel_hi:[0,0]
	v_pk_add_f32 v[4:5], v[8:9], v[4:5]
	v_mov_b32_e32 v17, v19
	v_pk_fma_f32 v[18:19], v[62:63], v[30:31], v[20:21] neg_lo:[0,0,1] neg_hi:[0,0,1]
	v_pk_add_f32 v[4:5], v[4:5], v[6:7]
	v_pk_fma_f32 v[6:7], v[62:63], v[30:31], v[20:21] op_sel_hi:[1,0,1]
	v_mov_b32_e32 v13, v15
	v_pk_add_f32 v[4:5], v[4:5], v[10:11]
	v_mov_b32_e32 v19, v7
	s_waitcnt vmcnt(1) lgkmcnt(0)
	v_pk_mul_f32 v[6:7], v[64:65], v[48:49] op_sel:[1,1] op_sel_hi:[0,1]
	v_pk_add_f32 v[4:5], v[4:5], v[12:13]
	v_pk_fma_f32 v[8:9], v[64:65], v[48:49], v[6:7] neg_lo:[0,0,1] neg_hi:[0,0,1]
	v_pk_fma_f32 v[6:7], v[64:65], v[48:49], v[6:7] op_sel_hi:[1,0,1]
	v_pk_add_f32 v[4:5], v[4:5], v[16:17]
	v_mov_b32_e32 v6, v51
	v_pk_add_f32 v[4:5], v[4:5], v[18:19]
	v_mov_b32_e32 v9, v7
	v_pk_mul_f32 v[6:7], v[66:67], v[6:7] op_sel:[1,0] op_sel_hi:[0,0]
	v_pk_add_f32 v[4:5], v[4:5], v[8:9]
	v_pk_fma_f32 v[8:9], v[66:67], v[50:51], v[6:7] neg_lo:[0,0,1] neg_hi:[0,0,1]
	v_pk_fma_f32 v[6:7], v[66:67], v[50:51], v[6:7] op_sel_hi:[1,0,1]
	s_nop 0
	v_mov_b32_e32 v9, v7
	v_pk_add_f32 v[4:5], v[4:5], v[8:9]
	s_waitcnt vmcnt(0)
	v_pk_add_f32 v[2:3], v[2:3], v[4:5] neg_lo:[0,1] neg_hi:[0,1]
	scratch_store_dwordx2 off, v[2:3], off offset:328
	s_and_saveexec_b64 s[0:1], vcc
	s_cbranch_execz .LBB121_281
; %bb.280:
	scratch_load_dwordx2 v[2:3], off, off offset:320
	v_mov_b32_e32 v4, 0
	v_mov_b32_e32 v5, v4
	scratch_store_dwordx2 off, v[4:5], off offset:320
	s_waitcnt vmcnt(1)
	ds_write_b64 v1, v[2:3]
.LBB121_281:
	s_or_b64 exec, exec, s[0:1]
	s_waitcnt lgkmcnt(0)
	; wave barrier
	scratch_load_dwordx4 v[4:7], off, off offset:328
	scratch_load_dwordx4 v[8:11], off, off offset:344
	;; [unrolled: 1-line block ×8, first 2 shown]
	scratch_load_dwordx2 v[68:69], off, off offset:456
	scratch_load_dwordx2 v[70:71], off, off offset:320
	v_mov_b32_e32 v2, 0
	ds_read2_b64 v[36:39], v2 offset0:99 offset1:100
	ds_read2_b64 v[40:43], v2 offset0:101 offset1:102
	;; [unrolled: 1-line block ×8, first 2 shown]
	ds_read_b64 v[72:73], v2 offset:920
	v_cmp_lt_u32_e32 vcc, 39, v0
	s_waitcnt vmcnt(9) lgkmcnt(8)
	v_mul_f32_e32 v79, v38, v7
	v_mul_f32_e32 v3, v36, v5
	s_waitcnt vmcnt(8) lgkmcnt(7)
	v_mul_f32_e32 v83, v40, v9
	s_waitcnt vmcnt(7) lgkmcnt(6)
	v_mul_f32_e32 v87, v44, v13
	v_mul_f32_e32 v5, v37, v5
	;; [unrolled: 1-line block ×5, first 2 shown]
	s_waitcnt vmcnt(5)
	v_mov_b32_e32 v78, v23
	s_waitcnt vmcnt(3) lgkmcnt(2)
	v_pk_mul_f32 v[84:85], v[60:61], v[28:29] op_sel:[1,1] op_sel_hi:[0,1]
	v_fmac_f32_e32 v79, v39, v6
	v_mul_f32_e32 v86, v42, v11
	v_mul_f32_e32 v89, v48, v17
	;; [unrolled: 1-line block ×4, first 2 shown]
	v_fmac_f32_e32 v3, v37, v4
	v_fmac_f32_e32 v87, v45, v12
	v_fma_f32 v36, v36, v4, -v5
	v_fma_f32 v37, v38, v6, -v7
	;; [unrolled: 1-line block ×4, first 2 shown]
	v_pk_mul_f32 v[4:5], v[54:55], v[78:79] op_sel:[1,0] op_sel_hi:[0,0]
	v_pk_fma_f32 v[12:13], v[60:61], v[28:29], v[84:85] neg_lo:[0,0,1] neg_hi:[0,0,1]
	v_fmac_f32_e32 v89, v49, v16
	v_fma_f32 v39, v42, v10, -v11
	v_fma_f32 v42, v48, v16, -v17
	v_add_f32_e32 v3, 0, v3
	v_add_f32_e32 v13, 0, v36
	v_pk_fma_f32 v[16:17], v[54:55], v[22:23], v[4:5] neg_lo:[0,0,1] neg_hi:[0,0,1]
	v_pk_fma_f32 v[4:5], v[54:55], v[22:23], v[4:5] op_sel_hi:[1,0,1]
	v_fmac_f32_e32 v83, v41, v8
	v_add_f32_e32 v3, v3, v79
	v_add_f32_e32 v4, v13, v37
	v_fmac_f32_e32 v86, v43, v10
	v_add_f32_e32 v3, v3, v83
	v_add_f32_e32 v4, v4, v38
	v_mul_f32_e32 v88, v46, v15
	v_mul_f32_e32 v15, v47, v15
	v_add_f32_e32 v3, v3, v86
	v_add_f32_e32 v4, v4, v39
	v_fmac_f32_e32 v88, v47, v14
	v_fma_f32 v41, v46, v14, -v15
	v_add_f32_e32 v3, v3, v87
	v_add_f32_e32 v4, v4, v40
	v_mul_f32_e32 v75, v50, v19
	v_mul_f32_e32 v19, v51, v19
	v_add_f32_e32 v3, v3, v88
	v_add_f32_e32 v4, v4, v41
	v_mul_f32_e32 v77, v52, v21
	v_mul_f32_e32 v21, v53, v21
	v_fmac_f32_e32 v75, v51, v18
	v_fma_f32 v74, v50, v18, -v19
	v_mov_b32_e32 v17, v5
	v_add_f32_e32 v5, v3, v89
	v_add_f32_e32 v4, v4, v42
	v_pk_mul_f32 v[80:81], v[56:57], v[24:25] op_sel:[1,1] op_sel_hi:[0,1]
	v_fmac_f32_e32 v77, v53, v20
	v_fma_f32 v76, v52, v20, -v21
	v_pk_add_f32 v[4:5], v[4:5], v[74:75]
	v_mov_b32_e32 v82, v27
	v_pk_fma_f32 v[6:7], v[56:57], v[24:25], v[80:81] neg_lo:[0,0,1] neg_hi:[0,0,1]
	v_pk_fma_f32 v[8:9], v[56:57], v[24:25], v[80:81] op_sel_hi:[1,0,1]
	v_pk_add_f32 v[4:5], v[4:5], v[76:77]
	v_pk_mul_f32 v[10:11], v[58:59], v[82:83] op_sel:[1,0] op_sel_hi:[0,0]
	v_mov_b32_e32 v7, v9
	v_pk_add_f32 v[4:5], v[4:5], v[16:17]
	v_pk_fma_f32 v[8:9], v[58:59], v[26:27], v[10:11] neg_lo:[0,0,1] neg_hi:[0,0,1]
	v_pk_fma_f32 v[10:11], v[58:59], v[26:27], v[10:11] op_sel_hi:[1,0,1]
	v_pk_add_f32 v[4:5], v[4:5], v[6:7]
	v_mov_b32_e32 v6, v31
	v_pk_fma_f32 v[14:15], v[60:61], v[28:29], v[84:85] op_sel_hi:[1,0,1]
	v_mov_b32_e32 v9, v11
	v_pk_mul_f32 v[6:7], v[62:63], v[6:7] op_sel:[1,0] op_sel_hi:[0,0]
	v_pk_add_f32 v[4:5], v[4:5], v[8:9]
	v_mov_b32_e32 v13, v15
	v_pk_fma_f32 v[8:9], v[62:63], v[30:31], v[6:7] neg_lo:[0,0,1] neg_hi:[0,0,1]
	v_pk_fma_f32 v[6:7], v[62:63], v[30:31], v[6:7] op_sel_hi:[1,0,1]
	v_pk_add_f32 v[4:5], v[4:5], v[12:13]
	v_mov_b32_e32 v9, v7
	s_waitcnt vmcnt(2) lgkmcnt(1)
	v_pk_mul_f32 v[6:7], v[64:65], v[32:33] op_sel:[1,1] op_sel_hi:[0,1]
	v_pk_add_f32 v[4:5], v[4:5], v[8:9]
	v_pk_fma_f32 v[8:9], v[64:65], v[32:33], v[6:7] neg_lo:[0,0,1] neg_hi:[0,0,1]
	v_pk_fma_f32 v[6:7], v[64:65], v[32:33], v[6:7] op_sel_hi:[1,0,1]
	s_nop 0
	v_mov_b32_e32 v6, v35
	v_mov_b32_e32 v9, v7
	v_pk_mul_f32 v[6:7], v[66:67], v[6:7] op_sel:[1,0] op_sel_hi:[0,0]
	v_pk_add_f32 v[4:5], v[4:5], v[8:9]
	v_pk_fma_f32 v[8:9], v[66:67], v[34:35], v[6:7] neg_lo:[0,0,1] neg_hi:[0,0,1]
	v_pk_fma_f32 v[6:7], v[66:67], v[34:35], v[6:7] op_sel_hi:[1,0,1]
	s_nop 0
	v_mov_b32_e32 v9, v7
	s_waitcnt vmcnt(1) lgkmcnt(0)
	v_pk_mul_f32 v[6:7], v[72:73], v[68:69] op_sel:[1,1] op_sel_hi:[0,1]
	v_pk_add_f32 v[4:5], v[4:5], v[8:9]
	v_pk_fma_f32 v[8:9], v[72:73], v[68:69], v[6:7] neg_lo:[0,0,1] neg_hi:[0,0,1]
	v_pk_fma_f32 v[6:7], v[72:73], v[68:69], v[6:7] op_sel_hi:[1,0,1]
	s_nop 0
	v_mov_b32_e32 v9, v7
	v_pk_add_f32 v[4:5], v[4:5], v[8:9]
	s_waitcnt vmcnt(0)
	v_pk_add_f32 v[4:5], v[70:71], v[4:5] neg_lo:[0,1] neg_hi:[0,1]
	scratch_store_dwordx2 off, v[4:5], off offset:320
	s_and_saveexec_b64 s[0:1], vcc
	s_cbranch_execz .LBB121_283
; %bb.282:
	scratch_load_dwordx2 v[4:5], off, off offset:312
	v_mov_b32_e32 v3, v2
	scratch_store_dwordx2 off, v[2:3], off offset:312
	s_waitcnt vmcnt(1)
	ds_write_b64 v1, v[4:5]
.LBB121_283:
	s_or_b64 exec, exec, s[0:1]
	s_waitcnt lgkmcnt(0)
	; wave barrier
	scratch_load_dwordx4 v[4:7], off, off offset:320
	scratch_load_dwordx4 v[8:11], off, off offset:336
	;; [unrolled: 1-line block ×7, first 2 shown]
	ds_read_b128 v[32:35], v2 offset:784
	ds_read_b128 v[36:39], v2 offset:800
	;; [unrolled: 1-line block ×4, first 2 shown]
	scratch_load_dwordx4 v[48:51], off, off offset:432
	scratch_load_dwordx4 v[52:55], off, off offset:448
	ds_read_b128 v[56:59], v2 offset:848
	ds_read_b128 v[60:63], v2 offset:864
	ds_read_b128 v[64:67], v2 offset:880
	ds_read_b128 v[68:71], v2 offset:896
	ds_read_b128 v[72:75], v2 offset:912
	scratch_load_dwordx2 v[2:3], off, off offset:312
	v_cmp_lt_u32_e32 vcc, 38, v0
	s_waitcnt vmcnt(9) lgkmcnt(8)
	v_mul_f32_e32 v83, v32, v5
	v_mul_f32_e32 v86, v34, v7
	s_waitcnt vmcnt(8) lgkmcnt(7)
	v_mul_f32_e32 v87, v36, v9
	s_waitcnt vmcnt(7) lgkmcnt(6)
	v_mul_f32_e32 v89, v40, v13
	v_mul_f32_e32 v5, v33, v5
	v_mul_f32_e32 v7, v35, v7
	v_mul_f32_e32 v9, v37, v9
	v_mul_f32_e32 v13, v41, v13
	s_waitcnt vmcnt(4) lgkmcnt(3)
	v_pk_mul_f32 v[80:81], v[60:61], v[24:25] op_sel:[1,1] op_sel_hi:[0,1]
	v_mov_b32_e32 v82, v27
	s_waitcnt vmcnt(3) lgkmcnt(2)
	v_pk_mul_f32 v[84:85], v[64:65], v[28:29] op_sel:[1,1] op_sel_hi:[0,1]
	v_fmac_f32_e32 v83, v33, v4
	v_mul_f32_e32 v90, v42, v15
	v_mul_f32_e32 v91, v44, v17
	;; [unrolled: 1-line block ×4, first 2 shown]
	v_fmac_f32_e32 v86, v35, v6
	v_fmac_f32_e32 v87, v37, v8
	;; [unrolled: 1-line block ×3, first 2 shown]
	v_fma_f32 v32, v32, v4, -v5
	v_fma_f32 v33, v34, v6, -v7
	;; [unrolled: 1-line block ×4, first 2 shown]
	v_pk_fma_f32 v[4:5], v[60:61], v[24:25], v[80:81] neg_lo:[0,0,1] neg_hi:[0,0,1]
	v_pk_fma_f32 v[6:7], v[60:61], v[24:25], v[80:81] op_sel_hi:[1,0,1]
	v_pk_mul_f32 v[8:9], v[62:63], v[82:83] op_sel:[1,0] op_sel_hi:[0,0]
	v_pk_fma_f32 v[12:13], v[64:65], v[28:29], v[84:85] op_sel_hi:[1,0,1]
	v_fmac_f32_e32 v90, v43, v14
	v_fma_f32 v14, v42, v14, -v15
	v_fma_f32 v15, v44, v16, -v17
	v_add_f32_e32 v12, 0, v83
	v_add_f32_e32 v17, 0, v32
	v_mov_b32_e32 v5, v7
	v_pk_fma_f32 v[6:7], v[62:63], v[26:27], v[8:9] neg_lo:[0,0,1] neg_hi:[0,0,1]
	v_pk_fma_f32 v[8:9], v[62:63], v[26:27], v[8:9] op_sel_hi:[1,0,1]
	v_mul_f32_e32 v88, v38, v11
	v_mul_f32_e32 v11, v39, v11
	v_add_f32_e32 v8, v12, v86
	v_add_f32_e32 v12, v17, v33
	v_fmac_f32_e32 v88, v39, v10
	v_fma_f32 v35, v38, v10, -v11
	v_mov_b32_e32 v7, v9
	v_add_f32_e32 v8, v8, v87
	v_add_f32_e32 v9, v12, v34
	;; [unrolled: 1-line block ×6, first 2 shown]
	v_mul_f32_e32 v92, v46, v19
	v_mul_f32_e32 v19, v47, v19
	v_fmac_f32_e32 v91, v45, v16
	v_add_f32_e32 v8, v8, v90
	v_add_f32_e32 v9, v9, v14
	v_mul_f32_e32 v77, v56, v21
	v_mul_f32_e32 v21, v57, v21
	v_fmac_f32_e32 v92, v47, v18
	v_fma_f32 v16, v46, v18, -v19
	v_add_f32_e32 v8, v8, v91
	v_add_f32_e32 v12, v9, v15
	v_mul_f32_e32 v79, v58, v23
	v_mul_f32_e32 v23, v59, v23
	v_fmac_f32_e32 v77, v57, v20
	v_fma_f32 v76, v56, v20, -v21
	v_add_f32_e32 v9, v8, v92
	v_add_f32_e32 v8, v12, v16
	v_fmac_f32_e32 v79, v59, v22
	v_fma_f32 v78, v58, v22, -v23
	v_pk_add_f32 v[8:9], v[8:9], v[76:77]
	v_pk_fma_f32 v[10:11], v[64:65], v[28:29], v[84:85] neg_lo:[0,0,1] neg_hi:[0,0,1]
	v_pk_add_f32 v[8:9], v[8:9], v[78:79]
	v_mov_b32_e32 v11, v13
	v_pk_add_f32 v[4:5], v[8:9], v[4:5]
	s_nop 0
	v_pk_add_f32 v[4:5], v[4:5], v[6:7]
	v_mov_b32_e32 v6, v31
	v_pk_mul_f32 v[6:7], v[66:67], v[6:7] op_sel:[1,0] op_sel_hi:[0,0]
	v_pk_fma_f32 v[8:9], v[66:67], v[30:31], v[6:7] neg_lo:[0,0,1] neg_hi:[0,0,1]
	v_pk_fma_f32 v[6:7], v[66:67], v[30:31], v[6:7] op_sel_hi:[1,0,1]
	v_pk_add_f32 v[4:5], v[4:5], v[10:11]
	v_mov_b32_e32 v9, v7
	s_waitcnt vmcnt(2) lgkmcnt(1)
	v_pk_mul_f32 v[6:7], v[68:69], v[48:49] op_sel:[1,1] op_sel_hi:[0,1]
	v_pk_add_f32 v[4:5], v[4:5], v[8:9]
	v_pk_fma_f32 v[8:9], v[68:69], v[48:49], v[6:7] neg_lo:[0,0,1] neg_hi:[0,0,1]
	v_pk_fma_f32 v[6:7], v[68:69], v[48:49], v[6:7] op_sel_hi:[1,0,1]
	s_nop 0
	v_mov_b32_e32 v6, v51
	v_mov_b32_e32 v9, v7
	v_pk_mul_f32 v[6:7], v[70:71], v[6:7] op_sel:[1,0] op_sel_hi:[0,0]
	v_pk_add_f32 v[4:5], v[4:5], v[8:9]
	v_pk_fma_f32 v[8:9], v[70:71], v[50:51], v[6:7] neg_lo:[0,0,1] neg_hi:[0,0,1]
	v_pk_fma_f32 v[6:7], v[70:71], v[50:51], v[6:7] op_sel_hi:[1,0,1]
	s_nop 0
	v_mov_b32_e32 v9, v7
	s_waitcnt vmcnt(1) lgkmcnt(0)
	v_pk_mul_f32 v[6:7], v[72:73], v[52:53] op_sel:[1,1] op_sel_hi:[0,1]
	v_pk_add_f32 v[4:5], v[4:5], v[8:9]
	v_pk_fma_f32 v[8:9], v[72:73], v[52:53], v[6:7] neg_lo:[0,0,1] neg_hi:[0,0,1]
	v_pk_fma_f32 v[6:7], v[72:73], v[52:53], v[6:7] op_sel_hi:[1,0,1]
	s_nop 0
	v_mov_b32_e32 v6, v55
	v_mov_b32_e32 v9, v7
	v_pk_mul_f32 v[6:7], v[74:75], v[6:7] op_sel:[1,0] op_sel_hi:[0,0]
	v_pk_add_f32 v[4:5], v[4:5], v[8:9]
	v_pk_fma_f32 v[8:9], v[74:75], v[54:55], v[6:7] neg_lo:[0,0,1] neg_hi:[0,0,1]
	v_pk_fma_f32 v[6:7], v[74:75], v[54:55], v[6:7] op_sel_hi:[1,0,1]
	s_nop 0
	v_mov_b32_e32 v9, v7
	v_pk_add_f32 v[4:5], v[4:5], v[8:9]
	s_waitcnt vmcnt(0)
	v_pk_add_f32 v[2:3], v[2:3], v[4:5] neg_lo:[0,1] neg_hi:[0,1]
	scratch_store_dwordx2 off, v[2:3], off offset:312
	s_and_saveexec_b64 s[0:1], vcc
	s_cbranch_execz .LBB121_285
; %bb.284:
	scratch_load_dwordx2 v[2:3], off, off offset:304
	v_mov_b32_e32 v4, 0
	v_mov_b32_e32 v5, v4
	scratch_store_dwordx2 off, v[4:5], off offset:304
	s_waitcnt vmcnt(1)
	ds_write_b64 v1, v[2:3]
.LBB121_285:
	s_or_b64 exec, exec, s[0:1]
	s_waitcnt lgkmcnt(0)
	; wave barrier
	scratch_load_dwordx4 v[4:7], off, off offset:312
	scratch_load_dwordx4 v[8:11], off, off offset:328
	;; [unrolled: 1-line block ×9, first 2 shown]
	scratch_load_dwordx2 v[76:77], off, off offset:456
	scratch_load_dwordx2 v[78:79], off, off offset:304
	v_mov_b32_e32 v2, 0
	ds_read2_b64 v[40:43], v2 offset0:97 offset1:98
	ds_read2_b64 v[44:47], v2 offset0:99 offset1:100
	;; [unrolled: 1-line block ×9, first 2 shown]
	ds_read_b64 v[80:81], v2 offset:920
	v_cmp_lt_u32_e32 vcc, 37, v0
	s_waitcnt vmcnt(10) lgkmcnt(9)
	v_mul_f32_e32 v87, v42, v7
	v_mul_f32_e32 v3, v40, v5
	;; [unrolled: 1-line block ×3, first 2 shown]
	v_fmac_f32_e32 v87, v43, v6
	s_waitcnt vmcnt(9) lgkmcnt(8)
	v_mul_f32_e32 v88, v44, v9
	s_waitcnt vmcnt(5)
	v_mov_b32_e32 v86, v27
	v_mul_f32_e32 v89, v46, v11
	s_waitcnt lgkmcnt(7)
	v_mul_f32_e32 v91, v50, v15
	v_mul_f32_e32 v7, v43, v7
	;; [unrolled: 1-line block ×5, first 2 shown]
	v_fmac_f32_e32 v3, v41, v4
	v_fma_f32 v40, v40, v4, -v5
	s_waitcnt lgkmcnt(4)
	v_pk_mul_f32 v[4:5], v[62:63], v[86:87] op_sel:[1,0] op_sel_hi:[0,0]
	v_fmac_f32_e32 v88, v45, v8
	v_fma_f32 v41, v42, v6, -v7
	v_fma_f32 v8, v44, v8, -v9
	;; [unrolled: 1-line block ×4, first 2 shown]
	v_add_f32_e32 v3, 0, v3
	v_add_f32_e32 v15, 0, v40
	v_pk_fma_f32 v[6:7], v[62:63], v[26:27], v[4:5] neg_lo:[0,0,1] neg_hi:[0,0,1]
	v_pk_fma_f32 v[4:5], v[62:63], v[26:27], v[4:5] op_sel_hi:[1,0,1]
	v_add_f32_e32 v3, v3, v87
	v_add_f32_e32 v4, v15, v41
	v_mul_f32_e32 v90, v48, v13
	v_mul_f32_e32 v13, v49, v13
	v_fmac_f32_e32 v89, v47, v10
	v_add_f32_e32 v3, v3, v88
	v_add_f32_e32 v4, v4, v8
	v_fmac_f32_e32 v90, v49, v12
	v_fma_f32 v10, v48, v12, -v13
	v_add_f32_e32 v3, v3, v89
	v_add_f32_e32 v4, v4, v9
	v_mul_f32_e32 v92, v52, v17
	v_mul_f32_e32 v17, v53, v17
	v_fmac_f32_e32 v91, v51, v14
	v_add_f32_e32 v3, v3, v90
	v_add_f32_e32 v4, v4, v10
	v_mul_f32_e32 v93, v54, v19
	v_mul_f32_e32 v19, v55, v19
	v_fmac_f32_e32 v92, v53, v16
	v_fma_f32 v12, v52, v16, -v17
	v_add_f32_e32 v3, v3, v91
	v_add_f32_e32 v4, v4, v11
	v_mul_f32_e32 v94, v56, v21
	v_mul_f32_e32 v21, v57, v21
	v_fmac_f32_e32 v93, v55, v18
	v_fma_f32 v13, v54, v18, -v19
	;; [unrolled: 6-line block ×4, first 2 shown]
	v_mov_b32_e32 v7, v5
	v_add_f32_e32 v5, v3, v94
	v_add_f32_e32 v4, v4, v14
	v_fmac_f32_e32 v85, v61, v24
	v_fma_f32 v84, v60, v24, -v25
	v_pk_add_f32 v[4:5], v[4:5], v[82:83]
	s_nop 0
	v_pk_add_f32 v[4:5], v[4:5], v[84:85]
	s_nop 0
	v_pk_add_f32 v[4:5], v[4:5], v[6:7]
	s_waitcnt vmcnt(4) lgkmcnt(3)
	v_pk_mul_f32 v[6:7], v[64:65], v[28:29] op_sel:[1,1] op_sel_hi:[0,1]
	v_pk_fma_f32 v[8:9], v[64:65], v[28:29], v[6:7] neg_lo:[0,0,1] neg_hi:[0,0,1]
	v_pk_fma_f32 v[6:7], v[64:65], v[28:29], v[6:7] op_sel_hi:[1,0,1]
	s_nop 0
	v_mov_b32_e32 v6, v31
	v_mov_b32_e32 v9, v7
	v_pk_mul_f32 v[6:7], v[66:67], v[6:7] op_sel:[1,0] op_sel_hi:[0,0]
	v_pk_add_f32 v[4:5], v[4:5], v[8:9]
	v_pk_fma_f32 v[8:9], v[66:67], v[30:31], v[6:7] neg_lo:[0,0,1] neg_hi:[0,0,1]
	v_pk_fma_f32 v[6:7], v[66:67], v[30:31], v[6:7] op_sel_hi:[1,0,1]
	s_nop 0
	v_mov_b32_e32 v9, v7
	s_waitcnt vmcnt(3) lgkmcnt(2)
	v_pk_mul_f32 v[6:7], v[68:69], v[32:33] op_sel:[1,1] op_sel_hi:[0,1]
	v_pk_add_f32 v[4:5], v[4:5], v[8:9]
	v_pk_fma_f32 v[8:9], v[68:69], v[32:33], v[6:7] neg_lo:[0,0,1] neg_hi:[0,0,1]
	v_pk_fma_f32 v[6:7], v[68:69], v[32:33], v[6:7] op_sel_hi:[1,0,1]
	s_nop 0
	v_mov_b32_e32 v6, v35
	v_mov_b32_e32 v9, v7
	v_pk_mul_f32 v[6:7], v[70:71], v[6:7] op_sel:[1,0] op_sel_hi:[0,0]
	v_pk_add_f32 v[4:5], v[4:5], v[8:9]
	v_pk_fma_f32 v[8:9], v[70:71], v[34:35], v[6:7] neg_lo:[0,0,1] neg_hi:[0,0,1]
	v_pk_fma_f32 v[6:7], v[70:71], v[34:35], v[6:7] op_sel_hi:[1,0,1]
	s_nop 0
	v_mov_b32_e32 v9, v7
	s_waitcnt vmcnt(2) lgkmcnt(1)
	v_pk_mul_f32 v[6:7], v[72:73], v[36:37] op_sel:[1,1] op_sel_hi:[0,1]
	v_pk_add_f32 v[4:5], v[4:5], v[8:9]
	;; [unrolled: 14-line block ×3, first 2 shown]
	v_pk_fma_f32 v[8:9], v[80:81], v[76:77], v[6:7] neg_lo:[0,0,1] neg_hi:[0,0,1]
	v_pk_fma_f32 v[6:7], v[80:81], v[76:77], v[6:7] op_sel_hi:[1,0,1]
	s_nop 0
	v_mov_b32_e32 v9, v7
	v_pk_add_f32 v[4:5], v[4:5], v[8:9]
	s_waitcnt vmcnt(0)
	v_pk_add_f32 v[4:5], v[78:79], v[4:5] neg_lo:[0,1] neg_hi:[0,1]
	scratch_store_dwordx2 off, v[4:5], off offset:304
	s_and_saveexec_b64 s[0:1], vcc
	s_cbranch_execz .LBB121_287
; %bb.286:
	scratch_load_dwordx2 v[4:5], off, off offset:296
	v_mov_b32_e32 v3, v2
	scratch_store_dwordx2 off, v[2:3], off offset:296
	s_waitcnt vmcnt(1)
	ds_write_b64 v1, v[4:5]
.LBB121_287:
	s_or_b64 exec, exec, s[0:1]
	s_waitcnt lgkmcnt(0)
	; wave barrier
	scratch_load_dwordx4 v[4:7], off, off offset:304
	scratch_load_dwordx4 v[8:11], off, off offset:320
	;; [unrolled: 1-line block ×7, first 2 shown]
	ds_read_b128 v[32:35], v2 offset:768
	ds_read_b128 v[36:39], v2 offset:784
	;; [unrolled: 1-line block ×6, first 2 shown]
	scratch_load_dwordx4 v[56:59], off, off offset:416
	scratch_load_dwordx4 v[60:63], off, off offset:432
	;; [unrolled: 1-line block ×3, first 2 shown]
	ds_read_b128 v[68:71], v2 offset:864
	ds_read_b128 v[72:75], v2 offset:880
	;; [unrolled: 1-line block ×4, first 2 shown]
	scratch_load_dwordx2 v[2:3], off, off offset:296
	v_cmp_lt_u32_e32 vcc, 36, v0
	s_waitcnt vmcnt(10) lgkmcnt(9)
	v_mul_f32_e32 v90, v32, v5
	v_mul_f32_e32 v5, v33, v5
	;; [unrolled: 1-line block ×3, first 2 shown]
	s_waitcnt vmcnt(9) lgkmcnt(8)
	v_mul_f32_e32 v92, v36, v9
	s_waitcnt vmcnt(8) lgkmcnt(7)
	v_mul_f32_e32 v95, v42, v15
	v_mul_f32_e32 v7, v35, v7
	;; [unrolled: 1-line block ×4, first 2 shown]
	v_fmac_f32_e32 v90, v33, v4
	v_fma_f32 v4, v32, v4, -v5
	v_fmac_f32_e32 v91, v35, v6
	v_fmac_f32_e32 v95, v43, v14
	v_fma_f32 v5, v34, v6, -v7
	v_fma_f32 v6, v36, v8, -v9
	;; [unrolled: 1-line block ×3, first 2 shown]
	v_add_f32_e32 v14, 0, v90
	v_add_f32_e32 v4, 0, v4
	v_mul_f32_e32 v93, v38, v11
	v_mul_f32_e32 v11, v39, v11
	v_fmac_f32_e32 v92, v37, v8
	v_add_f32_e32 v14, v14, v91
	v_add_f32_e32 v4, v4, v5
	v_mul_f32_e32 v94, v40, v13
	v_mul_f32_e32 v13, v41, v13
	v_fmac_f32_e32 v93, v39, v10
	v_fma_f32 v7, v38, v10, -v11
	v_add_f32_e32 v5, v14, v92
	v_add_f32_e32 v4, v4, v6
	v_fmac_f32_e32 v94, v41, v12
	v_fma_f32 v8, v40, v12, -v13
	v_add_f32_e32 v5, v5, v93
	v_add_f32_e32 v4, v4, v7
	s_waitcnt vmcnt(7) lgkmcnt(6)
	v_mul_f32_e32 v96, v44, v17
	v_mul_f32_e32 v17, v45, v17
	v_add_f32_e32 v5, v5, v94
	v_add_f32_e32 v4, v4, v8
	v_mul_f32_e32 v97, v46, v19
	v_mul_f32_e32 v19, v47, v19
	v_fmac_f32_e32 v96, v45, v16
	v_fma_f32 v10, v44, v16, -v17
	v_add_f32_e32 v5, v5, v95
	v_add_f32_e32 v4, v4, v9
	s_waitcnt vmcnt(6) lgkmcnt(5)
	v_mul_f32_e32 v98, v48, v21
	v_mul_f32_e32 v21, v49, v21
	v_fmac_f32_e32 v97, v47, v18
	v_fma_f32 v11, v46, v18, -v19
	v_add_f32_e32 v5, v5, v96
	v_add_f32_e32 v4, v4, v10
	v_mul_f32_e32 v99, v50, v23
	v_mul_f32_e32 v23, v51, v23
	v_fmac_f32_e32 v98, v49, v20
	v_fma_f32 v12, v48, v20, -v21
	v_add_f32_e32 v5, v5, v97
	v_add_f32_e32 v4, v4, v11
	s_waitcnt vmcnt(5) lgkmcnt(4)
	v_mul_f32_e32 v85, v52, v25
	v_mul_f32_e32 v25, v53, v25
	v_fmac_f32_e32 v99, v51, v22
	v_fma_f32 v13, v50, v22, -v23
	v_add_f32_e32 v5, v5, v98
	v_add_f32_e32 v4, v4, v12
	v_mul_f32_e32 v87, v54, v27
	v_mul_f32_e32 v27, v55, v27
	s_waitcnt vmcnt(4) lgkmcnt(3)
	v_pk_mul_f32 v[88:89], v[68:69], v[28:29] op_sel:[1,1] op_sel_hi:[0,1]
	v_fmac_f32_e32 v85, v53, v24
	v_fma_f32 v84, v52, v24, -v25
	v_add_f32_e32 v5, v5, v99
	v_add_f32_e32 v4, v4, v13
	v_fmac_f32_e32 v87, v55, v26
	v_fma_f32 v86, v54, v26, -v27
	v_pk_add_f32 v[4:5], v[4:5], v[84:85]
	v_pk_fma_f32 v[6:7], v[68:69], v[28:29], v[88:89] neg_lo:[0,0,1] neg_hi:[0,0,1]
	v_pk_fma_f32 v[8:9], v[68:69], v[28:29], v[88:89] op_sel_hi:[1,0,1]
	v_pk_add_f32 v[4:5], v[4:5], v[86:87]
	v_mov_b32_e32 v7, v9
	v_pk_add_f32 v[4:5], v[4:5], v[6:7]
	v_mov_b32_e32 v6, v31
	v_pk_mul_f32 v[6:7], v[70:71], v[6:7] op_sel:[1,0] op_sel_hi:[0,0]
	v_pk_fma_f32 v[8:9], v[70:71], v[30:31], v[6:7] neg_lo:[0,0,1] neg_hi:[0,0,1]
	v_pk_fma_f32 v[6:7], v[70:71], v[30:31], v[6:7] op_sel_hi:[1,0,1]
	s_nop 0
	v_mov_b32_e32 v9, v7
	s_waitcnt vmcnt(3) lgkmcnt(2)
	v_pk_mul_f32 v[6:7], v[72:73], v[56:57] op_sel:[1,1] op_sel_hi:[0,1]
	v_pk_add_f32 v[4:5], v[4:5], v[8:9]
	v_pk_fma_f32 v[8:9], v[72:73], v[56:57], v[6:7] neg_lo:[0,0,1] neg_hi:[0,0,1]
	v_pk_fma_f32 v[6:7], v[72:73], v[56:57], v[6:7] op_sel_hi:[1,0,1]
	s_nop 0
	v_mov_b32_e32 v6, v59
	v_mov_b32_e32 v9, v7
	v_pk_mul_f32 v[6:7], v[74:75], v[6:7] op_sel:[1,0] op_sel_hi:[0,0]
	v_pk_add_f32 v[4:5], v[4:5], v[8:9]
	v_pk_fma_f32 v[8:9], v[74:75], v[58:59], v[6:7] neg_lo:[0,0,1] neg_hi:[0,0,1]
	v_pk_fma_f32 v[6:7], v[74:75], v[58:59], v[6:7] op_sel_hi:[1,0,1]
	s_nop 0
	v_mov_b32_e32 v9, v7
	s_waitcnt vmcnt(2) lgkmcnt(1)
	v_pk_mul_f32 v[6:7], v[76:77], v[60:61] op_sel:[1,1] op_sel_hi:[0,1]
	v_pk_add_f32 v[4:5], v[4:5], v[8:9]
	v_pk_fma_f32 v[8:9], v[76:77], v[60:61], v[6:7] neg_lo:[0,0,1] neg_hi:[0,0,1]
	v_pk_fma_f32 v[6:7], v[76:77], v[60:61], v[6:7] op_sel_hi:[1,0,1]
	s_nop 0
	v_mov_b32_e32 v6, v63
	v_mov_b32_e32 v9, v7
	v_pk_mul_f32 v[6:7], v[78:79], v[6:7] op_sel:[1,0] op_sel_hi:[0,0]
	v_pk_add_f32 v[4:5], v[4:5], v[8:9]
	;; [unrolled: 14-line block ×3, first 2 shown]
	v_pk_fma_f32 v[8:9], v[82:83], v[66:67], v[6:7] neg_lo:[0,0,1] neg_hi:[0,0,1]
	v_pk_fma_f32 v[6:7], v[82:83], v[66:67], v[6:7] op_sel_hi:[1,0,1]
	s_nop 0
	v_mov_b32_e32 v9, v7
	v_pk_add_f32 v[4:5], v[4:5], v[8:9]
	s_waitcnt vmcnt(0)
	v_pk_add_f32 v[2:3], v[2:3], v[4:5] neg_lo:[0,1] neg_hi:[0,1]
	scratch_store_dwordx2 off, v[2:3], off offset:296
	s_and_saveexec_b64 s[0:1], vcc
	s_cbranch_execz .LBB121_289
; %bb.288:
	scratch_load_dwordx2 v[2:3], off, off offset:288
	v_mov_b32_e32 v4, 0
	v_mov_b32_e32 v5, v4
	scratch_store_dwordx2 off, v[4:5], off offset:288
	s_waitcnt vmcnt(1)
	ds_write_b64 v1, v[2:3]
.LBB121_289:
	s_or_b64 exec, exec, s[0:1]
	s_waitcnt lgkmcnt(0)
	; wave barrier
	scratch_load_dwordx4 v[2:5], off, off offset:296
	scratch_load_dwordx4 v[8:11], off, off offset:312
	scratch_load_dwordx4 v[12:15], off, off offset:328
	scratch_load_dwordx4 v[16:19], off, off offset:344
	scratch_load_dwordx4 v[20:23], off, off offset:360
	scratch_load_dwordx4 v[24:27], off, off offset:376
	scratch_load_dwordx4 v[28:31], off, off offset:392
	scratch_load_dwordx4 v[32:35], off, off offset:408
	scratch_load_dwordx4 v[36:39], off, off offset:424
	scratch_load_dwordx4 v[40:43], off, off offset:440
	scratch_load_dwordx2 v[76:77], off, off offset:456
	scratch_load_dwordx2 v[78:79], off, off offset:288
	v_mov_b32_e32 v6, 0
	ds_read2_b64 v[44:47], v6 offset0:95 offset1:96
	ds_read2_b64 v[48:51], v6 offset0:97 offset1:98
	;; [unrolled: 1-line block ×8, first 2 shown]
	v_cmp_lt_u32_e32 vcc, 35, v0
	s_waitcnt vmcnt(11) lgkmcnt(7)
	v_mul_f32_e32 v7, v44, v3
	v_mul_f32_e32 v3, v45, v3
	;; [unrolled: 1-line block ×4, first 2 shown]
	v_fmac_f32_e32 v7, v45, v2
	v_fma_f32 v2, v44, v2, -v3
	s_waitcnt vmcnt(10) lgkmcnt(6)
	v_mul_f32_e32 v82, v48, v9
	v_mul_f32_e32 v9, v49, v9
	v_fma_f32 v3, v46, v4, -v5
	v_add_f32_e32 v2, 0, v2
	v_mul_f32_e32 v84, v50, v11
	v_mul_f32_e32 v11, v51, v11
	v_fmac_f32_e32 v80, v47, v4
	v_fma_f32 v4, v48, v8, -v9
	v_add_f32_e32 v7, 0, v7
	v_add_f32_e32 v2, v2, v3
	s_waitcnt vmcnt(9) lgkmcnt(5)
	v_mul_f32_e32 v85, v52, v13
	v_mul_f32_e32 v13, v53, v13
	v_fmac_f32_e32 v82, v49, v8
	v_fma_f32 v5, v50, v10, -v11
	v_add_f32_e32 v7, v7, v80
	v_add_f32_e32 v2, v2, v4
	v_mul_f32_e32 v86, v54, v15
	v_mul_f32_e32 v15, v55, v15
	v_fmac_f32_e32 v84, v51, v10
	v_fma_f32 v8, v52, v12, -v13
	v_add_f32_e32 v3, v7, v82
	v_add_f32_e32 v2, v2, v5
	s_waitcnt vmcnt(8) lgkmcnt(4)
	v_mul_f32_e32 v87, v56, v17
	v_mul_f32_e32 v17, v57, v17
	v_fmac_f32_e32 v85, v53, v12
	v_fma_f32 v9, v54, v14, -v15
	v_add_f32_e32 v3, v3, v84
	;; [unrolled: 13-line block ×4, first 2 shown]
	v_add_f32_e32 v2, v2, v12
	v_fmac_f32_e32 v90, v63, v22
	v_fma_f32 v14, v64, v24, -v25
	v_add_f32_e32 v3, v3, v89
	v_add_f32_e32 v2, v2, v13
	v_mul_f32_e32 v81, v66, v27
	v_fmac_f32_e32 v91, v65, v24
	v_add_f32_e32 v3, v3, v90
	v_add_f32_e32 v12, v2, v14
	v_mul_f32_e32 v2, v67, v27
	s_waitcnt vmcnt(5)
	v_mov_b32_e32 v16, v31
	s_waitcnt lgkmcnt(1)
	v_mul_f32_e32 v83, v68, v29
	v_fmac_f32_e32 v81, v67, v26
	v_add_f32_e32 v13, v3, v91
	v_fma_f32 v80, v66, v26, -v2
	v_mul_f32_e32 v2, v69, v29
	v_pk_mul_f32 v[16:17], v[70:71], v[16:17] op_sel:[1,0] op_sel_hi:[0,0]
	v_fmac_f32_e32 v83, v69, v28
	v_fma_f32 v82, v68, v28, -v2
	v_pk_add_f32 v[12:13], v[12:13], v[80:81]
	v_pk_fma_f32 v[18:19], v[70:71], v[30:31], v[16:17] neg_lo:[0,0,1] neg_hi:[0,0,1]
	v_pk_fma_f32 v[16:17], v[70:71], v[30:31], v[16:17] op_sel_hi:[1,0,1]
	v_pk_add_f32 v[12:13], v[12:13], v[82:83]
	v_mov_b32_e32 v19, v17
	s_waitcnt vmcnt(4) lgkmcnt(0)
	v_pk_mul_f32 v[16:17], v[72:73], v[32:33] op_sel:[1,1] op_sel_hi:[0,1]
	v_pk_add_f32 v[12:13], v[12:13], v[18:19]
	v_pk_fma_f32 v[18:19], v[72:73], v[32:33], v[16:17] neg_lo:[0,0,1] neg_hi:[0,0,1]
	v_pk_fma_f32 v[16:17], v[72:73], v[32:33], v[16:17] op_sel_hi:[1,0,1]
	ds_read2_b64 v[2:5], v6 offset0:111 offset1:112
	ds_read2_b64 v[8:11], v6 offset0:113 offset1:114
	ds_read_b64 v[14:15], v6 offset:920
	v_mov_b32_e32 v16, v35
	v_mov_b32_e32 v19, v17
	v_pk_mul_f32 v[16:17], v[74:75], v[16:17] op_sel:[1,0] op_sel_hi:[0,0]
	v_pk_add_f32 v[12:13], v[12:13], v[18:19]
	v_pk_fma_f32 v[18:19], v[74:75], v[34:35], v[16:17] neg_lo:[0,0,1] neg_hi:[0,0,1]
	v_pk_fma_f32 v[16:17], v[74:75], v[34:35], v[16:17] op_sel_hi:[1,0,1]
	s_nop 0
	v_mov_b32_e32 v19, v17
	s_waitcnt vmcnt(3) lgkmcnt(2)
	v_pk_mul_f32 v[16:17], v[2:3], v[36:37] op_sel:[1,1] op_sel_hi:[0,1]
	v_pk_add_f32 v[12:13], v[12:13], v[18:19]
	v_pk_fma_f32 v[18:19], v[2:3], v[36:37], v[16:17] neg_lo:[0,0,1] neg_hi:[0,0,1]
	v_pk_fma_f32 v[2:3], v[2:3], v[36:37], v[16:17] op_sel_hi:[1,0,1]
	s_nop 0
	v_mov_b32_e32 v19, v3
	v_pk_add_f32 v[2:3], v[12:13], v[18:19]
	v_mov_b32_e32 v12, v39
	v_pk_mul_f32 v[12:13], v[4:5], v[12:13] op_sel:[1,0] op_sel_hi:[0,0]
	v_pk_fma_f32 v[16:17], v[4:5], v[38:39], v[12:13] neg_lo:[0,0,1] neg_hi:[0,0,1]
	v_pk_fma_f32 v[4:5], v[4:5], v[38:39], v[12:13] op_sel_hi:[1,0,1]
	s_nop 0
	v_mov_b32_e32 v17, v5
	s_waitcnt vmcnt(2) lgkmcnt(1)
	v_pk_mul_f32 v[4:5], v[8:9], v[40:41] op_sel:[1,1] op_sel_hi:[0,1]
	v_pk_fma_f32 v[12:13], v[8:9], v[40:41], v[4:5] neg_lo:[0,0,1] neg_hi:[0,0,1]
	v_pk_fma_f32 v[4:5], v[8:9], v[40:41], v[4:5] op_sel_hi:[1,0,1]
	v_pk_add_f32 v[2:3], v[2:3], v[16:17]
	v_mov_b32_e32 v4, v43
	v_mov_b32_e32 v13, v5
	v_pk_mul_f32 v[4:5], v[10:11], v[4:5] op_sel:[1,0] op_sel_hi:[0,0]
	v_pk_fma_f32 v[8:9], v[10:11], v[42:43], v[4:5] neg_lo:[0,0,1] neg_hi:[0,0,1]
	v_pk_fma_f32 v[4:5], v[10:11], v[42:43], v[4:5] op_sel_hi:[1,0,1]
	v_pk_add_f32 v[2:3], v[2:3], v[12:13]
	v_mov_b32_e32 v9, v5
	s_waitcnt vmcnt(1) lgkmcnt(0)
	v_pk_mul_f32 v[4:5], v[14:15], v[76:77] op_sel:[1,1] op_sel_hi:[0,1]
	v_pk_add_f32 v[2:3], v[2:3], v[8:9]
	v_pk_fma_f32 v[8:9], v[14:15], v[76:77], v[4:5] neg_lo:[0,0,1] neg_hi:[0,0,1]
	v_pk_fma_f32 v[4:5], v[14:15], v[76:77], v[4:5] op_sel_hi:[1,0,1]
	s_nop 0
	v_mov_b32_e32 v9, v5
	v_pk_add_f32 v[2:3], v[2:3], v[8:9]
	s_waitcnt vmcnt(0)
	v_pk_add_f32 v[2:3], v[78:79], v[2:3] neg_lo:[0,1] neg_hi:[0,1]
	scratch_store_dwordx2 off, v[2:3], off offset:288
	s_and_saveexec_b64 s[0:1], vcc
	s_cbranch_execz .LBB121_291
; %bb.290:
	scratch_load_dwordx2 v[2:3], off, off offset:280
	v_mov_b32_e32 v7, v6
	scratch_store_dwordx2 off, v[6:7], off offset:280
	s_waitcnt vmcnt(1)
	ds_write_b64 v1, v[2:3]
.LBB121_291:
	s_or_b64 exec, exec, s[0:1]
	s_waitcnt lgkmcnt(0)
	; wave barrier
	scratch_load_dwordx4 v[8:11], off, off offset:288
	scratch_load_dwordx4 v[12:15], off, off offset:304
	;; [unrolled: 1-line block ×7, first 2 shown]
	ds_read_b128 v[36:39], v6 offset:752
	ds_read_b128 v[40:43], v6 offset:768
	;; [unrolled: 1-line block ×6, first 2 shown]
	scratch_load_dwordx4 v[60:63], off, off offset:400
	scratch_load_dwordx4 v[64:67], off, off offset:416
	;; [unrolled: 1-line block ×4, first 2 shown]
	ds_read_b128 v[72:75], v6 offset:848
	ds_read_b128 v[76:79], v6 offset:864
	scratch_load_dwordx2 v[80:81], off, off offset:280
	v_cmp_lt_u32_e32 vcc, 34, v0
	s_waitcnt vmcnt(11) lgkmcnt(7)
	v_mul_f32_e32 v7, v36, v9
	v_mul_f32_e32 v82, v38, v11
	;; [unrolled: 1-line block ×3, first 2 shown]
	v_fmac_f32_e32 v7, v37, v8
	s_waitcnt vmcnt(10) lgkmcnt(6)
	v_mul_f32_e32 v84, v40, v13
	v_mul_f32_e32 v11, v39, v11
	v_fmac_f32_e32 v82, v39, v10
	v_fma_f32 v8, v36, v8, -v9
	v_add_f32_e32 v7, 0, v7
	v_mul_f32_e32 v86, v42, v15
	v_mul_f32_e32 v13, v41, v13
	v_fmac_f32_e32 v84, v41, v12
	v_fma_f32 v9, v38, v10, -v11
	v_add_f32_e32 v8, 0, v8
	v_add_f32_e32 v7, v7, v82
	s_waitcnt vmcnt(9) lgkmcnt(5)
	v_mul_f32_e32 v87, v44, v17
	v_mul_f32_e32 v15, v43, v15
	v_fmac_f32_e32 v86, v43, v14
	v_fma_f32 v10, v40, v12, -v13
	v_add_f32_e32 v8, v8, v9
	v_add_f32_e32 v7, v7, v84
	v_mul_f32_e32 v88, v46, v19
	v_mul_f32_e32 v17, v45, v17
	v_fmac_f32_e32 v87, v45, v16
	v_fma_f32 v11, v42, v14, -v15
	v_add_f32_e32 v8, v8, v10
	v_add_f32_e32 v7, v7, v86
	s_waitcnt vmcnt(8) lgkmcnt(4)
	v_mul_f32_e32 v89, v48, v21
	v_mul_f32_e32 v19, v47, v19
	v_fmac_f32_e32 v88, v47, v18
	v_fma_f32 v12, v44, v16, -v17
	v_add_f32_e32 v8, v8, v11
	;; [unrolled: 13-line block ×4, first 2 shown]
	v_add_f32_e32 v7, v7, v91
	v_mul_f32_e32 v94, v58, v31
	v_mul_f32_e32 v29, v57, v29
	v_fmac_f32_e32 v93, v57, v28
	v_fma_f32 v17, v54, v26, -v27
	v_add_f32_e32 v8, v8, v16
	v_add_f32_e32 v7, v7, v92
	v_fmac_f32_e32 v94, v59, v30
	v_fma_f32 v18, v56, v28, -v29
	v_add_f32_e32 v8, v8, v17
	v_add_f32_e32 v7, v7, v93
	;; [unrolled: 1-line block ×4, first 2 shown]
	v_mul_f32_e32 v8, v59, v31
	v_fma_f32 v8, v58, v30, -v8
	s_waitcnt vmcnt(5) lgkmcnt(1)
	v_mul_f32_e32 v83, v72, v33
	v_add_f32_e32 v20, v7, v8
	v_mul_f32_e32 v7, v73, v33
	v_fmac_f32_e32 v83, v73, v32
	v_fma_f32 v82, v72, v32, -v7
	v_mul_f32_e32 v7, v75, v35
	v_fma_f32 v84, v74, v34, -v7
	ds_read_b128 v[8:11], v6 offset:880
	ds_read_b128 v[12:15], v6 offset:896
	;; [unrolled: 1-line block ×3, first 2 shown]
	v_pk_add_f32 v[6:7], v[20:21], v[82:83]
	s_waitcnt vmcnt(4) lgkmcnt(3)
	v_pk_mul_f32 v[20:21], v[76:77], v[60:61] op_sel:[1,1] op_sel_hi:[0,1]
	v_mul_f32_e32 v85, v74, v35
	v_pk_fma_f32 v[22:23], v[76:77], v[60:61], v[20:21] neg_lo:[0,0,1] neg_hi:[0,0,1]
	v_pk_fma_f32 v[20:21], v[76:77], v[60:61], v[20:21] op_sel_hi:[1,0,1]
	v_fmac_f32_e32 v85, v75, v34
	v_mov_b32_e32 v20, v63
	v_pk_add_f32 v[6:7], v[6:7], v[84:85]
	v_mov_b32_e32 v23, v21
	v_pk_mul_f32 v[20:21], v[78:79], v[20:21] op_sel:[1,0] op_sel_hi:[0,0]
	v_pk_add_f32 v[6:7], v[6:7], v[22:23]
	v_pk_fma_f32 v[22:23], v[78:79], v[62:63], v[20:21] neg_lo:[0,0,1] neg_hi:[0,0,1]
	v_pk_fma_f32 v[20:21], v[78:79], v[62:63], v[20:21] op_sel_hi:[1,0,1]
	s_nop 0
	v_mov_b32_e32 v23, v21
	s_waitcnt vmcnt(3) lgkmcnt(2)
	v_pk_mul_f32 v[20:21], v[8:9], v[64:65] op_sel:[1,1] op_sel_hi:[0,1]
	v_pk_add_f32 v[6:7], v[6:7], v[22:23]
	v_pk_fma_f32 v[22:23], v[8:9], v[64:65], v[20:21] neg_lo:[0,0,1] neg_hi:[0,0,1]
	v_pk_fma_f32 v[8:9], v[8:9], v[64:65], v[20:21] op_sel_hi:[1,0,1]
	s_nop 0
	v_mov_b32_e32 v8, v67
	v_mov_b32_e32 v23, v9
	v_pk_mul_f32 v[8:9], v[10:11], v[8:9] op_sel:[1,0] op_sel_hi:[0,0]
	v_pk_fma_f32 v[20:21], v[10:11], v[66:67], v[8:9] neg_lo:[0,0,1] neg_hi:[0,0,1]
	v_pk_fma_f32 v[8:9], v[10:11], v[66:67], v[8:9] op_sel_hi:[1,0,1]
	v_pk_add_f32 v[6:7], v[6:7], v[22:23]
	v_mov_b32_e32 v21, v9
	s_waitcnt vmcnt(2) lgkmcnt(1)
	v_pk_mul_f32 v[8:9], v[12:13], v[68:69] op_sel:[1,1] op_sel_hi:[0,1]
	v_pk_fma_f32 v[10:11], v[12:13], v[68:69], v[8:9] neg_lo:[0,0,1] neg_hi:[0,0,1]
	v_pk_fma_f32 v[8:9], v[12:13], v[68:69], v[8:9] op_sel_hi:[1,0,1]
	v_pk_add_f32 v[6:7], v[6:7], v[20:21]
	v_mov_b32_e32 v8, v71
	v_mov_b32_e32 v11, v9
	v_pk_mul_f32 v[8:9], v[14:15], v[8:9] op_sel:[1,0] op_sel_hi:[0,0]
	v_pk_add_f32 v[6:7], v[6:7], v[10:11]
	v_pk_fma_f32 v[10:11], v[14:15], v[70:71], v[8:9] neg_lo:[0,0,1] neg_hi:[0,0,1]
	v_pk_fma_f32 v[8:9], v[14:15], v[70:71], v[8:9] op_sel_hi:[1,0,1]
	s_nop 0
	v_mov_b32_e32 v11, v9
	s_waitcnt vmcnt(1) lgkmcnt(0)
	v_pk_mul_f32 v[8:9], v[16:17], v[2:3] op_sel:[1,1] op_sel_hi:[0,1]
	v_pk_add_f32 v[6:7], v[6:7], v[10:11]
	v_pk_fma_f32 v[10:11], v[16:17], v[2:3], v[8:9] neg_lo:[0,0,1] neg_hi:[0,0,1]
	v_pk_fma_f32 v[2:3], v[16:17], v[2:3], v[8:9] op_sel_hi:[1,0,1]
	s_nop 0
	v_mov_b32_e32 v11, v3
	v_pk_add_f32 v[2:3], v[6:7], v[10:11]
	v_mov_b32_e32 v6, v5
	v_pk_mul_f32 v[6:7], v[18:19], v[6:7] op_sel:[1,0] op_sel_hi:[0,0]
	v_pk_fma_f32 v[8:9], v[18:19], v[4:5], v[6:7] neg_lo:[0,0,1] neg_hi:[0,0,1]
	v_pk_fma_f32 v[4:5], v[18:19], v[4:5], v[6:7] op_sel_hi:[1,0,1]
	s_nop 0
	v_mov_b32_e32 v9, v5
	v_pk_add_f32 v[2:3], v[2:3], v[8:9]
	s_waitcnt vmcnt(0)
	v_pk_add_f32 v[2:3], v[80:81], v[2:3] neg_lo:[0,1] neg_hi:[0,1]
	scratch_store_dwordx2 off, v[2:3], off offset:280
	s_and_saveexec_b64 s[0:1], vcc
	s_cbranch_execz .LBB121_293
; %bb.292:
	scratch_load_dwordx2 v[2:3], off, off offset:272
	v_mov_b32_e32 v4, 0
	v_mov_b32_e32 v5, v4
	scratch_store_dwordx2 off, v[4:5], off offset:272
	s_waitcnt vmcnt(1)
	ds_write_b64 v1, v[2:3]
.LBB121_293:
	s_or_b64 exec, exec, s[0:1]
	s_waitcnt lgkmcnt(0)
	; wave barrier
	scratch_load_dwordx4 v[2:5], off, off offset:280
	scratch_load_dwordx4 v[14:17], off, off offset:296
	;; [unrolled: 1-line block ×11, first 2 shown]
	scratch_load_dwordx2 v[22:23], off, off offset:456
	scratch_load_dwordx2 v[36:37], off, off offset:272
	v_mov_b32_e32 v38, 0
	ds_read2_b64 v[52:55], v38 offset0:93 offset1:94
	ds_read2_b64 v[56:59], v38 offset0:95 offset1:96
	;; [unrolled: 1-line block ×8, first 2 shown]
	v_cmp_lt_u32_e32 vcc, 33, v0
	s_waitcnt vmcnt(12) lgkmcnt(7)
	v_mul_f32_e32 v39, v52, v3
	v_mul_f32_e32 v84, v54, v5
	;; [unrolled: 1-line block ×3, first 2 shown]
	v_fmac_f32_e32 v39, v53, v2
	s_waitcnt vmcnt(8) lgkmcnt(3)
	v_mul_f32_e32 v93, v68, v19
	v_mul_f32_e32 v19, v69, v19
	;; [unrolled: 1-line block ×4, first 2 shown]
	v_fmac_f32_e32 v84, v55, v4
	v_fmac_f32_e32 v93, v69, v18
	v_fma_f32 v2, v52, v2, -v3
	v_fma_f32 v18, v68, v18, -v19
	v_add_f32_e32 v19, 0, v39
	v_mul_f32_e32 v88, v58, v17
	v_fmac_f32_e32 v86, v57, v14
	v_fma_f32 v3, v54, v4, -v5
	v_add_f32_e32 v2, 0, v2
	v_add_f32_e32 v19, v19, v84
	v_mul_f32_e32 v89, v60, v25
	v_fmac_f32_e32 v88, v59, v16
	v_add_f32_e32 v2, v2, v3
	v_add_f32_e32 v3, v19, v86
	v_mul_f32_e32 v90, v62, v27
	v_fmac_f32_e32 v89, v61, v24
	v_add_f32_e32 v3, v3, v88
	v_mul_f32_e32 v91, v64, v29
	v_mul_f32_e32 v15, v57, v15
	v_fmac_f32_e32 v90, v63, v26
	v_add_f32_e32 v3, v3, v89
	v_mul_f32_e32 v92, v66, v31
	v_mul_f32_e32 v17, v59, v17
	v_fmac_f32_e32 v91, v65, v28
	v_fma_f32 v4, v56, v14, -v15
	v_add_f32_e32 v3, v3, v90
	v_mul_f32_e32 v25, v61, v25
	v_fmac_f32_e32 v92, v67, v30
	v_fma_f32 v5, v58, v16, -v17
	v_add_f32_e32 v2, v2, v4
	v_add_f32_e32 v3, v3, v91
	v_mul_f32_e32 v94, v70, v21
	v_mul_f32_e32 v27, v63, v27
	v_fma_f32 v14, v60, v24, -v25
	v_add_f32_e32 v2, v2, v5
	v_add_f32_e32 v3, v3, v92
	s_waitcnt vmcnt(7) lgkmcnt(2)
	v_mul_f32_e32 v95, v72, v33
	v_mul_f32_e32 v29, v65, v29
	v_fmac_f32_e32 v94, v71, v20
	v_fma_f32 v15, v62, v26, -v27
	v_add_f32_e32 v2, v2, v14
	v_add_f32_e32 v3, v3, v93
	v_mul_f32_e32 v96, v74, v35
	v_mul_f32_e32 v31, v67, v31
	v_fmac_f32_e32 v95, v73, v32
	v_fma_f32 v16, v64, v28, -v29
	v_add_f32_e32 v2, v2, v15
	v_add_f32_e32 v3, v3, v94
	s_waitcnt vmcnt(6) lgkmcnt(1)
	v_mul_f32_e32 v97, v76, v41
	v_fmac_f32_e32 v96, v75, v34
	v_fma_f32 v17, v66, v30, -v31
	v_add_f32_e32 v2, v2, v16
	v_add_f32_e32 v3, v3, v95
	v_mul_f32_e32 v21, v71, v21
	v_fmac_f32_e32 v97, v77, v40
	v_add_f32_e32 v2, v2, v17
	v_add_f32_e32 v3, v3, v96
	v_add_f32_e32 v2, v2, v18
	v_add_f32_e32 v25, v3, v97
	v_fma_f32 v3, v70, v20, -v21
	v_add_f32_e32 v2, v2, v3
	v_mul_f32_e32 v3, v73, v33
	v_fma_f32 v3, v72, v32, -v3
	v_add_f32_e32 v2, v2, v3
	v_mul_f32_e32 v3, v75, v35
	;; [unrolled: 3-line block ×4, first 2 shown]
	v_mul_f32_e32 v85, v78, v43
	v_fma_f32 v84, v78, v42, -v2
	s_waitcnt vmcnt(5) lgkmcnt(0)
	v_mul_f32_e32 v2, v81, v45
	v_mov_b32_e32 v28, v47
	v_mul_f32_e32 v87, v80, v45
	v_fmac_f32_e32 v85, v79, v42
	v_fma_f32 v86, v80, v44, -v2
	ds_read2_b64 v[2:5], v38 offset0:109 offset1:110
	ds_read2_b64 v[14:17], v38 offset0:111 offset1:112
	ds_read2_b64 v[18:21], v38 offset0:113 offset1:114
	ds_read_b64 v[26:27], v38 offset:920
	v_pk_mul_f32 v[28:29], v[82:83], v[28:29] op_sel:[1,0] op_sel_hi:[0,0]
	v_fmac_f32_e32 v87, v81, v44
	v_pk_add_f32 v[24:25], v[24:25], v[84:85]
	v_pk_fma_f32 v[30:31], v[82:83], v[46:47], v[28:29] neg_lo:[0,0,1] neg_hi:[0,0,1]
	v_pk_fma_f32 v[28:29], v[82:83], v[46:47], v[28:29] op_sel_hi:[1,0,1]
	v_pk_add_f32 v[24:25], v[24:25], v[86:87]
	v_mov_b32_e32 v31, v29
	s_waitcnt vmcnt(4) lgkmcnt(3)
	v_pk_mul_f32 v[28:29], v[2:3], v[48:49] op_sel:[1,1] op_sel_hi:[0,1]
	v_pk_add_f32 v[24:25], v[24:25], v[30:31]
	v_pk_fma_f32 v[30:31], v[2:3], v[48:49], v[28:29] neg_lo:[0,0,1] neg_hi:[0,0,1]
	v_pk_fma_f32 v[2:3], v[2:3], v[48:49], v[28:29] op_sel_hi:[1,0,1]
	s_nop 0
	v_mov_b32_e32 v31, v3
	v_pk_add_f32 v[2:3], v[24:25], v[30:31]
	v_mov_b32_e32 v24, v51
	v_pk_mul_f32 v[24:25], v[4:5], v[24:25] op_sel:[1,0] op_sel_hi:[0,0]
	v_pk_fma_f32 v[28:29], v[4:5], v[50:51], v[24:25] neg_lo:[0,0,1] neg_hi:[0,0,1]
	v_pk_fma_f32 v[4:5], v[4:5], v[50:51], v[24:25] op_sel_hi:[1,0,1]
	s_nop 0
	v_mov_b32_e32 v29, v5
	s_waitcnt vmcnt(3) lgkmcnt(2)
	v_pk_mul_f32 v[4:5], v[14:15], v[10:11] op_sel:[1,1] op_sel_hi:[0,1]
	v_pk_fma_f32 v[24:25], v[14:15], v[10:11], v[4:5] neg_lo:[0,0,1] neg_hi:[0,0,1]
	v_pk_fma_f32 v[4:5], v[14:15], v[10:11], v[4:5] op_sel_hi:[1,0,1]
	v_pk_add_f32 v[2:3], v[2:3], v[28:29]
	v_mov_b32_e32 v4, v13
	v_mov_b32_e32 v25, v5
	v_pk_mul_f32 v[4:5], v[16:17], v[4:5] op_sel:[1,0] op_sel_hi:[0,0]
	v_pk_fma_f32 v[10:11], v[16:17], v[12:13], v[4:5] neg_lo:[0,0,1] neg_hi:[0,0,1]
	v_pk_fma_f32 v[4:5], v[16:17], v[12:13], v[4:5] op_sel_hi:[1,0,1]
	v_pk_add_f32 v[2:3], v[2:3], v[24:25]
	v_mov_b32_e32 v11, v5
	s_waitcnt vmcnt(2) lgkmcnt(1)
	v_pk_mul_f32 v[4:5], v[18:19], v[6:7] op_sel:[1,1] op_sel_hi:[0,1]
	v_pk_add_f32 v[2:3], v[2:3], v[10:11]
	v_pk_fma_f32 v[10:11], v[18:19], v[6:7], v[4:5] neg_lo:[0,0,1] neg_hi:[0,0,1]
	v_pk_fma_f32 v[4:5], v[18:19], v[6:7], v[4:5] op_sel_hi:[1,0,1]
	s_nop 0
	v_mov_b32_e32 v4, v9
	v_mov_b32_e32 v11, v5
	v_pk_mul_f32 v[4:5], v[20:21], v[4:5] op_sel:[1,0] op_sel_hi:[0,0]
	v_pk_fma_f32 v[6:7], v[20:21], v[8:9], v[4:5] neg_lo:[0,0,1] neg_hi:[0,0,1]
	v_pk_fma_f32 v[4:5], v[20:21], v[8:9], v[4:5] op_sel_hi:[1,0,1]
	v_pk_add_f32 v[2:3], v[2:3], v[10:11]
	v_mov_b32_e32 v7, v5
	s_waitcnt vmcnt(1) lgkmcnt(0)
	v_pk_mul_f32 v[4:5], v[26:27], v[22:23] op_sel:[1,1] op_sel_hi:[0,1]
	v_pk_add_f32 v[2:3], v[2:3], v[6:7]
	v_pk_fma_f32 v[6:7], v[26:27], v[22:23], v[4:5] neg_lo:[0,0,1] neg_hi:[0,0,1]
	v_pk_fma_f32 v[4:5], v[26:27], v[22:23], v[4:5] op_sel_hi:[1,0,1]
	s_nop 0
	v_mov_b32_e32 v7, v5
	v_pk_add_f32 v[2:3], v[2:3], v[6:7]
	s_waitcnt vmcnt(0)
	v_pk_add_f32 v[2:3], v[36:37], v[2:3] neg_lo:[0,1] neg_hi:[0,1]
	scratch_store_dwordx2 off, v[2:3], off offset:272
	s_and_saveexec_b64 s[0:1], vcc
	s_cbranch_execz .LBB121_295
; %bb.294:
	scratch_load_dwordx2 v[2:3], off, off offset:264
	v_mov_b32_e32 v39, v38
	scratch_store_dwordx2 off, v[38:39], off offset:264
	s_waitcnt vmcnt(1)
	ds_write_b64 v1, v[2:3]
.LBB121_295:
	s_or_b64 exec, exec, s[0:1]
	s_waitcnt lgkmcnt(0)
	; wave barrier
	scratch_load_dwordx4 v[6:9], off, off offset:272
	scratch_load_dwordx4 v[18:21], off, off offset:288
	;; [unrolled: 1-line block ×8, first 2 shown]
	ds_read_b128 v[48:51], v38 offset:736
	ds_read_b128 v[52:55], v38 offset:752
	;; [unrolled: 1-line block ×8, first 2 shown]
	scratch_load_dwordx4 v[80:83], off, off offset:400
	scratch_load_dwordx4 v[26:29], off, off offset:416
	scratch_load_dwordx4 v[10:13], off, off offset:432
	scratch_load_dwordx4 v[2:5], off, off offset:448
	scratch_load_dwordx2 v[84:85], off, off offset:264
	v_cmp_lt_u32_e32 vcc, 32, v0
	s_waitcnt vmcnt(12) lgkmcnt(7)
	v_mul_f32_e32 v39, v48, v7
	v_mul_f32_e32 v86, v50, v9
	v_mul_f32_e32 v7, v49, v7
	v_fmac_f32_e32 v39, v49, v6
	s_waitcnt vmcnt(8) lgkmcnt(3)
	v_mul_f32_e32 v95, v64, v15
	v_mul_f32_e32 v15, v65, v15
	;; [unrolled: 1-line block ×4, first 2 shown]
	v_fmac_f32_e32 v86, v51, v8
	v_fmac_f32_e32 v95, v65, v14
	v_fma_f32 v6, v48, v6, -v7
	v_fma_f32 v14, v64, v14, -v15
	v_add_f32_e32 v15, 0, v39
	v_mul_f32_e32 v90, v54, v21
	v_fmac_f32_e32 v88, v53, v18
	v_fma_f32 v7, v50, v8, -v9
	v_add_f32_e32 v6, 0, v6
	v_add_f32_e32 v15, v15, v86
	v_mul_f32_e32 v91, v56, v35
	v_fmac_f32_e32 v90, v55, v20
	v_add_f32_e32 v6, v6, v7
	v_add_f32_e32 v7, v15, v88
	v_mul_f32_e32 v92, v58, v37
	v_fmac_f32_e32 v91, v57, v34
	v_add_f32_e32 v7, v7, v90
	v_mul_f32_e32 v93, v60, v41
	v_fmac_f32_e32 v92, v59, v36
	;; [unrolled: 3-line block ×4, first 2 shown]
	v_add_f32_e32 v7, v7, v93
	v_mul_f32_e32 v96, v66, v17
	v_mul_f32_e32 v21, v55, v21
	v_fma_f32 v8, v52, v18, -v19
	v_add_f32_e32 v7, v7, v94
	s_waitcnt vmcnt(7) lgkmcnt(2)
	v_mul_f32_e32 v97, v68, v23
	v_mul_f32_e32 v35, v57, v35
	v_fmac_f32_e32 v96, v67, v16
	v_fma_f32 v9, v54, v20, -v21
	v_add_f32_e32 v6, v6, v8
	v_add_f32_e32 v7, v7, v95
	v_mul_f32_e32 v98, v70, v25
	v_mul_f32_e32 v37, v59, v37
	v_fmac_f32_e32 v97, v69, v22
	v_fma_f32 v18, v56, v34, -v35
	v_add_f32_e32 v6, v6, v9
	v_add_f32_e32 v7, v7, v96
	s_waitcnt vmcnt(6) lgkmcnt(1)
	v_mul_f32_e32 v99, v72, v31
	v_mul_f32_e32 v41, v61, v41
	v_fmac_f32_e32 v98, v71, v24
	v_fma_f32 v19, v58, v36, -v37
	v_add_f32_e32 v6, v6, v18
	v_add_f32_e32 v7, v7, v97
	v_mul_f32_e32 v100, v74, v33
	v_mul_f32_e32 v43, v63, v43
	v_fmac_f32_e32 v99, v73, v30
	v_fma_f32 v20, v60, v40, -v41
	v_add_f32_e32 v6, v6, v19
	v_add_f32_e32 v7, v7, v98
	v_fmac_f32_e32 v100, v75, v32
	v_fma_f32 v21, v62, v42, -v43
	v_add_f32_e32 v6, v6, v20
	v_add_f32_e32 v7, v7, v99
	;; [unrolled: 1-line block ×4, first 2 shown]
	v_mul_f32_e32 v7, v67, v17
	v_add_f32_e32 v6, v6, v14
	v_fma_f32 v7, v66, v16, -v7
	v_add_f32_e32 v6, v6, v7
	v_mul_f32_e32 v7, v69, v23
	v_fma_f32 v7, v68, v22, -v7
	v_add_f32_e32 v6, v6, v7
	v_mul_f32_e32 v7, v71, v25
	;; [unrolled: 3-line block ×4, first 2 shown]
	v_fma_f32 v7, v74, v32, -v7
	v_add_f32_e32 v34, v6, v7
	s_waitcnt vmcnt(5) lgkmcnt(0)
	v_mul_f32_e32 v6, v77, v45
	v_fma_f32 v86, v76, v44, -v6
	v_mul_f32_e32 v6, v79, v47
	v_fma_f32 v88, v78, v46, -v6
	ds_read_b128 v[6:9], v38 offset:864
	ds_read_b128 v[14:17], v38 offset:880
	ds_read_b128 v[18:21], v38 offset:896
	ds_read_b128 v[22:25], v38 offset:912
	v_mul_f32_e32 v87, v76, v45
	v_mul_f32_e32 v89, v78, v47
	v_fmac_f32_e32 v87, v77, v44
	s_waitcnt vmcnt(4) lgkmcnt(3)
	v_pk_mul_f32 v[32:33], v[6:7], v[80:81] op_sel:[1,1] op_sel_hi:[0,1]
	v_fmac_f32_e32 v89, v79, v46
	v_pk_add_f32 v[30:31], v[34:35], v[86:87]
	v_pk_fma_f32 v[34:35], v[6:7], v[80:81], v[32:33] neg_lo:[0,0,1] neg_hi:[0,0,1]
	v_pk_fma_f32 v[6:7], v[6:7], v[80:81], v[32:33] op_sel_hi:[1,0,1]
	v_pk_add_f32 v[30:31], v[30:31], v[88:89]
	v_mov_b32_e32 v35, v7
	v_pk_add_f32 v[6:7], v[30:31], v[34:35]
	v_mov_b32_e32 v30, v83
	v_pk_mul_f32 v[30:31], v[8:9], v[30:31] op_sel:[1,0] op_sel_hi:[0,0]
	v_pk_fma_f32 v[32:33], v[8:9], v[82:83], v[30:31] neg_lo:[0,0,1] neg_hi:[0,0,1]
	v_pk_fma_f32 v[8:9], v[8:9], v[82:83], v[30:31] op_sel_hi:[1,0,1]
	s_nop 0
	v_mov_b32_e32 v33, v9
	s_waitcnt vmcnt(3) lgkmcnt(2)
	v_pk_mul_f32 v[8:9], v[14:15], v[26:27] op_sel:[1,1] op_sel_hi:[0,1]
	v_pk_fma_f32 v[30:31], v[14:15], v[26:27], v[8:9] neg_lo:[0,0,1] neg_hi:[0,0,1]
	v_pk_fma_f32 v[8:9], v[14:15], v[26:27], v[8:9] op_sel_hi:[1,0,1]
	v_pk_add_f32 v[6:7], v[6:7], v[32:33]
	v_mov_b32_e32 v8, v29
	v_mov_b32_e32 v31, v9
	v_pk_mul_f32 v[8:9], v[16:17], v[8:9] op_sel:[1,0] op_sel_hi:[0,0]
	v_pk_fma_f32 v[14:15], v[16:17], v[28:29], v[8:9] neg_lo:[0,0,1] neg_hi:[0,0,1]
	v_pk_fma_f32 v[8:9], v[16:17], v[28:29], v[8:9] op_sel_hi:[1,0,1]
	v_pk_add_f32 v[6:7], v[6:7], v[30:31]
	v_mov_b32_e32 v15, v9
	s_waitcnt vmcnt(2) lgkmcnt(1)
	v_pk_mul_f32 v[8:9], v[18:19], v[10:11] op_sel:[1,1] op_sel_hi:[0,1]
	v_pk_add_f32 v[6:7], v[6:7], v[14:15]
	v_pk_fma_f32 v[14:15], v[18:19], v[10:11], v[8:9] neg_lo:[0,0,1] neg_hi:[0,0,1]
	v_pk_fma_f32 v[8:9], v[18:19], v[10:11], v[8:9] op_sel_hi:[1,0,1]
	s_nop 0
	v_mov_b32_e32 v8, v13
	v_mov_b32_e32 v15, v9
	v_pk_mul_f32 v[8:9], v[20:21], v[8:9] op_sel:[1,0] op_sel_hi:[0,0]
	v_pk_fma_f32 v[10:11], v[20:21], v[12:13], v[8:9] neg_lo:[0,0,1] neg_hi:[0,0,1]
	v_pk_fma_f32 v[8:9], v[20:21], v[12:13], v[8:9] op_sel_hi:[1,0,1]
	v_pk_add_f32 v[6:7], v[6:7], v[14:15]
	v_mov_b32_e32 v11, v9
	s_waitcnt vmcnt(1) lgkmcnt(0)
	v_pk_mul_f32 v[8:9], v[22:23], v[2:3] op_sel:[1,1] op_sel_hi:[0,1]
	v_pk_add_f32 v[6:7], v[6:7], v[10:11]
	v_pk_fma_f32 v[10:11], v[22:23], v[2:3], v[8:9] neg_lo:[0,0,1] neg_hi:[0,0,1]
	v_pk_fma_f32 v[2:3], v[22:23], v[2:3], v[8:9] op_sel_hi:[1,0,1]
	s_nop 0
	v_mov_b32_e32 v11, v3
	v_pk_add_f32 v[2:3], v[6:7], v[10:11]
	v_mov_b32_e32 v6, v5
	v_pk_mul_f32 v[6:7], v[24:25], v[6:7] op_sel:[1,0] op_sel_hi:[0,0]
	v_pk_fma_f32 v[8:9], v[24:25], v[4:5], v[6:7] neg_lo:[0,0,1] neg_hi:[0,0,1]
	v_pk_fma_f32 v[4:5], v[24:25], v[4:5], v[6:7] op_sel_hi:[1,0,1]
	s_nop 0
	v_mov_b32_e32 v9, v5
	v_pk_add_f32 v[2:3], v[2:3], v[8:9]
	s_waitcnt vmcnt(0)
	v_pk_add_f32 v[2:3], v[84:85], v[2:3] neg_lo:[0,1] neg_hi:[0,1]
	scratch_store_dwordx2 off, v[2:3], off offset:264
	s_and_saveexec_b64 s[0:1], vcc
	s_cbranch_execz .LBB121_297
; %bb.296:
	scratch_load_dwordx2 v[2:3], off, off offset:256
	v_mov_b32_e32 v4, 0
	v_mov_b32_e32 v5, v4
	scratch_store_dwordx2 off, v[4:5], off offset:256
	s_waitcnt vmcnt(1)
	ds_write_b64 v1, v[2:3]
.LBB121_297:
	s_or_b64 exec, exec, s[0:1]
	s_waitcnt lgkmcnt(0)
	; wave barrier
	scratch_load_dwordx4 v[2:5], off, off offset:264
	scratch_load_dwordx4 v[22:25], off, off offset:280
	;; [unrolled: 1-line block ×12, first 2 shown]
	scratch_load_dwordx2 v[50:51], off, off offset:456
	scratch_load_dwordx2 v[56:57], off, off offset:256
	v_mov_b32_e32 v58, 0
	ds_read2_b64 v[52:55], v58 offset0:91 offset1:92
	ds_read2_b64 v[60:63], v58 offset0:93 offset1:94
	;; [unrolled: 1-line block ×10, first 2 shown]
	v_cmp_lt_u32_e32 vcc, 31, v0
	s_waitcnt vmcnt(13) lgkmcnt(9)
	v_mul_f32_e32 v59, v52, v3
	v_mul_f32_e32 v96, v54, v5
	;; [unrolled: 1-line block ×3, first 2 shown]
	s_waitcnt vmcnt(10) lgkmcnt(6)
	v_mul_f32_e32 v103, v68, v11
	v_mul_f32_e32 v11, v69, v11
	v_fmac_f32_e32 v59, v53, v2
	v_mul_f32_e32 v98, v60, v23
	v_mul_f32_e32 v5, v55, v5
	v_fmac_f32_e32 v96, v55, v4
	v_fmac_f32_e32 v103, v69, v10
	v_fma_f32 v2, v52, v2, -v3
	v_fma_f32 v10, v68, v10, -v11
	v_add_f32_e32 v11, 0, v59
	v_mul_f32_e32 v100, v62, v25
	v_fmac_f32_e32 v98, v61, v22
	v_fma_f32 v3, v54, v4, -v5
	v_add_f32_e32 v2, 0, v2
	v_add_f32_e32 v11, v11, v96
	v_mul_f32_e32 v101, v64, v39
	v_fmac_f32_e32 v100, v63, v24
	v_add_f32_e32 v2, v2, v3
	v_add_f32_e32 v3, v11, v98
	v_mul_f32_e32 v102, v66, v41
	v_fmac_f32_e32 v101, v65, v38
	v_add_f32_e32 v3, v3, v100
	v_fmac_f32_e32 v102, v67, v40
	v_add_f32_e32 v3, v3, v101
	v_mul_f32_e32 v104, v70, v13
	v_add_f32_e32 v3, v3, v102
	s_waitcnt vmcnt(9) lgkmcnt(5)
	v_mul_f32_e32 v105, v72, v15
	v_fmac_f32_e32 v104, v71, v12
	v_add_f32_e32 v3, v3, v103
	v_mul_f32_e32 v106, v74, v17
	v_fmac_f32_e32 v105, v73, v14
	v_add_f32_e32 v3, v3, v104
	s_waitcnt vmcnt(8) lgkmcnt(4)
	v_mul_f32_e32 v107, v76, v27
	v_fmac_f32_e32 v106, v75, v16
	v_add_f32_e32 v3, v3, v105
	v_mul_f32_e32 v108, v78, v29
	v_mul_f32_e32 v23, v61, v23
	v_fmac_f32_e32 v107, v77, v26
	v_add_f32_e32 v3, v3, v106
	s_waitcnt vmcnt(7) lgkmcnt(3)
	v_mul_f32_e32 v109, v80, v31
	v_mul_f32_e32 v25, v63, v25
	v_fmac_f32_e32 v108, v79, v28
	v_fma_f32 v4, v60, v22, -v23
	v_add_f32_e32 v3, v3, v107
	v_mul_f32_e32 v110, v82, v33
	v_mul_f32_e32 v39, v65, v39
	v_fmac_f32_e32 v109, v81, v30
	v_fma_f32 v5, v62, v24, -v25
	v_add_f32_e32 v2, v2, v4
	v_add_f32_e32 v3, v3, v108
	s_waitcnt vmcnt(6) lgkmcnt(2)
	v_mul_f32_e32 v111, v84, v43
	v_mul_f32_e32 v41, v67, v41
	v_fmac_f32_e32 v110, v83, v32
	v_fma_f32 v22, v64, v38, -v39
	v_add_f32_e32 v2, v2, v5
	v_add_f32_e32 v3, v3, v109
	v_fmac_f32_e32 v111, v85, v42
	v_fma_f32 v23, v66, v40, -v41
	v_add_f32_e32 v2, v2, v22
	v_add_f32_e32 v3, v3, v110
	;; [unrolled: 1-line block ×4, first 2 shown]
	v_mul_f32_e32 v3, v71, v13
	v_add_f32_e32 v2, v2, v10
	v_fma_f32 v3, v70, v12, -v3
	v_add_f32_e32 v2, v2, v3
	v_mul_f32_e32 v3, v73, v15
	v_fma_f32 v3, v72, v14, -v3
	v_add_f32_e32 v2, v2, v3
	v_mul_f32_e32 v3, v75, v17
	;; [unrolled: 3-line block ×7, first 2 shown]
	v_fma_f32 v3, v84, v42, -v3
	v_mul_f32_e32 v97, v86, v45
	v_add_f32_e32 v22, v2, v3
	v_mul_f32_e32 v2, v87, v45
	v_fmac_f32_e32 v97, v87, v44
	v_fma_f32 v96, v86, v44, -v2
	v_pk_add_f32 v[16:17], v[22:23], v[96:97]
	s_waitcnt vmcnt(5)
	v_mov_b32_e32 v22, v49
	s_waitcnt lgkmcnt(1)
	v_mul_f32_e32 v99, v88, v47
	v_mul_f32_e32 v2, v89, v47
	v_pk_mul_f32 v[22:23], v[90:91], v[22:23] op_sel:[1,0] op_sel_hi:[0,0]
	v_fmac_f32_e32 v99, v89, v46
	v_fma_f32 v98, v88, v46, -v2
	v_pk_fma_f32 v[24:25], v[90:91], v[48:49], v[22:23] neg_lo:[0,0,1] neg_hi:[0,0,1]
	v_pk_fma_f32 v[22:23], v[90:91], v[48:49], v[22:23] op_sel_hi:[1,0,1]
	v_pk_add_f32 v[16:17], v[16:17], v[98:99]
	v_mov_b32_e32 v25, v23
	s_waitcnt vmcnt(4) lgkmcnt(0)
	v_pk_mul_f32 v[22:23], v[92:93], v[34:35] op_sel:[1,1] op_sel_hi:[0,1]
	v_pk_add_f32 v[16:17], v[16:17], v[24:25]
	v_pk_fma_f32 v[24:25], v[92:93], v[34:35], v[22:23] neg_lo:[0,0,1] neg_hi:[0,0,1]
	v_pk_fma_f32 v[22:23], v[92:93], v[34:35], v[22:23] op_sel_hi:[1,0,1]
	ds_read2_b64 v[2:5], v58 offset0:111 offset1:112
	ds_read2_b64 v[10:13], v58 offset0:113 offset1:114
	ds_read_b64 v[14:15], v58 offset:920
	v_mov_b32_e32 v22, v37
	v_mov_b32_e32 v25, v23
	v_pk_mul_f32 v[22:23], v[94:95], v[22:23] op_sel:[1,0] op_sel_hi:[0,0]
	v_pk_add_f32 v[16:17], v[16:17], v[24:25]
	v_pk_fma_f32 v[24:25], v[94:95], v[36:37], v[22:23] neg_lo:[0,0,1] neg_hi:[0,0,1]
	v_pk_fma_f32 v[22:23], v[94:95], v[36:37], v[22:23] op_sel_hi:[1,0,1]
	s_nop 0
	v_mov_b32_e32 v25, v23
	s_waitcnt vmcnt(3) lgkmcnt(2)
	v_pk_mul_f32 v[22:23], v[2:3], v[18:19] op_sel:[1,1] op_sel_hi:[0,1]
	v_pk_add_f32 v[16:17], v[16:17], v[24:25]
	v_pk_fma_f32 v[24:25], v[2:3], v[18:19], v[22:23] neg_lo:[0,0,1] neg_hi:[0,0,1]
	v_pk_fma_f32 v[2:3], v[2:3], v[18:19], v[22:23] op_sel_hi:[1,0,1]
	s_nop 0
	v_mov_b32_e32 v25, v3
	v_pk_add_f32 v[2:3], v[16:17], v[24:25]
	v_mov_b32_e32 v16, v21
	v_pk_mul_f32 v[16:17], v[4:5], v[16:17] op_sel:[1,0] op_sel_hi:[0,0]
	v_pk_fma_f32 v[18:19], v[4:5], v[20:21], v[16:17] neg_lo:[0,0,1] neg_hi:[0,0,1]
	v_pk_fma_f32 v[4:5], v[4:5], v[20:21], v[16:17] op_sel_hi:[1,0,1]
	s_nop 0
	v_mov_b32_e32 v19, v5
	s_waitcnt vmcnt(2) lgkmcnt(1)
	v_pk_mul_f32 v[4:5], v[10:11], v[6:7] op_sel:[1,1] op_sel_hi:[0,1]
	v_pk_fma_f32 v[16:17], v[10:11], v[6:7], v[4:5] neg_lo:[0,0,1] neg_hi:[0,0,1]
	v_pk_fma_f32 v[4:5], v[10:11], v[6:7], v[4:5] op_sel_hi:[1,0,1]
	v_pk_add_f32 v[2:3], v[2:3], v[18:19]
	v_mov_b32_e32 v4, v9
	v_mov_b32_e32 v17, v5
	v_pk_mul_f32 v[4:5], v[12:13], v[4:5] op_sel:[1,0] op_sel_hi:[0,0]
	v_pk_fma_f32 v[6:7], v[12:13], v[8:9], v[4:5] neg_lo:[0,0,1] neg_hi:[0,0,1]
	v_pk_fma_f32 v[4:5], v[12:13], v[8:9], v[4:5] op_sel_hi:[1,0,1]
	v_pk_add_f32 v[2:3], v[2:3], v[16:17]
	v_mov_b32_e32 v7, v5
	s_waitcnt vmcnt(1) lgkmcnt(0)
	v_pk_mul_f32 v[4:5], v[14:15], v[50:51] op_sel:[1,1] op_sel_hi:[0,1]
	v_pk_add_f32 v[2:3], v[2:3], v[6:7]
	v_pk_fma_f32 v[6:7], v[14:15], v[50:51], v[4:5] neg_lo:[0,0,1] neg_hi:[0,0,1]
	v_pk_fma_f32 v[4:5], v[14:15], v[50:51], v[4:5] op_sel_hi:[1,0,1]
	s_nop 0
	v_mov_b32_e32 v7, v5
	v_pk_add_f32 v[2:3], v[2:3], v[6:7]
	s_waitcnt vmcnt(0)
	v_pk_add_f32 v[2:3], v[56:57], v[2:3] neg_lo:[0,1] neg_hi:[0,1]
	scratch_store_dwordx2 off, v[2:3], off offset:256
	s_and_saveexec_b64 s[0:1], vcc
	s_cbranch_execz .LBB121_299
; %bb.298:
	scratch_load_dwordx2 v[2:3], off, off offset:248
	v_mov_b32_e32 v59, v58
	scratch_store_dwordx2 off, v[58:59], off offset:248
	s_waitcnt vmcnt(1)
	ds_write_b64 v1, v[2:3]
.LBB121_299:
	s_or_b64 exec, exec, s[0:1]
	s_waitcnt lgkmcnt(0)
	; wave barrier
	scratch_load_dwordx4 v[10:13], off, off offset:256
	scratch_load_dwordx4 v[26:29], off, off offset:272
	scratch_load_dwordx4 v[42:45], off, off offset:288
	scratch_load_dwordx4 v[2:5], off, off offset:304
	scratch_load_dwordx4 v[14:17], off, off offset:320
	scratch_load_dwordx4 v[18:21], off, off offset:336
	scratch_load_dwordx4 v[30:33], off, off offset:352
	scratch_load_dwordx4 v[38:41], off, off offset:368
	scratch_load_dwordx4 v[46:49], off, off offset:384
	ds_read_b128 v[60:63], v58 offset:720
	ds_read_b128 v[64:67], v58 offset:736
	;; [unrolled: 1-line block ×8, first 2 shown]
	scratch_load_dwordx4 v[50:53], off, off offset:400
	scratch_load_dwordx4 v[34:37], off, off offset:416
	scratch_load_dwordx4 v[22:25], off, off offset:432
	scratch_load_dwordx4 v[6:9], off, off offset:448
	ds_read_b128 v[88:91], v58 offset:848
	ds_read_b128 v[92:95], v58 offset:864
	scratch_load_dwordx2 v[96:97], off, off offset:248
	v_cmp_lt_u32_e32 vcc, 30, v0
	s_waitcnt vmcnt(13) lgkmcnt(9)
	v_mul_f32_e32 v59, v60, v11
	v_mul_f32_e32 v98, v62, v13
	v_fmac_f32_e32 v59, v61, v10
	s_waitcnt vmcnt(10) lgkmcnt(6)
	v_mul_f32_e32 v105, v72, v3
	v_mul_f32_e32 v3, v73, v3
	;; [unrolled: 1-line block ×3, first 2 shown]
	v_fmac_f32_e32 v98, v63, v12
	v_fmac_f32_e32 v105, v73, v2
	v_fma_f32 v2, v72, v2, -v3
	v_add_f32_e32 v3, 0, v59
	v_mul_f32_e32 v102, v66, v29
	v_fmac_f32_e32 v100, v65, v26
	v_add_f32_e32 v3, v3, v98
	v_mul_f32_e32 v103, v68, v43
	v_fmac_f32_e32 v102, v67, v28
	;; [unrolled: 3-line block ×3, first 2 shown]
	v_add_f32_e32 v3, v3, v102
	v_fmac_f32_e32 v104, v71, v44
	v_add_f32_e32 v3, v3, v103
	v_mul_f32_e32 v106, v74, v5
	v_add_f32_e32 v3, v3, v104
	s_waitcnt vmcnt(9) lgkmcnt(5)
	v_mul_f32_e32 v107, v76, v15
	v_fmac_f32_e32 v106, v75, v4
	v_add_f32_e32 v3, v3, v105
	v_mul_f32_e32 v108, v78, v17
	v_fmac_f32_e32 v107, v77, v14
	v_add_f32_e32 v3, v3, v106
	s_waitcnt vmcnt(8) lgkmcnt(4)
	v_mul_f32_e32 v109, v80, v19
	v_mul_f32_e32 v11, v61, v11
	v_fmac_f32_e32 v108, v79, v16
	v_add_f32_e32 v3, v3, v107
	v_mul_f32_e32 v110, v82, v21
	v_mul_f32_e32 v13, v63, v13
	v_fmac_f32_e32 v109, v81, v18
	v_fma_f32 v10, v60, v10, -v11
	v_add_f32_e32 v3, v3, v108
	s_waitcnt vmcnt(7) lgkmcnt(3)
	v_mul_f32_e32 v111, v84, v31
	v_mul_f32_e32 v27, v65, v27
	v_fmac_f32_e32 v110, v83, v20
	v_fma_f32 v11, v62, v12, -v13
	v_add_f32_e32 v10, 0, v10
	v_add_f32_e32 v3, v3, v109
	v_mul_f32_e32 v112, v86, v33
	v_mul_f32_e32 v29, v67, v29
	v_fmac_f32_e32 v111, v85, v30
	v_fma_f32 v12, v64, v26, -v27
	v_add_f32_e32 v10, v10, v11
	v_add_f32_e32 v3, v3, v110
	s_waitcnt vmcnt(6) lgkmcnt(2)
	v_mul_f32_e32 v113, v54, v39
	v_mul_f32_e32 v43, v69, v43
	v_fmac_f32_e32 v112, v87, v32
	v_fma_f32 v13, v66, v28, -v29
	v_add_f32_e32 v10, v10, v12
	v_add_f32_e32 v3, v3, v111
	v_mul_f32_e32 v114, v56, v41
	v_mul_f32_e32 v45, v71, v45
	v_fmac_f32_e32 v113, v55, v38
	v_fma_f32 v26, v68, v42, -v43
	v_add_f32_e32 v10, v10, v13
	v_add_f32_e32 v3, v3, v112
	v_fmac_f32_e32 v114, v57, v40
	v_fma_f32 v27, v70, v44, -v45
	v_add_f32_e32 v10, v10, v26
	v_add_f32_e32 v3, v3, v113
	;; [unrolled: 1-line block ×4, first 2 shown]
	v_mul_f32_e32 v3, v75, v5
	v_add_f32_e32 v2, v10, v2
	v_fma_f32 v3, v74, v4, -v3
	v_add_f32_e32 v2, v2, v3
	v_mul_f32_e32 v3, v77, v15
	v_fma_f32 v3, v76, v14, -v3
	v_add_f32_e32 v2, v2, v3
	v_mul_f32_e32 v3, v79, v17
	;; [unrolled: 3-line block ×8, first 2 shown]
	v_fma_f32 v3, v56, v40, -v3
	s_waitcnt vmcnt(5) lgkmcnt(1)
	v_mul_f32_e32 v99, v88, v47
	v_add_f32_e32 v26, v2, v3
	v_mul_f32_e32 v2, v89, v47
	v_fmac_f32_e32 v99, v89, v46
	v_fma_f32 v98, v88, v46, -v2
	s_waitcnt vmcnt(4) lgkmcnt(0)
	v_pk_mul_f32 v[20:21], v[92:93], v[50:51] op_sel:[1,1] op_sel_hi:[0,1]
	v_mul_f32_e32 v101, v90, v49
	v_mul_f32_e32 v2, v91, v49
	v_pk_add_f32 v[18:19], v[26:27], v[98:99]
	v_pk_fma_f32 v[26:27], v[92:93], v[50:51], v[20:21] neg_lo:[0,0,1] neg_hi:[0,0,1]
	v_pk_fma_f32 v[20:21], v[92:93], v[50:51], v[20:21] op_sel_hi:[1,0,1]
	v_fmac_f32_e32 v101, v91, v48
	v_fma_f32 v100, v90, v48, -v2
	ds_read_b128 v[2:5], v58 offset:880
	ds_read_b128 v[10:13], v58 offset:896
	;; [unrolled: 1-line block ×3, first 2 shown]
	v_mov_b32_e32 v20, v53
	v_pk_add_f32 v[18:19], v[18:19], v[100:101]
	v_mov_b32_e32 v27, v21
	v_pk_mul_f32 v[20:21], v[94:95], v[20:21] op_sel:[1,0] op_sel_hi:[0,0]
	v_pk_add_f32 v[18:19], v[18:19], v[26:27]
	v_pk_fma_f32 v[26:27], v[94:95], v[52:53], v[20:21] neg_lo:[0,0,1] neg_hi:[0,0,1]
	v_pk_fma_f32 v[20:21], v[94:95], v[52:53], v[20:21] op_sel_hi:[1,0,1]
	s_nop 0
	v_mov_b32_e32 v27, v21
	s_waitcnt vmcnt(3) lgkmcnt(2)
	v_pk_mul_f32 v[20:21], v[2:3], v[34:35] op_sel:[1,1] op_sel_hi:[0,1]
	v_pk_add_f32 v[18:19], v[18:19], v[26:27]
	v_pk_fma_f32 v[26:27], v[2:3], v[34:35], v[20:21] neg_lo:[0,0,1] neg_hi:[0,0,1]
	v_pk_fma_f32 v[2:3], v[2:3], v[34:35], v[20:21] op_sel_hi:[1,0,1]
	s_nop 0
	v_mov_b32_e32 v27, v3
	v_pk_add_f32 v[2:3], v[18:19], v[26:27]
	v_mov_b32_e32 v18, v37
	v_pk_mul_f32 v[18:19], v[4:5], v[18:19] op_sel:[1,0] op_sel_hi:[0,0]
	v_pk_fma_f32 v[20:21], v[4:5], v[36:37], v[18:19] neg_lo:[0,0,1] neg_hi:[0,0,1]
	v_pk_fma_f32 v[4:5], v[4:5], v[36:37], v[18:19] op_sel_hi:[1,0,1]
	s_nop 0
	v_mov_b32_e32 v21, v5
	s_waitcnt vmcnt(2) lgkmcnt(1)
	v_pk_mul_f32 v[4:5], v[10:11], v[22:23] op_sel:[1,1] op_sel_hi:[0,1]
	v_pk_fma_f32 v[18:19], v[10:11], v[22:23], v[4:5] neg_lo:[0,0,1] neg_hi:[0,0,1]
	v_pk_fma_f32 v[4:5], v[10:11], v[22:23], v[4:5] op_sel_hi:[1,0,1]
	v_pk_add_f32 v[2:3], v[2:3], v[20:21]
	v_mov_b32_e32 v4, v25
	v_mov_b32_e32 v19, v5
	v_pk_mul_f32 v[4:5], v[12:13], v[4:5] op_sel:[1,0] op_sel_hi:[0,0]
	v_pk_fma_f32 v[10:11], v[12:13], v[24:25], v[4:5] neg_lo:[0,0,1] neg_hi:[0,0,1]
	v_pk_fma_f32 v[4:5], v[12:13], v[24:25], v[4:5] op_sel_hi:[1,0,1]
	v_pk_add_f32 v[2:3], v[2:3], v[18:19]
	v_mov_b32_e32 v11, v5
	s_waitcnt vmcnt(1) lgkmcnt(0)
	v_pk_mul_f32 v[4:5], v[14:15], v[6:7] op_sel:[1,1] op_sel_hi:[0,1]
	v_pk_add_f32 v[2:3], v[2:3], v[10:11]
	v_pk_fma_f32 v[10:11], v[14:15], v[6:7], v[4:5] neg_lo:[0,0,1] neg_hi:[0,0,1]
	v_pk_fma_f32 v[4:5], v[14:15], v[6:7], v[4:5] op_sel_hi:[1,0,1]
	s_nop 0
	v_mov_b32_e32 v4, v9
	v_mov_b32_e32 v11, v5
	v_pk_mul_f32 v[4:5], v[16:17], v[4:5] op_sel:[1,0] op_sel_hi:[0,0]
	v_pk_fma_f32 v[6:7], v[16:17], v[8:9], v[4:5] neg_lo:[0,0,1] neg_hi:[0,0,1]
	v_pk_fma_f32 v[4:5], v[16:17], v[8:9], v[4:5] op_sel_hi:[1,0,1]
	v_pk_add_f32 v[2:3], v[2:3], v[10:11]
	v_mov_b32_e32 v7, v5
	v_pk_add_f32 v[2:3], v[2:3], v[6:7]
	s_waitcnt vmcnt(0)
	v_pk_add_f32 v[2:3], v[96:97], v[2:3] neg_lo:[0,1] neg_hi:[0,1]
	scratch_store_dwordx2 off, v[2:3], off offset:248
	s_and_saveexec_b64 s[0:1], vcc
	s_cbranch_execz .LBB121_301
; %bb.300:
	scratch_load_dwordx2 v[2:3], off, off offset:240
	v_mov_b32_e32 v4, 0
	v_mov_b32_e32 v5, v4
	scratch_store_dwordx2 off, v[4:5], off offset:240
	s_waitcnt vmcnt(1)
	ds_write_b64 v1, v[2:3]
.LBB121_301:
	s_or_b64 exec, exec, s[0:1]
	s_waitcnt lgkmcnt(0)
	; wave barrier
	scratch_load_dwordx4 v[10:13], off, off offset:248
	scratch_load_dwordx4 v[30:33], off, off offset:264
	;; [unrolled: 1-line block ×13, first 2 shown]
	scratch_load_dwordx2 v[54:55], off, off offset:456
	scratch_load_dwordx2 v[80:81], off, off offset:240
	v_mov_b32_e32 v82, 0
	ds_read2_b64 v[56:59], v82 offset0:89 offset1:90
	ds_read2_b64 v[60:63], v82 offset0:91 offset1:92
	ds_read2_b64 v[64:67], v82 offset0:93 offset1:94
	ds_read2_b64 v[68:71], v82 offset0:95 offset1:96
	ds_read2_b64 v[72:75], v82 offset0:97 offset1:98
	ds_read2_b64 v[76:79], v82 offset0:99 offset1:100
	ds_read2_b64 v[84:87], v82 offset0:101 offset1:102
	ds_read2_b64 v[88:91], v82 offset0:103 offset1:104
	ds_read2_b64 v[92:95], v82 offset0:105 offset1:106
	ds_read2_b64 v[96:99], v82 offset0:107 offset1:108
	v_cmp_lt_u32_e32 vcc, 29, v0
	s_waitcnt vmcnt(14) lgkmcnt(9)
	v_mul_f32_e32 v83, v56, v11
	v_mul_f32_e32 v100, v58, v13
	s_waitcnt vmcnt(12) lgkmcnt(7)
	v_mul_f32_e32 v105, v64, v3
	v_mul_f32_e32 v3, v65, v3
	v_fmac_f32_e32 v83, v57, v10
	v_mul_f32_e32 v102, v60, v31
	v_fmac_f32_e32 v100, v59, v12
	v_fmac_f32_e32 v105, v65, v2
	v_fma_f32 v2, v64, v2, -v3
	v_add_f32_e32 v3, 0, v83
	v_mul_f32_e32 v104, v62, v33
	v_fmac_f32_e32 v102, v61, v30
	v_add_f32_e32 v3, v3, v100
	v_fmac_f32_e32 v104, v63, v32
	v_add_f32_e32 v3, v3, v102
	v_mul_f32_e32 v106, v66, v5
	v_add_f32_e32 v3, v3, v104
	s_waitcnt vmcnt(11) lgkmcnt(6)
	v_mul_f32_e32 v107, v68, v7
	v_fmac_f32_e32 v106, v67, v4
	v_add_f32_e32 v3, v3, v105
	v_mul_f32_e32 v108, v70, v9
	v_fmac_f32_e32 v107, v69, v6
	v_add_f32_e32 v3, v3, v106
	s_waitcnt vmcnt(10) lgkmcnt(5)
	v_mul_f32_e32 v109, v72, v19
	v_fmac_f32_e32 v108, v71, v8
	v_add_f32_e32 v3, v3, v107
	v_mul_f32_e32 v110, v74, v21
	v_fmac_f32_e32 v109, v73, v18
	;; [unrolled: 7-line block ×3, first 2 shown]
	v_add_f32_e32 v3, v3, v110
	s_waitcnt vmcnt(8) lgkmcnt(3)
	v_mul_f32_e32 v113, v84, v35
	v_mul_f32_e32 v11, v57, v11
	v_fmac_f32_e32 v112, v79, v24
	v_add_f32_e32 v3, v3, v111
	v_mul_f32_e32 v114, v86, v37
	v_mul_f32_e32 v13, v59, v13
	v_fmac_f32_e32 v113, v85, v34
	v_fma_f32 v10, v56, v10, -v11
	v_add_f32_e32 v3, v3, v112
	s_waitcnt vmcnt(7) lgkmcnt(2)
	v_mul_f32_e32 v115, v88, v39
	v_mul_f32_e32 v31, v61, v31
	v_fmac_f32_e32 v114, v87, v36
	v_fma_f32 v11, v58, v12, -v13
	v_add_f32_e32 v10, 0, v10
	v_add_f32_e32 v3, v3, v113
	v_mul_f32_e32 v116, v90, v41
	v_mul_f32_e32 v33, v63, v33
	v_fmac_f32_e32 v115, v89, v38
	v_fma_f32 v12, v60, v30, -v31
	v_add_f32_e32 v10, v10, v11
	v_add_f32_e32 v3, v3, v114
	s_waitcnt vmcnt(6) lgkmcnt(1)
	v_mul_f32_e32 v117, v92, v51
	v_fmac_f32_e32 v116, v91, v40
	v_fma_f32 v13, v62, v32, -v33
	v_add_f32_e32 v10, v10, v12
	v_add_f32_e32 v3, v3, v115
	v_mul_f32_e32 v5, v67, v5
	v_fmac_f32_e32 v117, v93, v50
	v_add_f32_e32 v10, v10, v13
	v_add_f32_e32 v3, v3, v116
	v_add_f32_e32 v2, v10, v2
	v_add_f32_e32 v31, v3, v117
	v_fma_f32 v3, v66, v4, -v5
	v_add_f32_e32 v2, v2, v3
	v_mul_f32_e32 v3, v69, v7
	v_fma_f32 v3, v68, v6, -v3
	v_add_f32_e32 v2, v2, v3
	v_mul_f32_e32 v3, v71, v9
	;; [unrolled: 3-line block ×12, first 2 shown]
	v_mul_f32_e32 v101, v94, v53
	v_fma_f32 v100, v94, v52, -v2
	s_waitcnt vmcnt(5) lgkmcnt(0)
	v_mul_f32_e32 v2, v97, v47
	v_mov_b32_e32 v22, v49
	v_mul_f32_e32 v103, v96, v47
	v_fmac_f32_e32 v101, v95, v52
	v_fma_f32 v102, v96, v46, -v2
	ds_read2_b64 v[2:5], v82 offset0:109 offset1:110
	ds_read2_b64 v[6:9], v82 offset0:111 offset1:112
	;; [unrolled: 1-line block ×3, first 2 shown]
	ds_read_b64 v[18:19], v82 offset:920
	v_pk_mul_f32 v[22:23], v[98:99], v[22:23] op_sel:[1,0] op_sel_hi:[0,0]
	v_fmac_f32_e32 v103, v97, v46
	v_pk_add_f32 v[20:21], v[30:31], v[100:101]
	v_pk_fma_f32 v[24:25], v[98:99], v[48:49], v[22:23] neg_lo:[0,0,1] neg_hi:[0,0,1]
	v_pk_fma_f32 v[22:23], v[98:99], v[48:49], v[22:23] op_sel_hi:[1,0,1]
	v_pk_add_f32 v[20:21], v[20:21], v[102:103]
	v_mov_b32_e32 v25, v23
	s_waitcnt vmcnt(4) lgkmcnt(3)
	v_pk_mul_f32 v[22:23], v[2:3], v[42:43] op_sel:[1,1] op_sel_hi:[0,1]
	v_pk_add_f32 v[20:21], v[20:21], v[24:25]
	v_pk_fma_f32 v[24:25], v[2:3], v[42:43], v[22:23] neg_lo:[0,0,1] neg_hi:[0,0,1]
	v_pk_fma_f32 v[2:3], v[2:3], v[42:43], v[22:23] op_sel_hi:[1,0,1]
	s_nop 0
	v_mov_b32_e32 v25, v3
	v_pk_add_f32 v[2:3], v[20:21], v[24:25]
	v_mov_b32_e32 v20, v45
	v_pk_mul_f32 v[20:21], v[4:5], v[20:21] op_sel:[1,0] op_sel_hi:[0,0]
	v_pk_fma_f32 v[22:23], v[4:5], v[44:45], v[20:21] neg_lo:[0,0,1] neg_hi:[0,0,1]
	v_pk_fma_f32 v[4:5], v[4:5], v[44:45], v[20:21] op_sel_hi:[1,0,1]
	s_nop 0
	v_mov_b32_e32 v23, v5
	s_waitcnt vmcnt(3) lgkmcnt(2)
	v_pk_mul_f32 v[4:5], v[6:7], v[26:27] op_sel:[1,1] op_sel_hi:[0,1]
	v_pk_fma_f32 v[20:21], v[6:7], v[26:27], v[4:5] neg_lo:[0,0,1] neg_hi:[0,0,1]
	v_pk_fma_f32 v[4:5], v[6:7], v[26:27], v[4:5] op_sel_hi:[1,0,1]
	v_pk_add_f32 v[2:3], v[2:3], v[22:23]
	v_mov_b32_e32 v4, v29
	v_mov_b32_e32 v21, v5
	v_pk_mul_f32 v[4:5], v[8:9], v[4:5] op_sel:[1,0] op_sel_hi:[0,0]
	v_pk_fma_f32 v[6:7], v[8:9], v[28:29], v[4:5] neg_lo:[0,0,1] neg_hi:[0,0,1]
	v_pk_fma_f32 v[4:5], v[8:9], v[28:29], v[4:5] op_sel_hi:[1,0,1]
	v_pk_add_f32 v[2:3], v[2:3], v[20:21]
	v_mov_b32_e32 v7, v5
	s_waitcnt vmcnt(2) lgkmcnt(1)
	v_pk_mul_f32 v[4:5], v[10:11], v[14:15] op_sel:[1,1] op_sel_hi:[0,1]
	v_pk_add_f32 v[2:3], v[2:3], v[6:7]
	v_pk_fma_f32 v[6:7], v[10:11], v[14:15], v[4:5] neg_lo:[0,0,1] neg_hi:[0,0,1]
	v_pk_fma_f32 v[4:5], v[10:11], v[14:15], v[4:5] op_sel_hi:[1,0,1]
	s_nop 0
	v_mov_b32_e32 v4, v17
	v_mov_b32_e32 v7, v5
	v_pk_mul_f32 v[4:5], v[12:13], v[4:5] op_sel:[1,0] op_sel_hi:[0,0]
	v_pk_add_f32 v[2:3], v[2:3], v[6:7]
	v_pk_fma_f32 v[6:7], v[12:13], v[16:17], v[4:5] neg_lo:[0,0,1] neg_hi:[0,0,1]
	v_pk_fma_f32 v[4:5], v[12:13], v[16:17], v[4:5] op_sel_hi:[1,0,1]
	s_nop 0
	v_mov_b32_e32 v7, v5
	s_waitcnt vmcnt(1) lgkmcnt(0)
	v_pk_mul_f32 v[4:5], v[18:19], v[54:55] op_sel:[1,1] op_sel_hi:[0,1]
	v_pk_add_f32 v[2:3], v[2:3], v[6:7]
	v_pk_fma_f32 v[6:7], v[18:19], v[54:55], v[4:5] neg_lo:[0,0,1] neg_hi:[0,0,1]
	v_pk_fma_f32 v[4:5], v[18:19], v[54:55], v[4:5] op_sel_hi:[1,0,1]
	s_nop 0
	v_mov_b32_e32 v7, v5
	v_pk_add_f32 v[2:3], v[2:3], v[6:7]
	s_waitcnt vmcnt(0)
	v_pk_add_f32 v[2:3], v[80:81], v[2:3] neg_lo:[0,1] neg_hi:[0,1]
	scratch_store_dwordx2 off, v[2:3], off offset:240
	s_and_saveexec_b64 s[0:1], vcc
	s_cbranch_execz .LBB121_303
; %bb.302:
	scratch_load_dwordx2 v[2:3], off, off offset:232
	v_mov_b32_e32 v83, v82
	scratch_store_dwordx2 off, v[82:83], off offset:232
	s_waitcnt vmcnt(1)
	ds_write_b64 v1, v[2:3]
.LBB121_303:
	s_or_b64 exec, exec, s[0:1]
	s_waitcnt lgkmcnt(0)
	; wave barrier
	scratch_load_dwordx4 v[18:21], off, off offset:240
	scratch_load_dwordx4 v[34:37], off, off offset:256
	;; [unrolled: 1-line block ×10, first 2 shown]
	ds_read_b128 v[84:87], v82 offset:704
	ds_read_b128 v[88:91], v82 offset:720
	ds_read_b128 v[92:95], v82 offset:736
	ds_read_b128 v[96:99], v82 offset:752
	ds_read_b128 v[78:81], v82 offset:768
	ds_read_b128 v[74:77], v82 offset:784
	ds_read_b128 v[70:73], v82 offset:800
	ds_read_b128 v[66:69], v82 offset:816
	ds_read_b128 v[62:65], v82 offset:832
	ds_read_b128 v[58:61], v82 offset:848
	scratch_load_dwordx4 v[54:57], off, off offset:400
	scratch_load_dwordx4 v[46:49], off, off offset:416
	;; [unrolled: 1-line block ×4, first 2 shown]
	scratch_load_dwordx2 v[100:101], off, off offset:232
	v_cmp_lt_u32_e32 vcc, 28, v0
	s_waitcnt vmcnt(14) lgkmcnt(9)
	v_mul_f32_e32 v83, v84, v19
	v_mul_f32_e32 v102, v86, v21
	s_waitcnt vmcnt(12) lgkmcnt(7)
	v_mul_f32_e32 v107, v92, v3
	v_mul_f32_e32 v3, v93, v3
	v_fmac_f32_e32 v83, v85, v18
	v_mul_f32_e32 v104, v88, v35
	v_fmac_f32_e32 v102, v87, v20
	v_fmac_f32_e32 v107, v93, v2
	v_fma_f32 v2, v92, v2, -v3
	v_add_f32_e32 v3, 0, v83
	v_mul_f32_e32 v106, v90, v37
	v_fmac_f32_e32 v104, v89, v34
	v_add_f32_e32 v3, v3, v102
	v_fmac_f32_e32 v106, v91, v36
	v_add_f32_e32 v3, v3, v104
	v_mul_f32_e32 v108, v94, v5
	v_add_f32_e32 v3, v3, v106
	s_waitcnt vmcnt(11) lgkmcnt(6)
	v_mul_f32_e32 v109, v96, v7
	v_fmac_f32_e32 v108, v95, v4
	v_add_f32_e32 v3, v3, v107
	v_mul_f32_e32 v110, v98, v9
	v_fmac_f32_e32 v109, v97, v6
	v_add_f32_e32 v3, v3, v108
	s_waitcnt vmcnt(10) lgkmcnt(5)
	v_mul_f32_e32 v111, v78, v11
	v_fmac_f32_e32 v110, v99, v8
	v_add_f32_e32 v3, v3, v109
	v_mul_f32_e32 v112, v80, v13
	v_fmac_f32_e32 v111, v79, v10
	;; [unrolled: 7-line block ×4, first 2 shown]
	v_add_f32_e32 v3, v3, v114
	s_waitcnt vmcnt(7) lgkmcnt(2)
	v_mul_f32_e32 v117, v66, v39
	v_mul_f32_e32 v19, v85, v19
	v_fmac_f32_e32 v116, v73, v28
	v_add_f32_e32 v3, v3, v115
	v_mul_f32_e32 v118, v68, v41
	v_mul_f32_e32 v21, v87, v21
	v_fmac_f32_e32 v117, v67, v38
	v_fma_f32 v18, v84, v18, -v19
	v_add_f32_e32 v3, v3, v116
	s_waitcnt vmcnt(6) lgkmcnt(1)
	v_mul_f32_e32 v119, v62, v43
	v_mul_f32_e32 v35, v89, v35
	v_fmac_f32_e32 v118, v69, v40
	v_fma_f32 v19, v86, v20, -v21
	v_add_f32_e32 v18, 0, v18
	v_add_f32_e32 v3, v3, v117
	v_mul_f32_e32 v120, v64, v45
	v_mul_f32_e32 v37, v91, v37
	v_fmac_f32_e32 v119, v63, v42
	v_fma_f32 v20, v88, v34, -v35
	v_add_f32_e32 v18, v18, v19
	v_add_f32_e32 v3, v3, v118
	v_fmac_f32_e32 v120, v65, v44
	v_fma_f32 v21, v90, v36, -v37
	v_add_f32_e32 v18, v18, v20
	v_add_f32_e32 v3, v3, v119
	;; [unrolled: 1-line block ×4, first 2 shown]
	v_mul_f32_e32 v3, v95, v5
	v_add_f32_e32 v2, v18, v2
	v_fma_f32 v3, v94, v4, -v3
	v_add_f32_e32 v2, v2, v3
	v_mul_f32_e32 v3, v97, v7
	v_fma_f32 v3, v96, v6, -v3
	v_add_f32_e32 v2, v2, v3
	v_mul_f32_e32 v3, v99, v9
	;; [unrolled: 3-line block ×12, first 2 shown]
	v_fma_f32 v3, v64, v44, -v3
	v_add_f32_e32 v34, v2, v3
	s_waitcnt vmcnt(5) lgkmcnt(0)
	v_mul_f32_e32 v2, v59, v51
	v_fma_f32 v102, v58, v50, -v2
	v_mul_f32_e32 v2, v61, v53
	v_fma_f32 v104, v60, v52, -v2
	ds_read_b128 v[2:5], v82 offset:864
	ds_read_b128 v[6:9], v82 offset:880
	;; [unrolled: 1-line block ×4, first 2 shown]
	v_mul_f32_e32 v103, v58, v51
	v_mul_f32_e32 v105, v60, v53
	v_fmac_f32_e32 v103, v59, v50
	s_waitcnt vmcnt(4) lgkmcnt(3)
	v_pk_mul_f32 v[24:25], v[2:3], v[54:55] op_sel:[1,1] op_sel_hi:[0,1]
	v_fmac_f32_e32 v105, v61, v52
	v_pk_add_f32 v[22:23], v[34:35], v[102:103]
	v_pk_fma_f32 v[26:27], v[2:3], v[54:55], v[24:25] neg_lo:[0,0,1] neg_hi:[0,0,1]
	v_pk_fma_f32 v[2:3], v[2:3], v[54:55], v[24:25] op_sel_hi:[1,0,1]
	v_pk_add_f32 v[22:23], v[22:23], v[104:105]
	v_mov_b32_e32 v27, v3
	v_pk_add_f32 v[2:3], v[22:23], v[26:27]
	v_mov_b32_e32 v22, v57
	v_pk_mul_f32 v[22:23], v[4:5], v[22:23] op_sel:[1,0] op_sel_hi:[0,0]
	v_pk_fma_f32 v[24:25], v[4:5], v[56:57], v[22:23] neg_lo:[0,0,1] neg_hi:[0,0,1]
	v_pk_fma_f32 v[4:5], v[4:5], v[56:57], v[22:23] op_sel_hi:[1,0,1]
	s_nop 0
	v_mov_b32_e32 v25, v5
	s_waitcnt vmcnt(3) lgkmcnt(2)
	v_pk_mul_f32 v[4:5], v[6:7], v[46:47] op_sel:[1,1] op_sel_hi:[0,1]
	v_pk_fma_f32 v[22:23], v[6:7], v[46:47], v[4:5] neg_lo:[0,0,1] neg_hi:[0,0,1]
	v_pk_fma_f32 v[4:5], v[6:7], v[46:47], v[4:5] op_sel_hi:[1,0,1]
	v_pk_add_f32 v[2:3], v[2:3], v[24:25]
	v_mov_b32_e32 v4, v49
	v_mov_b32_e32 v23, v5
	v_pk_mul_f32 v[4:5], v[8:9], v[4:5] op_sel:[1,0] op_sel_hi:[0,0]
	v_pk_fma_f32 v[6:7], v[8:9], v[48:49], v[4:5] neg_lo:[0,0,1] neg_hi:[0,0,1]
	v_pk_fma_f32 v[4:5], v[8:9], v[48:49], v[4:5] op_sel_hi:[1,0,1]
	v_pk_add_f32 v[2:3], v[2:3], v[22:23]
	v_mov_b32_e32 v7, v5
	s_waitcnt vmcnt(2) lgkmcnt(1)
	v_pk_mul_f32 v[4:5], v[10:11], v[30:31] op_sel:[1,1] op_sel_hi:[0,1]
	v_pk_add_f32 v[2:3], v[2:3], v[6:7]
	v_pk_fma_f32 v[6:7], v[10:11], v[30:31], v[4:5] neg_lo:[0,0,1] neg_hi:[0,0,1]
	v_pk_fma_f32 v[4:5], v[10:11], v[30:31], v[4:5] op_sel_hi:[1,0,1]
	s_nop 0
	v_mov_b32_e32 v4, v33
	v_mov_b32_e32 v7, v5
	v_pk_mul_f32 v[4:5], v[12:13], v[4:5] op_sel:[1,0] op_sel_hi:[0,0]
	v_pk_add_f32 v[2:3], v[2:3], v[6:7]
	v_pk_fma_f32 v[6:7], v[12:13], v[32:33], v[4:5] neg_lo:[0,0,1] neg_hi:[0,0,1]
	v_pk_fma_f32 v[4:5], v[12:13], v[32:33], v[4:5] op_sel_hi:[1,0,1]
	s_nop 0
	v_mov_b32_e32 v7, v5
	s_waitcnt vmcnt(1) lgkmcnt(0)
	v_pk_mul_f32 v[4:5], v[18:19], v[14:15] op_sel:[1,1] op_sel_hi:[0,1]
	v_pk_add_f32 v[2:3], v[2:3], v[6:7]
	v_pk_fma_f32 v[6:7], v[18:19], v[14:15], v[4:5] neg_lo:[0,0,1] neg_hi:[0,0,1]
	v_pk_fma_f32 v[4:5], v[18:19], v[14:15], v[4:5] op_sel_hi:[1,0,1]
	s_nop 0
	v_mov_b32_e32 v4, v17
	v_mov_b32_e32 v7, v5
	v_pk_mul_f32 v[4:5], v[20:21], v[4:5] op_sel:[1,0] op_sel_hi:[0,0]
	v_pk_add_f32 v[2:3], v[2:3], v[6:7]
	v_pk_fma_f32 v[6:7], v[20:21], v[16:17], v[4:5] neg_lo:[0,0,1] neg_hi:[0,0,1]
	v_pk_fma_f32 v[4:5], v[20:21], v[16:17], v[4:5] op_sel_hi:[1,0,1]
	s_nop 0
	v_mov_b32_e32 v7, v5
	v_pk_add_f32 v[2:3], v[2:3], v[6:7]
	s_waitcnt vmcnt(0)
	v_pk_add_f32 v[2:3], v[100:101], v[2:3] neg_lo:[0,1] neg_hi:[0,1]
	scratch_store_dwordx2 off, v[2:3], off offset:232
	s_and_saveexec_b64 s[0:1], vcc
	s_cbranch_execz .LBB121_305
; %bb.304:
	scratch_load_dwordx2 v[2:3], off, off offset:224
	v_mov_b32_e32 v4, 0
	v_mov_b32_e32 v5, v4
	scratch_store_dwordx2 off, v[4:5], off offset:224
	s_waitcnt vmcnt(1)
	ds_write_b64 v1, v[2:3]
.LBB121_305:
	s_or_b64 exec, exec, s[0:1]
	s_waitcnt lgkmcnt(0)
	; wave barrier
	scratch_load_dwordx4 v[18:21], off, off offset:232
	scratch_load_dwordx4 v[2:5], off, off offset:248
	;; [unrolled: 1-line block ×14, first 2 shown]
	scratch_load_dwordx2 v[58:59], off, off offset:456
	scratch_load_dwordx2 v[100:101], off, off offset:224
	v_mov_b32_e32 v102, 0
	ds_read2_b64 v[60:63], v102 offset0:87 offset1:88
	ds_read2_b64 v[64:67], v102 offset0:89 offset1:90
	ds_read2_b64 v[68:71], v102 offset0:91 offset1:92
	ds_read2_b64 v[72:75], v102 offset0:93 offset1:94
	ds_read2_b64 v[76:79], v102 offset0:95 offset1:96
	ds_read2_b64 v[80:83], v102 offset0:97 offset1:98
	ds_read2_b64 v[84:87], v102 offset0:99 offset1:100
	ds_read2_b64 v[88:91], v102 offset0:101 offset1:102
	ds_read2_b64 v[92:95], v102 offset0:103 offset1:104
	ds_read2_b64 v[96:99], v102 offset0:105 offset1:106
	ds_read2_b64 v[104:107], v102 offset0:107 offset1:108
	ds_read2_b64 v[108:111], v102 offset0:109 offset1:110
	v_cmp_lt_u32_e32 vcc, 27, v0
	s_waitcnt vmcnt(15) lgkmcnt(11)
	v_mul_f32_e32 v103, v60, v19
	v_mul_f32_e32 v112, v62, v21
	s_waitcnt vmcnt(14) lgkmcnt(10)
	v_mul_f32_e32 v114, v64, v3
	v_mul_f32_e32 v3, v65, v3
	v_fmac_f32_e32 v103, v61, v18
	v_fmac_f32_e32 v112, v63, v20
	;; [unrolled: 1-line block ×3, first 2 shown]
	v_fma_f32 v2, v64, v2, -v3
	v_add_f32_e32 v3, 0, v103
	v_mul_f32_e32 v116, v66, v5
	v_add_f32_e32 v3, v3, v112
	s_waitcnt vmcnt(13) lgkmcnt(9)
	v_mul_f32_e32 v117, v68, v7
	v_fmac_f32_e32 v116, v67, v4
	v_add_f32_e32 v3, v3, v114
	v_mul_f32_e32 v118, v70, v9
	v_fmac_f32_e32 v117, v69, v6
	v_add_f32_e32 v3, v3, v116
	s_waitcnt vmcnt(12) lgkmcnt(8)
	v_mul_f32_e32 v119, v72, v11
	v_fmac_f32_e32 v118, v71, v8
	v_add_f32_e32 v3, v3, v117
	v_mul_f32_e32 v120, v74, v13
	v_fmac_f32_e32 v119, v73, v10
	;; [unrolled: 7-line block ×6, first 2 shown]
	v_add_f32_e32 v3, v3, v126
	s_waitcnt vmcnt(7) lgkmcnt(3)
	v_mul_f32_e32 v129, v92, v43
	v_fmac_f32_e32 v128, v91, v40
	v_add_f32_e32 v3, v3, v127
	v_mul_f32_e32 v130, v94, v45
	v_mul_f32_e32 v19, v61, v19
	v_fmac_f32_e32 v129, v93, v42
	v_add_f32_e32 v3, v3, v128
	s_waitcnt vmcnt(6) lgkmcnt(2)
	v_mul_f32_e32 v131, v96, v51
	v_mul_f32_e32 v21, v63, v21
	v_fmac_f32_e32 v130, v95, v44
	v_fma_f32 v18, v60, v18, -v19
	v_add_f32_e32 v3, v3, v129
	v_fmac_f32_e32 v131, v97, v50
	v_fma_f32 v19, v62, v20, -v21
	v_add_f32_e32 v18, 0, v18
	v_add_f32_e32 v3, v3, v130
	v_add_f32_e32 v18, v18, v19
	v_add_f32_e32 v19, v3, v131
	v_mul_f32_e32 v3, v67, v5
	v_add_f32_e32 v2, v18, v2
	v_fma_f32 v3, v66, v4, -v3
	v_add_f32_e32 v2, v2, v3
	v_mul_f32_e32 v3, v69, v7
	v_fma_f32 v3, v68, v6, -v3
	v_add_f32_e32 v2, v2, v3
	v_mul_f32_e32 v3, v71, v9
	;; [unrolled: 3-line block ×15, first 2 shown]
	v_fma_f32 v3, v96, v50, -v3
	v_mul_f32_e32 v113, v98, v53
	v_add_f32_e32 v18, v2, v3
	v_mul_f32_e32 v2, v99, v53
	s_waitcnt vmcnt(5)
	v_mov_b32_e32 v14, v57
	s_waitcnt lgkmcnt(1)
	v_mul_f32_e32 v115, v104, v55
	v_fmac_f32_e32 v113, v99, v52
	v_fma_f32 v112, v98, v52, -v2
	v_mul_f32_e32 v2, v105, v55
	v_pk_mul_f32 v[14:15], v[106:107], v[14:15] op_sel:[1,0] op_sel_hi:[0,0]
	v_fmac_f32_e32 v115, v105, v54
	v_fma_f32 v114, v104, v54, -v2
	v_pk_add_f32 v[12:13], v[18:19], v[112:113]
	v_pk_fma_f32 v[16:17], v[106:107], v[56:57], v[14:15] neg_lo:[0,0,1] neg_hi:[0,0,1]
	v_pk_fma_f32 v[14:15], v[106:107], v[56:57], v[14:15] op_sel_hi:[1,0,1]
	v_pk_add_f32 v[12:13], v[12:13], v[114:115]
	v_mov_b32_e32 v17, v15
	s_waitcnt vmcnt(4) lgkmcnt(0)
	v_pk_mul_f32 v[14:15], v[108:109], v[46:47] op_sel:[1,1] op_sel_hi:[0,1]
	v_pk_add_f32 v[12:13], v[12:13], v[16:17]
	v_pk_fma_f32 v[16:17], v[108:109], v[46:47], v[14:15] neg_lo:[0,0,1] neg_hi:[0,0,1]
	v_pk_fma_f32 v[14:15], v[108:109], v[46:47], v[14:15] op_sel_hi:[1,0,1]
	ds_read2_b64 v[2:5], v102 offset0:111 offset1:112
	ds_read2_b64 v[6:9], v102 offset0:113 offset1:114
	ds_read_b64 v[10:11], v102 offset:920
	v_mov_b32_e32 v14, v49
	v_mov_b32_e32 v17, v15
	v_pk_mul_f32 v[14:15], v[110:111], v[14:15] op_sel:[1,0] op_sel_hi:[0,0]
	v_pk_add_f32 v[12:13], v[12:13], v[16:17]
	v_pk_fma_f32 v[16:17], v[110:111], v[48:49], v[14:15] neg_lo:[0,0,1] neg_hi:[0,0,1]
	v_pk_fma_f32 v[14:15], v[110:111], v[48:49], v[14:15] op_sel_hi:[1,0,1]
	s_nop 0
	v_mov_b32_e32 v17, v15
	s_waitcnt vmcnt(3) lgkmcnt(2)
	v_pk_mul_f32 v[14:15], v[2:3], v[34:35] op_sel:[1,1] op_sel_hi:[0,1]
	v_pk_add_f32 v[12:13], v[12:13], v[16:17]
	v_pk_fma_f32 v[16:17], v[2:3], v[34:35], v[14:15] neg_lo:[0,0,1] neg_hi:[0,0,1]
	v_pk_fma_f32 v[2:3], v[2:3], v[34:35], v[14:15] op_sel_hi:[1,0,1]
	s_nop 0
	v_mov_b32_e32 v17, v3
	v_pk_add_f32 v[2:3], v[12:13], v[16:17]
	v_mov_b32_e32 v12, v37
	v_pk_mul_f32 v[12:13], v[4:5], v[12:13] op_sel:[1,0] op_sel_hi:[0,0]
	v_pk_fma_f32 v[14:15], v[4:5], v[36:37], v[12:13] neg_lo:[0,0,1] neg_hi:[0,0,1]
	v_pk_fma_f32 v[4:5], v[4:5], v[36:37], v[12:13] op_sel_hi:[1,0,1]
	s_nop 0
	v_mov_b32_e32 v15, v5
	s_waitcnt vmcnt(2) lgkmcnt(1)
	v_pk_mul_f32 v[4:5], v[6:7], v[22:23] op_sel:[1,1] op_sel_hi:[0,1]
	v_pk_fma_f32 v[12:13], v[6:7], v[22:23], v[4:5] neg_lo:[0,0,1] neg_hi:[0,0,1]
	v_pk_fma_f32 v[4:5], v[6:7], v[22:23], v[4:5] op_sel_hi:[1,0,1]
	v_pk_add_f32 v[2:3], v[2:3], v[14:15]
	v_mov_b32_e32 v4, v25
	v_mov_b32_e32 v13, v5
	v_pk_mul_f32 v[4:5], v[8:9], v[4:5] op_sel:[1,0] op_sel_hi:[0,0]
	v_pk_fma_f32 v[6:7], v[8:9], v[24:25], v[4:5] neg_lo:[0,0,1] neg_hi:[0,0,1]
	v_pk_fma_f32 v[4:5], v[8:9], v[24:25], v[4:5] op_sel_hi:[1,0,1]
	v_pk_add_f32 v[2:3], v[2:3], v[12:13]
	v_mov_b32_e32 v7, v5
	s_waitcnt vmcnt(1) lgkmcnt(0)
	v_pk_mul_f32 v[4:5], v[10:11], v[58:59] op_sel:[1,1] op_sel_hi:[0,1]
	v_pk_add_f32 v[2:3], v[2:3], v[6:7]
	v_pk_fma_f32 v[6:7], v[10:11], v[58:59], v[4:5] neg_lo:[0,0,1] neg_hi:[0,0,1]
	v_pk_fma_f32 v[4:5], v[10:11], v[58:59], v[4:5] op_sel_hi:[1,0,1]
	s_nop 0
	v_mov_b32_e32 v7, v5
	v_pk_add_f32 v[2:3], v[2:3], v[6:7]
	s_waitcnt vmcnt(0)
	v_pk_add_f32 v[2:3], v[100:101], v[2:3] neg_lo:[0,1] neg_hi:[0,1]
	scratch_store_dwordx2 off, v[2:3], off offset:224
	s_and_saveexec_b64 s[0:1], vcc
	s_cbranch_execz .LBB121_307
; %bb.306:
	scratch_load_dwordx2 v[2:3], off, off offset:216
	v_mov_b32_e32 v103, v102
	scratch_store_dwordx2 off, v[102:103], off offset:216
	s_waitcnt vmcnt(1)
	ds_write_b64 v1, v[2:3]
.LBB121_307:
	s_or_b64 exec, exec, s[0:1]
	s_waitcnt lgkmcnt(0)
	; wave barrier
	scratch_load_dwordx4 v[22:25], off, off offset:224
	scratch_load_dwordx4 v[2:5], off, off offset:240
	;; [unrolled: 1-line block ×11, first 2 shown]
	ds_read_b128 v[104:107], v102 offset:688
	ds_read_b128 v[98:101], v102 offset:704
	;; [unrolled: 1-line block ×10, first 2 shown]
	scratch_load_dwordx4 v[58:61], off, off offset:400
	scratch_load_dwordx4 v[50:53], off, off offset:416
	;; [unrolled: 1-line block ×4, first 2 shown]
	ds_read_b128 v[78:81], v102 offset:848
	ds_read_b128 v[108:111], v102 offset:864
	scratch_load_dwordx2 v[112:113], off, off offset:216
	v_cmp_lt_u32_e32 vcc, 26, v0
	s_waitcnt vmcnt(15) lgkmcnt(11)
	v_mul_f32_e32 v103, v104, v23
	v_mul_f32_e32 v114, v106, v25
	s_waitcnt vmcnt(14) lgkmcnt(10)
	v_mul_f32_e32 v116, v98, v3
	v_mul_f32_e32 v3, v99, v3
	v_fmac_f32_e32 v103, v105, v22
	v_fmac_f32_e32 v114, v107, v24
	v_fmac_f32_e32 v116, v99, v2
	v_fma_f32 v2, v98, v2, -v3
	v_add_f32_e32 v3, 0, v103
	v_mul_f32_e32 v118, v100, v5
	v_add_f32_e32 v3, v3, v114
	s_waitcnt vmcnt(13) lgkmcnt(9)
	v_mul_f32_e32 v119, v94, v7
	v_fmac_f32_e32 v118, v101, v4
	v_add_f32_e32 v3, v3, v116
	v_mul_f32_e32 v120, v96, v9
	v_fmac_f32_e32 v119, v95, v6
	v_add_f32_e32 v3, v3, v118
	s_waitcnt vmcnt(12) lgkmcnt(8)
	v_mul_f32_e32 v121, v90, v11
	v_fmac_f32_e32 v120, v97, v8
	v_add_f32_e32 v3, v3, v119
	v_mul_f32_e32 v122, v92, v13
	v_fmac_f32_e32 v121, v91, v10
	;; [unrolled: 7-line block ×7, first 2 shown]
	v_add_f32_e32 v3, v3, v130
	s_waitcnt vmcnt(6) lgkmcnt(2)
	v_mul_f32_e32 v133, v62, v47
	v_mul_f32_e32 v23, v105, v23
	v_fmac_f32_e32 v132, v69, v44
	v_add_f32_e32 v3, v3, v131
	v_mul_f32_e32 v134, v64, v49
	v_mul_f32_e32 v25, v107, v25
	v_fmac_f32_e32 v133, v63, v46
	v_fma_f32 v22, v104, v22, -v23
	v_add_f32_e32 v3, v3, v132
	v_fmac_f32_e32 v134, v65, v48
	v_fma_f32 v23, v106, v24, -v25
	v_add_f32_e32 v22, 0, v22
	v_add_f32_e32 v3, v3, v133
	;; [unrolled: 1-line block ×4, first 2 shown]
	v_mul_f32_e32 v3, v101, v5
	v_add_f32_e32 v2, v22, v2
	v_fma_f32 v3, v100, v4, -v3
	v_add_f32_e32 v2, v2, v3
	v_mul_f32_e32 v3, v95, v7
	v_fma_f32 v3, v94, v6, -v3
	v_add_f32_e32 v2, v2, v3
	v_mul_f32_e32 v3, v97, v9
	;; [unrolled: 3-line block ×16, first 2 shown]
	v_fma_f32 v3, v64, v48, -v3
	s_waitcnt vmcnt(5) lgkmcnt(1)
	v_mul_f32_e32 v115, v78, v55
	v_add_f32_e32 v22, v2, v3
	v_mul_f32_e32 v2, v79, v55
	s_waitcnt vmcnt(4) lgkmcnt(0)
	v_pk_mul_f32 v[16:17], v[108:109], v[58:59] op_sel:[1,1] op_sel_hi:[0,1]
	v_mul_f32_e32 v117, v80, v57
	v_fmac_f32_e32 v115, v79, v54
	v_fma_f32 v114, v78, v54, -v2
	v_mul_f32_e32 v2, v81, v57
	v_pk_fma_f32 v[18:19], v[108:109], v[58:59], v[16:17] neg_lo:[0,0,1] neg_hi:[0,0,1]
	v_pk_fma_f32 v[16:17], v[108:109], v[58:59], v[16:17] op_sel_hi:[1,0,1]
	v_fmac_f32_e32 v117, v81, v56
	v_fma_f32 v116, v80, v56, -v2
	ds_read_b128 v[2:5], v102 offset:880
	ds_read_b128 v[6:9], v102 offset:896
	;; [unrolled: 1-line block ×3, first 2 shown]
	v_pk_add_f32 v[14:15], v[22:23], v[114:115]
	v_mov_b32_e32 v16, v61
	v_pk_add_f32 v[14:15], v[14:15], v[116:117]
	v_mov_b32_e32 v19, v17
	v_pk_mul_f32 v[16:17], v[110:111], v[16:17] op_sel:[1,0] op_sel_hi:[0,0]
	v_pk_add_f32 v[14:15], v[14:15], v[18:19]
	v_pk_fma_f32 v[18:19], v[110:111], v[60:61], v[16:17] neg_lo:[0,0,1] neg_hi:[0,0,1]
	v_pk_fma_f32 v[16:17], v[110:111], v[60:61], v[16:17] op_sel_hi:[1,0,1]
	s_nop 0
	v_mov_b32_e32 v19, v17
	s_waitcnt vmcnt(3) lgkmcnt(2)
	v_pk_mul_f32 v[16:17], v[2:3], v[50:51] op_sel:[1,1] op_sel_hi:[0,1]
	v_pk_add_f32 v[14:15], v[14:15], v[18:19]
	v_pk_fma_f32 v[18:19], v[2:3], v[50:51], v[16:17] neg_lo:[0,0,1] neg_hi:[0,0,1]
	v_pk_fma_f32 v[2:3], v[2:3], v[50:51], v[16:17] op_sel_hi:[1,0,1]
	s_nop 0
	v_mov_b32_e32 v19, v3
	v_pk_add_f32 v[2:3], v[14:15], v[18:19]
	v_mov_b32_e32 v14, v53
	v_pk_mul_f32 v[14:15], v[4:5], v[14:15] op_sel:[1,0] op_sel_hi:[0,0]
	v_pk_fma_f32 v[16:17], v[4:5], v[52:53], v[14:15] neg_lo:[0,0,1] neg_hi:[0,0,1]
	v_pk_fma_f32 v[4:5], v[4:5], v[52:53], v[14:15] op_sel_hi:[1,0,1]
	s_nop 0
	v_mov_b32_e32 v17, v5
	s_waitcnt vmcnt(2) lgkmcnt(1)
	v_pk_mul_f32 v[4:5], v[6:7], v[38:39] op_sel:[1,1] op_sel_hi:[0,1]
	v_pk_fma_f32 v[14:15], v[6:7], v[38:39], v[4:5] neg_lo:[0,0,1] neg_hi:[0,0,1]
	v_pk_fma_f32 v[4:5], v[6:7], v[38:39], v[4:5] op_sel_hi:[1,0,1]
	v_pk_add_f32 v[2:3], v[2:3], v[16:17]
	v_mov_b32_e32 v4, v41
	v_mov_b32_e32 v15, v5
	v_pk_mul_f32 v[4:5], v[8:9], v[4:5] op_sel:[1,0] op_sel_hi:[0,0]
	v_pk_fma_f32 v[6:7], v[8:9], v[40:41], v[4:5] neg_lo:[0,0,1] neg_hi:[0,0,1]
	v_pk_fma_f32 v[4:5], v[8:9], v[40:41], v[4:5] op_sel_hi:[1,0,1]
	v_pk_add_f32 v[2:3], v[2:3], v[14:15]
	v_mov_b32_e32 v7, v5
	s_waitcnt vmcnt(1) lgkmcnt(0)
	v_pk_mul_f32 v[4:5], v[10:11], v[26:27] op_sel:[1,1] op_sel_hi:[0,1]
	v_pk_add_f32 v[2:3], v[2:3], v[6:7]
	v_pk_fma_f32 v[6:7], v[10:11], v[26:27], v[4:5] neg_lo:[0,0,1] neg_hi:[0,0,1]
	v_pk_fma_f32 v[4:5], v[10:11], v[26:27], v[4:5] op_sel_hi:[1,0,1]
	s_nop 0
	v_mov_b32_e32 v4, v29
	v_mov_b32_e32 v7, v5
	v_pk_mul_f32 v[4:5], v[12:13], v[4:5] op_sel:[1,0] op_sel_hi:[0,0]
	v_pk_add_f32 v[2:3], v[2:3], v[6:7]
	v_pk_fma_f32 v[6:7], v[12:13], v[28:29], v[4:5] neg_lo:[0,0,1] neg_hi:[0,0,1]
	v_pk_fma_f32 v[4:5], v[12:13], v[28:29], v[4:5] op_sel_hi:[1,0,1]
	s_nop 0
	v_mov_b32_e32 v7, v5
	v_pk_add_f32 v[2:3], v[2:3], v[6:7]
	s_waitcnt vmcnt(0)
	v_pk_add_f32 v[2:3], v[112:113], v[2:3] neg_lo:[0,1] neg_hi:[0,1]
	scratch_store_dwordx2 off, v[2:3], off offset:216
	s_and_saveexec_b64 s[0:1], vcc
	s_cbranch_execz .LBB121_309
; %bb.308:
	scratch_load_dwordx2 v[2:3], off, off offset:208
	v_mov_b32_e32 v4, 0
	v_mov_b32_e32 v5, v4
	scratch_store_dwordx2 off, v[4:5], off offset:208
	s_waitcnt vmcnt(1)
	ds_write_b64 v1, v[2:3]
.LBB121_309:
	s_or_b64 exec, exec, s[0:1]
	s_waitcnt lgkmcnt(0)
	; wave barrier
	scratch_load_dwordx4 v[2:5], off, off offset:216
	scratch_load_dwordx4 v[6:9], off, off offset:232
	;; [unrolled: 1-line block ×15, first 2 shown]
	scratch_load_dwordx2 v[62:63], off, off offset:456
	scratch_load_dwordx2 v[76:77], off, off offset:208
	v_mov_b32_e32 v78, 0
	ds_read2_b64 v[64:67], v78 offset0:85 offset1:86
	ds_read2_b64 v[68:71], v78 offset0:87 offset1:88
	;; [unrolled: 1-line block ×12, first 2 shown]
	v_cmp_lt_u32_e32 vcc, 25, v0
	s_waitcnt vmcnt(16) lgkmcnt(11)
	v_mul_f32_e32 v79, v64, v3
	v_mul_f32_e32 v116, v66, v5
	;; [unrolled: 1-line block ×3, first 2 shown]
	v_fmac_f32_e32 v79, v65, v2
	s_waitcnt vmcnt(15) lgkmcnt(10)
	v_mul_f32_e32 v118, v68, v7
	v_fmac_f32_e32 v116, v67, v4
	v_fma_f32 v2, v64, v2, -v3
	v_add_f32_e32 v3, 0, v79
	v_mul_f32_e32 v120, v70, v9
	v_fmac_f32_e32 v118, v69, v6
	v_add_f32_e32 v3, v3, v116
	s_waitcnt vmcnt(14) lgkmcnt(9)
	v_mul_f32_e32 v121, v72, v11
	v_fmac_f32_e32 v120, v71, v8
	v_add_f32_e32 v3, v3, v118
	v_mul_f32_e32 v122, v74, v13
	v_fmac_f32_e32 v121, v73, v10
	v_add_f32_e32 v3, v3, v120
	s_waitcnt vmcnt(13) lgkmcnt(8)
	v_mul_f32_e32 v123, v80, v15
	v_fmac_f32_e32 v122, v75, v12
	;; [unrolled: 7-line block ×9, first 2 shown]
	v_add_f32_e32 v3, v3, v135
	v_mul_f32_e32 v5, v67, v5
	v_fmac_f32_e32 v137, v109, v58
	v_add_f32_e32 v3, v3, v136
	v_add_f32_e32 v2, 0, v2
	;; [unrolled: 1-line block ×3, first 2 shown]
	v_fma_f32 v3, v66, v4, -v5
	v_add_f32_e32 v2, v2, v3
	v_mul_f32_e32 v3, v69, v7
	v_fma_f32 v3, v68, v6, -v3
	v_add_f32_e32 v2, v2, v3
	v_mul_f32_e32 v3, v71, v9
	;; [unrolled: 3-line block ×20, first 2 shown]
	v_mul_f32_e32 v117, v110, v61
	v_fma_f32 v116, v110, v60, -v2
	s_waitcnt vmcnt(5) lgkmcnt(0)
	v_mul_f32_e32 v2, v113, v55
	v_mov_b32_e32 v18, v57
	v_mul_f32_e32 v119, v112, v55
	v_fmac_f32_e32 v117, v111, v60
	v_fma_f32 v118, v112, v54, -v2
	ds_read2_b64 v[2:5], v78 offset0:109 offset1:110
	ds_read2_b64 v[6:9], v78 offset0:111 offset1:112
	;; [unrolled: 1-line block ×3, first 2 shown]
	ds_read_b64 v[14:15], v78 offset:920
	v_pk_mul_f32 v[18:19], v[114:115], v[18:19] op_sel:[1,0] op_sel_hi:[0,0]
	v_fmac_f32_e32 v119, v113, v54
	v_pk_add_f32 v[16:17], v[64:65], v[116:117]
	v_pk_fma_f32 v[20:21], v[114:115], v[56:57], v[18:19] neg_lo:[0,0,1] neg_hi:[0,0,1]
	v_pk_fma_f32 v[18:19], v[114:115], v[56:57], v[18:19] op_sel_hi:[1,0,1]
	v_pk_add_f32 v[16:17], v[16:17], v[118:119]
	v_mov_b32_e32 v21, v19
	s_waitcnt vmcnt(4) lgkmcnt(3)
	v_pk_mul_f32 v[18:19], v[2:3], v[50:51] op_sel:[1,1] op_sel_hi:[0,1]
	v_pk_add_f32 v[16:17], v[16:17], v[20:21]
	v_pk_fma_f32 v[20:21], v[2:3], v[50:51], v[18:19] neg_lo:[0,0,1] neg_hi:[0,0,1]
	v_pk_fma_f32 v[2:3], v[2:3], v[50:51], v[18:19] op_sel_hi:[1,0,1]
	s_nop 0
	v_mov_b32_e32 v21, v3
	v_pk_add_f32 v[2:3], v[16:17], v[20:21]
	v_mov_b32_e32 v16, v53
	v_pk_mul_f32 v[16:17], v[4:5], v[16:17] op_sel:[1,0] op_sel_hi:[0,0]
	v_pk_fma_f32 v[18:19], v[4:5], v[52:53], v[16:17] neg_lo:[0,0,1] neg_hi:[0,0,1]
	v_pk_fma_f32 v[4:5], v[4:5], v[52:53], v[16:17] op_sel_hi:[1,0,1]
	s_nop 0
	v_mov_b32_e32 v19, v5
	s_waitcnt vmcnt(3) lgkmcnt(2)
	v_pk_mul_f32 v[4:5], v[6:7], v[38:39] op_sel:[1,1] op_sel_hi:[0,1]
	v_pk_fma_f32 v[16:17], v[6:7], v[38:39], v[4:5] neg_lo:[0,0,1] neg_hi:[0,0,1]
	v_pk_fma_f32 v[4:5], v[6:7], v[38:39], v[4:5] op_sel_hi:[1,0,1]
	v_pk_add_f32 v[2:3], v[2:3], v[18:19]
	v_mov_b32_e32 v4, v41
	v_mov_b32_e32 v17, v5
	v_pk_mul_f32 v[4:5], v[8:9], v[4:5] op_sel:[1,0] op_sel_hi:[0,0]
	v_pk_fma_f32 v[6:7], v[8:9], v[40:41], v[4:5] neg_lo:[0,0,1] neg_hi:[0,0,1]
	v_pk_fma_f32 v[4:5], v[8:9], v[40:41], v[4:5] op_sel_hi:[1,0,1]
	v_pk_add_f32 v[2:3], v[2:3], v[16:17]
	v_mov_b32_e32 v7, v5
	s_waitcnt vmcnt(2) lgkmcnt(1)
	v_pk_mul_f32 v[4:5], v[10:11], v[26:27] op_sel:[1,1] op_sel_hi:[0,1]
	v_pk_add_f32 v[2:3], v[2:3], v[6:7]
	v_pk_fma_f32 v[6:7], v[10:11], v[26:27], v[4:5] neg_lo:[0,0,1] neg_hi:[0,0,1]
	v_pk_fma_f32 v[4:5], v[10:11], v[26:27], v[4:5] op_sel_hi:[1,0,1]
	s_nop 0
	v_mov_b32_e32 v4, v29
	v_mov_b32_e32 v7, v5
	v_pk_mul_f32 v[4:5], v[12:13], v[4:5] op_sel:[1,0] op_sel_hi:[0,0]
	v_pk_add_f32 v[2:3], v[2:3], v[6:7]
	v_pk_fma_f32 v[6:7], v[12:13], v[28:29], v[4:5] neg_lo:[0,0,1] neg_hi:[0,0,1]
	v_pk_fma_f32 v[4:5], v[12:13], v[28:29], v[4:5] op_sel_hi:[1,0,1]
	s_nop 0
	v_mov_b32_e32 v7, v5
	s_waitcnt vmcnt(1) lgkmcnt(0)
	v_pk_mul_f32 v[4:5], v[14:15], v[62:63] op_sel:[1,1] op_sel_hi:[0,1]
	v_pk_add_f32 v[2:3], v[2:3], v[6:7]
	v_pk_fma_f32 v[6:7], v[14:15], v[62:63], v[4:5] neg_lo:[0,0,1] neg_hi:[0,0,1]
	v_pk_fma_f32 v[4:5], v[14:15], v[62:63], v[4:5] op_sel_hi:[1,0,1]
	s_nop 0
	v_mov_b32_e32 v7, v5
	v_pk_add_f32 v[2:3], v[2:3], v[6:7]
	s_waitcnt vmcnt(0)
	v_pk_add_f32 v[2:3], v[76:77], v[2:3] neg_lo:[0,1] neg_hi:[0,1]
	scratch_store_dwordx2 off, v[2:3], off offset:208
	s_and_saveexec_b64 s[0:1], vcc
	s_cbranch_execz .LBB121_311
; %bb.310:
	scratch_load_dwordx2 v[2:3], off, off offset:200
	v_mov_b32_e32 v79, v78
	scratch_store_dwordx2 off, v[78:79], off offset:200
	s_waitcnt vmcnt(1)
	ds_write_b64 v1, v[2:3]
.LBB121_311:
	s_or_b64 exec, exec, s[0:1]
	s_waitcnt lgkmcnt(0)
	; wave barrier
	scratch_load_dwordx4 v[58:61], off, off offset:208
	scratch_load_dwordx4 v[62:65], off, off offset:224
	;; [unrolled: 1-line block ×12, first 2 shown]
	ds_read_b128 v[92:95], v78 offset:672
	ds_read_b128 v[96:99], v78 offset:688
	;; [unrolled: 1-line block ×12, first 2 shown]
	scratch_load_dwordx4 v[42:45], off, off offset:400
	scratch_load_dwordx4 v[34:37], off, off offset:416
	;; [unrolled: 1-line block ×4, first 2 shown]
	v_cmp_lt_u32_e32 vcc, 24, v0
	s_waitcnt vmcnt(15) lgkmcnt(11)
	v_mul_f32_e32 v79, v92, v59
	v_mul_f32_e32 v59, v93, v59
	;; [unrolled: 1-line block ×4, first 2 shown]
	v_fmac_f32_e32 v79, v93, v58
	v_fma_f32 v58, v92, v58, -v59
	v_fmac_f32_e32 v80, v95, v60
	v_add_f32_e32 v58, 0, v58
	v_fma_f32 v60, v94, v60, -v61
	v_add_f32_e32 v58, v58, v60
	s_waitcnt vmcnt(14) lgkmcnt(10)
	v_mul_f32_e32 v60, v97, v63
	v_fma_f32 v60, v96, v62, -v60
	v_add_f32_e32 v58, v58, v60
	v_mul_f32_e32 v60, v99, v65
	v_fma_f32 v60, v98, v64, -v60
	v_add_f32_e32 v58, v58, v60
	s_waitcnt vmcnt(13) lgkmcnt(9)
	v_mul_f32_e32 v60, v101, v67
	v_fma_f32 v60, v100, v66, -v60
	v_add_f32_e32 v58, v58, v60
	v_mul_f32_e32 v60, v103, v69
	;; [unrolled: 7-line block ×5, first 2 shown]
	v_fma_f32 v60, v114, v86, -v60
	v_add_f32_e32 v58, v58, v60
	s_waitcnt vmcnt(9) lgkmcnt(5)
	v_mul_f32_e32 v60, v117, v89
	v_fma_f32 v60, v116, v88, -v60
	v_mul_f32_e32 v82, v96, v63
	v_add_f32_e32 v58, v58, v60
	v_mul_f32_e32 v60, v119, v91
	v_fmac_f32_e32 v82, v97, v62
	v_fma_f32 v62, v118, v90, -v60
	scratch_load_dwordx2 v[60:61], off, off offset:200
	v_add_f32_e32 v59, 0, v79
	v_mul_f32_e32 v120, v98, v65
	v_add_f32_e32 v59, v59, v80
	v_mul_f32_e32 v121, v100, v67
	s_waitcnt vmcnt(9) lgkmcnt(4)
	v_mul_f32_e32 v131, v54, v3
	v_fmac_f32_e32 v120, v99, v64
	v_add_f32_e32 v59, v59, v82
	v_mul_f32_e32 v3, v55, v3
	v_mul_f32_e32 v122, v102, v69
	v_fmac_f32_e32 v121, v101, v66
	v_fmac_f32_e32 v131, v55, v2
	v_add_f32_e32 v59, v59, v120
	v_add_f32_e32 v58, v58, v62
	v_fma_f32 v2, v54, v2, -v3
	v_mul_f32_e32 v3, v57, v5
	v_mul_f32_e32 v123, v104, v71
	v_fmac_f32_e32 v122, v103, v68
	v_add_f32_e32 v59, v59, v121
	v_add_f32_e32 v2, v58, v2
	v_fma_f32 v3, v56, v4, -v3
	v_mul_f32_e32 v124, v106, v73
	v_fmac_f32_e32 v123, v105, v70
	v_add_f32_e32 v59, v59, v122
	v_add_f32_e32 v2, v2, v3
	s_waitcnt vmcnt(8) lgkmcnt(3)
	v_mul_f32_e32 v3, v51, v7
	v_mul_f32_e32 v125, v108, v75
	v_fmac_f32_e32 v124, v107, v72
	v_add_f32_e32 v59, v59, v123
	v_fma_f32 v3, v50, v6, -v3
	v_mul_f32_e32 v126, v110, v77
	v_fmac_f32_e32 v125, v109, v74
	v_add_f32_e32 v59, v59, v124
	v_add_f32_e32 v2, v2, v3
	v_mul_f32_e32 v3, v53, v9
	v_mul_f32_e32 v127, v112, v85
	v_fmac_f32_e32 v126, v111, v76
	v_add_f32_e32 v59, v59, v125
	v_fma_f32 v3, v52, v8, -v3
	v_mul_f32_e32 v128, v114, v87
	v_fmac_f32_e32 v127, v113, v84
	v_add_f32_e32 v59, v59, v126
	v_add_f32_e32 v2, v2, v3
	s_waitcnt vmcnt(7) lgkmcnt(2)
	v_mul_f32_e32 v3, v47, v11
	v_mul_f32_e32 v129, v116, v89
	v_fmac_f32_e32 v128, v115, v86
	v_add_f32_e32 v59, v59, v127
	v_fma_f32 v3, v46, v10, -v3
	v_mul_f32_e32 v130, v118, v91
	v_fmac_f32_e32 v129, v117, v88
	v_add_f32_e32 v59, v59, v128
	v_add_f32_e32 v2, v2, v3
	v_mul_f32_e32 v3, v49, v13
	v_fmac_f32_e32 v130, v119, v90
	v_add_f32_e32 v59, v59, v129
	v_fma_f32 v3, v48, v12, -v3
	v_mul_f32_e32 v132, v56, v5
	v_add_f32_e32 v59, v59, v130
	v_add_f32_e32 v2, v2, v3
	s_waitcnt vmcnt(6) lgkmcnt(1)
	v_mul_f32_e32 v3, v39, v15
	v_mul_f32_e32 v133, v50, v7
	v_fmac_f32_e32 v132, v57, v4
	v_add_f32_e32 v59, v59, v131
	v_fma_f32 v3, v38, v14, -v3
	v_mul_f32_e32 v134, v52, v9
	v_fmac_f32_e32 v133, v51, v6
	v_add_f32_e32 v59, v59, v132
	v_add_f32_e32 v2, v2, v3
	v_mul_f32_e32 v3, v41, v17
	v_mul_f32_e32 v135, v46, v11
	v_fmac_f32_e32 v134, v53, v8
	v_add_f32_e32 v59, v59, v133
	v_fma_f32 v3, v40, v16, -v3
	v_mul_f32_e32 v136, v48, v13
	v_fmac_f32_e32 v135, v47, v10
	v_add_f32_e32 v59, v59, v134
	v_add_f32_e32 v58, v2, v3
	s_waitcnt vmcnt(5) lgkmcnt(0)
	v_mul_f32_e32 v2, v31, v23
	v_mul_f32_e32 v137, v38, v15
	;; [unrolled: 1-line block ×3, first 2 shown]
	v_fmac_f32_e32 v136, v49, v12
	v_add_f32_e32 v59, v59, v135
	v_fma_f32 v82, v30, v22, -v2
	v_mul_f32_e32 v2, v33, v25
	v_fmac_f32_e32 v137, v39, v14
	v_fmac_f32_e32 v138, v41, v16
	v_add_f32_e32 v59, v59, v136
	v_fma_f32 v80, v32, v24, -v2
	ds_read_b128 v[2:5], v78 offset:864
	ds_read_b128 v[6:9], v78 offset:880
	;; [unrolled: 1-line block ×4, first 2 shown]
	v_mul_f32_e32 v83, v30, v23
	v_mul_f32_e32 v81, v32, v25
	v_add_f32_e32 v59, v59, v137
	v_fmac_f32_e32 v83, v31, v22
	v_fmac_f32_e32 v81, v33, v24
	v_add_f32_e32 v59, v59, v138
	s_waitcnt vmcnt(4) lgkmcnt(3)
	v_pk_mul_f32 v[24:25], v[2:3], v[42:43] op_sel:[1,1] op_sel_hi:[0,1]
	v_pk_add_f32 v[22:23], v[58:59], v[82:83]
	v_pk_fma_f32 v[30:31], v[2:3], v[42:43], v[24:25] neg_lo:[0,0,1] neg_hi:[0,0,1]
	v_pk_fma_f32 v[2:3], v[2:3], v[42:43], v[24:25] op_sel_hi:[1,0,1]
	v_pk_add_f32 v[22:23], v[22:23], v[80:81]
	v_mov_b32_e32 v31, v3
	v_pk_add_f32 v[2:3], v[22:23], v[30:31]
	v_mov_b32_e32 v22, v45
	v_pk_mul_f32 v[22:23], v[4:5], v[22:23] op_sel:[1,0] op_sel_hi:[0,0]
	v_pk_fma_f32 v[24:25], v[4:5], v[44:45], v[22:23] neg_lo:[0,0,1] neg_hi:[0,0,1]
	v_pk_fma_f32 v[4:5], v[4:5], v[44:45], v[22:23] op_sel_hi:[1,0,1]
	s_nop 0
	v_mov_b32_e32 v25, v5
	s_waitcnt vmcnt(3) lgkmcnt(2)
	v_pk_mul_f32 v[4:5], v[6:7], v[34:35] op_sel:[1,1] op_sel_hi:[0,1]
	v_pk_fma_f32 v[22:23], v[6:7], v[34:35], v[4:5] neg_lo:[0,0,1] neg_hi:[0,0,1]
	v_pk_fma_f32 v[4:5], v[6:7], v[34:35], v[4:5] op_sel_hi:[1,0,1]
	v_pk_add_f32 v[2:3], v[2:3], v[24:25]
	v_mov_b32_e32 v4, v37
	v_mov_b32_e32 v23, v5
	v_pk_mul_f32 v[4:5], v[8:9], v[4:5] op_sel:[1,0] op_sel_hi:[0,0]
	v_pk_fma_f32 v[6:7], v[8:9], v[36:37], v[4:5] neg_lo:[0,0,1] neg_hi:[0,0,1]
	v_pk_fma_f32 v[4:5], v[8:9], v[36:37], v[4:5] op_sel_hi:[1,0,1]
	v_pk_add_f32 v[2:3], v[2:3], v[22:23]
	v_mov_b32_e32 v7, v5
	s_waitcnt vmcnt(2) lgkmcnt(1)
	v_pk_mul_f32 v[4:5], v[10:11], v[26:27] op_sel:[1,1] op_sel_hi:[0,1]
	v_pk_add_f32 v[2:3], v[2:3], v[6:7]
	v_pk_fma_f32 v[6:7], v[10:11], v[26:27], v[4:5] neg_lo:[0,0,1] neg_hi:[0,0,1]
	v_pk_fma_f32 v[4:5], v[10:11], v[26:27], v[4:5] op_sel_hi:[1,0,1]
	s_nop 0
	v_mov_b32_e32 v4, v29
	v_mov_b32_e32 v7, v5
	v_pk_mul_f32 v[4:5], v[12:13], v[4:5] op_sel:[1,0] op_sel_hi:[0,0]
	v_pk_add_f32 v[2:3], v[2:3], v[6:7]
	v_pk_fma_f32 v[6:7], v[12:13], v[28:29], v[4:5] neg_lo:[0,0,1] neg_hi:[0,0,1]
	v_pk_fma_f32 v[4:5], v[12:13], v[28:29], v[4:5] op_sel_hi:[1,0,1]
	s_nop 0
	v_mov_b32_e32 v7, v5
	s_waitcnt vmcnt(1) lgkmcnt(0)
	v_pk_mul_f32 v[4:5], v[14:15], v[18:19] op_sel:[1,1] op_sel_hi:[0,1]
	v_pk_add_f32 v[2:3], v[2:3], v[6:7]
	v_pk_fma_f32 v[6:7], v[14:15], v[18:19], v[4:5] neg_lo:[0,0,1] neg_hi:[0,0,1]
	v_pk_fma_f32 v[4:5], v[14:15], v[18:19], v[4:5] op_sel_hi:[1,0,1]
	s_nop 0
	v_mov_b32_e32 v4, v21
	v_mov_b32_e32 v7, v5
	v_pk_mul_f32 v[4:5], v[16:17], v[4:5] op_sel:[1,0] op_sel_hi:[0,0]
	v_pk_add_f32 v[2:3], v[2:3], v[6:7]
	v_pk_fma_f32 v[6:7], v[16:17], v[20:21], v[4:5] neg_lo:[0,0,1] neg_hi:[0,0,1]
	v_pk_fma_f32 v[4:5], v[16:17], v[20:21], v[4:5] op_sel_hi:[1,0,1]
	s_nop 0
	v_mov_b32_e32 v7, v5
	v_pk_add_f32 v[2:3], v[2:3], v[6:7]
	s_waitcnt vmcnt(0)
	v_pk_add_f32 v[2:3], v[60:61], v[2:3] neg_lo:[0,1] neg_hi:[0,1]
	scratch_store_dwordx2 off, v[2:3], off offset:200
	s_and_saveexec_b64 s[0:1], vcc
	s_cbranch_execz .LBB121_313
; %bb.312:
	scratch_load_dwordx2 v[2:3], off, off offset:192
	v_mov_b32_e32 v4, 0
	v_mov_b32_e32 v5, v4
	scratch_store_dwordx2 off, v[4:5], off offset:192
	s_waitcnt vmcnt(1)
	ds_write_b64 v1, v[2:3]
.LBB121_313:
	s_or_b64 exec, exec, s[0:1]
	s_waitcnt lgkmcnt(0)
	; wave barrier
	scratch_load_dwordx4 v[2:5], off, off offset:200
	scratch_load_dwordx4 v[6:9], off, off offset:216
	;; [unrolled: 1-line block ×13, first 2 shown]
	v_mov_b32_e32 v106, 0
	scratch_load_dwordx2 v[124:125], off, off offset:192
	ds_read2_b64 v[54:57], v106 offset0:83 offset1:84
	ds_read2_b64 v[58:61], v106 offset0:85 offset1:86
	;; [unrolled: 1-line block ×14, first 2 shown]
	v_cmp_lt_u32_e32 vcc, 23, v0
	s_waitcnt vmcnt(13) lgkmcnt(13)
	v_mul_f32_e32 v107, v54, v3
	v_mul_f32_e32 v112, v56, v5
	v_fmac_f32_e32 v107, v55, v2
	s_waitcnt vmcnt(12) lgkmcnt(12)
	v_mul_f32_e32 v113, v58, v7
	v_fmac_f32_e32 v112, v57, v4
	v_add_f32_e32 v107, 0, v107
	v_mul_f32_e32 v114, v60, v9
	v_fmac_f32_e32 v113, v59, v6
	v_add_f32_e32 v107, v107, v112
	s_waitcnt vmcnt(11) lgkmcnt(11)
	v_mul_f32_e32 v115, v62, v11
	v_fmac_f32_e32 v114, v61, v8
	v_add_f32_e32 v107, v107, v113
	v_mul_f32_e32 v116, v64, v13
	v_fmac_f32_e32 v115, v63, v10
	v_add_f32_e32 v107, v107, v114
	;; [unrolled: 7-line block ×8, first 2 shown]
	s_waitcnt vmcnt(4) lgkmcnt(4)
	v_mul_f32_e32 v133, v90, v39
	v_fmac_f32_e32 v132, v89, v36
	v_add_f32_e32 v107, v107, v131
	v_fmac_f32_e32 v133, v91, v38
	v_add_f32_e32 v107, v107, v132
	v_add_f32_e32 v107, v107, v133
	scratch_load_dwordx4 v[112:115], off, off offset:408
	scratch_load_dwordx4 v[116:119], off, off offset:424
	;; [unrolled: 1-line block ×3, first 2 shown]
	scratch_load_dwordx2 v[132:133], off, off offset:456
	v_mul_f32_e32 v3, v55, v3
	v_fma_f32 v2, v54, v2, -v3
	v_mul_f32_e32 v3, v57, v5
	v_add_f32_e32 v2, 0, v2
	v_fma_f32 v3, v56, v4, -v3
	v_add_f32_e32 v2, v2, v3
	v_mul_f32_e32 v3, v59, v7
	v_fma_f32 v3, v58, v6, -v3
	v_add_f32_e32 v2, v2, v3
	v_mul_f32_e32 v3, v61, v9
	v_fma_f32 v3, v60, v8, -v3
	v_add_f32_e32 v2, v2, v3
	v_mul_f32_e32 v3, v63, v11
	v_fma_f32 v3, v62, v10, -v3
	v_add_f32_e32 v2, v2, v3
	v_mul_f32_e32 v3, v65, v13
	v_fma_f32 v3, v64, v12, -v3
	v_add_f32_e32 v2, v2, v3
	v_mul_f32_e32 v3, v67, v15
	v_fma_f32 v3, v66, v14, -v3
	v_add_f32_e32 v2, v2, v3
	v_mul_f32_e32 v3, v69, v17
	v_fma_f32 v3, v68, v16, -v3
	v_add_f32_e32 v2, v2, v3
	v_mul_f32_e32 v3, v71, v19
	v_fma_f32 v3, v70, v18, -v3
	v_add_f32_e32 v2, v2, v3
	v_mul_f32_e32 v3, v73, v21
	v_fma_f32 v3, v72, v20, -v3
	v_add_f32_e32 v2, v2, v3
	v_mul_f32_e32 v3, v75, v23
	v_fma_f32 v3, v74, v22, -v3
	v_add_f32_e32 v2, v2, v3
	v_mul_f32_e32 v3, v77, v25
	v_fma_f32 v3, v76, v24, -v3
	v_add_f32_e32 v2, v2, v3
	v_mul_f32_e32 v3, v79, v27
	v_fma_f32 v3, v78, v26, -v3
	v_add_f32_e32 v2, v2, v3
	v_mul_f32_e32 v3, v81, v29
	v_fma_f32 v3, v80, v28, -v3
	v_add_f32_e32 v2, v2, v3
	v_mul_f32_e32 v3, v83, v31
	v_fma_f32 v3, v82, v30, -v3
	v_add_f32_e32 v2, v2, v3
	v_mul_f32_e32 v3, v85, v33
	v_fma_f32 v3, v84, v32, -v3
	v_add_f32_e32 v2, v2, v3
	v_mul_f32_e32 v3, v87, v35
	v_fma_f32 v3, v86, v34, -v3
	v_add_f32_e32 v2, v2, v3
	v_mul_f32_e32 v3, v89, v37
	v_fma_f32 v3, v88, v36, -v3
	v_add_f32_e32 v2, v2, v3
	v_mul_f32_e32 v3, v91, v39
	v_fma_f32 v3, v90, v38, -v3
	v_add_f32_e32 v2, v2, v3
	v_mul_f32_e32 v3, v93, v41
	v_fma_f32 v3, v92, v40, -v3
	v_add_f32_e32 v2, v2, v3
	s_waitcnt vmcnt(7) lgkmcnt(3)
	v_mul_f32_e32 v3, v95, v43
	v_fma_f32 v3, v94, v42, -v3
	v_mul_f32_e32 v134, v92, v41
	v_add_f32_e32 v2, v2, v3
	v_mul_f32_e32 v3, v97, v45
	v_mul_f32_e32 v135, v94, v43
	v_fmac_f32_e32 v134, v93, v40
	v_fma_f32 v3, v96, v44, -v3
	v_mul_f32_e32 v136, v96, v45
	v_fmac_f32_e32 v135, v95, v42
	v_add_f32_e32 v107, v107, v134
	v_add_f32_e32 v2, v2, v3
	s_waitcnt vmcnt(6) lgkmcnt(2)
	v_mul_f32_e32 v3, v99, v47
	v_mul_f32_e32 v137, v98, v47
	v_fmac_f32_e32 v136, v97, v44
	v_add_f32_e32 v107, v107, v135
	v_fma_f32 v3, v98, v46, -v3
	v_mul_f32_e32 v127, v100, v49
	v_fmac_f32_e32 v137, v99, v46
	v_add_f32_e32 v107, v107, v136
	v_add_f32_e32 v130, v2, v3
	v_mul_f32_e32 v2, v101, v49
	s_waitcnt vmcnt(5)
	v_mov_b32_e32 v14, v53
	s_waitcnt lgkmcnt(1)
	v_mul_f32_e32 v129, v102, v51
	v_fmac_f32_e32 v127, v101, v48
	v_add_f32_e32 v131, v107, v137
	v_fma_f32 v126, v100, v48, -v2
	v_mul_f32_e32 v2, v103, v51
	v_pk_mul_f32 v[14:15], v[104:105], v[14:15] op_sel:[1,0] op_sel_hi:[0,0]
	v_fmac_f32_e32 v129, v103, v50
	v_fma_f32 v128, v102, v50, -v2
	v_pk_add_f32 v[12:13], v[130:131], v[126:127]
	v_pk_fma_f32 v[16:17], v[104:105], v[52:53], v[14:15] neg_lo:[0,0,1] neg_hi:[0,0,1]
	v_pk_fma_f32 v[14:15], v[104:105], v[52:53], v[14:15] op_sel_hi:[1,0,1]
	v_pk_add_f32 v[12:13], v[12:13], v[128:129]
	v_mov_b32_e32 v17, v15
	s_waitcnt vmcnt(3) lgkmcnt(0)
	v_pk_mul_f32 v[14:15], v[108:109], v[112:113] op_sel:[1,1] op_sel_hi:[0,1]
	v_pk_add_f32 v[12:13], v[12:13], v[16:17]
	v_pk_fma_f32 v[16:17], v[108:109], v[112:113], v[14:15] neg_lo:[0,0,1] neg_hi:[0,0,1]
	v_pk_fma_f32 v[14:15], v[108:109], v[112:113], v[14:15] op_sel_hi:[1,0,1]
	ds_read2_b64 v[2:5], v106 offset0:111 offset1:112
	ds_read2_b64 v[6:9], v106 offset0:113 offset1:114
	ds_read_b64 v[10:11], v106 offset:920
	v_mov_b32_e32 v14, v115
	v_mov_b32_e32 v17, v15
	v_pk_mul_f32 v[14:15], v[110:111], v[14:15] op_sel:[1,0] op_sel_hi:[0,0]
	v_pk_add_f32 v[12:13], v[12:13], v[16:17]
	v_pk_fma_f32 v[16:17], v[110:111], v[114:115], v[14:15] neg_lo:[0,0,1] neg_hi:[0,0,1]
	v_pk_fma_f32 v[14:15], v[110:111], v[114:115], v[14:15] op_sel_hi:[1,0,1]
	s_nop 0
	v_mov_b32_e32 v17, v15
	s_waitcnt vmcnt(2) lgkmcnt(2)
	v_pk_mul_f32 v[14:15], v[2:3], v[116:117] op_sel:[1,1] op_sel_hi:[0,1]
	v_pk_add_f32 v[12:13], v[12:13], v[16:17]
	v_pk_fma_f32 v[16:17], v[2:3], v[116:117], v[14:15] neg_lo:[0,0,1] neg_hi:[0,0,1]
	v_pk_fma_f32 v[2:3], v[2:3], v[116:117], v[14:15] op_sel_hi:[1,0,1]
	s_nop 0
	v_mov_b32_e32 v17, v3
	v_pk_add_f32 v[2:3], v[12:13], v[16:17]
	v_mov_b32_e32 v12, v119
	v_pk_mul_f32 v[12:13], v[4:5], v[12:13] op_sel:[1,0] op_sel_hi:[0,0]
	v_pk_fma_f32 v[14:15], v[4:5], v[118:119], v[12:13] neg_lo:[0,0,1] neg_hi:[0,0,1]
	v_pk_fma_f32 v[4:5], v[4:5], v[118:119], v[12:13] op_sel_hi:[1,0,1]
	s_nop 0
	v_mov_b32_e32 v15, v5
	s_waitcnt vmcnt(1) lgkmcnt(1)
	v_pk_mul_f32 v[4:5], v[6:7], v[120:121] op_sel:[1,1] op_sel_hi:[0,1]
	v_pk_fma_f32 v[12:13], v[6:7], v[120:121], v[4:5] neg_lo:[0,0,1] neg_hi:[0,0,1]
	v_pk_fma_f32 v[4:5], v[6:7], v[120:121], v[4:5] op_sel_hi:[1,0,1]
	v_pk_add_f32 v[2:3], v[2:3], v[14:15]
	v_mov_b32_e32 v4, v123
	v_mov_b32_e32 v13, v5
	v_pk_mul_f32 v[4:5], v[8:9], v[4:5] op_sel:[1,0] op_sel_hi:[0,0]
	v_pk_fma_f32 v[6:7], v[8:9], v[122:123], v[4:5] neg_lo:[0,0,1] neg_hi:[0,0,1]
	v_pk_fma_f32 v[4:5], v[8:9], v[122:123], v[4:5] op_sel_hi:[1,0,1]
	v_pk_add_f32 v[2:3], v[2:3], v[12:13]
	v_mov_b32_e32 v7, v5
	s_waitcnt vmcnt(0) lgkmcnt(0)
	v_pk_mul_f32 v[4:5], v[10:11], v[132:133] op_sel:[1,1] op_sel_hi:[0,1]
	v_pk_add_f32 v[2:3], v[2:3], v[6:7]
	v_pk_fma_f32 v[6:7], v[10:11], v[132:133], v[4:5] neg_lo:[0,0,1] neg_hi:[0,0,1]
	v_pk_fma_f32 v[4:5], v[10:11], v[132:133], v[4:5] op_sel_hi:[1,0,1]
	s_nop 0
	v_mov_b32_e32 v7, v5
	v_pk_add_f32 v[2:3], v[2:3], v[6:7]
	s_nop 0
	v_pk_add_f32 v[2:3], v[124:125], v[2:3] neg_lo:[0,1] neg_hi:[0,1]
	scratch_store_dwordx2 off, v[2:3], off offset:192
	s_and_saveexec_b64 s[0:1], vcc
	s_cbranch_execz .LBB121_315
; %bb.314:
	scratch_load_dwordx2 v[2:3], off, off offset:184
	v_mov_b32_e32 v107, v106
	scratch_store_dwordx2 off, v[106:107], off offset:184
	s_waitcnt vmcnt(1)
	ds_write_b64 v1, v[2:3]
.LBB121_315:
	s_or_b64 exec, exec, s[0:1]
	s_waitcnt lgkmcnt(0)
	; wave barrier
	scratch_load_dwordx4 v[2:5], off, off offset:192
	scratch_load_dwordx4 v[6:9], off, off offset:208
	;; [unrolled: 1-line block ×13, first 2 shown]
	ds_read_b128 v[102:105], v106 offset:656
	ds_read_b128 v[98:101], v106 offset:672
	;; [unrolled: 1-line block ×14, first 2 shown]
	scratch_load_dwordx2 v[128:129], off, off offset:184
	v_cmp_lt_u32_e32 vcc, 22, v0
	s_waitcnt vmcnt(13) lgkmcnt(13)
	v_mul_f32_e32 v107, v102, v3
	v_mul_f32_e32 v112, v104, v5
	v_fmac_f32_e32 v107, v103, v2
	s_waitcnt vmcnt(12) lgkmcnt(12)
	v_mul_f32_e32 v113, v98, v7
	v_fmac_f32_e32 v112, v105, v4
	v_add_f32_e32 v107, 0, v107
	v_mul_f32_e32 v114, v100, v9
	v_fmac_f32_e32 v113, v99, v6
	v_add_f32_e32 v107, v107, v112
	s_waitcnt vmcnt(11) lgkmcnt(11)
	v_mul_f32_e32 v115, v94, v11
	v_fmac_f32_e32 v114, v101, v8
	v_add_f32_e32 v107, v107, v113
	v_mul_f32_e32 v116, v96, v13
	v_fmac_f32_e32 v115, v95, v10
	v_add_f32_e32 v107, v107, v114
	;; [unrolled: 7-line block ×7, first 2 shown]
	s_waitcnt vmcnt(5) lgkmcnt(5)
	v_mul_f32_e32 v127, v70, v35
	v_fmac_f32_e32 v126, v77, v32
	v_add_f32_e32 v107, v107, v125
	v_fmac_f32_e32 v127, v71, v34
	v_add_f32_e32 v107, v107, v126
	v_add_f32_e32 v107, v107, v127
	scratch_load_dwordx4 v[112:115], off, off offset:400
	scratch_load_dwordx4 v[116:119], off, off offset:416
	;; [unrolled: 1-line block ×4, first 2 shown]
	v_mul_f32_e32 v3, v103, v3
	v_fma_f32 v2, v102, v2, -v3
	v_mul_f32_e32 v3, v105, v5
	v_add_f32_e32 v2, 0, v2
	v_fma_f32 v3, v104, v4, -v3
	v_add_f32_e32 v2, v2, v3
	v_mul_f32_e32 v3, v99, v7
	v_fma_f32 v3, v98, v6, -v3
	v_add_f32_e32 v2, v2, v3
	v_mul_f32_e32 v3, v101, v9
	;; [unrolled: 3-line block ×16, first 2 shown]
	v_fma_f32 v3, v72, v36, -v3
	v_add_f32_e32 v2, v2, v3
	s_waitcnt vmcnt(8) lgkmcnt(4)
	v_mul_f32_e32 v3, v67, v39
	v_fma_f32 v3, v66, v38, -v3
	v_add_f32_e32 v2, v2, v3
	v_mul_f32_e32 v3, v69, v41
	v_fma_f32 v3, v68, v40, -v3
	v_add_f32_e32 v2, v2, v3
	s_waitcnt vmcnt(7) lgkmcnt(3)
	v_mul_f32_e32 v3, v63, v43
	v_mul_f32_e32 v130, v72, v37
	v_fma_f32 v3, v62, v42, -v3
	v_mul_f32_e32 v132, v66, v39
	v_fmac_f32_e32 v130, v73, v36
	v_add_f32_e32 v2, v2, v3
	v_mul_f32_e32 v3, v65, v45
	v_mul_f32_e32 v134, v68, v41
	v_fmac_f32_e32 v132, v67, v38
	v_add_f32_e32 v107, v107, v130
	v_fma_f32 v3, v64, v44, -v3
	v_mul_f32_e32 v135, v62, v43
	v_fmac_f32_e32 v134, v69, v40
	v_add_f32_e32 v107, v107, v132
	v_add_f32_e32 v2, v2, v3
	s_waitcnt vmcnt(6) lgkmcnt(2)
	v_mul_f32_e32 v3, v59, v47
	v_mul_f32_e32 v136, v64, v45
	v_fmac_f32_e32 v135, v63, v42
	v_add_f32_e32 v107, v107, v134
	v_fma_f32 v3, v58, v46, -v3
	v_mul_f32_e32 v137, v58, v47
	v_fmac_f32_e32 v136, v65, v44
	v_add_f32_e32 v107, v107, v135
	v_add_f32_e32 v2, v2, v3
	v_mul_f32_e32 v3, v61, v49
	v_mul_f32_e32 v138, v60, v49
	v_fmac_f32_e32 v137, v59, v46
	v_add_f32_e32 v107, v107, v136
	v_fma_f32 v3, v60, v48, -v3
	s_waitcnt vmcnt(5) lgkmcnt(1)
	v_mul_f32_e32 v131, v54, v51
	v_fmac_f32_e32 v138, v61, v48
	v_add_f32_e32 v107, v107, v137
	v_add_f32_e32 v134, v2, v3
	v_mul_f32_e32 v2, v55, v51
	s_waitcnt vmcnt(3) lgkmcnt(0)
	v_pk_mul_f32 v[16:17], v[108:109], v[112:113] op_sel:[1,1] op_sel_hi:[0,1]
	v_mul_f32_e32 v133, v56, v53
	v_fmac_f32_e32 v131, v55, v50
	v_add_f32_e32 v135, v107, v138
	v_fma_f32 v130, v54, v50, -v2
	v_mul_f32_e32 v2, v57, v53
	v_pk_fma_f32 v[18:19], v[108:109], v[112:113], v[16:17] neg_lo:[0,0,1] neg_hi:[0,0,1]
	v_pk_fma_f32 v[16:17], v[108:109], v[112:113], v[16:17] op_sel_hi:[1,0,1]
	v_fmac_f32_e32 v133, v57, v52
	v_fma_f32 v132, v56, v52, -v2
	ds_read_b128 v[2:5], v106 offset:880
	ds_read_b128 v[6:9], v106 offset:896
	;; [unrolled: 1-line block ×3, first 2 shown]
	v_pk_add_f32 v[14:15], v[134:135], v[130:131]
	v_mov_b32_e32 v16, v115
	v_pk_add_f32 v[14:15], v[14:15], v[132:133]
	v_mov_b32_e32 v19, v17
	v_pk_mul_f32 v[16:17], v[110:111], v[16:17] op_sel:[1,0] op_sel_hi:[0,0]
	v_pk_add_f32 v[14:15], v[14:15], v[18:19]
	v_pk_fma_f32 v[18:19], v[110:111], v[114:115], v[16:17] neg_lo:[0,0,1] neg_hi:[0,0,1]
	v_pk_fma_f32 v[16:17], v[110:111], v[114:115], v[16:17] op_sel_hi:[1,0,1]
	s_nop 0
	v_mov_b32_e32 v19, v17
	s_waitcnt vmcnt(2) lgkmcnt(2)
	v_pk_mul_f32 v[16:17], v[2:3], v[116:117] op_sel:[1,1] op_sel_hi:[0,1]
	v_pk_add_f32 v[14:15], v[14:15], v[18:19]
	v_pk_fma_f32 v[18:19], v[2:3], v[116:117], v[16:17] neg_lo:[0,0,1] neg_hi:[0,0,1]
	v_pk_fma_f32 v[2:3], v[2:3], v[116:117], v[16:17] op_sel_hi:[1,0,1]
	s_nop 0
	v_mov_b32_e32 v19, v3
	v_pk_add_f32 v[2:3], v[14:15], v[18:19]
	v_mov_b32_e32 v14, v119
	v_pk_mul_f32 v[14:15], v[4:5], v[14:15] op_sel:[1,0] op_sel_hi:[0,0]
	v_pk_fma_f32 v[16:17], v[4:5], v[118:119], v[14:15] neg_lo:[0,0,1] neg_hi:[0,0,1]
	v_pk_fma_f32 v[4:5], v[4:5], v[118:119], v[14:15] op_sel_hi:[1,0,1]
	s_nop 0
	v_mov_b32_e32 v17, v5
	s_waitcnt vmcnt(1) lgkmcnt(1)
	v_pk_mul_f32 v[4:5], v[6:7], v[120:121] op_sel:[1,1] op_sel_hi:[0,1]
	v_pk_fma_f32 v[14:15], v[6:7], v[120:121], v[4:5] neg_lo:[0,0,1] neg_hi:[0,0,1]
	v_pk_fma_f32 v[4:5], v[6:7], v[120:121], v[4:5] op_sel_hi:[1,0,1]
	v_pk_add_f32 v[2:3], v[2:3], v[16:17]
	v_mov_b32_e32 v4, v123
	v_mov_b32_e32 v15, v5
	v_pk_mul_f32 v[4:5], v[8:9], v[4:5] op_sel:[1,0] op_sel_hi:[0,0]
	v_pk_fma_f32 v[6:7], v[8:9], v[122:123], v[4:5] neg_lo:[0,0,1] neg_hi:[0,0,1]
	v_pk_fma_f32 v[4:5], v[8:9], v[122:123], v[4:5] op_sel_hi:[1,0,1]
	v_pk_add_f32 v[2:3], v[2:3], v[14:15]
	v_mov_b32_e32 v7, v5
	s_waitcnt vmcnt(0) lgkmcnt(0)
	v_pk_mul_f32 v[4:5], v[10:11], v[124:125] op_sel:[1,1] op_sel_hi:[0,1]
	v_pk_add_f32 v[2:3], v[2:3], v[6:7]
	v_pk_fma_f32 v[6:7], v[10:11], v[124:125], v[4:5] neg_lo:[0,0,1] neg_hi:[0,0,1]
	v_pk_fma_f32 v[4:5], v[10:11], v[124:125], v[4:5] op_sel_hi:[1,0,1]
	s_nop 0
	v_mov_b32_e32 v4, v127
	v_mov_b32_e32 v7, v5
	v_pk_mul_f32 v[4:5], v[12:13], v[4:5] op_sel:[1,0] op_sel_hi:[0,0]
	v_pk_add_f32 v[2:3], v[2:3], v[6:7]
	v_pk_fma_f32 v[6:7], v[12:13], v[126:127], v[4:5] neg_lo:[0,0,1] neg_hi:[0,0,1]
	v_pk_fma_f32 v[4:5], v[12:13], v[126:127], v[4:5] op_sel_hi:[1,0,1]
	s_nop 0
	v_mov_b32_e32 v7, v5
	v_pk_add_f32 v[2:3], v[2:3], v[6:7]
	s_nop 0
	v_pk_add_f32 v[2:3], v[128:129], v[2:3] neg_lo:[0,1] neg_hi:[0,1]
	scratch_store_dwordx2 off, v[2:3], off offset:184
	s_and_saveexec_b64 s[0:1], vcc
	s_cbranch_execz .LBB121_317
; %bb.316:
	scratch_load_dwordx2 v[2:3], off, off offset:176
	v_mov_b32_e32 v4, 0
	v_mov_b32_e32 v5, v4
	scratch_store_dwordx2 off, v[4:5], off offset:176
	s_waitcnt vmcnt(1)
	ds_write_b64 v1, v[2:3]
.LBB121_317:
	s_or_b64 exec, exec, s[0:1]
	s_waitcnt lgkmcnt(0)
	; wave barrier
	scratch_load_dwordx4 v[6:9], off, off offset:184
	scratch_load_dwordx4 v[14:17], off, off offset:200
	;; [unrolled: 1-line block ×10, first 2 shown]
	v_mov_b32_e32 v70, 0
	ds_read2_b64 v[2:5], v70 offset0:81 offset1:82
	scratch_load_dwordx4 v[88:91], off, off offset:344
	scratch_load_dwordx4 v[96:99], off, off offset:360
	;; [unrolled: 1-line block ×4, first 2 shown]
	v_cmp_lt_u32_e32 vcc, 21, v0
	s_waitcnt vmcnt(13) lgkmcnt(0)
	v_mul_f32_e32 v10, v2, v7
	v_fmac_f32_e32 v10, v3, v6
	v_mul_f32_e32 v11, v4, v9
	v_add_f32_e32 v10, 0, v10
	v_fmac_f32_e32 v11, v5, v8
	v_add_f32_e32 v18, v10, v11
	ds_read2_b64 v[10:13], v70 offset0:83 offset1:84
	v_mul_f32_e32 v3, v3, v7
	v_fma_f32 v2, v2, v6, -v3
	v_mul_f32_e32 v3, v5, v9
	v_add_f32_e32 v2, 0, v2
	s_waitcnt vmcnt(12) lgkmcnt(0)
	v_mul_f32_e32 v19, v10, v15
	v_fmac_f32_e32 v19, v11, v14
	v_add_f32_e32 v18, v18, v19
	v_mul_f32_e32 v19, v12, v17
	v_fmac_f32_e32 v19, v13, v16
	v_add_f32_e32 v26, v18, v19
	ds_read2_b64 v[18:21], v70 offset0:85 offset1:86
	v_fma_f32 v3, v4, v8, -v3
	v_add_f32_e32 v2, v2, v3
	v_mul_f32_e32 v3, v11, v15
	v_fma_f32 v3, v10, v14, -v3
	s_waitcnt vmcnt(11) lgkmcnt(0)
	v_mul_f32_e32 v27, v18, v23
	v_fmac_f32_e32 v27, v19, v22
	v_add_f32_e32 v26, v26, v27
	v_mul_f32_e32 v27, v20, v25
	v_fmac_f32_e32 v27, v21, v24
	v_add_f32_e32 v34, v26, v27
	ds_read2_b64 v[26:29], v70 offset0:87 offset1:88
	v_add_f32_e32 v2, v2, v3
	v_mul_f32_e32 v3, v13, v17
	v_fma_f32 v3, v12, v16, -v3
	v_add_f32_e32 v2, v2, v3
	s_waitcnt vmcnt(10) lgkmcnt(0)
	v_mul_f32_e32 v35, v26, v31
	v_fmac_f32_e32 v35, v27, v30
	v_add_f32_e32 v34, v34, v35
	v_mul_f32_e32 v35, v28, v33
	v_fmac_f32_e32 v35, v29, v32
	v_add_f32_e32 v42, v34, v35
	ds_read2_b64 v[34:37], v70 offset0:89 offset1:90
	v_mul_f32_e32 v3, v19, v23
	v_fma_f32 v3, v18, v22, -v3
	v_add_f32_e32 v2, v2, v3
	v_mul_f32_e32 v3, v21, v25
	s_waitcnt vmcnt(9) lgkmcnt(0)
	v_mul_f32_e32 v43, v34, v39
	v_fmac_f32_e32 v43, v35, v38
	v_add_f32_e32 v42, v42, v43
	v_mul_f32_e32 v43, v36, v41
	v_fmac_f32_e32 v43, v37, v40
	v_add_f32_e32 v50, v42, v43
	ds_read2_b64 v[42:45], v70 offset0:91 offset1:92
	v_fma_f32 v3, v20, v24, -v3
	v_add_f32_e32 v2, v2, v3
	v_mul_f32_e32 v3, v27, v31
	v_fma_f32 v3, v26, v30, -v3
	s_waitcnt vmcnt(8) lgkmcnt(0)
	v_mul_f32_e32 v51, v42, v47
	v_fmac_f32_e32 v51, v43, v46
	v_add_f32_e32 v50, v50, v51
	v_mul_f32_e32 v51, v44, v49
	v_fmac_f32_e32 v51, v45, v48
	v_add_f32_e32 v58, v50, v51
	ds_read2_b64 v[50:53], v70 offset0:93 offset1:94
	v_add_f32_e32 v2, v2, v3
	v_mul_f32_e32 v3, v29, v33
	v_fma_f32 v3, v28, v32, -v3
	v_add_f32_e32 v2, v2, v3
	s_waitcnt vmcnt(7) lgkmcnt(0)
	v_mul_f32_e32 v59, v50, v55
	v_fmac_f32_e32 v59, v51, v54
	v_add_f32_e32 v58, v58, v59
	v_mul_f32_e32 v59, v52, v57
	v_fmac_f32_e32 v59, v53, v56
	v_add_f32_e32 v66, v58, v59
	ds_read2_b64 v[58:61], v70 offset0:95 offset1:96
	v_mul_f32_e32 v3, v35, v39
	v_fma_f32 v3, v34, v38, -v3
	v_add_f32_e32 v2, v2, v3
	v_mul_f32_e32 v3, v37, v41
	;; [unrolled: 36-line block ×3, first 2 shown]
	s_waitcnt vmcnt(3) lgkmcnt(0)
	v_mul_f32_e32 v92, v84, v89
	v_fmac_f32_e32 v92, v85, v88
	v_add_f32_e32 v71, v71, v92
	v_mul_f32_e32 v92, v86, v91
	v_fmac_f32_e32 v92, v87, v90
	v_add_f32_e32 v71, v71, v92
	ds_read2_b64 v[92:95], v70 offset0:103 offset1:104
	v_fma_f32 v3, v52, v56, -v3
	v_add_f32_e32 v2, v2, v3
	v_mul_f32_e32 v3, v59, v63
	v_fma_f32 v3, v58, v62, -v3
	s_waitcnt vmcnt(2) lgkmcnt(0)
	v_mul_f32_e32 v100, v92, v97
	v_fmac_f32_e32 v100, v93, v96
	v_add_f32_e32 v71, v71, v100
	v_mul_f32_e32 v100, v94, v99
	v_fmac_f32_e32 v100, v95, v98
	v_add_f32_e32 v71, v71, v100
	ds_read2_b64 v[100:103], v70 offset0:105 offset1:106
	v_add_f32_e32 v2, v2, v3
	v_mul_f32_e32 v3, v61, v65
	v_fma_f32 v3, v60, v64, -v3
	v_add_f32_e32 v2, v2, v3
	s_waitcnt vmcnt(1) lgkmcnt(0)
	v_mul_f32_e32 v108, v100, v105
	v_fmac_f32_e32 v108, v101, v104
	v_add_f32_e32 v129, v71, v108
	ds_read2_b64 v[108:111], v70 offset0:107 offset1:108
	scratch_load_dwordx4 v[116:119], off, off offset:408
	scratch_load_dwordx4 v[120:123], off, off offset:424
	;; [unrolled: 1-line block ×3, first 2 shown]
	scratch_load_dwordx2 v[134:135], off, off offset:456
	v_mul_f32_e32 v3, v67, v73
	v_fma_f32 v3, v66, v72, -v3
	v_add_f32_e32 v2, v2, v3
	v_mul_f32_e32 v3, v69, v75
	v_fma_f32 v3, v68, v74, -v3
	v_add_f32_e32 v2, v2, v3
	v_mul_f32_e32 v3, v77, v81
	v_fma_f32 v3, v76, v80, -v3
	v_add_f32_e32 v2, v2, v3
	v_mul_f32_e32 v3, v79, v83
	v_fma_f32 v3, v78, v82, -v3
	v_add_f32_e32 v2, v2, v3
	v_mul_f32_e32 v3, v85, v89
	v_fma_f32 v3, v84, v88, -v3
	v_add_f32_e32 v2, v2, v3
	v_mul_f32_e32 v3, v87, v91
	v_fma_f32 v3, v86, v90, -v3
	v_add_f32_e32 v2, v2, v3
	v_mul_f32_e32 v3, v93, v97
	v_fma_f32 v3, v92, v96, -v3
	v_add_f32_e32 v2, v2, v3
	v_mul_f32_e32 v3, v95, v99
	v_fma_f32 v3, v94, v98, -v3
	v_add_f32_e32 v2, v2, v3
	v_mul_f32_e32 v3, v101, v105
	v_fma_f32 v3, v100, v104, -v3
	v_add_f32_e32 v128, v2, v3
	v_mul_f32_e32 v2, v103, v107
	v_mul_f32_e32 v131, v102, v107
	v_fma_f32 v130, v102, v106, -v2
	s_waitcnt vmcnt(4) lgkmcnt(0)
	v_mul_f32_e32 v2, v109, v113
	v_mov_b32_e32 v18, v115
	v_fmac_f32_e32 v131, v103, v106
	v_mul_f32_e32 v133, v108, v113
	v_fma_f32 v132, v108, v112, -v2
	ds_read2_b64 v[2:5], v70 offset0:109 offset1:110
	ds_read2_b64 v[6:9], v70 offset0:111 offset1:112
	;; [unrolled: 1-line block ×3, first 2 shown]
	ds_read_b64 v[14:15], v70 offset:920
	v_pk_mul_f32 v[18:19], v[110:111], v[18:19] op_sel:[1,0] op_sel_hi:[0,0]
	v_fmac_f32_e32 v133, v109, v112
	v_pk_add_f32 v[16:17], v[128:129], v[130:131]
	v_pk_fma_f32 v[20:21], v[110:111], v[114:115], v[18:19] neg_lo:[0,0,1] neg_hi:[0,0,1]
	v_pk_fma_f32 v[18:19], v[110:111], v[114:115], v[18:19] op_sel_hi:[1,0,1]
	v_pk_add_f32 v[16:17], v[16:17], v[132:133]
	v_mov_b32_e32 v21, v19
	v_pk_add_f32 v[16:17], v[16:17], v[20:21]
	s_waitcnt vmcnt(3) lgkmcnt(3)
	v_pk_mul_f32 v[18:19], v[2:3], v[116:117] op_sel:[1,1] op_sel_hi:[0,1]
	v_pk_fma_f32 v[20:21], v[2:3], v[116:117], v[18:19] neg_lo:[0,0,1] neg_hi:[0,0,1]
	v_pk_fma_f32 v[2:3], v[2:3], v[116:117], v[18:19] op_sel_hi:[1,0,1]
	s_nop 0
	v_mov_b32_e32 v21, v3
	v_pk_add_f32 v[2:3], v[16:17], v[20:21]
	v_mov_b32_e32 v16, v119
	v_pk_mul_f32 v[16:17], v[4:5], v[16:17] op_sel:[1,0] op_sel_hi:[0,0]
	v_pk_fma_f32 v[18:19], v[4:5], v[118:119], v[16:17] neg_lo:[0,0,1] neg_hi:[0,0,1]
	v_pk_fma_f32 v[4:5], v[4:5], v[118:119], v[16:17] op_sel_hi:[1,0,1]
	s_nop 0
	v_mov_b32_e32 v19, v5
	s_waitcnt vmcnt(2) lgkmcnt(2)
	v_pk_mul_f32 v[4:5], v[6:7], v[120:121] op_sel:[1,1] op_sel_hi:[0,1]
	v_pk_fma_f32 v[16:17], v[6:7], v[120:121], v[4:5] neg_lo:[0,0,1] neg_hi:[0,0,1]
	v_pk_fma_f32 v[4:5], v[6:7], v[120:121], v[4:5] op_sel_hi:[1,0,1]
	v_pk_add_f32 v[2:3], v[2:3], v[18:19]
	v_mov_b32_e32 v4, v123
	v_mov_b32_e32 v17, v5
	v_pk_mul_f32 v[4:5], v[8:9], v[4:5] op_sel:[1,0] op_sel_hi:[0,0]
	v_pk_fma_f32 v[6:7], v[8:9], v[122:123], v[4:5] neg_lo:[0,0,1] neg_hi:[0,0,1]
	v_pk_fma_f32 v[4:5], v[8:9], v[122:123], v[4:5] op_sel_hi:[1,0,1]
	v_pk_add_f32 v[2:3], v[2:3], v[16:17]
	v_mov_b32_e32 v7, v5
	s_waitcnt vmcnt(1) lgkmcnt(1)
	v_pk_mul_f32 v[4:5], v[10:11], v[124:125] op_sel:[1,1] op_sel_hi:[0,1]
	v_pk_add_f32 v[2:3], v[2:3], v[6:7]
	v_pk_fma_f32 v[6:7], v[10:11], v[124:125], v[4:5] neg_lo:[0,0,1] neg_hi:[0,0,1]
	v_pk_fma_f32 v[4:5], v[10:11], v[124:125], v[4:5] op_sel_hi:[1,0,1]
	s_nop 0
	v_mov_b32_e32 v4, v127
	v_mov_b32_e32 v7, v5
	v_pk_mul_f32 v[4:5], v[12:13], v[4:5] op_sel:[1,0] op_sel_hi:[0,0]
	v_pk_add_f32 v[2:3], v[2:3], v[6:7]
	v_pk_fma_f32 v[6:7], v[12:13], v[126:127], v[4:5] neg_lo:[0,0,1] neg_hi:[0,0,1]
	v_pk_fma_f32 v[4:5], v[12:13], v[126:127], v[4:5] op_sel_hi:[1,0,1]
	s_nop 0
	v_mov_b32_e32 v7, v5
	s_waitcnt vmcnt(0) lgkmcnt(0)
	v_pk_mul_f32 v[4:5], v[14:15], v[134:135] op_sel:[1,1] op_sel_hi:[0,1]
	v_pk_add_f32 v[2:3], v[2:3], v[6:7]
	v_pk_fma_f32 v[6:7], v[14:15], v[134:135], v[4:5] neg_lo:[0,0,1] neg_hi:[0,0,1]
	v_pk_fma_f32 v[4:5], v[14:15], v[134:135], v[4:5] op_sel_hi:[1,0,1]
	s_nop 0
	v_mov_b32_e32 v7, v5
	scratch_load_dwordx2 v[4:5], off, off offset:176
	v_pk_add_f32 v[2:3], v[2:3], v[6:7]
	s_waitcnt vmcnt(0)
	v_pk_add_f32 v[2:3], v[4:5], v[2:3] neg_lo:[0,1] neg_hi:[0,1]
	scratch_store_dwordx2 off, v[2:3], off offset:176
	s_and_saveexec_b64 s[0:1], vcc
	s_cbranch_execz .LBB121_319
; %bb.318:
	scratch_load_dwordx2 v[2:3], off, off offset:168
	v_mov_b32_e32 v71, v70
	scratch_store_dwordx2 off, v[70:71], off offset:168
	s_waitcnt vmcnt(1)
	ds_write_b64 v1, v[2:3]
.LBB121_319:
	s_or_b64 exec, exec, s[0:1]
	s_waitcnt lgkmcnt(0)
	; wave barrier
	ds_read_b128 v[14:17], v70 offset:640
	ds_read_b128 v[10:13], v70 offset:656
	;; [unrolled: 1-line block ×4, first 2 shown]
	scratch_load_dwordx4 v[18:21], off, off offset:176
	scratch_load_dwordx4 v[38:41], off, off offset:240
	;; [unrolled: 1-line block ×8, first 2 shown]
	v_cmp_lt_u32_e32 vcc, 20, v0
	scratch_load_dwordx4 v[46:49], off, off offset:256
	scratch_load_dwordx4 v[54:57], off, off offset:272
	;; [unrolled: 1-line block ×3, first 2 shown]
	s_waitcnt vmcnt(10) lgkmcnt(3)
	v_mul_f32_e32 v22, v14, v19
	v_fmac_f32_e32 v22, v15, v18
	v_mul_f32_e32 v23, v16, v21
	v_add_f32_e32 v22, 0, v22
	v_fmac_f32_e32 v23, v17, v20
	v_add_f32_e32 v26, v22, v23
	scratch_load_dwordx4 v[22:25], off, off offset:192
	v_mul_f32_e32 v15, v15, v19
	v_fma_f32 v14, v14, v18, -v15
	v_mul_f32_e32 v15, v17, v21
	v_add_f32_e32 v14, 0, v14
	v_fma_f32 v15, v16, v20, -v15
	v_add_f32_e32 v14, v14, v15
	s_waitcnt vmcnt(0) lgkmcnt(2)
	v_mul_f32_e32 v27, v10, v23
	v_fmac_f32_e32 v27, v11, v22
	v_add_f32_e32 v26, v26, v27
	v_mul_f32_e32 v27, v12, v25
	v_fmac_f32_e32 v27, v13, v24
	v_add_f32_e32 v30, v26, v27
	scratch_load_dwordx4 v[26:29], off, off offset:208
	v_mul_f32_e32 v11, v11, v23
	v_fma_f32 v10, v10, v22, -v11
	v_mul_f32_e32 v11, v13, v25
	v_add_f32_e32 v10, v14, v10
	v_fma_f32 v11, v12, v24, -v11
	v_add_f32_e32 v10, v10, v11
	s_waitcnt vmcnt(0) lgkmcnt(1)
	v_mul_f32_e32 v31, v6, v27
	v_fmac_f32_e32 v31, v7, v26
	v_add_f32_e32 v30, v30, v31
	v_mul_f32_e32 v31, v8, v29
	;; [unrolled: 14-line block ×3, first 2 shown]
	v_fmac_f32_e32 v35, v5, v32
	v_add_f32_e32 v42, v34, v35
	ds_read_b128 v[34:37], v70 offset:704
	v_mul_f32_e32 v3, v3, v31
	v_fma_f32 v2, v2, v30, -v3
	v_mul_f32_e32 v3, v5, v33
	v_add_f32_e32 v2, v6, v2
	s_waitcnt lgkmcnt(0)
	v_mul_f32_e32 v43, v34, v39
	v_fmac_f32_e32 v43, v35, v38
	v_add_f32_e32 v42, v42, v43
	v_mul_f32_e32 v43, v36, v41
	v_fmac_f32_e32 v43, v37, v40
	v_add_f32_e32 v50, v42, v43
	ds_read_b128 v[42:45], v70 offset:720
	v_fma_f32 v3, v4, v32, -v3
	v_add_f32_e32 v2, v2, v3
	v_mul_f32_e32 v3, v35, v39
	v_fma_f32 v3, v34, v38, -v3
	s_waitcnt lgkmcnt(0)
	v_mul_f32_e32 v51, v42, v47
	v_fmac_f32_e32 v51, v43, v46
	v_add_f32_e32 v50, v50, v51
	v_mul_f32_e32 v51, v44, v49
	v_fmac_f32_e32 v51, v45, v48
	v_add_f32_e32 v58, v50, v51
	ds_read_b128 v[50:53], v70 offset:736
	v_add_f32_e32 v2, v2, v3
	v_mul_f32_e32 v3, v37, v41
	v_fma_f32 v3, v36, v40, -v3
	v_add_f32_e32 v2, v2, v3
	s_waitcnt lgkmcnt(0)
	v_mul_f32_e32 v59, v50, v55
	v_fmac_f32_e32 v59, v51, v54
	v_add_f32_e32 v58, v58, v59
	v_mul_f32_e32 v59, v52, v57
	v_fmac_f32_e32 v59, v53, v56
	v_add_f32_e32 v66, v58, v59
	ds_read_b128 v[58:61], v70 offset:752
	v_mul_f32_e32 v3, v43, v47
	v_fma_f32 v3, v42, v46, -v3
	v_add_f32_e32 v2, v2, v3
	v_mul_f32_e32 v3, v45, v49
	s_waitcnt lgkmcnt(0)
	v_mul_f32_e32 v67, v58, v63
	v_fmac_f32_e32 v67, v59, v62
	v_add_f32_e32 v66, v66, v67
	v_mul_f32_e32 v67, v60, v65
	v_fmac_f32_e32 v67, v61, v64
	v_add_f32_e32 v71, v66, v67
	ds_read_b128 v[66:69], v70 offset:768
	v_fma_f32 v3, v44, v48, -v3
	v_add_f32_e32 v2, v2, v3
	v_mul_f32_e32 v3, v51, v55
	v_fma_f32 v3, v50, v54, -v3
	s_waitcnt lgkmcnt(0)
	v_mul_f32_e32 v76, v66, v73
	v_fmac_f32_e32 v76, v67, v72
	v_add_f32_e32 v71, v71, v76
	v_mul_f32_e32 v76, v68, v75
	v_fmac_f32_e32 v76, v69, v74
	v_add_f32_e32 v71, v71, v76
	ds_read_b128 v[76:79], v70 offset:784
	v_add_f32_e32 v2, v2, v3
	v_mul_f32_e32 v3, v53, v57
	v_fma_f32 v3, v52, v56, -v3
	v_add_f32_e32 v2, v2, v3
	s_waitcnt lgkmcnt(0)
	v_mul_f32_e32 v84, v76, v81
	v_fmac_f32_e32 v84, v77, v80
	v_add_f32_e32 v71, v71, v84
	v_mul_f32_e32 v84, v78, v83
	v_fmac_f32_e32 v84, v79, v82
	v_add_f32_e32 v71, v71, v84
	ds_read_b128 v[84:87], v70 offset:800
	v_mul_f32_e32 v3, v59, v63
	v_fma_f32 v3, v58, v62, -v3
	v_add_f32_e32 v2, v2, v3
	v_mul_f32_e32 v3, v61, v65
	s_waitcnt lgkmcnt(0)
	v_mul_f32_e32 v92, v84, v89
	v_fmac_f32_e32 v92, v85, v88
	v_add_f32_e32 v71, v71, v92
	v_mul_f32_e32 v92, v86, v91
	v_fmac_f32_e32 v92, v87, v90
	v_add_f32_e32 v71, v71, v92
	ds_read_b128 v[92:95], v70 offset:816
	v_fma_f32 v3, v60, v64, -v3
	v_add_f32_e32 v2, v2, v3
	v_mul_f32_e32 v3, v67, v73
	v_fma_f32 v3, v66, v72, -v3
	s_waitcnt lgkmcnt(0)
	v_mul_f32_e32 v100, v92, v97
	v_fmac_f32_e32 v100, v93, v96
	v_add_f32_e32 v71, v71, v100
	v_mul_f32_e32 v100, v94, v99
	v_fmac_f32_e32 v100, v95, v98
	v_add_f32_e32 v71, v71, v100
	ds_read_b128 v[100:103], v70 offset:832
	v_add_f32_e32 v2, v2, v3
	v_mul_f32_e32 v3, v69, v75
	v_fma_f32 v3, v68, v74, -v3
	v_add_f32_e32 v2, v2, v3
	s_waitcnt lgkmcnt(0)
	v_mul_f32_e32 v108, v100, v105
	v_fmac_f32_e32 v108, v101, v104
	v_add_f32_e32 v71, v71, v108
	v_mul_f32_e32 v108, v102, v107
	v_fmac_f32_e32 v108, v103, v106
	v_add_f32_e32 v133, v71, v108
	ds_read_b128 v[108:111], v70 offset:848
	scratch_load_dwordx4 v[116:119], off, off offset:400
	scratch_load_dwordx4 v[120:123], off, off offset:416
	;; [unrolled: 1-line block ×4, first 2 shown]
	v_mul_f32_e32 v3, v77, v81
	v_fma_f32 v3, v76, v80, -v3
	v_add_f32_e32 v2, v2, v3
	v_mul_f32_e32 v3, v79, v83
	v_fma_f32 v3, v78, v82, -v3
	v_add_f32_e32 v2, v2, v3
	;; [unrolled: 3-line block ×8, first 2 shown]
	s_waitcnt lgkmcnt(0)
	v_mul_f32_e32 v2, v109, v113
	v_fma_f32 v134, v108, v112, -v2
	v_mul_f32_e32 v2, v111, v115
	v_fma_f32 v136, v110, v114, -v2
	ds_read_b128 v[2:5], v70 offset:864
	ds_read_b128 v[6:9], v70 offset:880
	ds_read_b128 v[10:13], v70 offset:896
	ds_read_b128 v[14:17], v70 offset:912
	v_mul_f32_e32 v135, v108, v113
	v_fmac_f32_e32 v135, v109, v112
	v_mul_f32_e32 v137, v110, v115
	v_fmac_f32_e32 v137, v111, v114
	v_pk_add_f32 v[18:19], v[132:133], v[134:135]
	s_waitcnt vmcnt(3) lgkmcnt(3)
	v_pk_mul_f32 v[20:21], v[2:3], v[116:117] op_sel:[1,1] op_sel_hi:[0,1]
	v_pk_fma_f32 v[22:23], v[2:3], v[116:117], v[20:21] neg_lo:[0,0,1] neg_hi:[0,0,1]
	v_pk_fma_f32 v[2:3], v[2:3], v[116:117], v[20:21] op_sel_hi:[1,0,1]
	v_pk_add_f32 v[18:19], v[18:19], v[136:137]
	v_mov_b32_e32 v23, v3
	v_pk_add_f32 v[2:3], v[18:19], v[22:23]
	v_mov_b32_e32 v18, v119
	v_pk_mul_f32 v[18:19], v[4:5], v[18:19] op_sel:[1,0] op_sel_hi:[0,0]
	v_pk_fma_f32 v[20:21], v[4:5], v[118:119], v[18:19] neg_lo:[0,0,1] neg_hi:[0,0,1]
	v_pk_fma_f32 v[4:5], v[4:5], v[118:119], v[18:19] op_sel_hi:[1,0,1]
	s_nop 0
	v_mov_b32_e32 v21, v5
	s_waitcnt vmcnt(2) lgkmcnt(2)
	v_pk_mul_f32 v[4:5], v[6:7], v[120:121] op_sel:[1,1] op_sel_hi:[0,1]
	v_pk_fma_f32 v[18:19], v[6:7], v[120:121], v[4:5] neg_lo:[0,0,1] neg_hi:[0,0,1]
	v_pk_fma_f32 v[4:5], v[6:7], v[120:121], v[4:5] op_sel_hi:[1,0,1]
	v_pk_add_f32 v[2:3], v[2:3], v[20:21]
	v_mov_b32_e32 v4, v123
	v_mov_b32_e32 v19, v5
	v_pk_mul_f32 v[4:5], v[8:9], v[4:5] op_sel:[1,0] op_sel_hi:[0,0]
	v_pk_fma_f32 v[6:7], v[8:9], v[122:123], v[4:5] neg_lo:[0,0,1] neg_hi:[0,0,1]
	v_pk_fma_f32 v[4:5], v[8:9], v[122:123], v[4:5] op_sel_hi:[1,0,1]
	v_pk_add_f32 v[2:3], v[2:3], v[18:19]
	v_mov_b32_e32 v7, v5
	s_waitcnt vmcnt(1) lgkmcnt(1)
	v_pk_mul_f32 v[4:5], v[10:11], v[124:125] op_sel:[1,1] op_sel_hi:[0,1]
	v_pk_add_f32 v[2:3], v[2:3], v[6:7]
	v_pk_fma_f32 v[6:7], v[10:11], v[124:125], v[4:5] neg_lo:[0,0,1] neg_hi:[0,0,1]
	v_pk_fma_f32 v[4:5], v[10:11], v[124:125], v[4:5] op_sel_hi:[1,0,1]
	s_nop 0
	v_mov_b32_e32 v4, v127
	v_mov_b32_e32 v7, v5
	v_pk_mul_f32 v[4:5], v[12:13], v[4:5] op_sel:[1,0] op_sel_hi:[0,0]
	v_pk_add_f32 v[2:3], v[2:3], v[6:7]
	v_pk_fma_f32 v[6:7], v[12:13], v[126:127], v[4:5] neg_lo:[0,0,1] neg_hi:[0,0,1]
	v_pk_fma_f32 v[4:5], v[12:13], v[126:127], v[4:5] op_sel_hi:[1,0,1]
	s_nop 0
	v_mov_b32_e32 v7, v5
	s_waitcnt vmcnt(0) lgkmcnt(0)
	v_pk_mul_f32 v[4:5], v[14:15], v[128:129] op_sel:[1,1] op_sel_hi:[0,1]
	v_pk_add_f32 v[2:3], v[2:3], v[6:7]
	v_pk_fma_f32 v[6:7], v[14:15], v[128:129], v[4:5] neg_lo:[0,0,1] neg_hi:[0,0,1]
	v_pk_fma_f32 v[4:5], v[14:15], v[128:129], v[4:5] op_sel_hi:[1,0,1]
	s_nop 0
	v_mov_b32_e32 v4, v131
	v_mov_b32_e32 v7, v5
	v_pk_mul_f32 v[4:5], v[16:17], v[4:5] op_sel:[1,0] op_sel_hi:[0,0]
	v_pk_add_f32 v[2:3], v[2:3], v[6:7]
	v_pk_fma_f32 v[6:7], v[16:17], v[130:131], v[4:5] neg_lo:[0,0,1] neg_hi:[0,0,1]
	v_pk_fma_f32 v[4:5], v[16:17], v[130:131], v[4:5] op_sel_hi:[1,0,1]
	s_nop 0
	v_mov_b32_e32 v7, v5
	scratch_load_dwordx2 v[4:5], off, off offset:168
	v_pk_add_f32 v[2:3], v[2:3], v[6:7]
	s_waitcnt vmcnt(0)
	v_pk_add_f32 v[2:3], v[4:5], v[2:3] neg_lo:[0,1] neg_hi:[0,1]
	scratch_store_dwordx2 off, v[2:3], off offset:168
	s_and_saveexec_b64 s[0:1], vcc
	s_cbranch_execz .LBB121_321
; %bb.320:
	scratch_load_dwordx2 v[2:3], off, off offset:160
	v_mov_b32_e32 v4, 0
	v_mov_b32_e32 v5, v4
	scratch_store_dwordx2 off, v[4:5], off offset:160
	s_waitcnt vmcnt(1)
	ds_write_b64 v1, v[2:3]
.LBB121_321:
	s_or_b64 exec, exec, s[0:1]
	s_waitcnt lgkmcnt(0)
	; wave barrier
	scratch_load_dwordx4 v[6:9], off, off offset:168
	scratch_load_dwordx4 v[14:17], off, off offset:184
	;; [unrolled: 1-line block ×10, first 2 shown]
	v_mov_b32_e32 v86, 0
	ds_read2_b64 v[2:5], v86 offset0:79 offset1:80
	scratch_load_dwordx4 v[88:91], off, off offset:328
	scratch_load_dwordx4 v[96:99], off, off offset:344
	;; [unrolled: 1-line block ×5, first 2 shown]
	v_cmp_lt_u32_e32 vcc, 19, v0
	s_waitcnt vmcnt(14) lgkmcnt(0)
	v_mul_f32_e32 v10, v2, v7
	v_fmac_f32_e32 v10, v3, v6
	v_mul_f32_e32 v11, v4, v9
	v_add_f32_e32 v10, 0, v10
	v_fmac_f32_e32 v11, v5, v8
	v_add_f32_e32 v18, v10, v11
	ds_read2_b64 v[10:13], v86 offset0:81 offset1:82
	v_mul_f32_e32 v3, v3, v7
	v_fma_f32 v2, v2, v6, -v3
	v_mul_f32_e32 v3, v5, v9
	v_add_f32_e32 v2, 0, v2
	s_waitcnt vmcnt(13) lgkmcnt(0)
	v_mul_f32_e32 v19, v10, v15
	v_fmac_f32_e32 v19, v11, v14
	v_add_f32_e32 v18, v18, v19
	v_mul_f32_e32 v19, v12, v17
	v_fmac_f32_e32 v19, v13, v16
	v_add_f32_e32 v26, v18, v19
	ds_read2_b64 v[18:21], v86 offset0:83 offset1:84
	v_fma_f32 v3, v4, v8, -v3
	v_add_f32_e32 v2, v2, v3
	v_mul_f32_e32 v3, v11, v15
	v_fma_f32 v3, v10, v14, -v3
	s_waitcnt vmcnt(12) lgkmcnt(0)
	v_mul_f32_e32 v27, v18, v23
	v_fmac_f32_e32 v27, v19, v22
	v_add_f32_e32 v26, v26, v27
	v_mul_f32_e32 v27, v20, v25
	v_fmac_f32_e32 v27, v21, v24
	v_add_f32_e32 v34, v26, v27
	ds_read2_b64 v[26:29], v86 offset0:85 offset1:86
	v_add_f32_e32 v2, v2, v3
	v_mul_f32_e32 v3, v13, v17
	v_fma_f32 v3, v12, v16, -v3
	v_add_f32_e32 v2, v2, v3
	s_waitcnt vmcnt(11) lgkmcnt(0)
	v_mul_f32_e32 v35, v26, v31
	v_fmac_f32_e32 v35, v27, v30
	v_add_f32_e32 v34, v34, v35
	v_mul_f32_e32 v35, v28, v33
	v_fmac_f32_e32 v35, v29, v32
	v_add_f32_e32 v42, v34, v35
	ds_read2_b64 v[34:37], v86 offset0:87 offset1:88
	v_mul_f32_e32 v3, v19, v23
	v_fma_f32 v3, v18, v22, -v3
	v_add_f32_e32 v2, v2, v3
	v_mul_f32_e32 v3, v21, v25
	s_waitcnt vmcnt(10) lgkmcnt(0)
	v_mul_f32_e32 v43, v34, v39
	v_fmac_f32_e32 v43, v35, v38
	v_add_f32_e32 v42, v42, v43
	v_mul_f32_e32 v43, v36, v41
	v_fmac_f32_e32 v43, v37, v40
	v_add_f32_e32 v50, v42, v43
	ds_read2_b64 v[42:45], v86 offset0:89 offset1:90
	v_fma_f32 v3, v20, v24, -v3
	v_add_f32_e32 v2, v2, v3
	v_mul_f32_e32 v3, v27, v31
	v_fma_f32 v3, v26, v30, -v3
	s_waitcnt vmcnt(9) lgkmcnt(0)
	v_mul_f32_e32 v51, v42, v47
	v_fmac_f32_e32 v51, v43, v46
	v_add_f32_e32 v50, v50, v51
	v_mul_f32_e32 v51, v44, v49
	v_fmac_f32_e32 v51, v45, v48
	v_add_f32_e32 v58, v50, v51
	ds_read2_b64 v[50:53], v86 offset0:91 offset1:92
	v_add_f32_e32 v2, v2, v3
	v_mul_f32_e32 v3, v29, v33
	v_fma_f32 v3, v28, v32, -v3
	v_add_f32_e32 v2, v2, v3
	s_waitcnt vmcnt(8) lgkmcnt(0)
	v_mul_f32_e32 v59, v50, v55
	v_fmac_f32_e32 v59, v51, v54
	v_add_f32_e32 v58, v58, v59
	v_mul_f32_e32 v59, v52, v57
	v_fmac_f32_e32 v59, v53, v56
	v_add_f32_e32 v66, v58, v59
	ds_read2_b64 v[58:61], v86 offset0:93 offset1:94
	v_mul_f32_e32 v3, v35, v39
	v_fma_f32 v3, v34, v38, -v3
	v_add_f32_e32 v2, v2, v3
	v_mul_f32_e32 v3, v37, v41
	;; [unrolled: 36-line block ×4, first 2 shown]
	s_waitcnt vmcnt(1) lgkmcnt(0)
	v_mul_f32_e32 v116, v108, v113
	v_fmac_f32_e32 v116, v109, v112
	v_add_f32_e32 v137, v87, v116
	ds_read2_b64 v[116:119], v86 offset0:107 offset1:108
	scratch_load_dwordx4 v[124:127], off, off offset:408
	scratch_load_dwordx4 v[128:131], off, off offset:424
	;; [unrolled: 1-line block ×3, first 2 shown]
	scratch_load_dwordx2 v[142:143], off, off offset:456
	v_fma_f32 v3, v68, v72, -v3
	v_add_f32_e32 v2, v2, v3
	v_mul_f32_e32 v3, v75, v79
	v_fma_f32 v3, v74, v78, -v3
	v_add_f32_e32 v2, v2, v3
	v_mul_f32_e32 v3, v77, v81
	;; [unrolled: 3-line block ×10, first 2 shown]
	v_mul_f32_e32 v139, v110, v115
	v_fma_f32 v138, v110, v114, -v2
	s_waitcnt vmcnt(4) lgkmcnt(0)
	v_mul_f32_e32 v2, v117, v121
	v_mov_b32_e32 v18, v123
	v_fmac_f32_e32 v139, v111, v114
	v_mul_f32_e32 v141, v116, v121
	v_fma_f32 v140, v116, v120, -v2
	ds_read2_b64 v[2:5], v86 offset0:109 offset1:110
	ds_read2_b64 v[6:9], v86 offset0:111 offset1:112
	ds_read2_b64 v[10:13], v86 offset0:113 offset1:114
	ds_read_b64 v[14:15], v86 offset:920
	v_pk_mul_f32 v[18:19], v[118:119], v[18:19] op_sel:[1,0] op_sel_hi:[0,0]
	v_fmac_f32_e32 v141, v117, v120
	v_pk_add_f32 v[16:17], v[136:137], v[138:139]
	v_pk_fma_f32 v[20:21], v[118:119], v[122:123], v[18:19] neg_lo:[0,0,1] neg_hi:[0,0,1]
	v_pk_fma_f32 v[18:19], v[118:119], v[122:123], v[18:19] op_sel_hi:[1,0,1]
	v_pk_add_f32 v[16:17], v[16:17], v[140:141]
	v_mov_b32_e32 v21, v19
	v_pk_add_f32 v[16:17], v[16:17], v[20:21]
	s_waitcnt vmcnt(3) lgkmcnt(3)
	v_pk_mul_f32 v[18:19], v[2:3], v[124:125] op_sel:[1,1] op_sel_hi:[0,1]
	v_pk_fma_f32 v[20:21], v[2:3], v[124:125], v[18:19] neg_lo:[0,0,1] neg_hi:[0,0,1]
	v_pk_fma_f32 v[2:3], v[2:3], v[124:125], v[18:19] op_sel_hi:[1,0,1]
	s_nop 0
	v_mov_b32_e32 v21, v3
	v_pk_add_f32 v[2:3], v[16:17], v[20:21]
	v_mov_b32_e32 v16, v127
	v_pk_mul_f32 v[16:17], v[4:5], v[16:17] op_sel:[1,0] op_sel_hi:[0,0]
	v_pk_fma_f32 v[18:19], v[4:5], v[126:127], v[16:17] neg_lo:[0,0,1] neg_hi:[0,0,1]
	v_pk_fma_f32 v[4:5], v[4:5], v[126:127], v[16:17] op_sel_hi:[1,0,1]
	s_nop 0
	v_mov_b32_e32 v19, v5
	s_waitcnt vmcnt(2) lgkmcnt(2)
	v_pk_mul_f32 v[4:5], v[6:7], v[128:129] op_sel:[1,1] op_sel_hi:[0,1]
	v_pk_fma_f32 v[16:17], v[6:7], v[128:129], v[4:5] neg_lo:[0,0,1] neg_hi:[0,0,1]
	v_pk_fma_f32 v[4:5], v[6:7], v[128:129], v[4:5] op_sel_hi:[1,0,1]
	v_pk_add_f32 v[2:3], v[2:3], v[18:19]
	v_mov_b32_e32 v4, v131
	v_mov_b32_e32 v17, v5
	v_pk_mul_f32 v[4:5], v[8:9], v[4:5] op_sel:[1,0] op_sel_hi:[0,0]
	v_pk_fma_f32 v[6:7], v[8:9], v[130:131], v[4:5] neg_lo:[0,0,1] neg_hi:[0,0,1]
	v_pk_fma_f32 v[4:5], v[8:9], v[130:131], v[4:5] op_sel_hi:[1,0,1]
	v_pk_add_f32 v[2:3], v[2:3], v[16:17]
	v_mov_b32_e32 v7, v5
	s_waitcnt vmcnt(1) lgkmcnt(1)
	v_pk_mul_f32 v[4:5], v[10:11], v[132:133] op_sel:[1,1] op_sel_hi:[0,1]
	v_pk_add_f32 v[2:3], v[2:3], v[6:7]
	v_pk_fma_f32 v[6:7], v[10:11], v[132:133], v[4:5] neg_lo:[0,0,1] neg_hi:[0,0,1]
	v_pk_fma_f32 v[4:5], v[10:11], v[132:133], v[4:5] op_sel_hi:[1,0,1]
	s_nop 0
	v_mov_b32_e32 v4, v135
	v_mov_b32_e32 v7, v5
	v_pk_mul_f32 v[4:5], v[12:13], v[4:5] op_sel:[1,0] op_sel_hi:[0,0]
	v_pk_add_f32 v[2:3], v[2:3], v[6:7]
	v_pk_fma_f32 v[6:7], v[12:13], v[134:135], v[4:5] neg_lo:[0,0,1] neg_hi:[0,0,1]
	v_pk_fma_f32 v[4:5], v[12:13], v[134:135], v[4:5] op_sel_hi:[1,0,1]
	s_nop 0
	v_mov_b32_e32 v7, v5
	s_waitcnt vmcnt(0) lgkmcnt(0)
	v_pk_mul_f32 v[4:5], v[14:15], v[142:143] op_sel:[1,1] op_sel_hi:[0,1]
	v_pk_add_f32 v[2:3], v[2:3], v[6:7]
	v_pk_fma_f32 v[6:7], v[14:15], v[142:143], v[4:5] neg_lo:[0,0,1] neg_hi:[0,0,1]
	v_pk_fma_f32 v[4:5], v[14:15], v[142:143], v[4:5] op_sel_hi:[1,0,1]
	s_nop 0
	v_mov_b32_e32 v7, v5
	scratch_load_dwordx2 v[4:5], off, off offset:160
	v_pk_add_f32 v[2:3], v[2:3], v[6:7]
	s_waitcnt vmcnt(0)
	v_pk_add_f32 v[2:3], v[4:5], v[2:3] neg_lo:[0,1] neg_hi:[0,1]
	scratch_store_dwordx2 off, v[2:3], off offset:160
	s_and_saveexec_b64 s[0:1], vcc
	s_cbranch_execz .LBB121_323
; %bb.322:
	scratch_load_dwordx2 v[2:3], off, off offset:152
	v_mov_b32_e32 v87, v86
	scratch_store_dwordx2 off, v[86:87], off offset:152
	s_waitcnt vmcnt(1)
	ds_write_b64 v1, v[2:3]
.LBB121_323:
	s_or_b64 exec, exec, s[0:1]
	s_waitcnt lgkmcnt(0)
	; wave barrier
	ds_read_b128 v[14:17], v86 offset:624
	ds_read_b128 v[10:13], v86 offset:640
	;; [unrolled: 1-line block ×4, first 2 shown]
	scratch_load_dwordx4 v[18:21], off, off offset:160
	scratch_load_dwordx4 v[38:41], off, off offset:224
	;; [unrolled: 1-line block ×9, first 2 shown]
	v_cmp_lt_u32_e32 vcc, 18, v0
	scratch_load_dwordx4 v[46:49], off, off offset:240
	scratch_load_dwordx4 v[54:57], off, off offset:256
	;; [unrolled: 1-line block ×3, first 2 shown]
	s_waitcnt vmcnt(11) lgkmcnt(3)
	v_mul_f32_e32 v22, v14, v19
	v_fmac_f32_e32 v22, v15, v18
	v_mul_f32_e32 v23, v16, v21
	v_add_f32_e32 v22, 0, v22
	v_fmac_f32_e32 v23, v17, v20
	v_add_f32_e32 v26, v22, v23
	scratch_load_dwordx4 v[22:25], off, off offset:176
	v_mul_f32_e32 v15, v15, v19
	v_fma_f32 v14, v14, v18, -v15
	v_mul_f32_e32 v15, v17, v21
	v_add_f32_e32 v14, 0, v14
	v_fma_f32 v15, v16, v20, -v15
	v_add_f32_e32 v14, v14, v15
	s_waitcnt vmcnt(0) lgkmcnt(2)
	v_mul_f32_e32 v27, v10, v23
	v_fmac_f32_e32 v27, v11, v22
	v_add_f32_e32 v26, v26, v27
	v_mul_f32_e32 v27, v12, v25
	v_fmac_f32_e32 v27, v13, v24
	v_add_f32_e32 v30, v26, v27
	scratch_load_dwordx4 v[26:29], off, off offset:192
	v_mul_f32_e32 v11, v11, v23
	v_fma_f32 v10, v10, v22, -v11
	v_mul_f32_e32 v11, v13, v25
	v_add_f32_e32 v10, v14, v10
	v_fma_f32 v11, v12, v24, -v11
	v_add_f32_e32 v10, v10, v11
	s_waitcnt vmcnt(0) lgkmcnt(1)
	v_mul_f32_e32 v31, v6, v27
	v_fmac_f32_e32 v31, v7, v26
	v_add_f32_e32 v30, v30, v31
	v_mul_f32_e32 v31, v8, v29
	;; [unrolled: 14-line block ×3, first 2 shown]
	v_fmac_f32_e32 v35, v5, v32
	v_add_f32_e32 v42, v34, v35
	ds_read_b128 v[34:37], v86 offset:688
	v_mul_f32_e32 v3, v3, v31
	v_fma_f32 v2, v2, v30, -v3
	v_mul_f32_e32 v3, v5, v33
	v_add_f32_e32 v2, v6, v2
	s_waitcnt lgkmcnt(0)
	v_mul_f32_e32 v43, v34, v39
	v_fmac_f32_e32 v43, v35, v38
	v_add_f32_e32 v42, v42, v43
	v_mul_f32_e32 v43, v36, v41
	v_fmac_f32_e32 v43, v37, v40
	v_add_f32_e32 v50, v42, v43
	ds_read_b128 v[42:45], v86 offset:704
	v_fma_f32 v3, v4, v32, -v3
	v_add_f32_e32 v2, v2, v3
	v_mul_f32_e32 v3, v35, v39
	v_fma_f32 v3, v34, v38, -v3
	s_waitcnt lgkmcnt(0)
	v_mul_f32_e32 v51, v42, v47
	v_fmac_f32_e32 v51, v43, v46
	v_add_f32_e32 v50, v50, v51
	v_mul_f32_e32 v51, v44, v49
	v_fmac_f32_e32 v51, v45, v48
	v_add_f32_e32 v58, v50, v51
	ds_read_b128 v[50:53], v86 offset:720
	v_add_f32_e32 v2, v2, v3
	v_mul_f32_e32 v3, v37, v41
	v_fma_f32 v3, v36, v40, -v3
	v_add_f32_e32 v2, v2, v3
	s_waitcnt lgkmcnt(0)
	v_mul_f32_e32 v59, v50, v55
	v_fmac_f32_e32 v59, v51, v54
	v_add_f32_e32 v58, v58, v59
	v_mul_f32_e32 v59, v52, v57
	v_fmac_f32_e32 v59, v53, v56
	v_add_f32_e32 v66, v58, v59
	ds_read_b128 v[58:61], v86 offset:736
	v_mul_f32_e32 v3, v43, v47
	v_fma_f32 v3, v42, v46, -v3
	v_add_f32_e32 v2, v2, v3
	v_mul_f32_e32 v3, v45, v49
	s_waitcnt lgkmcnt(0)
	v_mul_f32_e32 v67, v58, v63
	v_fmac_f32_e32 v67, v59, v62
	v_add_f32_e32 v66, v66, v67
	v_mul_f32_e32 v67, v60, v65
	v_fmac_f32_e32 v67, v61, v64
	v_add_f32_e32 v74, v66, v67
	ds_read_b128 v[66:69], v86 offset:752
	v_fma_f32 v3, v44, v48, -v3
	v_add_f32_e32 v2, v2, v3
	v_mul_f32_e32 v3, v51, v55
	v_fma_f32 v3, v50, v54, -v3
	s_waitcnt lgkmcnt(0)
	v_mul_f32_e32 v75, v66, v71
	v_fmac_f32_e32 v75, v67, v70
	v_add_f32_e32 v74, v74, v75
	v_mul_f32_e32 v75, v68, v73
	v_fmac_f32_e32 v75, v69, v72
	v_add_f32_e32 v82, v74, v75
	ds_read_b128 v[74:77], v86 offset:768
	v_add_f32_e32 v2, v2, v3
	v_mul_f32_e32 v3, v53, v57
	v_fma_f32 v3, v52, v56, -v3
	v_add_f32_e32 v2, v2, v3
	s_waitcnt lgkmcnt(0)
	v_mul_f32_e32 v83, v74, v79
	v_fmac_f32_e32 v83, v75, v78
	v_add_f32_e32 v82, v82, v83
	v_mul_f32_e32 v83, v76, v81
	v_fmac_f32_e32 v83, v77, v80
	v_add_f32_e32 v87, v82, v83
	ds_read_b128 v[82:85], v86 offset:784
	v_mul_f32_e32 v3, v59, v63
	v_fma_f32 v3, v58, v62, -v3
	v_add_f32_e32 v2, v2, v3
	v_mul_f32_e32 v3, v61, v65
	;; [unrolled: 36-line block ×3, first 2 shown]
	s_waitcnt lgkmcnt(0)
	v_mul_f32_e32 v116, v108, v113
	v_fmac_f32_e32 v116, v109, v112
	v_add_f32_e32 v87, v87, v116
	v_mul_f32_e32 v116, v110, v115
	v_fmac_f32_e32 v116, v111, v114
	v_add_f32_e32 v141, v87, v116
	ds_read_b128 v[116:119], v86 offset:848
	scratch_load_dwordx4 v[124:127], off, off offset:400
	scratch_load_dwordx4 v[128:131], off, off offset:416
	;; [unrolled: 1-line block ×4, first 2 shown]
	v_fma_f32 v3, v76, v80, -v3
	v_add_f32_e32 v2, v2, v3
	v_mul_f32_e32 v3, v83, v89
	v_fma_f32 v3, v82, v88, -v3
	v_add_f32_e32 v2, v2, v3
	v_mul_f32_e32 v3, v85, v91
	;; [unrolled: 3-line block ×8, first 2 shown]
	v_fma_f32 v3, v110, v114, -v3
	v_add_f32_e32 v140, v2, v3
	s_waitcnt lgkmcnt(0)
	v_mul_f32_e32 v2, v117, v121
	v_fma_f32 v142, v116, v120, -v2
	v_mul_f32_e32 v2, v119, v123
	v_fma_f32 v144, v118, v122, -v2
	ds_read_b128 v[2:5], v86 offset:864
	ds_read_b128 v[6:9], v86 offset:880
	;; [unrolled: 1-line block ×4, first 2 shown]
	v_mul_f32_e32 v143, v116, v121
	v_fmac_f32_e32 v143, v117, v120
	v_mul_f32_e32 v145, v118, v123
	v_fmac_f32_e32 v145, v119, v122
	v_pk_add_f32 v[18:19], v[140:141], v[142:143]
	s_waitcnt vmcnt(3) lgkmcnt(3)
	v_pk_mul_f32 v[20:21], v[2:3], v[124:125] op_sel:[1,1] op_sel_hi:[0,1]
	v_pk_fma_f32 v[22:23], v[2:3], v[124:125], v[20:21] neg_lo:[0,0,1] neg_hi:[0,0,1]
	v_pk_fma_f32 v[2:3], v[2:3], v[124:125], v[20:21] op_sel_hi:[1,0,1]
	v_pk_add_f32 v[18:19], v[18:19], v[144:145]
	v_mov_b32_e32 v23, v3
	v_pk_add_f32 v[2:3], v[18:19], v[22:23]
	v_mov_b32_e32 v18, v127
	v_pk_mul_f32 v[18:19], v[4:5], v[18:19] op_sel:[1,0] op_sel_hi:[0,0]
	v_pk_fma_f32 v[20:21], v[4:5], v[126:127], v[18:19] neg_lo:[0,0,1] neg_hi:[0,0,1]
	v_pk_fma_f32 v[4:5], v[4:5], v[126:127], v[18:19] op_sel_hi:[1,0,1]
	s_nop 0
	v_mov_b32_e32 v21, v5
	s_waitcnt vmcnt(2) lgkmcnt(2)
	v_pk_mul_f32 v[4:5], v[6:7], v[128:129] op_sel:[1,1] op_sel_hi:[0,1]
	v_pk_fma_f32 v[18:19], v[6:7], v[128:129], v[4:5] neg_lo:[0,0,1] neg_hi:[0,0,1]
	v_pk_fma_f32 v[4:5], v[6:7], v[128:129], v[4:5] op_sel_hi:[1,0,1]
	v_pk_add_f32 v[2:3], v[2:3], v[20:21]
	v_mov_b32_e32 v4, v131
	v_mov_b32_e32 v19, v5
	v_pk_mul_f32 v[4:5], v[8:9], v[4:5] op_sel:[1,0] op_sel_hi:[0,0]
	v_pk_fma_f32 v[6:7], v[8:9], v[130:131], v[4:5] neg_lo:[0,0,1] neg_hi:[0,0,1]
	v_pk_fma_f32 v[4:5], v[8:9], v[130:131], v[4:5] op_sel_hi:[1,0,1]
	v_pk_add_f32 v[2:3], v[2:3], v[18:19]
	v_mov_b32_e32 v7, v5
	s_waitcnt vmcnt(1) lgkmcnt(1)
	v_pk_mul_f32 v[4:5], v[10:11], v[132:133] op_sel:[1,1] op_sel_hi:[0,1]
	v_pk_add_f32 v[2:3], v[2:3], v[6:7]
	v_pk_fma_f32 v[6:7], v[10:11], v[132:133], v[4:5] neg_lo:[0,0,1] neg_hi:[0,0,1]
	v_pk_fma_f32 v[4:5], v[10:11], v[132:133], v[4:5] op_sel_hi:[1,0,1]
	s_nop 0
	v_mov_b32_e32 v4, v135
	v_mov_b32_e32 v7, v5
	v_pk_mul_f32 v[4:5], v[12:13], v[4:5] op_sel:[1,0] op_sel_hi:[0,0]
	v_pk_add_f32 v[2:3], v[2:3], v[6:7]
	v_pk_fma_f32 v[6:7], v[12:13], v[134:135], v[4:5] neg_lo:[0,0,1] neg_hi:[0,0,1]
	v_pk_fma_f32 v[4:5], v[12:13], v[134:135], v[4:5] op_sel_hi:[1,0,1]
	s_nop 0
	v_mov_b32_e32 v7, v5
	s_waitcnt vmcnt(0) lgkmcnt(0)
	v_pk_mul_f32 v[4:5], v[14:15], v[136:137] op_sel:[1,1] op_sel_hi:[0,1]
	v_pk_add_f32 v[2:3], v[2:3], v[6:7]
	v_pk_fma_f32 v[6:7], v[14:15], v[136:137], v[4:5] neg_lo:[0,0,1] neg_hi:[0,0,1]
	v_pk_fma_f32 v[4:5], v[14:15], v[136:137], v[4:5] op_sel_hi:[1,0,1]
	s_nop 0
	v_mov_b32_e32 v4, v139
	v_mov_b32_e32 v7, v5
	v_pk_mul_f32 v[4:5], v[16:17], v[4:5] op_sel:[1,0] op_sel_hi:[0,0]
	v_pk_add_f32 v[2:3], v[2:3], v[6:7]
	v_pk_fma_f32 v[6:7], v[16:17], v[138:139], v[4:5] neg_lo:[0,0,1] neg_hi:[0,0,1]
	v_pk_fma_f32 v[4:5], v[16:17], v[138:139], v[4:5] op_sel_hi:[1,0,1]
	s_nop 0
	v_mov_b32_e32 v7, v5
	scratch_load_dwordx2 v[4:5], off, off offset:152
	v_pk_add_f32 v[2:3], v[2:3], v[6:7]
	s_waitcnt vmcnt(0)
	v_pk_add_f32 v[2:3], v[4:5], v[2:3] neg_lo:[0,1] neg_hi:[0,1]
	scratch_store_dwordx2 off, v[2:3], off offset:152
	s_and_saveexec_b64 s[0:1], vcc
	s_cbranch_execz .LBB121_325
; %bb.324:
	scratch_load_dwordx2 v[2:3], off, off offset:144
	v_mov_b32_e32 v4, 0
	v_mov_b32_e32 v5, v4
	scratch_store_dwordx2 off, v[4:5], off offset:144
	s_waitcnt vmcnt(1)
	ds_write_b64 v1, v[2:3]
.LBB121_325:
	s_or_b64 exec, exec, s[0:1]
	s_waitcnt lgkmcnt(0)
	; wave barrier
	scratch_load_dwordx4 v[6:9], off, off offset:152
	scratch_load_dwordx4 v[14:17], off, off offset:168
	;; [unrolled: 1-line block ×10, first 2 shown]
	v_mov_b32_e32 v94, 0
	ds_read2_b64 v[2:5], v94 offset0:77 offset1:78
	scratch_load_dwordx4 v[86:89], off, off offset:312
	scratch_load_dwordx4 v[96:99], off, off offset:328
	;; [unrolled: 1-line block ×6, first 2 shown]
	v_cmp_lt_u32_e32 vcc, 17, v0
	s_waitcnt vmcnt(15) lgkmcnt(0)
	v_mul_f32_e32 v10, v2, v7
	v_fmac_f32_e32 v10, v3, v6
	v_mul_f32_e32 v11, v4, v9
	v_add_f32_e32 v10, 0, v10
	v_fmac_f32_e32 v11, v5, v8
	v_add_f32_e32 v18, v10, v11
	ds_read2_b64 v[10:13], v94 offset0:79 offset1:80
	v_mul_f32_e32 v3, v3, v7
	v_fma_f32 v2, v2, v6, -v3
	v_mul_f32_e32 v3, v5, v9
	v_add_f32_e32 v2, 0, v2
	s_waitcnt vmcnt(14) lgkmcnt(0)
	v_mul_f32_e32 v19, v10, v15
	v_fmac_f32_e32 v19, v11, v14
	v_add_f32_e32 v18, v18, v19
	v_mul_f32_e32 v19, v12, v17
	v_fmac_f32_e32 v19, v13, v16
	v_add_f32_e32 v26, v18, v19
	ds_read2_b64 v[18:21], v94 offset0:81 offset1:82
	v_fma_f32 v3, v4, v8, -v3
	v_add_f32_e32 v2, v2, v3
	v_mul_f32_e32 v3, v11, v15
	v_fma_f32 v3, v10, v14, -v3
	s_waitcnt vmcnt(13) lgkmcnt(0)
	v_mul_f32_e32 v27, v18, v23
	v_fmac_f32_e32 v27, v19, v22
	v_add_f32_e32 v26, v26, v27
	v_mul_f32_e32 v27, v20, v25
	v_fmac_f32_e32 v27, v21, v24
	v_add_f32_e32 v34, v26, v27
	ds_read2_b64 v[26:29], v94 offset0:83 offset1:84
	v_add_f32_e32 v2, v2, v3
	v_mul_f32_e32 v3, v13, v17
	v_fma_f32 v3, v12, v16, -v3
	v_add_f32_e32 v2, v2, v3
	s_waitcnt vmcnt(12) lgkmcnt(0)
	v_mul_f32_e32 v35, v26, v31
	v_fmac_f32_e32 v35, v27, v30
	v_add_f32_e32 v34, v34, v35
	v_mul_f32_e32 v35, v28, v33
	v_fmac_f32_e32 v35, v29, v32
	v_add_f32_e32 v42, v34, v35
	ds_read2_b64 v[34:37], v94 offset0:85 offset1:86
	v_mul_f32_e32 v3, v19, v23
	v_fma_f32 v3, v18, v22, -v3
	v_add_f32_e32 v2, v2, v3
	v_mul_f32_e32 v3, v21, v25
	s_waitcnt vmcnt(11) lgkmcnt(0)
	v_mul_f32_e32 v43, v34, v39
	v_fmac_f32_e32 v43, v35, v38
	v_add_f32_e32 v42, v42, v43
	v_mul_f32_e32 v43, v36, v41
	v_fmac_f32_e32 v43, v37, v40
	v_add_f32_e32 v50, v42, v43
	ds_read2_b64 v[42:45], v94 offset0:87 offset1:88
	v_fma_f32 v3, v20, v24, -v3
	v_add_f32_e32 v2, v2, v3
	v_mul_f32_e32 v3, v27, v31
	v_fma_f32 v3, v26, v30, -v3
	s_waitcnt vmcnt(10) lgkmcnt(0)
	v_mul_f32_e32 v51, v42, v47
	v_fmac_f32_e32 v51, v43, v46
	v_add_f32_e32 v50, v50, v51
	v_mul_f32_e32 v51, v44, v49
	v_fmac_f32_e32 v51, v45, v48
	v_add_f32_e32 v58, v50, v51
	ds_read2_b64 v[50:53], v94 offset0:89 offset1:90
	v_add_f32_e32 v2, v2, v3
	v_mul_f32_e32 v3, v29, v33
	v_fma_f32 v3, v28, v32, -v3
	v_add_f32_e32 v2, v2, v3
	s_waitcnt vmcnt(9) lgkmcnt(0)
	v_mul_f32_e32 v59, v50, v55
	v_fmac_f32_e32 v59, v51, v54
	v_add_f32_e32 v58, v58, v59
	v_mul_f32_e32 v59, v52, v57
	v_fmac_f32_e32 v59, v53, v56
	v_add_f32_e32 v66, v58, v59
	ds_read2_b64 v[58:61], v94 offset0:91 offset1:92
	v_mul_f32_e32 v3, v35, v39
	v_fma_f32 v3, v34, v38, -v3
	v_add_f32_e32 v2, v2, v3
	v_mul_f32_e32 v3, v37, v41
	s_waitcnt vmcnt(8) lgkmcnt(0)
	v_mul_f32_e32 v67, v58, v63
	v_fmac_f32_e32 v67, v59, v62
	v_add_f32_e32 v66, v66, v67
	v_mul_f32_e32 v67, v60, v65
	v_fmac_f32_e32 v67, v61, v64
	v_add_f32_e32 v74, v66, v67
	ds_read2_b64 v[66:69], v94 offset0:93 offset1:94
	v_fma_f32 v3, v36, v40, -v3
	v_add_f32_e32 v2, v2, v3
	v_mul_f32_e32 v3, v43, v47
	v_fma_f32 v3, v42, v46, -v3
	s_waitcnt vmcnt(7) lgkmcnt(0)
	v_mul_f32_e32 v75, v66, v71
	v_fmac_f32_e32 v75, v67, v70
	v_add_f32_e32 v74, v74, v75
	v_mul_f32_e32 v75, v68, v73
	v_fmac_f32_e32 v75, v69, v72
	v_add_f32_e32 v82, v74, v75
	ds_read2_b64 v[74:77], v94 offset0:95 offset1:96
	v_add_f32_e32 v2, v2, v3
	v_mul_f32_e32 v3, v45, v49
	v_fma_f32 v3, v44, v48, -v3
	v_add_f32_e32 v2, v2, v3
	s_waitcnt vmcnt(6) lgkmcnt(0)
	v_mul_f32_e32 v83, v74, v79
	v_fmac_f32_e32 v83, v75, v78
	v_add_f32_e32 v82, v82, v83
	v_mul_f32_e32 v83, v76, v81
	v_fmac_f32_e32 v83, v77, v80
	v_add_f32_e32 v90, v82, v83
	ds_read2_b64 v[82:85], v94 offset0:97 offset1:98
	v_mul_f32_e32 v3, v51, v55
	v_fma_f32 v3, v50, v54, -v3
	v_add_f32_e32 v2, v2, v3
	v_mul_f32_e32 v3, v53, v57
	s_waitcnt vmcnt(5) lgkmcnt(0)
	v_mul_f32_e32 v91, v82, v87
	v_fmac_f32_e32 v91, v83, v86
	v_add_f32_e32 v90, v90, v91
	v_mul_f32_e32 v91, v84, v89
	v_fmac_f32_e32 v91, v85, v88
	v_add_f32_e32 v95, v90, v91
	ds_read2_b64 v[90:93], v94 offset0:99 offset1:100
	v_fma_f32 v3, v52, v56, -v3
	v_add_f32_e32 v2, v2, v3
	v_mul_f32_e32 v3, v59, v63
	v_fma_f32 v3, v58, v62, -v3
	s_waitcnt vmcnt(4) lgkmcnt(0)
	v_mul_f32_e32 v100, v90, v97
	v_fmac_f32_e32 v100, v91, v96
	v_add_f32_e32 v95, v95, v100
	v_mul_f32_e32 v100, v92, v99
	v_fmac_f32_e32 v100, v93, v98
	v_add_f32_e32 v95, v95, v100
	ds_read2_b64 v[100:103], v94 offset0:101 offset1:102
	v_add_f32_e32 v2, v2, v3
	v_mul_f32_e32 v3, v61, v65
	v_fma_f32 v3, v60, v64, -v3
	v_add_f32_e32 v2, v2, v3
	s_waitcnt vmcnt(3) lgkmcnt(0)
	v_mul_f32_e32 v108, v100, v105
	v_fmac_f32_e32 v108, v101, v104
	v_add_f32_e32 v95, v95, v108
	v_mul_f32_e32 v108, v102, v107
	v_fmac_f32_e32 v108, v103, v106
	v_add_f32_e32 v95, v95, v108
	ds_read2_b64 v[108:111], v94 offset0:103 offset1:104
	v_mul_f32_e32 v3, v67, v71
	v_fma_f32 v3, v66, v70, -v3
	v_add_f32_e32 v2, v2, v3
	v_mul_f32_e32 v3, v69, v73
	s_waitcnt vmcnt(2) lgkmcnt(0)
	v_mul_f32_e32 v116, v108, v113
	v_fmac_f32_e32 v116, v109, v112
	v_add_f32_e32 v95, v95, v116
	v_mul_f32_e32 v116, v110, v115
	v_fmac_f32_e32 v116, v111, v114
	v_add_f32_e32 v95, v95, v116
	ds_read2_b64 v[116:119], v94 offset0:105 offset1:106
	v_fma_f32 v3, v68, v72, -v3
	v_add_f32_e32 v2, v2, v3
	v_mul_f32_e32 v3, v75, v79
	v_fma_f32 v3, v74, v78, -v3
	s_waitcnt vmcnt(1) lgkmcnt(0)
	v_mul_f32_e32 v124, v116, v121
	v_fmac_f32_e32 v124, v117, v120
	v_add_f32_e32 v145, v95, v124
	ds_read2_b64 v[124:127], v94 offset0:107 offset1:108
	scratch_load_dwordx4 v[132:135], off, off offset:408
	scratch_load_dwordx4 v[136:139], off, off offset:424
	;; [unrolled: 1-line block ×3, first 2 shown]
	scratch_load_dwordx2 v[162:163], off, off offset:456
	v_add_f32_e32 v2, v2, v3
	v_mul_f32_e32 v3, v77, v81
	v_fma_f32 v3, v76, v80, -v3
	v_add_f32_e32 v2, v2, v3
	v_mul_f32_e32 v3, v83, v87
	v_fma_f32 v3, v82, v86, -v3
	;; [unrolled: 3-line block ×10, first 2 shown]
	v_add_f32_e32 v144, v2, v3
	v_mul_f32_e32 v2, v119, v123
	v_mul_f32_e32 v147, v118, v123
	v_fma_f32 v146, v118, v122, -v2
	s_waitcnt vmcnt(4) lgkmcnt(0)
	v_mul_f32_e32 v2, v125, v129
	v_mov_b32_e32 v18, v131
	v_fmac_f32_e32 v147, v119, v122
	v_mul_f32_e32 v149, v124, v129
	v_fma_f32 v148, v124, v128, -v2
	ds_read2_b64 v[2:5], v94 offset0:109 offset1:110
	ds_read2_b64 v[6:9], v94 offset0:111 offset1:112
	;; [unrolled: 1-line block ×3, first 2 shown]
	ds_read_b64 v[14:15], v94 offset:920
	v_pk_mul_f32 v[18:19], v[126:127], v[18:19] op_sel:[1,0] op_sel_hi:[0,0]
	v_fmac_f32_e32 v149, v125, v128
	v_pk_add_f32 v[16:17], v[144:145], v[146:147]
	v_pk_fma_f32 v[20:21], v[126:127], v[130:131], v[18:19] neg_lo:[0,0,1] neg_hi:[0,0,1]
	v_pk_fma_f32 v[18:19], v[126:127], v[130:131], v[18:19] op_sel_hi:[1,0,1]
	v_pk_add_f32 v[16:17], v[16:17], v[148:149]
	v_mov_b32_e32 v21, v19
	v_pk_add_f32 v[16:17], v[16:17], v[20:21]
	s_waitcnt vmcnt(3) lgkmcnt(3)
	v_pk_mul_f32 v[18:19], v[2:3], v[132:133] op_sel:[1,1] op_sel_hi:[0,1]
	v_pk_fma_f32 v[20:21], v[2:3], v[132:133], v[18:19] neg_lo:[0,0,1] neg_hi:[0,0,1]
	v_pk_fma_f32 v[2:3], v[2:3], v[132:133], v[18:19] op_sel_hi:[1,0,1]
	s_nop 0
	v_mov_b32_e32 v21, v3
	v_pk_add_f32 v[2:3], v[16:17], v[20:21]
	v_mov_b32_e32 v16, v135
	v_pk_mul_f32 v[16:17], v[4:5], v[16:17] op_sel:[1,0] op_sel_hi:[0,0]
	v_pk_fma_f32 v[18:19], v[4:5], v[134:135], v[16:17] neg_lo:[0,0,1] neg_hi:[0,0,1]
	v_pk_fma_f32 v[4:5], v[4:5], v[134:135], v[16:17] op_sel_hi:[1,0,1]
	s_nop 0
	v_mov_b32_e32 v19, v5
	s_waitcnt vmcnt(2) lgkmcnt(2)
	v_pk_mul_f32 v[4:5], v[6:7], v[136:137] op_sel:[1,1] op_sel_hi:[0,1]
	v_pk_fma_f32 v[16:17], v[6:7], v[136:137], v[4:5] neg_lo:[0,0,1] neg_hi:[0,0,1]
	v_pk_fma_f32 v[4:5], v[6:7], v[136:137], v[4:5] op_sel_hi:[1,0,1]
	v_pk_add_f32 v[2:3], v[2:3], v[18:19]
	v_mov_b32_e32 v4, v139
	v_mov_b32_e32 v17, v5
	v_pk_mul_f32 v[4:5], v[8:9], v[4:5] op_sel:[1,0] op_sel_hi:[0,0]
	v_pk_fma_f32 v[6:7], v[8:9], v[138:139], v[4:5] neg_lo:[0,0,1] neg_hi:[0,0,1]
	v_pk_fma_f32 v[4:5], v[8:9], v[138:139], v[4:5] op_sel_hi:[1,0,1]
	v_pk_add_f32 v[2:3], v[2:3], v[16:17]
	v_mov_b32_e32 v7, v5
	s_waitcnt vmcnt(1) lgkmcnt(1)
	v_pk_mul_f32 v[4:5], v[10:11], v[140:141] op_sel:[1,1] op_sel_hi:[0,1]
	v_pk_add_f32 v[2:3], v[2:3], v[6:7]
	v_pk_fma_f32 v[6:7], v[10:11], v[140:141], v[4:5] neg_lo:[0,0,1] neg_hi:[0,0,1]
	v_pk_fma_f32 v[4:5], v[10:11], v[140:141], v[4:5] op_sel_hi:[1,0,1]
	s_nop 0
	v_mov_b32_e32 v4, v143
	v_mov_b32_e32 v7, v5
	v_pk_mul_f32 v[4:5], v[12:13], v[4:5] op_sel:[1,0] op_sel_hi:[0,0]
	v_pk_add_f32 v[2:3], v[2:3], v[6:7]
	v_pk_fma_f32 v[6:7], v[12:13], v[142:143], v[4:5] neg_lo:[0,0,1] neg_hi:[0,0,1]
	v_pk_fma_f32 v[4:5], v[12:13], v[142:143], v[4:5] op_sel_hi:[1,0,1]
	s_nop 0
	v_mov_b32_e32 v7, v5
	s_waitcnt vmcnt(0) lgkmcnt(0)
	v_pk_mul_f32 v[4:5], v[14:15], v[162:163] op_sel:[1,1] op_sel_hi:[0,1]
	v_pk_add_f32 v[2:3], v[2:3], v[6:7]
	v_pk_fma_f32 v[6:7], v[14:15], v[162:163], v[4:5] neg_lo:[0,0,1] neg_hi:[0,0,1]
	v_pk_fma_f32 v[4:5], v[14:15], v[162:163], v[4:5] op_sel_hi:[1,0,1]
	s_nop 0
	v_mov_b32_e32 v7, v5
	scratch_load_dwordx2 v[4:5], off, off offset:144
	v_pk_add_f32 v[2:3], v[2:3], v[6:7]
	s_waitcnt vmcnt(0)
	v_pk_add_f32 v[2:3], v[4:5], v[2:3] neg_lo:[0,1] neg_hi:[0,1]
	scratch_store_dwordx2 off, v[2:3], off offset:144
	s_and_saveexec_b64 s[0:1], vcc
	s_cbranch_execz .LBB121_327
; %bb.326:
	scratch_load_dwordx2 v[2:3], off, off offset:136
	v_mov_b32_e32 v95, v94
	scratch_store_dwordx2 off, v[94:95], off offset:136
	s_waitcnt vmcnt(1)
	ds_write_b64 v1, v[2:3]
.LBB121_327:
	s_or_b64 exec, exec, s[0:1]
	s_waitcnt lgkmcnt(0)
	; wave barrier
	ds_read_b128 v[14:17], v94 offset:608
	ds_read_b128 v[10:13], v94 offset:624
	;; [unrolled: 1-line block ×4, first 2 shown]
	scratch_load_dwordx4 v[18:21], off, off offset:144
	scratch_load_dwordx4 v[38:41], off, off offset:208
	;; [unrolled: 1-line block ×10, first 2 shown]
	v_cmp_lt_u32_e32 vcc, 16, v0
	scratch_load_dwordx4 v[46:49], off, off offset:224
	scratch_load_dwordx4 v[54:57], off, off offset:240
	;; [unrolled: 1-line block ×3, first 2 shown]
	s_waitcnt vmcnt(12) lgkmcnt(3)
	v_mul_f32_e32 v22, v14, v19
	v_fmac_f32_e32 v22, v15, v18
	v_mul_f32_e32 v23, v16, v21
	v_add_f32_e32 v22, 0, v22
	v_fmac_f32_e32 v23, v17, v20
	v_add_f32_e32 v26, v22, v23
	scratch_load_dwordx4 v[22:25], off, off offset:160
	v_mul_f32_e32 v15, v15, v19
	v_fma_f32 v14, v14, v18, -v15
	v_mul_f32_e32 v15, v17, v21
	v_add_f32_e32 v14, 0, v14
	v_fma_f32 v15, v16, v20, -v15
	v_add_f32_e32 v14, v14, v15
	s_waitcnt vmcnt(0) lgkmcnt(2)
	v_mul_f32_e32 v27, v10, v23
	v_fmac_f32_e32 v27, v11, v22
	v_add_f32_e32 v26, v26, v27
	v_mul_f32_e32 v27, v12, v25
	v_fmac_f32_e32 v27, v13, v24
	v_add_f32_e32 v30, v26, v27
	scratch_load_dwordx4 v[26:29], off, off offset:176
	v_mul_f32_e32 v11, v11, v23
	v_fma_f32 v10, v10, v22, -v11
	v_mul_f32_e32 v11, v13, v25
	v_add_f32_e32 v10, v14, v10
	v_fma_f32 v11, v12, v24, -v11
	v_add_f32_e32 v10, v10, v11
	s_waitcnt vmcnt(0) lgkmcnt(1)
	v_mul_f32_e32 v31, v6, v27
	v_fmac_f32_e32 v31, v7, v26
	v_add_f32_e32 v30, v30, v31
	v_mul_f32_e32 v31, v8, v29
	;; [unrolled: 14-line block ×3, first 2 shown]
	v_fmac_f32_e32 v35, v5, v32
	v_add_f32_e32 v42, v34, v35
	ds_read_b128 v[34:37], v94 offset:672
	v_mul_f32_e32 v3, v3, v31
	v_fma_f32 v2, v2, v30, -v3
	v_mul_f32_e32 v3, v5, v33
	v_add_f32_e32 v2, v6, v2
	s_waitcnt lgkmcnt(0)
	v_mul_f32_e32 v43, v34, v39
	v_fmac_f32_e32 v43, v35, v38
	v_add_f32_e32 v42, v42, v43
	v_mul_f32_e32 v43, v36, v41
	v_fmac_f32_e32 v43, v37, v40
	v_add_f32_e32 v50, v42, v43
	ds_read_b128 v[42:45], v94 offset:688
	v_fma_f32 v3, v4, v32, -v3
	v_add_f32_e32 v2, v2, v3
	v_mul_f32_e32 v3, v35, v39
	v_fma_f32 v3, v34, v38, -v3
	s_waitcnt lgkmcnt(0)
	v_mul_f32_e32 v51, v42, v47
	v_fmac_f32_e32 v51, v43, v46
	v_add_f32_e32 v50, v50, v51
	v_mul_f32_e32 v51, v44, v49
	v_fmac_f32_e32 v51, v45, v48
	v_add_f32_e32 v58, v50, v51
	ds_read_b128 v[50:53], v94 offset:704
	v_add_f32_e32 v2, v2, v3
	v_mul_f32_e32 v3, v37, v41
	v_fma_f32 v3, v36, v40, -v3
	v_add_f32_e32 v2, v2, v3
	s_waitcnt lgkmcnt(0)
	v_mul_f32_e32 v59, v50, v55
	v_fmac_f32_e32 v59, v51, v54
	v_add_f32_e32 v58, v58, v59
	v_mul_f32_e32 v59, v52, v57
	v_fmac_f32_e32 v59, v53, v56
	v_add_f32_e32 v66, v58, v59
	ds_read_b128 v[58:61], v94 offset:720
	v_mul_f32_e32 v3, v43, v47
	v_fma_f32 v3, v42, v46, -v3
	v_add_f32_e32 v2, v2, v3
	v_mul_f32_e32 v3, v45, v49
	s_waitcnt lgkmcnt(0)
	v_mul_f32_e32 v67, v58, v63
	v_fmac_f32_e32 v67, v59, v62
	v_add_f32_e32 v66, v66, v67
	v_mul_f32_e32 v67, v60, v65
	v_fmac_f32_e32 v67, v61, v64
	v_add_f32_e32 v74, v66, v67
	ds_read_b128 v[66:69], v94 offset:736
	v_fma_f32 v3, v44, v48, -v3
	v_add_f32_e32 v2, v2, v3
	v_mul_f32_e32 v3, v51, v55
	v_fma_f32 v3, v50, v54, -v3
	s_waitcnt lgkmcnt(0)
	v_mul_f32_e32 v75, v66, v71
	v_fmac_f32_e32 v75, v67, v70
	v_add_f32_e32 v74, v74, v75
	v_mul_f32_e32 v75, v68, v73
	v_fmac_f32_e32 v75, v69, v72
	v_add_f32_e32 v82, v74, v75
	ds_read_b128 v[74:77], v94 offset:752
	v_add_f32_e32 v2, v2, v3
	v_mul_f32_e32 v3, v53, v57
	v_fma_f32 v3, v52, v56, -v3
	v_add_f32_e32 v2, v2, v3
	s_waitcnt lgkmcnt(0)
	v_mul_f32_e32 v83, v74, v79
	v_fmac_f32_e32 v83, v75, v78
	v_add_f32_e32 v82, v82, v83
	v_mul_f32_e32 v83, v76, v81
	v_fmac_f32_e32 v83, v77, v80
	v_add_f32_e32 v90, v82, v83
	ds_read_b128 v[82:85], v94 offset:768
	v_mul_f32_e32 v3, v59, v63
	v_fma_f32 v3, v58, v62, -v3
	v_add_f32_e32 v2, v2, v3
	v_mul_f32_e32 v3, v61, v65
	;; [unrolled: 36-line block ×3, first 2 shown]
	s_waitcnt lgkmcnt(0)
	v_mul_f32_e32 v116, v108, v113
	v_fmac_f32_e32 v116, v109, v112
	v_add_f32_e32 v95, v95, v116
	v_mul_f32_e32 v116, v110, v115
	v_fmac_f32_e32 v116, v111, v114
	v_add_f32_e32 v95, v95, v116
	ds_read_b128 v[116:119], v94 offset:832
	v_fma_f32 v3, v76, v80, -v3
	v_add_f32_e32 v2, v2, v3
	v_mul_f32_e32 v3, v83, v87
	v_fma_f32 v3, v82, v86, -v3
	s_waitcnt lgkmcnt(0)
	v_mul_f32_e32 v124, v116, v121
	v_fmac_f32_e32 v124, v117, v120
	v_add_f32_e32 v95, v95, v124
	v_mul_f32_e32 v124, v118, v123
	v_fmac_f32_e32 v124, v119, v122
	v_add_f32_e32 v149, v95, v124
	ds_read_b128 v[124:127], v94 offset:848
	scratch_load_dwordx4 v[132:135], off, off offset:400
	scratch_load_dwordx4 v[136:139], off, off offset:416
	;; [unrolled: 1-line block ×4, first 2 shown]
	v_add_f32_e32 v2, v2, v3
	v_mul_f32_e32 v3, v85, v89
	v_fma_f32 v3, v84, v88, -v3
	v_add_f32_e32 v2, v2, v3
	v_mul_f32_e32 v3, v91, v97
	v_fma_f32 v3, v90, v96, -v3
	;; [unrolled: 3-line block ×9, first 2 shown]
	v_add_f32_e32 v148, v2, v3
	s_waitcnt lgkmcnt(0)
	v_mul_f32_e32 v2, v125, v129
	v_fma_f32 v162, v124, v128, -v2
	v_mul_f32_e32 v2, v127, v131
	v_fma_f32 v164, v126, v130, -v2
	ds_read_b128 v[2:5], v94 offset:864
	ds_read_b128 v[6:9], v94 offset:880
	;; [unrolled: 1-line block ×4, first 2 shown]
	v_mul_f32_e32 v163, v124, v129
	v_fmac_f32_e32 v163, v125, v128
	v_mul_f32_e32 v165, v126, v131
	v_fmac_f32_e32 v165, v127, v130
	v_pk_add_f32 v[18:19], v[148:149], v[162:163]
	s_waitcnt vmcnt(3) lgkmcnt(3)
	v_pk_mul_f32 v[20:21], v[2:3], v[132:133] op_sel:[1,1] op_sel_hi:[0,1]
	v_pk_fma_f32 v[22:23], v[2:3], v[132:133], v[20:21] neg_lo:[0,0,1] neg_hi:[0,0,1]
	v_pk_fma_f32 v[2:3], v[2:3], v[132:133], v[20:21] op_sel_hi:[1,0,1]
	v_pk_add_f32 v[18:19], v[18:19], v[164:165]
	v_mov_b32_e32 v23, v3
	v_pk_add_f32 v[2:3], v[18:19], v[22:23]
	v_mov_b32_e32 v18, v135
	v_pk_mul_f32 v[18:19], v[4:5], v[18:19] op_sel:[1,0] op_sel_hi:[0,0]
	v_pk_fma_f32 v[20:21], v[4:5], v[134:135], v[18:19] neg_lo:[0,0,1] neg_hi:[0,0,1]
	v_pk_fma_f32 v[4:5], v[4:5], v[134:135], v[18:19] op_sel_hi:[1,0,1]
	s_nop 0
	v_mov_b32_e32 v21, v5
	s_waitcnt vmcnt(2) lgkmcnt(2)
	v_pk_mul_f32 v[4:5], v[6:7], v[136:137] op_sel:[1,1] op_sel_hi:[0,1]
	v_pk_fma_f32 v[18:19], v[6:7], v[136:137], v[4:5] neg_lo:[0,0,1] neg_hi:[0,0,1]
	v_pk_fma_f32 v[4:5], v[6:7], v[136:137], v[4:5] op_sel_hi:[1,0,1]
	v_pk_add_f32 v[2:3], v[2:3], v[20:21]
	v_mov_b32_e32 v4, v139
	v_mov_b32_e32 v19, v5
	v_pk_mul_f32 v[4:5], v[8:9], v[4:5] op_sel:[1,0] op_sel_hi:[0,0]
	v_pk_fma_f32 v[6:7], v[8:9], v[138:139], v[4:5] neg_lo:[0,0,1] neg_hi:[0,0,1]
	v_pk_fma_f32 v[4:5], v[8:9], v[138:139], v[4:5] op_sel_hi:[1,0,1]
	v_pk_add_f32 v[2:3], v[2:3], v[18:19]
	v_mov_b32_e32 v7, v5
	s_waitcnt vmcnt(1) lgkmcnt(1)
	v_pk_mul_f32 v[4:5], v[10:11], v[140:141] op_sel:[1,1] op_sel_hi:[0,1]
	v_pk_add_f32 v[2:3], v[2:3], v[6:7]
	v_pk_fma_f32 v[6:7], v[10:11], v[140:141], v[4:5] neg_lo:[0,0,1] neg_hi:[0,0,1]
	v_pk_fma_f32 v[4:5], v[10:11], v[140:141], v[4:5] op_sel_hi:[1,0,1]
	s_nop 0
	v_mov_b32_e32 v4, v143
	v_mov_b32_e32 v7, v5
	v_pk_mul_f32 v[4:5], v[12:13], v[4:5] op_sel:[1,0] op_sel_hi:[0,0]
	v_pk_add_f32 v[2:3], v[2:3], v[6:7]
	v_pk_fma_f32 v[6:7], v[12:13], v[142:143], v[4:5] neg_lo:[0,0,1] neg_hi:[0,0,1]
	v_pk_fma_f32 v[4:5], v[12:13], v[142:143], v[4:5] op_sel_hi:[1,0,1]
	s_nop 0
	v_mov_b32_e32 v7, v5
	s_waitcnt vmcnt(0) lgkmcnt(0)
	v_pk_mul_f32 v[4:5], v[14:15], v[144:145] op_sel:[1,1] op_sel_hi:[0,1]
	v_pk_add_f32 v[2:3], v[2:3], v[6:7]
	v_pk_fma_f32 v[6:7], v[14:15], v[144:145], v[4:5] neg_lo:[0,0,1] neg_hi:[0,0,1]
	v_pk_fma_f32 v[4:5], v[14:15], v[144:145], v[4:5] op_sel_hi:[1,0,1]
	s_nop 0
	v_mov_b32_e32 v4, v147
	v_mov_b32_e32 v7, v5
	v_pk_mul_f32 v[4:5], v[16:17], v[4:5] op_sel:[1,0] op_sel_hi:[0,0]
	v_pk_add_f32 v[2:3], v[2:3], v[6:7]
	v_pk_fma_f32 v[6:7], v[16:17], v[146:147], v[4:5] neg_lo:[0,0,1] neg_hi:[0,0,1]
	v_pk_fma_f32 v[4:5], v[16:17], v[146:147], v[4:5] op_sel_hi:[1,0,1]
	s_nop 0
	v_mov_b32_e32 v7, v5
	scratch_load_dwordx2 v[4:5], off, off offset:136
	v_pk_add_f32 v[2:3], v[2:3], v[6:7]
	s_waitcnt vmcnt(0)
	v_pk_add_f32 v[2:3], v[4:5], v[2:3] neg_lo:[0,1] neg_hi:[0,1]
	scratch_store_dwordx2 off, v[2:3], off offset:136
	s_and_saveexec_b64 s[0:1], vcc
	s_cbranch_execz .LBB121_329
; %bb.328:
	scratch_load_dwordx2 v[2:3], off, off offset:128
	v_mov_b32_e32 v4, 0
	v_mov_b32_e32 v5, v4
	scratch_store_dwordx2 off, v[4:5], off offset:128
	s_waitcnt vmcnt(1)
	ds_write_b64 v1, v[2:3]
.LBB121_329:
	s_or_b64 exec, exec, s[0:1]
	s_waitcnt lgkmcnt(0)
	; wave barrier
	scratch_load_dwordx4 v[6:9], off, off offset:136
	scratch_load_dwordx4 v[14:17], off, off offset:152
	;; [unrolled: 1-line block ×10, first 2 shown]
	v_mov_b32_e32 v102, 0
	ds_read2_b64 v[2:5], v102 offset0:75 offset1:76
	scratch_load_dwordx4 v[86:89], off, off offset:296
	scratch_load_dwordx4 v[94:97], off, off offset:312
	;; [unrolled: 1-line block ×7, first 2 shown]
	v_cmp_lt_u32_e32 vcc, 15, v0
	s_waitcnt vmcnt(16) lgkmcnt(0)
	v_mul_f32_e32 v10, v2, v7
	v_fmac_f32_e32 v10, v3, v6
	v_mul_f32_e32 v11, v4, v9
	v_add_f32_e32 v10, 0, v10
	v_fmac_f32_e32 v11, v5, v8
	v_add_f32_e32 v18, v10, v11
	ds_read2_b64 v[10:13], v102 offset0:77 offset1:78
	v_mul_f32_e32 v3, v3, v7
	v_fma_f32 v2, v2, v6, -v3
	v_mul_f32_e32 v3, v5, v9
	v_add_f32_e32 v2, 0, v2
	s_waitcnt vmcnt(15) lgkmcnt(0)
	v_mul_f32_e32 v19, v10, v15
	v_fmac_f32_e32 v19, v11, v14
	v_add_f32_e32 v18, v18, v19
	v_mul_f32_e32 v19, v12, v17
	v_fmac_f32_e32 v19, v13, v16
	v_add_f32_e32 v26, v18, v19
	ds_read2_b64 v[18:21], v102 offset0:79 offset1:80
	v_fma_f32 v3, v4, v8, -v3
	v_add_f32_e32 v2, v2, v3
	v_mul_f32_e32 v3, v11, v15
	v_fma_f32 v3, v10, v14, -v3
	s_waitcnt vmcnt(14) lgkmcnt(0)
	v_mul_f32_e32 v27, v18, v23
	v_fmac_f32_e32 v27, v19, v22
	v_add_f32_e32 v26, v26, v27
	v_mul_f32_e32 v27, v20, v25
	v_fmac_f32_e32 v27, v21, v24
	v_add_f32_e32 v34, v26, v27
	ds_read2_b64 v[26:29], v102 offset0:81 offset1:82
	v_add_f32_e32 v2, v2, v3
	v_mul_f32_e32 v3, v13, v17
	v_fma_f32 v3, v12, v16, -v3
	v_add_f32_e32 v2, v2, v3
	s_waitcnt vmcnt(13) lgkmcnt(0)
	v_mul_f32_e32 v35, v26, v31
	v_fmac_f32_e32 v35, v27, v30
	v_add_f32_e32 v34, v34, v35
	v_mul_f32_e32 v35, v28, v33
	v_fmac_f32_e32 v35, v29, v32
	v_add_f32_e32 v42, v34, v35
	ds_read2_b64 v[34:37], v102 offset0:83 offset1:84
	v_mul_f32_e32 v3, v19, v23
	v_fma_f32 v3, v18, v22, -v3
	v_add_f32_e32 v2, v2, v3
	v_mul_f32_e32 v3, v21, v25
	s_waitcnt vmcnt(12) lgkmcnt(0)
	v_mul_f32_e32 v43, v34, v39
	v_fmac_f32_e32 v43, v35, v38
	v_add_f32_e32 v42, v42, v43
	v_mul_f32_e32 v43, v36, v41
	v_fmac_f32_e32 v43, v37, v40
	v_add_f32_e32 v50, v42, v43
	ds_read2_b64 v[42:45], v102 offset0:85 offset1:86
	v_fma_f32 v3, v20, v24, -v3
	v_add_f32_e32 v2, v2, v3
	v_mul_f32_e32 v3, v27, v31
	v_fma_f32 v3, v26, v30, -v3
	s_waitcnt vmcnt(11) lgkmcnt(0)
	v_mul_f32_e32 v51, v42, v47
	v_fmac_f32_e32 v51, v43, v46
	v_add_f32_e32 v50, v50, v51
	v_mul_f32_e32 v51, v44, v49
	v_fmac_f32_e32 v51, v45, v48
	v_add_f32_e32 v58, v50, v51
	ds_read2_b64 v[50:53], v102 offset0:87 offset1:88
	v_add_f32_e32 v2, v2, v3
	v_mul_f32_e32 v3, v29, v33
	v_fma_f32 v3, v28, v32, -v3
	v_add_f32_e32 v2, v2, v3
	s_waitcnt vmcnt(10) lgkmcnt(0)
	v_mul_f32_e32 v59, v50, v55
	v_fmac_f32_e32 v59, v51, v54
	v_add_f32_e32 v58, v58, v59
	v_mul_f32_e32 v59, v52, v57
	v_fmac_f32_e32 v59, v53, v56
	v_add_f32_e32 v66, v58, v59
	ds_read2_b64 v[58:61], v102 offset0:89 offset1:90
	v_mul_f32_e32 v3, v35, v39
	v_fma_f32 v3, v34, v38, -v3
	v_add_f32_e32 v2, v2, v3
	v_mul_f32_e32 v3, v37, v41
	;; [unrolled: 36-line block ×4, first 2 shown]
	s_waitcnt vmcnt(3) lgkmcnt(0)
	v_mul_f32_e32 v116, v108, v113
	v_fmac_f32_e32 v116, v109, v112
	v_add_f32_e32 v103, v103, v116
	v_mul_f32_e32 v116, v110, v115
	v_fmac_f32_e32 v116, v111, v114
	v_add_f32_e32 v103, v103, v116
	ds_read2_b64 v[116:119], v102 offset0:103 offset1:104
	v_fma_f32 v3, v68, v72, -v3
	v_add_f32_e32 v2, v2, v3
	v_mul_f32_e32 v3, v75, v79
	v_fma_f32 v3, v74, v78, -v3
	s_waitcnt vmcnt(2) lgkmcnt(0)
	v_mul_f32_e32 v124, v116, v121
	v_fmac_f32_e32 v124, v117, v120
	v_add_f32_e32 v103, v103, v124
	v_mul_f32_e32 v124, v118, v123
	v_fmac_f32_e32 v124, v119, v122
	v_add_f32_e32 v103, v103, v124
	ds_read2_b64 v[124:127], v102 offset0:105 offset1:106
	v_add_f32_e32 v2, v2, v3
	v_mul_f32_e32 v3, v77, v81
	v_fma_f32 v3, v76, v80, -v3
	v_add_f32_e32 v2, v2, v3
	s_waitcnt vmcnt(1) lgkmcnt(0)
	v_mul_f32_e32 v132, v124, v129
	v_fmac_f32_e32 v132, v125, v128
	v_add_f32_e32 v149, v103, v132
	ds_read2_b64 v[132:135], v102 offset0:107 offset1:108
	scratch_load_dwordx4 v[140:143], off, off offset:408
	scratch_load_dwordx4 v[144:147], off, off offset:424
	;; [unrolled: 1-line block ×3, first 2 shown]
	scratch_load_dwordx2 v[170:171], off, off offset:456
	v_mul_f32_e32 v3, v83, v87
	v_fma_f32 v3, v82, v86, -v3
	v_add_f32_e32 v2, v2, v3
	v_mul_f32_e32 v3, v85, v89
	v_fma_f32 v3, v84, v88, -v3
	v_add_f32_e32 v2, v2, v3
	;; [unrolled: 3-line block ×11, first 2 shown]
	v_mul_f32_e32 v2, v127, v131
	v_mul_f32_e32 v167, v126, v131
	v_fma_f32 v166, v126, v130, -v2
	s_waitcnt vmcnt(4) lgkmcnt(0)
	v_mul_f32_e32 v2, v133, v137
	v_mov_b32_e32 v18, v139
	v_fmac_f32_e32 v167, v127, v130
	v_mul_f32_e32 v169, v132, v137
	v_fma_f32 v168, v132, v136, -v2
	ds_read2_b64 v[2:5], v102 offset0:109 offset1:110
	ds_read2_b64 v[6:9], v102 offset0:111 offset1:112
	;; [unrolled: 1-line block ×3, first 2 shown]
	ds_read_b64 v[14:15], v102 offset:920
	v_pk_mul_f32 v[18:19], v[134:135], v[18:19] op_sel:[1,0] op_sel_hi:[0,0]
	v_fmac_f32_e32 v169, v133, v136
	v_pk_add_f32 v[16:17], v[148:149], v[166:167]
	v_pk_fma_f32 v[20:21], v[134:135], v[138:139], v[18:19] neg_lo:[0,0,1] neg_hi:[0,0,1]
	v_pk_fma_f32 v[18:19], v[134:135], v[138:139], v[18:19] op_sel_hi:[1,0,1]
	v_pk_add_f32 v[16:17], v[16:17], v[168:169]
	v_mov_b32_e32 v21, v19
	v_pk_add_f32 v[16:17], v[16:17], v[20:21]
	s_waitcnt vmcnt(3) lgkmcnt(3)
	v_pk_mul_f32 v[18:19], v[2:3], v[140:141] op_sel:[1,1] op_sel_hi:[0,1]
	v_pk_fma_f32 v[20:21], v[2:3], v[140:141], v[18:19] neg_lo:[0,0,1] neg_hi:[0,0,1]
	v_pk_fma_f32 v[2:3], v[2:3], v[140:141], v[18:19] op_sel_hi:[1,0,1]
	s_nop 0
	v_mov_b32_e32 v21, v3
	v_pk_add_f32 v[2:3], v[16:17], v[20:21]
	v_mov_b32_e32 v16, v143
	v_pk_mul_f32 v[16:17], v[4:5], v[16:17] op_sel:[1,0] op_sel_hi:[0,0]
	v_pk_fma_f32 v[18:19], v[4:5], v[142:143], v[16:17] neg_lo:[0,0,1] neg_hi:[0,0,1]
	v_pk_fma_f32 v[4:5], v[4:5], v[142:143], v[16:17] op_sel_hi:[1,0,1]
	s_nop 0
	v_mov_b32_e32 v19, v5
	s_waitcnt vmcnt(2) lgkmcnt(2)
	v_pk_mul_f32 v[4:5], v[6:7], v[144:145] op_sel:[1,1] op_sel_hi:[0,1]
	v_pk_fma_f32 v[16:17], v[6:7], v[144:145], v[4:5] neg_lo:[0,0,1] neg_hi:[0,0,1]
	v_pk_fma_f32 v[4:5], v[6:7], v[144:145], v[4:5] op_sel_hi:[1,0,1]
	v_pk_add_f32 v[2:3], v[2:3], v[18:19]
	v_mov_b32_e32 v4, v147
	v_mov_b32_e32 v17, v5
	v_pk_mul_f32 v[4:5], v[8:9], v[4:5] op_sel:[1,0] op_sel_hi:[0,0]
	v_pk_fma_f32 v[6:7], v[8:9], v[146:147], v[4:5] neg_lo:[0,0,1] neg_hi:[0,0,1]
	v_pk_fma_f32 v[4:5], v[8:9], v[146:147], v[4:5] op_sel_hi:[1,0,1]
	v_pk_add_f32 v[2:3], v[2:3], v[16:17]
	v_mov_b32_e32 v7, v5
	s_waitcnt vmcnt(1) lgkmcnt(1)
	v_pk_mul_f32 v[4:5], v[10:11], v[162:163] op_sel:[1,1] op_sel_hi:[0,1]
	v_pk_add_f32 v[2:3], v[2:3], v[6:7]
	v_pk_fma_f32 v[6:7], v[10:11], v[162:163], v[4:5] neg_lo:[0,0,1] neg_hi:[0,0,1]
	v_pk_fma_f32 v[4:5], v[10:11], v[162:163], v[4:5] op_sel_hi:[1,0,1]
	s_nop 0
	v_mov_b32_e32 v4, v165
	v_mov_b32_e32 v7, v5
	v_pk_mul_f32 v[4:5], v[12:13], v[4:5] op_sel:[1,0] op_sel_hi:[0,0]
	v_pk_add_f32 v[2:3], v[2:3], v[6:7]
	v_pk_fma_f32 v[6:7], v[12:13], v[164:165], v[4:5] neg_lo:[0,0,1] neg_hi:[0,0,1]
	v_pk_fma_f32 v[4:5], v[12:13], v[164:165], v[4:5] op_sel_hi:[1,0,1]
	s_nop 0
	v_mov_b32_e32 v7, v5
	s_waitcnt vmcnt(0) lgkmcnt(0)
	v_pk_mul_f32 v[4:5], v[14:15], v[170:171] op_sel:[1,1] op_sel_hi:[0,1]
	v_pk_add_f32 v[2:3], v[2:3], v[6:7]
	v_pk_fma_f32 v[6:7], v[14:15], v[170:171], v[4:5] neg_lo:[0,0,1] neg_hi:[0,0,1]
	v_pk_fma_f32 v[4:5], v[14:15], v[170:171], v[4:5] op_sel_hi:[1,0,1]
	s_nop 0
	v_mov_b32_e32 v7, v5
	scratch_load_dwordx2 v[4:5], off, off offset:128
	v_pk_add_f32 v[2:3], v[2:3], v[6:7]
	s_waitcnt vmcnt(0)
	v_pk_add_f32 v[2:3], v[4:5], v[2:3] neg_lo:[0,1] neg_hi:[0,1]
	scratch_store_dwordx2 off, v[2:3], off offset:128
	s_and_saveexec_b64 s[0:1], vcc
	s_cbranch_execz .LBB121_331
; %bb.330:
	scratch_load_dwordx2 v[2:3], off, off offset:120
	v_mov_b32_e32 v103, v102
	scratch_store_dwordx2 off, v[102:103], off offset:120
	s_waitcnt vmcnt(1)
	ds_write_b64 v1, v[2:3]
.LBB121_331:
	s_or_b64 exec, exec, s[0:1]
	s_waitcnt lgkmcnt(0)
	; wave barrier
	ds_read_b128 v[14:17], v102 offset:592
	ds_read_b128 v[10:13], v102 offset:608
	;; [unrolled: 1-line block ×4, first 2 shown]
	scratch_load_dwordx4 v[18:21], off, off offset:128
	scratch_load_dwordx4 v[38:41], off, off offset:192
	;; [unrolled: 1-line block ×11, first 2 shown]
	v_cmp_lt_u32_e32 vcc, 14, v0
	scratch_load_dwordx4 v[46:49], off, off offset:208
	scratch_load_dwordx4 v[54:57], off, off offset:224
	;; [unrolled: 1-line block ×3, first 2 shown]
	s_waitcnt vmcnt(13) lgkmcnt(3)
	v_mul_f32_e32 v22, v14, v19
	v_fmac_f32_e32 v22, v15, v18
	v_mul_f32_e32 v23, v16, v21
	v_add_f32_e32 v22, 0, v22
	v_fmac_f32_e32 v23, v17, v20
	v_add_f32_e32 v26, v22, v23
	scratch_load_dwordx4 v[22:25], off, off offset:144
	v_mul_f32_e32 v15, v15, v19
	v_fma_f32 v14, v14, v18, -v15
	v_mul_f32_e32 v15, v17, v21
	v_add_f32_e32 v14, 0, v14
	v_fma_f32 v15, v16, v20, -v15
	v_add_f32_e32 v14, v14, v15
	s_waitcnt vmcnt(0) lgkmcnt(2)
	v_mul_f32_e32 v27, v10, v23
	v_fmac_f32_e32 v27, v11, v22
	v_add_f32_e32 v26, v26, v27
	v_mul_f32_e32 v27, v12, v25
	v_fmac_f32_e32 v27, v13, v24
	v_add_f32_e32 v30, v26, v27
	scratch_load_dwordx4 v[26:29], off, off offset:160
	v_mul_f32_e32 v11, v11, v23
	v_fma_f32 v10, v10, v22, -v11
	v_mul_f32_e32 v11, v13, v25
	v_add_f32_e32 v10, v14, v10
	v_fma_f32 v11, v12, v24, -v11
	v_add_f32_e32 v10, v10, v11
	s_waitcnt vmcnt(0) lgkmcnt(1)
	v_mul_f32_e32 v31, v6, v27
	v_fmac_f32_e32 v31, v7, v26
	v_add_f32_e32 v30, v30, v31
	v_mul_f32_e32 v31, v8, v29
	;; [unrolled: 14-line block ×3, first 2 shown]
	v_fmac_f32_e32 v35, v5, v32
	v_add_f32_e32 v42, v34, v35
	ds_read_b128 v[34:37], v102 offset:656
	v_mul_f32_e32 v3, v3, v31
	v_fma_f32 v2, v2, v30, -v3
	v_mul_f32_e32 v3, v5, v33
	v_add_f32_e32 v2, v6, v2
	s_waitcnt lgkmcnt(0)
	v_mul_f32_e32 v43, v34, v39
	v_fmac_f32_e32 v43, v35, v38
	v_add_f32_e32 v42, v42, v43
	v_mul_f32_e32 v43, v36, v41
	v_fmac_f32_e32 v43, v37, v40
	v_add_f32_e32 v50, v42, v43
	ds_read_b128 v[42:45], v102 offset:672
	v_fma_f32 v3, v4, v32, -v3
	v_add_f32_e32 v2, v2, v3
	v_mul_f32_e32 v3, v35, v39
	v_fma_f32 v3, v34, v38, -v3
	s_waitcnt lgkmcnt(0)
	v_mul_f32_e32 v51, v42, v47
	v_fmac_f32_e32 v51, v43, v46
	v_add_f32_e32 v50, v50, v51
	v_mul_f32_e32 v51, v44, v49
	v_fmac_f32_e32 v51, v45, v48
	v_add_f32_e32 v58, v50, v51
	ds_read_b128 v[50:53], v102 offset:688
	v_add_f32_e32 v2, v2, v3
	v_mul_f32_e32 v3, v37, v41
	v_fma_f32 v3, v36, v40, -v3
	v_add_f32_e32 v2, v2, v3
	s_waitcnt lgkmcnt(0)
	v_mul_f32_e32 v59, v50, v55
	v_fmac_f32_e32 v59, v51, v54
	v_add_f32_e32 v58, v58, v59
	v_mul_f32_e32 v59, v52, v57
	v_fmac_f32_e32 v59, v53, v56
	v_add_f32_e32 v66, v58, v59
	ds_read_b128 v[58:61], v102 offset:704
	v_mul_f32_e32 v3, v43, v47
	v_fma_f32 v3, v42, v46, -v3
	v_add_f32_e32 v2, v2, v3
	v_mul_f32_e32 v3, v45, v49
	s_waitcnt lgkmcnt(0)
	v_mul_f32_e32 v67, v58, v63
	v_fmac_f32_e32 v67, v59, v62
	v_add_f32_e32 v66, v66, v67
	v_mul_f32_e32 v67, v60, v65
	v_fmac_f32_e32 v67, v61, v64
	v_add_f32_e32 v74, v66, v67
	ds_read_b128 v[66:69], v102 offset:720
	v_fma_f32 v3, v44, v48, -v3
	v_add_f32_e32 v2, v2, v3
	v_mul_f32_e32 v3, v51, v55
	v_fma_f32 v3, v50, v54, -v3
	s_waitcnt lgkmcnt(0)
	v_mul_f32_e32 v75, v66, v71
	v_fmac_f32_e32 v75, v67, v70
	v_add_f32_e32 v74, v74, v75
	v_mul_f32_e32 v75, v68, v73
	v_fmac_f32_e32 v75, v69, v72
	v_add_f32_e32 v82, v74, v75
	ds_read_b128 v[74:77], v102 offset:736
	v_add_f32_e32 v2, v2, v3
	v_mul_f32_e32 v3, v53, v57
	v_fma_f32 v3, v52, v56, -v3
	v_add_f32_e32 v2, v2, v3
	s_waitcnt lgkmcnt(0)
	v_mul_f32_e32 v83, v74, v79
	v_fmac_f32_e32 v83, v75, v78
	v_add_f32_e32 v82, v82, v83
	v_mul_f32_e32 v83, v76, v81
	v_fmac_f32_e32 v83, v77, v80
	v_add_f32_e32 v90, v82, v83
	ds_read_b128 v[82:85], v102 offset:752
	v_mul_f32_e32 v3, v59, v63
	v_fma_f32 v3, v58, v62, -v3
	v_add_f32_e32 v2, v2, v3
	v_mul_f32_e32 v3, v61, v65
	s_waitcnt lgkmcnt(0)
	v_mul_f32_e32 v91, v82, v87
	v_fmac_f32_e32 v91, v83, v86
	v_add_f32_e32 v90, v90, v91
	v_mul_f32_e32 v91, v84, v89
	v_fmac_f32_e32 v91, v85, v88
	v_add_f32_e32 v98, v90, v91
	ds_read_b128 v[90:93], v102 offset:768
	v_fma_f32 v3, v60, v64, -v3
	v_add_f32_e32 v2, v2, v3
	v_mul_f32_e32 v3, v67, v71
	v_fma_f32 v3, v66, v70, -v3
	s_waitcnt lgkmcnt(0)
	v_mul_f32_e32 v99, v90, v95
	v_fmac_f32_e32 v99, v91, v94
	v_add_f32_e32 v98, v98, v99
	v_mul_f32_e32 v99, v92, v97
	v_fmac_f32_e32 v99, v93, v96
	v_add_f32_e32 v103, v98, v99
	ds_read_b128 v[98:101], v102 offset:784
	v_add_f32_e32 v2, v2, v3
	v_mul_f32_e32 v3, v69, v73
	v_fma_f32 v3, v68, v72, -v3
	v_add_f32_e32 v2, v2, v3
	s_waitcnt lgkmcnt(0)
	v_mul_f32_e32 v108, v98, v105
	v_fmac_f32_e32 v108, v99, v104
	v_add_f32_e32 v103, v103, v108
	v_mul_f32_e32 v108, v100, v107
	v_fmac_f32_e32 v108, v101, v106
	v_add_f32_e32 v103, v103, v108
	ds_read_b128 v[108:111], v102 offset:800
	v_mul_f32_e32 v3, v75, v79
	v_fma_f32 v3, v74, v78, -v3
	v_add_f32_e32 v2, v2, v3
	v_mul_f32_e32 v3, v77, v81
	s_waitcnt lgkmcnt(0)
	v_mul_f32_e32 v116, v108, v113
	v_fmac_f32_e32 v116, v109, v112
	v_add_f32_e32 v103, v103, v116
	v_mul_f32_e32 v116, v110, v115
	v_fmac_f32_e32 v116, v111, v114
	v_add_f32_e32 v103, v103, v116
	ds_read_b128 v[116:119], v102 offset:816
	v_fma_f32 v3, v76, v80, -v3
	v_add_f32_e32 v2, v2, v3
	v_mul_f32_e32 v3, v83, v87
	v_fma_f32 v3, v82, v86, -v3
	s_waitcnt lgkmcnt(0)
	v_mul_f32_e32 v124, v116, v121
	v_fmac_f32_e32 v124, v117, v120
	v_add_f32_e32 v103, v103, v124
	v_mul_f32_e32 v124, v118, v123
	v_fmac_f32_e32 v124, v119, v122
	v_add_f32_e32 v103, v103, v124
	ds_read_b128 v[124:127], v102 offset:832
	v_add_f32_e32 v2, v2, v3
	v_mul_f32_e32 v3, v85, v89
	v_fma_f32 v3, v84, v88, -v3
	v_add_f32_e32 v2, v2, v3
	s_waitcnt lgkmcnt(0)
	v_mul_f32_e32 v132, v124, v129
	v_fmac_f32_e32 v132, v125, v128
	v_add_f32_e32 v103, v103, v132
	v_mul_f32_e32 v132, v126, v131
	v_fmac_f32_e32 v132, v127, v130
	v_add_f32_e32 v149, v103, v132
	ds_read_b128 v[132:135], v102 offset:848
	scratch_load_dwordx4 v[140:143], off, off offset:400
	scratch_load_dwordx4 v[144:147], off, off offset:416
	;; [unrolled: 1-line block ×4, first 2 shown]
	v_mul_f32_e32 v3, v91, v95
	v_fma_f32 v3, v90, v94, -v3
	v_add_f32_e32 v2, v2, v3
	v_mul_f32_e32 v3, v93, v97
	v_fma_f32 v3, v92, v96, -v3
	v_add_f32_e32 v2, v2, v3
	;; [unrolled: 3-line block ×10, first 2 shown]
	s_waitcnt lgkmcnt(0)
	v_mul_f32_e32 v2, v133, v137
	v_fma_f32 v170, v132, v136, -v2
	v_mul_f32_e32 v2, v135, v139
	v_fma_f32 v172, v134, v138, -v2
	ds_read_b128 v[2:5], v102 offset:864
	ds_read_b128 v[6:9], v102 offset:880
	;; [unrolled: 1-line block ×4, first 2 shown]
	v_mul_f32_e32 v171, v132, v137
	v_fmac_f32_e32 v171, v133, v136
	v_mul_f32_e32 v173, v134, v139
	v_fmac_f32_e32 v173, v135, v138
	v_pk_add_f32 v[18:19], v[148:149], v[170:171]
	s_waitcnt vmcnt(3) lgkmcnt(3)
	v_pk_mul_f32 v[20:21], v[2:3], v[140:141] op_sel:[1,1] op_sel_hi:[0,1]
	v_pk_fma_f32 v[22:23], v[2:3], v[140:141], v[20:21] neg_lo:[0,0,1] neg_hi:[0,0,1]
	v_pk_fma_f32 v[2:3], v[2:3], v[140:141], v[20:21] op_sel_hi:[1,0,1]
	v_pk_add_f32 v[18:19], v[18:19], v[172:173]
	v_mov_b32_e32 v23, v3
	v_pk_add_f32 v[2:3], v[18:19], v[22:23]
	v_mov_b32_e32 v18, v143
	v_pk_mul_f32 v[18:19], v[4:5], v[18:19] op_sel:[1,0] op_sel_hi:[0,0]
	v_pk_fma_f32 v[20:21], v[4:5], v[142:143], v[18:19] neg_lo:[0,0,1] neg_hi:[0,0,1]
	v_pk_fma_f32 v[4:5], v[4:5], v[142:143], v[18:19] op_sel_hi:[1,0,1]
	s_nop 0
	v_mov_b32_e32 v21, v5
	s_waitcnt vmcnt(2) lgkmcnt(2)
	v_pk_mul_f32 v[4:5], v[6:7], v[144:145] op_sel:[1,1] op_sel_hi:[0,1]
	v_pk_fma_f32 v[18:19], v[6:7], v[144:145], v[4:5] neg_lo:[0,0,1] neg_hi:[0,0,1]
	v_pk_fma_f32 v[4:5], v[6:7], v[144:145], v[4:5] op_sel_hi:[1,0,1]
	v_pk_add_f32 v[2:3], v[2:3], v[20:21]
	v_mov_b32_e32 v4, v147
	v_mov_b32_e32 v19, v5
	v_pk_mul_f32 v[4:5], v[8:9], v[4:5] op_sel:[1,0] op_sel_hi:[0,0]
	v_pk_fma_f32 v[6:7], v[8:9], v[146:147], v[4:5] neg_lo:[0,0,1] neg_hi:[0,0,1]
	v_pk_fma_f32 v[4:5], v[8:9], v[146:147], v[4:5] op_sel_hi:[1,0,1]
	v_pk_add_f32 v[2:3], v[2:3], v[18:19]
	v_mov_b32_e32 v7, v5
	s_waitcnt vmcnt(1) lgkmcnt(1)
	v_pk_mul_f32 v[4:5], v[10:11], v[162:163] op_sel:[1,1] op_sel_hi:[0,1]
	v_pk_add_f32 v[2:3], v[2:3], v[6:7]
	v_pk_fma_f32 v[6:7], v[10:11], v[162:163], v[4:5] neg_lo:[0,0,1] neg_hi:[0,0,1]
	v_pk_fma_f32 v[4:5], v[10:11], v[162:163], v[4:5] op_sel_hi:[1,0,1]
	s_nop 0
	v_mov_b32_e32 v4, v165
	v_mov_b32_e32 v7, v5
	v_pk_mul_f32 v[4:5], v[12:13], v[4:5] op_sel:[1,0] op_sel_hi:[0,0]
	v_pk_add_f32 v[2:3], v[2:3], v[6:7]
	v_pk_fma_f32 v[6:7], v[12:13], v[164:165], v[4:5] neg_lo:[0,0,1] neg_hi:[0,0,1]
	v_pk_fma_f32 v[4:5], v[12:13], v[164:165], v[4:5] op_sel_hi:[1,0,1]
	s_nop 0
	v_mov_b32_e32 v7, v5
	s_waitcnt vmcnt(0) lgkmcnt(0)
	v_pk_mul_f32 v[4:5], v[14:15], v[166:167] op_sel:[1,1] op_sel_hi:[0,1]
	v_pk_add_f32 v[2:3], v[2:3], v[6:7]
	v_pk_fma_f32 v[6:7], v[14:15], v[166:167], v[4:5] neg_lo:[0,0,1] neg_hi:[0,0,1]
	v_pk_fma_f32 v[4:5], v[14:15], v[166:167], v[4:5] op_sel_hi:[1,0,1]
	s_nop 0
	v_mov_b32_e32 v4, v169
	v_mov_b32_e32 v7, v5
	v_pk_mul_f32 v[4:5], v[16:17], v[4:5] op_sel:[1,0] op_sel_hi:[0,0]
	v_pk_add_f32 v[2:3], v[2:3], v[6:7]
	v_pk_fma_f32 v[6:7], v[16:17], v[168:169], v[4:5] neg_lo:[0,0,1] neg_hi:[0,0,1]
	v_pk_fma_f32 v[4:5], v[16:17], v[168:169], v[4:5] op_sel_hi:[1,0,1]
	s_nop 0
	v_mov_b32_e32 v7, v5
	scratch_load_dwordx2 v[4:5], off, off offset:120
	v_pk_add_f32 v[2:3], v[2:3], v[6:7]
	s_waitcnt vmcnt(0)
	v_pk_add_f32 v[2:3], v[4:5], v[2:3] neg_lo:[0,1] neg_hi:[0,1]
	scratch_store_dwordx2 off, v[2:3], off offset:120
	s_and_saveexec_b64 s[0:1], vcc
	s_cbranch_execz .LBB121_333
; %bb.332:
	scratch_load_dwordx2 v[2:3], off, off offset:112
	v_mov_b32_e32 v4, 0
	v_mov_b32_e32 v5, v4
	scratch_store_dwordx2 off, v[4:5], off offset:112
	s_waitcnt vmcnt(1)
	ds_write_b64 v1, v[2:3]
.LBB121_333:
	s_or_b64 exec, exec, s[0:1]
	s_waitcnt lgkmcnt(0)
	; wave barrier
	scratch_load_dwordx4 v[6:9], off, off offset:120
	scratch_load_dwordx4 v[14:17], off, off offset:136
	;; [unrolled: 1-line block ×10, first 2 shown]
	v_mov_b32_e32 v102, 0
	ds_read2_b64 v[2:5], v102 offset0:73 offset1:74
	scratch_load_dwordx4 v[86:89], off, off offset:280
	scratch_load_dwordx4 v[94:97], off, off offset:296
	;; [unrolled: 1-line block ×8, first 2 shown]
	v_cmp_lt_u32_e32 vcc, 13, v0
	s_waitcnt vmcnt(17) lgkmcnt(0)
	v_mul_f32_e32 v10, v2, v7
	v_fmac_f32_e32 v10, v3, v6
	v_mul_f32_e32 v11, v4, v9
	v_add_f32_e32 v10, 0, v10
	v_fmac_f32_e32 v11, v5, v8
	v_add_f32_e32 v18, v10, v11
	ds_read2_b64 v[10:13], v102 offset0:75 offset1:76
	v_mul_f32_e32 v3, v3, v7
	v_fma_f32 v2, v2, v6, -v3
	v_mul_f32_e32 v3, v5, v9
	v_add_f32_e32 v2, 0, v2
	s_waitcnt vmcnt(16) lgkmcnt(0)
	v_mul_f32_e32 v19, v10, v15
	v_fmac_f32_e32 v19, v11, v14
	v_add_f32_e32 v18, v18, v19
	v_mul_f32_e32 v19, v12, v17
	v_fmac_f32_e32 v19, v13, v16
	v_add_f32_e32 v26, v18, v19
	ds_read2_b64 v[18:21], v102 offset0:77 offset1:78
	v_fma_f32 v3, v4, v8, -v3
	v_add_f32_e32 v2, v2, v3
	v_mul_f32_e32 v3, v11, v15
	v_fma_f32 v3, v10, v14, -v3
	s_waitcnt vmcnt(15) lgkmcnt(0)
	v_mul_f32_e32 v27, v18, v23
	v_fmac_f32_e32 v27, v19, v22
	v_add_f32_e32 v26, v26, v27
	v_mul_f32_e32 v27, v20, v25
	v_fmac_f32_e32 v27, v21, v24
	v_add_f32_e32 v34, v26, v27
	ds_read2_b64 v[26:29], v102 offset0:79 offset1:80
	v_add_f32_e32 v2, v2, v3
	v_mul_f32_e32 v3, v13, v17
	v_fma_f32 v3, v12, v16, -v3
	v_add_f32_e32 v2, v2, v3
	s_waitcnt vmcnt(14) lgkmcnt(0)
	v_mul_f32_e32 v35, v26, v31
	v_fmac_f32_e32 v35, v27, v30
	v_add_f32_e32 v34, v34, v35
	v_mul_f32_e32 v35, v28, v33
	v_fmac_f32_e32 v35, v29, v32
	v_add_f32_e32 v42, v34, v35
	ds_read2_b64 v[34:37], v102 offset0:81 offset1:82
	v_mul_f32_e32 v3, v19, v23
	v_fma_f32 v3, v18, v22, -v3
	v_add_f32_e32 v2, v2, v3
	v_mul_f32_e32 v3, v21, v25
	s_waitcnt vmcnt(13) lgkmcnt(0)
	v_mul_f32_e32 v43, v34, v39
	v_fmac_f32_e32 v43, v35, v38
	v_add_f32_e32 v42, v42, v43
	v_mul_f32_e32 v43, v36, v41
	v_fmac_f32_e32 v43, v37, v40
	v_add_f32_e32 v50, v42, v43
	ds_read2_b64 v[42:45], v102 offset0:83 offset1:84
	v_fma_f32 v3, v20, v24, -v3
	v_add_f32_e32 v2, v2, v3
	v_mul_f32_e32 v3, v27, v31
	v_fma_f32 v3, v26, v30, -v3
	s_waitcnt vmcnt(12) lgkmcnt(0)
	v_mul_f32_e32 v51, v42, v47
	v_fmac_f32_e32 v51, v43, v46
	v_add_f32_e32 v50, v50, v51
	v_mul_f32_e32 v51, v44, v49
	v_fmac_f32_e32 v51, v45, v48
	v_add_f32_e32 v58, v50, v51
	ds_read2_b64 v[50:53], v102 offset0:85 offset1:86
	v_add_f32_e32 v2, v2, v3
	v_mul_f32_e32 v3, v29, v33
	v_fma_f32 v3, v28, v32, -v3
	v_add_f32_e32 v2, v2, v3
	s_waitcnt vmcnt(11) lgkmcnt(0)
	v_mul_f32_e32 v59, v50, v55
	v_fmac_f32_e32 v59, v51, v54
	v_add_f32_e32 v58, v58, v59
	v_mul_f32_e32 v59, v52, v57
	v_fmac_f32_e32 v59, v53, v56
	v_add_f32_e32 v66, v58, v59
	ds_read2_b64 v[58:61], v102 offset0:87 offset1:88
	v_mul_f32_e32 v3, v35, v39
	v_fma_f32 v3, v34, v38, -v3
	v_add_f32_e32 v2, v2, v3
	v_mul_f32_e32 v3, v37, v41
	;; [unrolled: 36-line block ×5, first 2 shown]
	s_waitcnt vmcnt(1) lgkmcnt(0)
	v_mul_f32_e32 v140, v132, v137
	v_fmac_f32_e32 v140, v133, v136
	v_add_f32_e32 v149, v103, v140
	ds_read2_b64 v[140:143], v102 offset0:107 offset1:108
	scratch_load_dwordx4 v[162:165], off, off offset:408
	scratch_load_dwordx4 v[166:169], off, off offset:424
	;; [unrolled: 1-line block ×3, first 2 shown]
	scratch_load_dwordx2 v[178:179], off, off offset:456
	v_fma_f32 v3, v84, v88, -v3
	v_add_f32_e32 v2, v2, v3
	v_mul_f32_e32 v3, v91, v95
	v_fma_f32 v3, v90, v94, -v3
	v_add_f32_e32 v2, v2, v3
	v_mul_f32_e32 v3, v93, v97
	v_fma_f32 v3, v92, v96, -v3
	v_add_f32_e32 v2, v2, v3
	v_mul_f32_e32 v3, v99, v105
	v_fma_f32 v3, v98, v104, -v3
	v_add_f32_e32 v2, v2, v3
	v_mul_f32_e32 v3, v101, v107
	v_fma_f32 v3, v100, v106, -v3
	v_add_f32_e32 v2, v2, v3
	v_mul_f32_e32 v3, v109, v113
	v_fma_f32 v3, v108, v112, -v3
	v_add_f32_e32 v2, v2, v3
	v_mul_f32_e32 v3, v111, v115
	v_fma_f32 v3, v110, v114, -v3
	v_add_f32_e32 v2, v2, v3
	v_mul_f32_e32 v3, v117, v121
	v_fma_f32 v3, v116, v120, -v3
	v_add_f32_e32 v2, v2, v3
	v_mul_f32_e32 v3, v119, v123
	v_fma_f32 v3, v118, v122, -v3
	v_add_f32_e32 v2, v2, v3
	v_mul_f32_e32 v3, v125, v129
	v_fma_f32 v3, v124, v128, -v3
	v_add_f32_e32 v2, v2, v3
	v_mul_f32_e32 v3, v127, v131
	v_fma_f32 v3, v126, v130, -v3
	v_add_f32_e32 v2, v2, v3
	v_mul_f32_e32 v3, v133, v137
	v_fma_f32 v3, v132, v136, -v3
	v_add_f32_e32 v148, v2, v3
	v_mul_f32_e32 v2, v135, v139
	v_mul_f32_e32 v175, v134, v139
	v_fma_f32 v174, v134, v138, -v2
	s_waitcnt vmcnt(4) lgkmcnt(0)
	v_mul_f32_e32 v2, v141, v145
	v_mov_b32_e32 v18, v147
	v_fmac_f32_e32 v175, v135, v138
	v_mul_f32_e32 v177, v140, v145
	v_fma_f32 v176, v140, v144, -v2
	ds_read2_b64 v[2:5], v102 offset0:109 offset1:110
	ds_read2_b64 v[6:9], v102 offset0:111 offset1:112
	;; [unrolled: 1-line block ×3, first 2 shown]
	ds_read_b64 v[14:15], v102 offset:920
	v_pk_mul_f32 v[18:19], v[142:143], v[18:19] op_sel:[1,0] op_sel_hi:[0,0]
	v_fmac_f32_e32 v177, v141, v144
	v_pk_add_f32 v[16:17], v[148:149], v[174:175]
	v_pk_fma_f32 v[20:21], v[142:143], v[146:147], v[18:19] neg_lo:[0,0,1] neg_hi:[0,0,1]
	v_pk_fma_f32 v[18:19], v[142:143], v[146:147], v[18:19] op_sel_hi:[1,0,1]
	v_pk_add_f32 v[16:17], v[16:17], v[176:177]
	v_mov_b32_e32 v21, v19
	v_pk_add_f32 v[16:17], v[16:17], v[20:21]
	s_waitcnt vmcnt(3) lgkmcnt(3)
	v_pk_mul_f32 v[18:19], v[2:3], v[162:163] op_sel:[1,1] op_sel_hi:[0,1]
	v_pk_fma_f32 v[20:21], v[2:3], v[162:163], v[18:19] neg_lo:[0,0,1] neg_hi:[0,0,1]
	v_pk_fma_f32 v[2:3], v[2:3], v[162:163], v[18:19] op_sel_hi:[1,0,1]
	s_nop 0
	v_mov_b32_e32 v21, v3
	v_pk_add_f32 v[2:3], v[16:17], v[20:21]
	v_mov_b32_e32 v16, v165
	v_pk_mul_f32 v[16:17], v[4:5], v[16:17] op_sel:[1,0] op_sel_hi:[0,0]
	v_pk_fma_f32 v[18:19], v[4:5], v[164:165], v[16:17] neg_lo:[0,0,1] neg_hi:[0,0,1]
	v_pk_fma_f32 v[4:5], v[4:5], v[164:165], v[16:17] op_sel_hi:[1,0,1]
	s_nop 0
	v_mov_b32_e32 v19, v5
	s_waitcnt vmcnt(2) lgkmcnt(2)
	v_pk_mul_f32 v[4:5], v[6:7], v[166:167] op_sel:[1,1] op_sel_hi:[0,1]
	v_pk_fma_f32 v[16:17], v[6:7], v[166:167], v[4:5] neg_lo:[0,0,1] neg_hi:[0,0,1]
	v_pk_fma_f32 v[4:5], v[6:7], v[166:167], v[4:5] op_sel_hi:[1,0,1]
	v_pk_add_f32 v[2:3], v[2:3], v[18:19]
	v_mov_b32_e32 v4, v169
	v_mov_b32_e32 v17, v5
	v_pk_mul_f32 v[4:5], v[8:9], v[4:5] op_sel:[1,0] op_sel_hi:[0,0]
	v_pk_fma_f32 v[6:7], v[8:9], v[168:169], v[4:5] neg_lo:[0,0,1] neg_hi:[0,0,1]
	v_pk_fma_f32 v[4:5], v[8:9], v[168:169], v[4:5] op_sel_hi:[1,0,1]
	v_pk_add_f32 v[2:3], v[2:3], v[16:17]
	v_mov_b32_e32 v7, v5
	s_waitcnt vmcnt(1) lgkmcnt(1)
	v_pk_mul_f32 v[4:5], v[10:11], v[170:171] op_sel:[1,1] op_sel_hi:[0,1]
	v_pk_add_f32 v[2:3], v[2:3], v[6:7]
	v_pk_fma_f32 v[6:7], v[10:11], v[170:171], v[4:5] neg_lo:[0,0,1] neg_hi:[0,0,1]
	v_pk_fma_f32 v[4:5], v[10:11], v[170:171], v[4:5] op_sel_hi:[1,0,1]
	s_nop 0
	v_mov_b32_e32 v4, v173
	v_mov_b32_e32 v7, v5
	v_pk_mul_f32 v[4:5], v[12:13], v[4:5] op_sel:[1,0] op_sel_hi:[0,0]
	v_pk_add_f32 v[2:3], v[2:3], v[6:7]
	v_pk_fma_f32 v[6:7], v[12:13], v[172:173], v[4:5] neg_lo:[0,0,1] neg_hi:[0,0,1]
	v_pk_fma_f32 v[4:5], v[12:13], v[172:173], v[4:5] op_sel_hi:[1,0,1]
	s_nop 0
	v_mov_b32_e32 v7, v5
	s_waitcnt vmcnt(0) lgkmcnt(0)
	v_pk_mul_f32 v[4:5], v[14:15], v[178:179] op_sel:[1,1] op_sel_hi:[0,1]
	v_pk_add_f32 v[2:3], v[2:3], v[6:7]
	v_pk_fma_f32 v[6:7], v[14:15], v[178:179], v[4:5] neg_lo:[0,0,1] neg_hi:[0,0,1]
	v_pk_fma_f32 v[4:5], v[14:15], v[178:179], v[4:5] op_sel_hi:[1,0,1]
	s_nop 0
	v_mov_b32_e32 v7, v5
	scratch_load_dwordx2 v[4:5], off, off offset:112
	v_pk_add_f32 v[2:3], v[2:3], v[6:7]
	s_waitcnt vmcnt(0)
	v_pk_add_f32 v[2:3], v[4:5], v[2:3] neg_lo:[0,1] neg_hi:[0,1]
	scratch_store_dwordx2 off, v[2:3], off offset:112
	s_and_saveexec_b64 s[0:1], vcc
	s_cbranch_execz .LBB121_335
; %bb.334:
	scratch_load_dwordx2 v[2:3], off, off offset:104
	v_mov_b32_e32 v103, v102
	scratch_store_dwordx2 off, v[102:103], off offset:104
	s_waitcnt vmcnt(1)
	ds_write_b64 v1, v[2:3]
.LBB121_335:
	s_or_b64 exec, exec, s[0:1]
	s_waitcnt lgkmcnt(0)
	; wave barrier
	ds_read_b128 v[14:17], v102 offset:576
	ds_read_b128 v[10:13], v102 offset:592
	;; [unrolled: 1-line block ×4, first 2 shown]
	scratch_load_dwordx4 v[18:21], off, off offset:112
	scratch_load_dwordx4 v[38:41], off, off offset:176
	;; [unrolled: 1-line block ×12, first 2 shown]
	v_cmp_lt_u32_e32 vcc, 12, v0
	scratch_load_dwordx4 v[46:49], off, off offset:192
	scratch_load_dwordx4 v[54:57], off, off offset:208
	;; [unrolled: 1-line block ×3, first 2 shown]
	s_waitcnt vmcnt(14) lgkmcnt(3)
	v_mul_f32_e32 v22, v14, v19
	v_fmac_f32_e32 v22, v15, v18
	v_mul_f32_e32 v23, v16, v21
	v_add_f32_e32 v22, 0, v22
	v_fmac_f32_e32 v23, v17, v20
	v_add_f32_e32 v26, v22, v23
	scratch_load_dwordx4 v[22:25], off, off offset:128
	v_mul_f32_e32 v15, v15, v19
	v_fma_f32 v14, v14, v18, -v15
	v_mul_f32_e32 v15, v17, v21
	v_add_f32_e32 v14, 0, v14
	v_fma_f32 v15, v16, v20, -v15
	v_add_f32_e32 v14, v14, v15
	s_waitcnt vmcnt(0) lgkmcnt(2)
	v_mul_f32_e32 v27, v10, v23
	v_fmac_f32_e32 v27, v11, v22
	v_add_f32_e32 v26, v26, v27
	v_mul_f32_e32 v27, v12, v25
	v_fmac_f32_e32 v27, v13, v24
	v_add_f32_e32 v30, v26, v27
	scratch_load_dwordx4 v[26:29], off, off offset:144
	v_mul_f32_e32 v11, v11, v23
	v_fma_f32 v10, v10, v22, -v11
	v_mul_f32_e32 v11, v13, v25
	v_add_f32_e32 v10, v14, v10
	v_fma_f32 v11, v12, v24, -v11
	v_add_f32_e32 v10, v10, v11
	s_waitcnt vmcnt(0) lgkmcnt(1)
	v_mul_f32_e32 v31, v6, v27
	v_fmac_f32_e32 v31, v7, v26
	v_add_f32_e32 v30, v30, v31
	v_mul_f32_e32 v31, v8, v29
	;; [unrolled: 14-line block ×3, first 2 shown]
	v_fmac_f32_e32 v35, v5, v32
	v_add_f32_e32 v42, v34, v35
	ds_read_b128 v[34:37], v102 offset:640
	v_mul_f32_e32 v3, v3, v31
	v_fma_f32 v2, v2, v30, -v3
	v_mul_f32_e32 v3, v5, v33
	v_add_f32_e32 v2, v6, v2
	s_waitcnt lgkmcnt(0)
	v_mul_f32_e32 v43, v34, v39
	v_fmac_f32_e32 v43, v35, v38
	v_add_f32_e32 v42, v42, v43
	v_mul_f32_e32 v43, v36, v41
	v_fmac_f32_e32 v43, v37, v40
	v_add_f32_e32 v50, v42, v43
	ds_read_b128 v[42:45], v102 offset:656
	v_fma_f32 v3, v4, v32, -v3
	v_add_f32_e32 v2, v2, v3
	v_mul_f32_e32 v3, v35, v39
	v_fma_f32 v3, v34, v38, -v3
	s_waitcnt lgkmcnt(0)
	v_mul_f32_e32 v51, v42, v47
	v_fmac_f32_e32 v51, v43, v46
	v_add_f32_e32 v50, v50, v51
	v_mul_f32_e32 v51, v44, v49
	v_fmac_f32_e32 v51, v45, v48
	v_add_f32_e32 v58, v50, v51
	ds_read_b128 v[50:53], v102 offset:672
	v_add_f32_e32 v2, v2, v3
	v_mul_f32_e32 v3, v37, v41
	v_fma_f32 v3, v36, v40, -v3
	v_add_f32_e32 v2, v2, v3
	s_waitcnt lgkmcnt(0)
	v_mul_f32_e32 v59, v50, v55
	v_fmac_f32_e32 v59, v51, v54
	v_add_f32_e32 v58, v58, v59
	v_mul_f32_e32 v59, v52, v57
	v_fmac_f32_e32 v59, v53, v56
	v_add_f32_e32 v66, v58, v59
	ds_read_b128 v[58:61], v102 offset:688
	v_mul_f32_e32 v3, v43, v47
	v_fma_f32 v3, v42, v46, -v3
	v_add_f32_e32 v2, v2, v3
	v_mul_f32_e32 v3, v45, v49
	s_waitcnt lgkmcnt(0)
	v_mul_f32_e32 v67, v58, v63
	v_fmac_f32_e32 v67, v59, v62
	v_add_f32_e32 v66, v66, v67
	v_mul_f32_e32 v67, v60, v65
	v_fmac_f32_e32 v67, v61, v64
	v_add_f32_e32 v74, v66, v67
	ds_read_b128 v[66:69], v102 offset:704
	v_fma_f32 v3, v44, v48, -v3
	v_add_f32_e32 v2, v2, v3
	v_mul_f32_e32 v3, v51, v55
	v_fma_f32 v3, v50, v54, -v3
	s_waitcnt lgkmcnt(0)
	v_mul_f32_e32 v75, v66, v71
	v_fmac_f32_e32 v75, v67, v70
	v_add_f32_e32 v74, v74, v75
	v_mul_f32_e32 v75, v68, v73
	v_fmac_f32_e32 v75, v69, v72
	v_add_f32_e32 v82, v74, v75
	ds_read_b128 v[74:77], v102 offset:720
	v_add_f32_e32 v2, v2, v3
	v_mul_f32_e32 v3, v53, v57
	v_fma_f32 v3, v52, v56, -v3
	v_add_f32_e32 v2, v2, v3
	s_waitcnt lgkmcnt(0)
	v_mul_f32_e32 v83, v74, v79
	v_fmac_f32_e32 v83, v75, v78
	v_add_f32_e32 v82, v82, v83
	v_mul_f32_e32 v83, v76, v81
	v_fmac_f32_e32 v83, v77, v80
	v_add_f32_e32 v90, v82, v83
	ds_read_b128 v[82:85], v102 offset:736
	v_mul_f32_e32 v3, v59, v63
	v_fma_f32 v3, v58, v62, -v3
	v_add_f32_e32 v2, v2, v3
	v_mul_f32_e32 v3, v61, v65
	;; [unrolled: 36-line block ×4, first 2 shown]
	s_waitcnt lgkmcnt(0)
	v_mul_f32_e32 v140, v132, v137
	v_fmac_f32_e32 v140, v133, v136
	v_add_f32_e32 v103, v103, v140
	v_mul_f32_e32 v140, v134, v139
	v_fmac_f32_e32 v140, v135, v138
	v_add_f32_e32 v149, v103, v140
	ds_read_b128 v[140:143], v102 offset:848
	scratch_load_dwordx4 v[162:165], off, off offset:400
	scratch_load_dwordx4 v[166:169], off, off offset:416
	;; [unrolled: 1-line block ×4, first 2 shown]
	v_fma_f32 v3, v92, v96, -v3
	v_add_f32_e32 v2, v2, v3
	v_mul_f32_e32 v3, v99, v105
	v_fma_f32 v3, v98, v104, -v3
	v_add_f32_e32 v2, v2, v3
	v_mul_f32_e32 v3, v101, v107
	;; [unrolled: 3-line block ×10, first 2 shown]
	v_fma_f32 v3, v134, v138, -v3
	v_add_f32_e32 v148, v2, v3
	s_waitcnt lgkmcnt(0)
	v_mul_f32_e32 v2, v141, v145
	v_fma_f32 v178, v140, v144, -v2
	v_mul_f32_e32 v2, v143, v147
	v_fma_f32 v180, v142, v146, -v2
	ds_read_b128 v[2:5], v102 offset:864
	ds_read_b128 v[6:9], v102 offset:880
	;; [unrolled: 1-line block ×4, first 2 shown]
	v_mul_f32_e32 v179, v140, v145
	v_fmac_f32_e32 v179, v141, v144
	v_mul_f32_e32 v181, v142, v147
	v_fmac_f32_e32 v181, v143, v146
	v_pk_add_f32 v[18:19], v[148:149], v[178:179]
	s_waitcnt vmcnt(3) lgkmcnt(3)
	v_pk_mul_f32 v[20:21], v[2:3], v[162:163] op_sel:[1,1] op_sel_hi:[0,1]
	v_pk_fma_f32 v[22:23], v[2:3], v[162:163], v[20:21] neg_lo:[0,0,1] neg_hi:[0,0,1]
	v_pk_fma_f32 v[2:3], v[2:3], v[162:163], v[20:21] op_sel_hi:[1,0,1]
	v_pk_add_f32 v[18:19], v[18:19], v[180:181]
	v_mov_b32_e32 v23, v3
	v_pk_add_f32 v[2:3], v[18:19], v[22:23]
	v_mov_b32_e32 v18, v165
	v_pk_mul_f32 v[18:19], v[4:5], v[18:19] op_sel:[1,0] op_sel_hi:[0,0]
	v_pk_fma_f32 v[20:21], v[4:5], v[164:165], v[18:19] neg_lo:[0,0,1] neg_hi:[0,0,1]
	v_pk_fma_f32 v[4:5], v[4:5], v[164:165], v[18:19] op_sel_hi:[1,0,1]
	s_nop 0
	v_mov_b32_e32 v21, v5
	s_waitcnt vmcnt(2) lgkmcnt(2)
	v_pk_mul_f32 v[4:5], v[6:7], v[166:167] op_sel:[1,1] op_sel_hi:[0,1]
	v_pk_fma_f32 v[18:19], v[6:7], v[166:167], v[4:5] neg_lo:[0,0,1] neg_hi:[0,0,1]
	v_pk_fma_f32 v[4:5], v[6:7], v[166:167], v[4:5] op_sel_hi:[1,0,1]
	v_pk_add_f32 v[2:3], v[2:3], v[20:21]
	v_mov_b32_e32 v4, v169
	v_mov_b32_e32 v19, v5
	v_pk_mul_f32 v[4:5], v[8:9], v[4:5] op_sel:[1,0] op_sel_hi:[0,0]
	v_pk_fma_f32 v[6:7], v[8:9], v[168:169], v[4:5] neg_lo:[0,0,1] neg_hi:[0,0,1]
	v_pk_fma_f32 v[4:5], v[8:9], v[168:169], v[4:5] op_sel_hi:[1,0,1]
	v_pk_add_f32 v[2:3], v[2:3], v[18:19]
	v_mov_b32_e32 v7, v5
	s_waitcnt vmcnt(1) lgkmcnt(1)
	v_pk_mul_f32 v[4:5], v[10:11], v[170:171] op_sel:[1,1] op_sel_hi:[0,1]
	v_pk_add_f32 v[2:3], v[2:3], v[6:7]
	v_pk_fma_f32 v[6:7], v[10:11], v[170:171], v[4:5] neg_lo:[0,0,1] neg_hi:[0,0,1]
	v_pk_fma_f32 v[4:5], v[10:11], v[170:171], v[4:5] op_sel_hi:[1,0,1]
	s_nop 0
	v_mov_b32_e32 v4, v173
	v_mov_b32_e32 v7, v5
	v_pk_mul_f32 v[4:5], v[12:13], v[4:5] op_sel:[1,0] op_sel_hi:[0,0]
	v_pk_add_f32 v[2:3], v[2:3], v[6:7]
	v_pk_fma_f32 v[6:7], v[12:13], v[172:173], v[4:5] neg_lo:[0,0,1] neg_hi:[0,0,1]
	v_pk_fma_f32 v[4:5], v[12:13], v[172:173], v[4:5] op_sel_hi:[1,0,1]
	s_nop 0
	v_mov_b32_e32 v7, v5
	s_waitcnt vmcnt(0) lgkmcnt(0)
	v_pk_mul_f32 v[4:5], v[14:15], v[174:175] op_sel:[1,1] op_sel_hi:[0,1]
	v_pk_add_f32 v[2:3], v[2:3], v[6:7]
	v_pk_fma_f32 v[6:7], v[14:15], v[174:175], v[4:5] neg_lo:[0,0,1] neg_hi:[0,0,1]
	v_pk_fma_f32 v[4:5], v[14:15], v[174:175], v[4:5] op_sel_hi:[1,0,1]
	s_nop 0
	v_mov_b32_e32 v4, v177
	v_mov_b32_e32 v7, v5
	v_pk_mul_f32 v[4:5], v[16:17], v[4:5] op_sel:[1,0] op_sel_hi:[0,0]
	v_pk_add_f32 v[2:3], v[2:3], v[6:7]
	v_pk_fma_f32 v[6:7], v[16:17], v[176:177], v[4:5] neg_lo:[0,0,1] neg_hi:[0,0,1]
	v_pk_fma_f32 v[4:5], v[16:17], v[176:177], v[4:5] op_sel_hi:[1,0,1]
	s_nop 0
	v_mov_b32_e32 v7, v5
	scratch_load_dwordx2 v[4:5], off, off offset:104
	v_pk_add_f32 v[2:3], v[2:3], v[6:7]
	s_waitcnt vmcnt(0)
	v_pk_add_f32 v[2:3], v[4:5], v[2:3] neg_lo:[0,1] neg_hi:[0,1]
	scratch_store_dwordx2 off, v[2:3], off offset:104
	s_and_saveexec_b64 s[0:1], vcc
	s_cbranch_execz .LBB121_337
; %bb.336:
	scratch_load_dwordx2 v[2:3], off, off offset:96
	v_mov_b32_e32 v4, 0
	v_mov_b32_e32 v5, v4
	scratch_store_dwordx2 off, v[4:5], off offset:96
	s_waitcnt vmcnt(1)
	ds_write_b64 v1, v[2:3]
.LBB121_337:
	s_or_b64 exec, exec, s[0:1]
	s_waitcnt lgkmcnt(0)
	; wave barrier
	scratch_load_dwordx4 v[6:9], off, off offset:104
	scratch_load_dwordx4 v[14:17], off, off offset:120
	;; [unrolled: 1-line block ×10, first 2 shown]
	v_mov_b32_e32 v110, 0
	ds_read2_b64 v[2:5], v110 offset0:71 offset1:72
	ds_read2_b64 v[162:165], v110 offset0:107 offset1:108
	scratch_load_dwordx4 v[86:89], off, off offset:264
	scratch_load_dwordx4 v[94:97], off, off offset:280
	;; [unrolled: 1-line block ×9, first 2 shown]
	v_cmp_lt_u32_e32 vcc, 11, v0
	s_waitcnt vmcnt(18) lgkmcnt(1)
	v_mul_f32_e32 v10, v2, v7
	v_fmac_f32_e32 v10, v3, v6
	v_mul_f32_e32 v11, v4, v9
	v_add_f32_e32 v10, 0, v10
	v_fmac_f32_e32 v11, v5, v8
	v_add_f32_e32 v18, v10, v11
	ds_read2_b64 v[10:13], v110 offset0:73 offset1:74
	v_mul_f32_e32 v3, v3, v7
	v_fma_f32 v2, v2, v6, -v3
	v_mul_f32_e32 v3, v5, v9
	v_add_f32_e32 v2, 0, v2
	s_waitcnt vmcnt(17) lgkmcnt(0)
	v_mul_f32_e32 v19, v10, v15
	v_fmac_f32_e32 v19, v11, v14
	v_add_f32_e32 v18, v18, v19
	v_mul_f32_e32 v19, v12, v17
	v_fmac_f32_e32 v19, v13, v16
	v_add_f32_e32 v26, v18, v19
	ds_read2_b64 v[18:21], v110 offset0:75 offset1:76
	v_fma_f32 v3, v4, v8, -v3
	v_add_f32_e32 v2, v2, v3
	v_mul_f32_e32 v3, v11, v15
	v_fma_f32 v3, v10, v14, -v3
	s_waitcnt vmcnt(16) lgkmcnt(0)
	v_mul_f32_e32 v27, v18, v23
	v_fmac_f32_e32 v27, v19, v22
	v_add_f32_e32 v26, v26, v27
	v_mul_f32_e32 v27, v20, v25
	v_fmac_f32_e32 v27, v21, v24
	v_add_f32_e32 v34, v26, v27
	ds_read2_b64 v[26:29], v110 offset0:77 offset1:78
	v_add_f32_e32 v2, v2, v3
	v_mul_f32_e32 v3, v13, v17
	v_fma_f32 v3, v12, v16, -v3
	v_add_f32_e32 v2, v2, v3
	s_waitcnt vmcnt(15) lgkmcnt(0)
	v_mul_f32_e32 v35, v26, v31
	v_fmac_f32_e32 v35, v27, v30
	v_add_f32_e32 v34, v34, v35
	v_mul_f32_e32 v35, v28, v33
	v_fmac_f32_e32 v35, v29, v32
	v_add_f32_e32 v42, v34, v35
	ds_read2_b64 v[34:37], v110 offset0:79 offset1:80
	v_mul_f32_e32 v3, v19, v23
	v_fma_f32 v3, v18, v22, -v3
	v_add_f32_e32 v2, v2, v3
	v_mul_f32_e32 v3, v21, v25
	s_waitcnt vmcnt(14) lgkmcnt(0)
	v_mul_f32_e32 v43, v34, v39
	v_fmac_f32_e32 v43, v35, v38
	v_add_f32_e32 v42, v42, v43
	v_mul_f32_e32 v43, v36, v41
	v_fmac_f32_e32 v43, v37, v40
	v_add_f32_e32 v50, v42, v43
	ds_read2_b64 v[42:45], v110 offset0:81 offset1:82
	v_fma_f32 v3, v20, v24, -v3
	v_add_f32_e32 v2, v2, v3
	v_mul_f32_e32 v3, v27, v31
	v_fma_f32 v3, v26, v30, -v3
	s_waitcnt vmcnt(13) lgkmcnt(0)
	v_mul_f32_e32 v51, v42, v47
	v_fmac_f32_e32 v51, v43, v46
	v_add_f32_e32 v50, v50, v51
	v_mul_f32_e32 v51, v44, v49
	v_fmac_f32_e32 v51, v45, v48
	v_add_f32_e32 v58, v50, v51
	ds_read2_b64 v[50:53], v110 offset0:83 offset1:84
	v_add_f32_e32 v2, v2, v3
	v_mul_f32_e32 v3, v29, v33
	v_fma_f32 v3, v28, v32, -v3
	v_add_f32_e32 v2, v2, v3
	s_waitcnt vmcnt(12) lgkmcnt(0)
	v_mul_f32_e32 v59, v50, v55
	v_fmac_f32_e32 v59, v51, v54
	v_add_f32_e32 v58, v58, v59
	v_mul_f32_e32 v59, v52, v57
	v_fmac_f32_e32 v59, v53, v56
	v_add_f32_e32 v66, v58, v59
	ds_read2_b64 v[58:61], v110 offset0:85 offset1:86
	v_mul_f32_e32 v3, v35, v39
	v_fma_f32 v3, v34, v38, -v3
	v_add_f32_e32 v2, v2, v3
	v_mul_f32_e32 v3, v37, v41
	;; [unrolled: 36-line block ×5, first 2 shown]
	s_waitcnt vmcnt(2) lgkmcnt(0)
	v_mul_f32_e32 v140, v132, v137
	v_fmac_f32_e32 v140, v133, v136
	v_add_f32_e32 v111, v111, v140
	v_mul_f32_e32 v140, v134, v139
	v_fmac_f32_e32 v140, v135, v138
	v_add_f32_e32 v111, v111, v140
	ds_read2_b64 v[140:143], v110 offset0:105 offset1:106
	scratch_load_dwordx4 v[170:173], off, off offset:408
	scratch_load_dwordx4 v[174:177], off, off offset:424
	;; [unrolled: 1-line block ×3, first 2 shown]
	scratch_load_dwordx2 v[186:187], off, off offset:456
	v_fma_f32 v3, v84, v88, -v3
	v_add_f32_e32 v2, v2, v3
	v_mul_f32_e32 v3, v91, v95
	v_fma_f32 v3, v90, v94, -v3
	v_add_f32_e32 v2, v2, v3
	v_mul_f32_e32 v3, v93, v97
	;; [unrolled: 3-line block ×12, first 2 shown]
	v_fma_f32 v3, v134, v138, -v3
	s_waitcnt vmcnt(5) lgkmcnt(0)
	v_mul_f32_e32 v148, v140, v145
	v_add_f32_e32 v2, v2, v3
	v_mul_f32_e32 v3, v141, v145
	v_fmac_f32_e32 v148, v141, v144
	v_fma_f32 v3, v140, v144, -v3
	v_add_f32_e32 v149, v111, v148
	v_add_f32_e32 v148, v2, v3
	v_mul_f32_e32 v2, v143, v147
	v_mul_f32_e32 v183, v142, v147
	v_fma_f32 v182, v142, v146, -v2
	s_waitcnt vmcnt(4)
	v_mul_f32_e32 v2, v163, v167
	v_mov_b32_e32 v18, v169
	v_fmac_f32_e32 v183, v143, v146
	v_mul_f32_e32 v185, v162, v167
	v_fma_f32 v184, v162, v166, -v2
	ds_read2_b64 v[2:5], v110 offset0:109 offset1:110
	ds_read2_b64 v[6:9], v110 offset0:111 offset1:112
	;; [unrolled: 1-line block ×3, first 2 shown]
	ds_read_b64 v[14:15], v110 offset:920
	v_pk_mul_f32 v[18:19], v[164:165], v[18:19] op_sel:[1,0] op_sel_hi:[0,0]
	v_fmac_f32_e32 v185, v163, v166
	v_pk_add_f32 v[16:17], v[148:149], v[182:183]
	v_pk_fma_f32 v[20:21], v[164:165], v[168:169], v[18:19] neg_lo:[0,0,1] neg_hi:[0,0,1]
	v_pk_fma_f32 v[18:19], v[164:165], v[168:169], v[18:19] op_sel_hi:[1,0,1]
	v_pk_add_f32 v[16:17], v[16:17], v[184:185]
	v_mov_b32_e32 v21, v19
	v_pk_add_f32 v[16:17], v[16:17], v[20:21]
	s_waitcnt vmcnt(3) lgkmcnt(3)
	v_pk_mul_f32 v[18:19], v[2:3], v[170:171] op_sel:[1,1] op_sel_hi:[0,1]
	v_pk_fma_f32 v[20:21], v[2:3], v[170:171], v[18:19] neg_lo:[0,0,1] neg_hi:[0,0,1]
	v_pk_fma_f32 v[2:3], v[2:3], v[170:171], v[18:19] op_sel_hi:[1,0,1]
	s_nop 0
	v_mov_b32_e32 v21, v3
	v_pk_add_f32 v[2:3], v[16:17], v[20:21]
	v_mov_b32_e32 v16, v173
	v_pk_mul_f32 v[16:17], v[4:5], v[16:17] op_sel:[1,0] op_sel_hi:[0,0]
	v_pk_fma_f32 v[18:19], v[4:5], v[172:173], v[16:17] neg_lo:[0,0,1] neg_hi:[0,0,1]
	v_pk_fma_f32 v[4:5], v[4:5], v[172:173], v[16:17] op_sel_hi:[1,0,1]
	s_nop 0
	v_mov_b32_e32 v19, v5
	s_waitcnt vmcnt(2) lgkmcnt(2)
	v_pk_mul_f32 v[4:5], v[6:7], v[174:175] op_sel:[1,1] op_sel_hi:[0,1]
	v_pk_fma_f32 v[16:17], v[6:7], v[174:175], v[4:5] neg_lo:[0,0,1] neg_hi:[0,0,1]
	v_pk_fma_f32 v[4:5], v[6:7], v[174:175], v[4:5] op_sel_hi:[1,0,1]
	v_pk_add_f32 v[2:3], v[2:3], v[18:19]
	v_mov_b32_e32 v4, v177
	v_mov_b32_e32 v17, v5
	v_pk_mul_f32 v[4:5], v[8:9], v[4:5] op_sel:[1,0] op_sel_hi:[0,0]
	v_pk_fma_f32 v[6:7], v[8:9], v[176:177], v[4:5] neg_lo:[0,0,1] neg_hi:[0,0,1]
	v_pk_fma_f32 v[4:5], v[8:9], v[176:177], v[4:5] op_sel_hi:[1,0,1]
	v_pk_add_f32 v[2:3], v[2:3], v[16:17]
	v_mov_b32_e32 v7, v5
	s_waitcnt vmcnt(1) lgkmcnt(1)
	v_pk_mul_f32 v[4:5], v[10:11], v[178:179] op_sel:[1,1] op_sel_hi:[0,1]
	v_pk_add_f32 v[2:3], v[2:3], v[6:7]
	v_pk_fma_f32 v[6:7], v[10:11], v[178:179], v[4:5] neg_lo:[0,0,1] neg_hi:[0,0,1]
	v_pk_fma_f32 v[4:5], v[10:11], v[178:179], v[4:5] op_sel_hi:[1,0,1]
	s_nop 0
	v_mov_b32_e32 v4, v181
	v_mov_b32_e32 v7, v5
	v_pk_mul_f32 v[4:5], v[12:13], v[4:5] op_sel:[1,0] op_sel_hi:[0,0]
	v_pk_add_f32 v[2:3], v[2:3], v[6:7]
	v_pk_fma_f32 v[6:7], v[12:13], v[180:181], v[4:5] neg_lo:[0,0,1] neg_hi:[0,0,1]
	v_pk_fma_f32 v[4:5], v[12:13], v[180:181], v[4:5] op_sel_hi:[1,0,1]
	s_nop 0
	v_mov_b32_e32 v7, v5
	s_waitcnt vmcnt(0) lgkmcnt(0)
	v_pk_mul_f32 v[4:5], v[14:15], v[186:187] op_sel:[1,1] op_sel_hi:[0,1]
	v_pk_add_f32 v[2:3], v[2:3], v[6:7]
	v_pk_fma_f32 v[6:7], v[14:15], v[186:187], v[4:5] neg_lo:[0,0,1] neg_hi:[0,0,1]
	v_pk_fma_f32 v[4:5], v[14:15], v[186:187], v[4:5] op_sel_hi:[1,0,1]
	s_nop 0
	v_mov_b32_e32 v7, v5
	scratch_load_dwordx2 v[4:5], off, off offset:96
	v_pk_add_f32 v[2:3], v[2:3], v[6:7]
	s_waitcnt vmcnt(0)
	v_pk_add_f32 v[2:3], v[4:5], v[2:3] neg_lo:[0,1] neg_hi:[0,1]
	scratch_store_dwordx2 off, v[2:3], off offset:96
	s_and_saveexec_b64 s[0:1], vcc
	s_cbranch_execz .LBB121_339
; %bb.338:
	scratch_load_dwordx2 v[2:3], off, off offset:88
	v_mov_b32_e32 v111, v110
	scratch_store_dwordx2 off, v[110:111], off offset:88
	s_waitcnt vmcnt(1)
	ds_write_b64 v1, v[2:3]
.LBB121_339:
	s_or_b64 exec, exec, s[0:1]
	s_waitcnt lgkmcnt(0)
	; wave barrier
	ds_read_b128 v[14:17], v110 offset:560
	ds_read_b128 v[10:13], v110 offset:576
	;; [unrolled: 1-line block ×4, first 2 shown]
	scratch_load_dwordx4 v[18:21], off, off offset:96
	scratch_load_dwordx4 v[38:41], off, off offset:160
	;; [unrolled: 1-line block ×13, first 2 shown]
	v_cmp_lt_u32_e32 vcc, 10, v0
	scratch_load_dwordx4 v[46:49], off, off offset:176
	scratch_load_dwordx4 v[54:57], off, off offset:192
	;; [unrolled: 1-line block ×3, first 2 shown]
	ds_read_b128 v[162:165], v110 offset:848
	s_waitcnt vmcnt(15) lgkmcnt(4)
	v_mul_f32_e32 v22, v14, v19
	v_fmac_f32_e32 v22, v15, v18
	v_mul_f32_e32 v23, v16, v21
	v_add_f32_e32 v22, 0, v22
	v_fmac_f32_e32 v23, v17, v20
	v_add_f32_e32 v26, v22, v23
	scratch_load_dwordx4 v[22:25], off, off offset:112
	v_mul_f32_e32 v15, v15, v19
	v_fma_f32 v14, v14, v18, -v15
	v_mul_f32_e32 v15, v17, v21
	v_add_f32_e32 v14, 0, v14
	v_fma_f32 v15, v16, v20, -v15
	v_add_f32_e32 v14, v14, v15
	s_waitcnt vmcnt(4) lgkmcnt(0)
	v_mul_f32_e32 v187, v162, v167
	v_mul_f32_e32 v189, v164, v169
	v_fmac_f32_e32 v187, v163, v166
	v_fmac_f32_e32 v189, v165, v168
	s_waitcnt vmcnt(0)
	v_mul_f32_e32 v27, v10, v23
	v_fmac_f32_e32 v27, v11, v22
	v_add_f32_e32 v26, v26, v27
	v_mul_f32_e32 v27, v12, v25
	v_fmac_f32_e32 v27, v13, v24
	v_add_f32_e32 v30, v26, v27
	scratch_load_dwordx4 v[26:29], off, off offset:128
	v_mul_f32_e32 v11, v11, v23
	v_fma_f32 v10, v10, v22, -v11
	v_mul_f32_e32 v11, v13, v25
	v_add_f32_e32 v10, v14, v10
	v_fma_f32 v11, v12, v24, -v11
	v_add_f32_e32 v10, v10, v11
	s_waitcnt vmcnt(0)
	v_mul_f32_e32 v31, v6, v27
	v_fmac_f32_e32 v31, v7, v26
	v_add_f32_e32 v30, v30, v31
	v_mul_f32_e32 v31, v8, v29
	v_fmac_f32_e32 v31, v9, v28
	v_add_f32_e32 v34, v30, v31
	scratch_load_dwordx4 v[30:33], off, off offset:144
	v_mul_f32_e32 v7, v7, v27
	v_fma_f32 v6, v6, v26, -v7
	v_mul_f32_e32 v7, v9, v29
	v_add_f32_e32 v6, v10, v6
	v_fma_f32 v7, v8, v28, -v7
	v_add_f32_e32 v6, v6, v7
	s_waitcnt vmcnt(0)
	v_mul_f32_e32 v35, v2, v31
	v_fmac_f32_e32 v35, v3, v30
	v_add_f32_e32 v34, v34, v35
	v_mul_f32_e32 v35, v4, v33
	v_fmac_f32_e32 v35, v5, v32
	v_add_f32_e32 v42, v34, v35
	ds_read_b128 v[34:37], v110 offset:624
	v_mul_f32_e32 v3, v3, v31
	v_fma_f32 v2, v2, v30, -v3
	v_mul_f32_e32 v3, v5, v33
	v_add_f32_e32 v2, v6, v2
	s_waitcnt lgkmcnt(0)
	v_mul_f32_e32 v43, v34, v39
	v_fmac_f32_e32 v43, v35, v38
	v_add_f32_e32 v42, v42, v43
	v_mul_f32_e32 v43, v36, v41
	v_fmac_f32_e32 v43, v37, v40
	v_add_f32_e32 v50, v42, v43
	ds_read_b128 v[42:45], v110 offset:640
	v_fma_f32 v3, v4, v32, -v3
	v_add_f32_e32 v2, v2, v3
	v_mul_f32_e32 v3, v35, v39
	v_fma_f32 v3, v34, v38, -v3
	s_waitcnt lgkmcnt(0)
	v_mul_f32_e32 v51, v42, v47
	v_fmac_f32_e32 v51, v43, v46
	v_add_f32_e32 v50, v50, v51
	v_mul_f32_e32 v51, v44, v49
	v_fmac_f32_e32 v51, v45, v48
	v_add_f32_e32 v58, v50, v51
	ds_read_b128 v[50:53], v110 offset:656
	v_add_f32_e32 v2, v2, v3
	v_mul_f32_e32 v3, v37, v41
	v_fma_f32 v3, v36, v40, -v3
	v_add_f32_e32 v2, v2, v3
	s_waitcnt lgkmcnt(0)
	v_mul_f32_e32 v59, v50, v55
	v_fmac_f32_e32 v59, v51, v54
	v_add_f32_e32 v58, v58, v59
	v_mul_f32_e32 v59, v52, v57
	v_fmac_f32_e32 v59, v53, v56
	v_add_f32_e32 v66, v58, v59
	ds_read_b128 v[58:61], v110 offset:672
	v_mul_f32_e32 v3, v43, v47
	v_fma_f32 v3, v42, v46, -v3
	v_add_f32_e32 v2, v2, v3
	v_mul_f32_e32 v3, v45, v49
	s_waitcnt lgkmcnt(0)
	v_mul_f32_e32 v67, v58, v63
	v_fmac_f32_e32 v67, v59, v62
	v_add_f32_e32 v66, v66, v67
	v_mul_f32_e32 v67, v60, v65
	v_fmac_f32_e32 v67, v61, v64
	v_add_f32_e32 v74, v66, v67
	ds_read_b128 v[66:69], v110 offset:688
	v_fma_f32 v3, v44, v48, -v3
	v_add_f32_e32 v2, v2, v3
	v_mul_f32_e32 v3, v51, v55
	v_fma_f32 v3, v50, v54, -v3
	s_waitcnt lgkmcnt(0)
	v_mul_f32_e32 v75, v66, v71
	v_fmac_f32_e32 v75, v67, v70
	v_add_f32_e32 v74, v74, v75
	v_mul_f32_e32 v75, v68, v73
	v_fmac_f32_e32 v75, v69, v72
	v_add_f32_e32 v82, v74, v75
	ds_read_b128 v[74:77], v110 offset:704
	v_add_f32_e32 v2, v2, v3
	v_mul_f32_e32 v3, v53, v57
	v_fma_f32 v3, v52, v56, -v3
	v_add_f32_e32 v2, v2, v3
	s_waitcnt lgkmcnt(0)
	v_mul_f32_e32 v83, v74, v79
	v_fmac_f32_e32 v83, v75, v78
	v_add_f32_e32 v82, v82, v83
	v_mul_f32_e32 v83, v76, v81
	v_fmac_f32_e32 v83, v77, v80
	v_add_f32_e32 v90, v82, v83
	ds_read_b128 v[82:85], v110 offset:720
	v_mul_f32_e32 v3, v59, v63
	v_fma_f32 v3, v58, v62, -v3
	v_add_f32_e32 v2, v2, v3
	v_mul_f32_e32 v3, v61, v65
	;; [unrolled: 36-line block ×4, first 2 shown]
	s_waitcnt lgkmcnt(0)
	v_mul_f32_e32 v140, v132, v137
	v_fmac_f32_e32 v140, v133, v136
	v_add_f32_e32 v111, v111, v140
	v_mul_f32_e32 v140, v134, v139
	v_fmac_f32_e32 v140, v135, v138
	v_add_f32_e32 v111, v111, v140
	ds_read_b128 v[140:143], v110 offset:832
	scratch_load_dwordx4 v[170:173], off, off offset:400
	scratch_load_dwordx4 v[174:177], off, off offset:416
	;; [unrolled: 1-line block ×4, first 2 shown]
	v_fma_f32 v3, v92, v96, -v3
	v_add_f32_e32 v2, v2, v3
	v_mul_f32_e32 v3, v99, v103
	v_fma_f32 v3, v98, v102, -v3
	v_add_f32_e32 v2, v2, v3
	v_mul_f32_e32 v3, v101, v105
	v_fma_f32 v3, v100, v104, -v3
	v_add_f32_e32 v2, v2, v3
	v_mul_f32_e32 v3, v107, v113
	v_fma_f32 v3, v106, v112, -v3
	v_add_f32_e32 v2, v2, v3
	v_mul_f32_e32 v3, v109, v115
	v_fma_f32 v3, v108, v114, -v3
	v_add_f32_e32 v2, v2, v3
	v_mul_f32_e32 v3, v117, v121
	v_fma_f32 v3, v116, v120, -v3
	v_add_f32_e32 v2, v2, v3
	v_mul_f32_e32 v3, v119, v123
	v_fma_f32 v3, v118, v122, -v3
	v_add_f32_e32 v2, v2, v3
	v_mul_f32_e32 v3, v125, v129
	v_fma_f32 v3, v124, v128, -v3
	v_add_f32_e32 v2, v2, v3
	v_mul_f32_e32 v3, v127, v131
	v_fma_f32 v3, v126, v130, -v3
	v_add_f32_e32 v2, v2, v3
	v_mul_f32_e32 v3, v133, v137
	v_fma_f32 v3, v132, v136, -v3
	v_add_f32_e32 v2, v2, v3
	v_mul_f32_e32 v3, v135, v139
	v_fma_f32 v3, v134, v138, -v3
	s_waitcnt lgkmcnt(0)
	v_mul_f32_e32 v148, v140, v145
	v_add_f32_e32 v2, v2, v3
	v_mul_f32_e32 v3, v141, v145
	v_fmac_f32_e32 v148, v141, v144
	v_fma_f32 v3, v140, v144, -v3
	v_add_f32_e32 v111, v111, v148
	v_mul_f32_e32 v148, v142, v147
	v_add_f32_e32 v2, v2, v3
	v_mul_f32_e32 v3, v143, v147
	v_fmac_f32_e32 v148, v143, v146
	v_fma_f32 v3, v142, v146, -v3
	v_add_f32_e32 v149, v111, v148
	v_add_f32_e32 v148, v2, v3
	v_mul_f32_e32 v2, v163, v167
	v_fma_f32 v186, v162, v166, -v2
	v_mul_f32_e32 v2, v165, v169
	v_fma_f32 v188, v164, v168, -v2
	ds_read_b128 v[2:5], v110 offset:864
	ds_read_b128 v[6:9], v110 offset:880
	;; [unrolled: 1-line block ×4, first 2 shown]
	v_pk_add_f32 v[18:19], v[148:149], v[186:187]
	s_waitcnt vmcnt(3) lgkmcnt(3)
	v_pk_mul_f32 v[20:21], v[2:3], v[170:171] op_sel:[1,1] op_sel_hi:[0,1]
	v_pk_fma_f32 v[22:23], v[2:3], v[170:171], v[20:21] neg_lo:[0,0,1] neg_hi:[0,0,1]
	v_pk_fma_f32 v[2:3], v[2:3], v[170:171], v[20:21] op_sel_hi:[1,0,1]
	v_pk_add_f32 v[18:19], v[18:19], v[188:189]
	v_mov_b32_e32 v23, v3
	v_pk_add_f32 v[2:3], v[18:19], v[22:23]
	v_mov_b32_e32 v18, v173
	v_pk_mul_f32 v[18:19], v[4:5], v[18:19] op_sel:[1,0] op_sel_hi:[0,0]
	v_pk_fma_f32 v[20:21], v[4:5], v[172:173], v[18:19] neg_lo:[0,0,1] neg_hi:[0,0,1]
	v_pk_fma_f32 v[4:5], v[4:5], v[172:173], v[18:19] op_sel_hi:[1,0,1]
	s_nop 0
	v_mov_b32_e32 v21, v5
	s_waitcnt vmcnt(2) lgkmcnt(2)
	v_pk_mul_f32 v[4:5], v[6:7], v[174:175] op_sel:[1,1] op_sel_hi:[0,1]
	v_pk_fma_f32 v[18:19], v[6:7], v[174:175], v[4:5] neg_lo:[0,0,1] neg_hi:[0,0,1]
	v_pk_fma_f32 v[4:5], v[6:7], v[174:175], v[4:5] op_sel_hi:[1,0,1]
	v_pk_add_f32 v[2:3], v[2:3], v[20:21]
	v_mov_b32_e32 v4, v177
	v_mov_b32_e32 v19, v5
	v_pk_mul_f32 v[4:5], v[8:9], v[4:5] op_sel:[1,0] op_sel_hi:[0,0]
	v_pk_fma_f32 v[6:7], v[8:9], v[176:177], v[4:5] neg_lo:[0,0,1] neg_hi:[0,0,1]
	v_pk_fma_f32 v[4:5], v[8:9], v[176:177], v[4:5] op_sel_hi:[1,0,1]
	v_pk_add_f32 v[2:3], v[2:3], v[18:19]
	v_mov_b32_e32 v7, v5
	s_waitcnt vmcnt(1) lgkmcnt(1)
	v_pk_mul_f32 v[4:5], v[10:11], v[178:179] op_sel:[1,1] op_sel_hi:[0,1]
	v_pk_add_f32 v[2:3], v[2:3], v[6:7]
	v_pk_fma_f32 v[6:7], v[10:11], v[178:179], v[4:5] neg_lo:[0,0,1] neg_hi:[0,0,1]
	v_pk_fma_f32 v[4:5], v[10:11], v[178:179], v[4:5] op_sel_hi:[1,0,1]
	s_nop 0
	v_mov_b32_e32 v4, v181
	v_mov_b32_e32 v7, v5
	v_pk_mul_f32 v[4:5], v[12:13], v[4:5] op_sel:[1,0] op_sel_hi:[0,0]
	v_pk_add_f32 v[2:3], v[2:3], v[6:7]
	v_pk_fma_f32 v[6:7], v[12:13], v[180:181], v[4:5] neg_lo:[0,0,1] neg_hi:[0,0,1]
	v_pk_fma_f32 v[4:5], v[12:13], v[180:181], v[4:5] op_sel_hi:[1,0,1]
	s_nop 0
	v_mov_b32_e32 v7, v5
	s_waitcnt vmcnt(0) lgkmcnt(0)
	v_pk_mul_f32 v[4:5], v[14:15], v[182:183] op_sel:[1,1] op_sel_hi:[0,1]
	v_pk_add_f32 v[2:3], v[2:3], v[6:7]
	v_pk_fma_f32 v[6:7], v[14:15], v[182:183], v[4:5] neg_lo:[0,0,1] neg_hi:[0,0,1]
	v_pk_fma_f32 v[4:5], v[14:15], v[182:183], v[4:5] op_sel_hi:[1,0,1]
	s_nop 0
	v_mov_b32_e32 v4, v185
	v_mov_b32_e32 v7, v5
	v_pk_mul_f32 v[4:5], v[16:17], v[4:5] op_sel:[1,0] op_sel_hi:[0,0]
	v_pk_add_f32 v[2:3], v[2:3], v[6:7]
	v_pk_fma_f32 v[6:7], v[16:17], v[184:185], v[4:5] neg_lo:[0,0,1] neg_hi:[0,0,1]
	v_pk_fma_f32 v[4:5], v[16:17], v[184:185], v[4:5] op_sel_hi:[1,0,1]
	s_nop 0
	v_mov_b32_e32 v7, v5
	scratch_load_dwordx2 v[4:5], off, off offset:88
	v_pk_add_f32 v[2:3], v[2:3], v[6:7]
	s_waitcnt vmcnt(0)
	v_pk_add_f32 v[2:3], v[4:5], v[2:3] neg_lo:[0,1] neg_hi:[0,1]
	scratch_store_dwordx2 off, v[2:3], off offset:88
	s_and_saveexec_b64 s[0:1], vcc
	s_cbranch_execz .LBB121_341
; %bb.340:
	scratch_load_dwordx2 v[2:3], off, off offset:80
	v_mov_b32_e32 v4, 0
	v_mov_b32_e32 v5, v4
	scratch_store_dwordx2 off, v[4:5], off offset:80
	s_waitcnt vmcnt(1)
	ds_write_b64 v1, v[2:3]
.LBB121_341:
	s_or_b64 exec, exec, s[0:1]
	s_waitcnt lgkmcnt(0)
	; wave barrier
	scratch_load_dwordx4 v[6:9], off, off offset:88
	scratch_load_dwordx4 v[14:17], off, off offset:104
	;; [unrolled: 1-line block ×10, first 2 shown]
	v_mov_b32_e32 v118, 0
	ds_read2_b64 v[2:5], v118 offset0:69 offset1:70
	ds_read2_b64 v[162:165], v118 offset0:105 offset1:106
	scratch_load_dwordx4 v[86:89], off, off offset:248
	scratch_load_dwordx4 v[94:97], off, off offset:264
	;; [unrolled: 1-line block ×10, first 2 shown]
	v_cmp_lt_u32_e32 vcc, 9, v0
	ds_read2_b64 v[170:173], v118 offset0:107 offset1:108
	s_waitcnt vmcnt(19) lgkmcnt(2)
	v_mul_f32_e32 v10, v2, v7
	v_fmac_f32_e32 v10, v3, v6
	v_mul_f32_e32 v11, v4, v9
	v_add_f32_e32 v10, 0, v10
	v_fmac_f32_e32 v11, v5, v8
	v_add_f32_e32 v18, v10, v11
	ds_read2_b64 v[10:13], v118 offset0:71 offset1:72
	v_mul_f32_e32 v3, v3, v7
	v_fma_f32 v2, v2, v6, -v3
	v_mul_f32_e32 v3, v5, v9
	v_add_f32_e32 v2, 0, v2
	s_waitcnt vmcnt(18) lgkmcnt(0)
	v_mul_f32_e32 v19, v10, v15
	v_fmac_f32_e32 v19, v11, v14
	v_add_f32_e32 v18, v18, v19
	v_mul_f32_e32 v19, v12, v17
	v_fmac_f32_e32 v19, v13, v16
	v_add_f32_e32 v26, v18, v19
	ds_read2_b64 v[18:21], v118 offset0:73 offset1:74
	v_fma_f32 v3, v4, v8, -v3
	v_add_f32_e32 v2, v2, v3
	v_mul_f32_e32 v3, v11, v15
	v_fma_f32 v3, v10, v14, -v3
	s_waitcnt vmcnt(17) lgkmcnt(0)
	v_mul_f32_e32 v27, v18, v23
	v_fmac_f32_e32 v27, v19, v22
	v_add_f32_e32 v26, v26, v27
	v_mul_f32_e32 v27, v20, v25
	v_fmac_f32_e32 v27, v21, v24
	v_add_f32_e32 v34, v26, v27
	ds_read2_b64 v[26:29], v118 offset0:75 offset1:76
	v_add_f32_e32 v2, v2, v3
	v_mul_f32_e32 v3, v13, v17
	v_fma_f32 v3, v12, v16, -v3
	v_add_f32_e32 v2, v2, v3
	s_waitcnt vmcnt(16) lgkmcnt(0)
	v_mul_f32_e32 v35, v26, v31
	v_fmac_f32_e32 v35, v27, v30
	v_add_f32_e32 v34, v34, v35
	v_mul_f32_e32 v35, v28, v33
	v_fmac_f32_e32 v35, v29, v32
	v_add_f32_e32 v42, v34, v35
	ds_read2_b64 v[34:37], v118 offset0:77 offset1:78
	v_mul_f32_e32 v3, v19, v23
	v_fma_f32 v3, v18, v22, -v3
	v_add_f32_e32 v2, v2, v3
	v_mul_f32_e32 v3, v21, v25
	s_waitcnt vmcnt(15) lgkmcnt(0)
	v_mul_f32_e32 v43, v34, v39
	v_fmac_f32_e32 v43, v35, v38
	v_add_f32_e32 v42, v42, v43
	v_mul_f32_e32 v43, v36, v41
	v_fmac_f32_e32 v43, v37, v40
	v_add_f32_e32 v50, v42, v43
	ds_read2_b64 v[42:45], v118 offset0:79 offset1:80
	v_fma_f32 v3, v20, v24, -v3
	v_add_f32_e32 v2, v2, v3
	v_mul_f32_e32 v3, v27, v31
	v_fma_f32 v3, v26, v30, -v3
	s_waitcnt vmcnt(14) lgkmcnt(0)
	v_mul_f32_e32 v51, v42, v47
	v_fmac_f32_e32 v51, v43, v46
	v_add_f32_e32 v50, v50, v51
	v_mul_f32_e32 v51, v44, v49
	v_fmac_f32_e32 v51, v45, v48
	v_add_f32_e32 v58, v50, v51
	ds_read2_b64 v[50:53], v118 offset0:81 offset1:82
	v_add_f32_e32 v2, v2, v3
	v_mul_f32_e32 v3, v29, v33
	v_fma_f32 v3, v28, v32, -v3
	v_add_f32_e32 v2, v2, v3
	s_waitcnt vmcnt(13) lgkmcnt(0)
	v_mul_f32_e32 v59, v50, v55
	v_fmac_f32_e32 v59, v51, v54
	v_add_f32_e32 v58, v58, v59
	v_mul_f32_e32 v59, v52, v57
	v_fmac_f32_e32 v59, v53, v56
	v_add_f32_e32 v66, v58, v59
	ds_read2_b64 v[58:61], v118 offset0:83 offset1:84
	v_mul_f32_e32 v3, v35, v39
	v_fma_f32 v3, v34, v38, -v3
	v_add_f32_e32 v2, v2, v3
	v_mul_f32_e32 v3, v37, v41
	;; [unrolled: 36-line block ×5, first 2 shown]
	s_waitcnt vmcnt(3) lgkmcnt(0)
	v_mul_f32_e32 v140, v132, v137
	v_fmac_f32_e32 v140, v133, v136
	v_add_f32_e32 v119, v119, v140
	v_mul_f32_e32 v140, v134, v139
	v_fmac_f32_e32 v140, v135, v138
	v_add_f32_e32 v119, v119, v140
	ds_read2_b64 v[140:143], v118 offset0:103 offset1:104
	scratch_load_dwordx4 v[178:181], off, off offset:408
	scratch_load_dwordx4 v[182:185], off, off offset:424
	;; [unrolled: 1-line block ×3, first 2 shown]
	scratch_load_dwordx2 v[194:195], off, off offset:456
	v_fma_f32 v3, v84, v88, -v3
	v_add_f32_e32 v2, v2, v3
	v_mul_f32_e32 v3, v91, v95
	v_fma_f32 v3, v90, v94, -v3
	v_add_f32_e32 v2, v2, v3
	v_mul_f32_e32 v3, v93, v97
	;; [unrolled: 3-line block ×12, first 2 shown]
	v_fma_f32 v3, v134, v138, -v3
	s_waitcnt vmcnt(6) lgkmcnt(0)
	v_mul_f32_e32 v148, v140, v145
	v_add_f32_e32 v2, v2, v3
	v_mul_f32_e32 v3, v141, v145
	v_fmac_f32_e32 v148, v141, v144
	v_fma_f32 v3, v140, v144, -v3
	v_add_f32_e32 v119, v119, v148
	v_mul_f32_e32 v148, v142, v147
	v_add_f32_e32 v2, v2, v3
	v_mul_f32_e32 v3, v143, v147
	v_fmac_f32_e32 v148, v143, v146
	v_fma_f32 v3, v142, v146, -v3
	v_add_f32_e32 v119, v119, v148
	s_waitcnt vmcnt(5)
	v_mul_f32_e32 v148, v162, v167
	v_add_f32_e32 v2, v2, v3
	v_mul_f32_e32 v3, v163, v167
	v_fmac_f32_e32 v148, v163, v166
	v_fma_f32 v3, v162, v166, -v3
	v_add_f32_e32 v149, v119, v148
	v_add_f32_e32 v148, v2, v3
	v_mul_f32_e32 v2, v165, v169
	v_mul_f32_e32 v191, v164, v169
	v_fma_f32 v190, v164, v168, -v2
	s_waitcnt vmcnt(4)
	v_mul_f32_e32 v2, v171, v175
	v_mov_b32_e32 v18, v177
	v_fmac_f32_e32 v191, v165, v168
	v_mul_f32_e32 v193, v170, v175
	v_fma_f32 v192, v170, v174, -v2
	ds_read2_b64 v[2:5], v118 offset0:109 offset1:110
	ds_read2_b64 v[6:9], v118 offset0:111 offset1:112
	;; [unrolled: 1-line block ×3, first 2 shown]
	ds_read_b64 v[14:15], v118 offset:920
	v_pk_mul_f32 v[18:19], v[172:173], v[18:19] op_sel:[1,0] op_sel_hi:[0,0]
	v_fmac_f32_e32 v193, v171, v174
	v_pk_add_f32 v[16:17], v[148:149], v[190:191]
	v_pk_fma_f32 v[20:21], v[172:173], v[176:177], v[18:19] neg_lo:[0,0,1] neg_hi:[0,0,1]
	v_pk_fma_f32 v[18:19], v[172:173], v[176:177], v[18:19] op_sel_hi:[1,0,1]
	v_pk_add_f32 v[16:17], v[16:17], v[192:193]
	v_mov_b32_e32 v21, v19
	v_pk_add_f32 v[16:17], v[16:17], v[20:21]
	s_waitcnt vmcnt(3) lgkmcnt(3)
	v_pk_mul_f32 v[18:19], v[2:3], v[178:179] op_sel:[1,1] op_sel_hi:[0,1]
	v_pk_fma_f32 v[20:21], v[2:3], v[178:179], v[18:19] neg_lo:[0,0,1] neg_hi:[0,0,1]
	v_pk_fma_f32 v[2:3], v[2:3], v[178:179], v[18:19] op_sel_hi:[1,0,1]
	s_nop 0
	v_mov_b32_e32 v21, v3
	v_pk_add_f32 v[2:3], v[16:17], v[20:21]
	v_mov_b32_e32 v16, v181
	v_pk_mul_f32 v[16:17], v[4:5], v[16:17] op_sel:[1,0] op_sel_hi:[0,0]
	v_pk_fma_f32 v[18:19], v[4:5], v[180:181], v[16:17] neg_lo:[0,0,1] neg_hi:[0,0,1]
	v_pk_fma_f32 v[4:5], v[4:5], v[180:181], v[16:17] op_sel_hi:[1,0,1]
	s_nop 0
	v_mov_b32_e32 v19, v5
	s_waitcnt vmcnt(2) lgkmcnt(2)
	v_pk_mul_f32 v[4:5], v[6:7], v[182:183] op_sel:[1,1] op_sel_hi:[0,1]
	v_pk_fma_f32 v[16:17], v[6:7], v[182:183], v[4:5] neg_lo:[0,0,1] neg_hi:[0,0,1]
	v_pk_fma_f32 v[4:5], v[6:7], v[182:183], v[4:5] op_sel_hi:[1,0,1]
	v_pk_add_f32 v[2:3], v[2:3], v[18:19]
	v_mov_b32_e32 v4, v185
	v_mov_b32_e32 v17, v5
	v_pk_mul_f32 v[4:5], v[8:9], v[4:5] op_sel:[1,0] op_sel_hi:[0,0]
	v_pk_fma_f32 v[6:7], v[8:9], v[184:185], v[4:5] neg_lo:[0,0,1] neg_hi:[0,0,1]
	v_pk_fma_f32 v[4:5], v[8:9], v[184:185], v[4:5] op_sel_hi:[1,0,1]
	v_pk_add_f32 v[2:3], v[2:3], v[16:17]
	v_mov_b32_e32 v7, v5
	s_waitcnt vmcnt(1) lgkmcnt(1)
	v_pk_mul_f32 v[4:5], v[10:11], v[186:187] op_sel:[1,1] op_sel_hi:[0,1]
	v_pk_add_f32 v[2:3], v[2:3], v[6:7]
	v_pk_fma_f32 v[6:7], v[10:11], v[186:187], v[4:5] neg_lo:[0,0,1] neg_hi:[0,0,1]
	v_pk_fma_f32 v[4:5], v[10:11], v[186:187], v[4:5] op_sel_hi:[1,0,1]
	s_nop 0
	v_mov_b32_e32 v4, v189
	v_mov_b32_e32 v7, v5
	v_pk_mul_f32 v[4:5], v[12:13], v[4:5] op_sel:[1,0] op_sel_hi:[0,0]
	v_pk_add_f32 v[2:3], v[2:3], v[6:7]
	v_pk_fma_f32 v[6:7], v[12:13], v[188:189], v[4:5] neg_lo:[0,0,1] neg_hi:[0,0,1]
	v_pk_fma_f32 v[4:5], v[12:13], v[188:189], v[4:5] op_sel_hi:[1,0,1]
	s_nop 0
	v_mov_b32_e32 v7, v5
	s_waitcnt vmcnt(0) lgkmcnt(0)
	v_pk_mul_f32 v[4:5], v[14:15], v[194:195] op_sel:[1,1] op_sel_hi:[0,1]
	v_pk_add_f32 v[2:3], v[2:3], v[6:7]
	v_pk_fma_f32 v[6:7], v[14:15], v[194:195], v[4:5] neg_lo:[0,0,1] neg_hi:[0,0,1]
	v_pk_fma_f32 v[4:5], v[14:15], v[194:195], v[4:5] op_sel_hi:[1,0,1]
	s_nop 0
	v_mov_b32_e32 v7, v5
	scratch_load_dwordx2 v[4:5], off, off offset:80
	v_pk_add_f32 v[2:3], v[2:3], v[6:7]
	s_waitcnt vmcnt(0)
	v_pk_add_f32 v[2:3], v[4:5], v[2:3] neg_lo:[0,1] neg_hi:[0,1]
	scratch_store_dwordx2 off, v[2:3], off offset:80
	s_and_saveexec_b64 s[0:1], vcc
	s_cbranch_execz .LBB121_343
; %bb.342:
	scratch_load_dwordx2 v[2:3], off, off offset:72
	v_mov_b32_e32 v119, v118
	scratch_store_dwordx2 off, v[118:119], off offset:72
	s_waitcnt vmcnt(1)
	ds_write_b64 v1, v[2:3]
.LBB121_343:
	s_or_b64 exec, exec, s[0:1]
	s_waitcnt lgkmcnt(0)
	; wave barrier
	ds_read_b128 v[14:17], v118 offset:544
	ds_read_b128 v[10:13], v118 offset:560
	;; [unrolled: 1-line block ×4, first 2 shown]
	scratch_load_dwordx4 v[18:21], off, off offset:80
	scratch_load_dwordx4 v[38:41], off, off offset:144
	;; [unrolled: 1-line block ×14, first 2 shown]
	v_cmp_lt_u32_e32 vcc, 8, v0
	scratch_load_dwordx4 v[46:49], off, off offset:160
	scratch_load_dwordx4 v[54:57], off, off offset:176
	;; [unrolled: 1-line block ×3, first 2 shown]
	ds_read_b128 v[162:165], v118 offset:832
	ds_read_b128 v[170:173], v118 offset:848
	s_waitcnt vmcnt(16) lgkmcnt(5)
	v_mul_f32_e32 v22, v14, v19
	v_fmac_f32_e32 v22, v15, v18
	v_mul_f32_e32 v23, v16, v21
	v_add_f32_e32 v22, 0, v22
	v_fmac_f32_e32 v23, v17, v20
	v_add_f32_e32 v26, v22, v23
	scratch_load_dwordx4 v[22:25], off, off offset:96
	v_mul_f32_e32 v15, v15, v19
	v_fma_f32 v14, v14, v18, -v15
	v_mul_f32_e32 v15, v17, v21
	v_add_f32_e32 v14, 0, v14
	v_fma_f32 v15, v16, v20, -v15
	v_add_f32_e32 v14, v14, v15
	s_waitcnt vmcnt(4) lgkmcnt(0)
	v_mul_f32_e32 v195, v170, v175
	v_mul_f32_e32 v197, v172, v177
	v_fmac_f32_e32 v195, v171, v174
	v_fmac_f32_e32 v197, v173, v176
	s_waitcnt vmcnt(0)
	v_mul_f32_e32 v27, v10, v23
	v_fmac_f32_e32 v27, v11, v22
	v_add_f32_e32 v26, v26, v27
	v_mul_f32_e32 v27, v12, v25
	v_fmac_f32_e32 v27, v13, v24
	v_add_f32_e32 v30, v26, v27
	scratch_load_dwordx4 v[26:29], off, off offset:112
	v_mul_f32_e32 v11, v11, v23
	v_fma_f32 v10, v10, v22, -v11
	v_mul_f32_e32 v11, v13, v25
	v_add_f32_e32 v10, v14, v10
	v_fma_f32 v11, v12, v24, -v11
	v_add_f32_e32 v10, v10, v11
	s_waitcnt vmcnt(0)
	v_mul_f32_e32 v31, v6, v27
	v_fmac_f32_e32 v31, v7, v26
	v_add_f32_e32 v30, v30, v31
	v_mul_f32_e32 v31, v8, v29
	v_fmac_f32_e32 v31, v9, v28
	v_add_f32_e32 v34, v30, v31
	scratch_load_dwordx4 v[30:33], off, off offset:128
	v_mul_f32_e32 v7, v7, v27
	v_fma_f32 v6, v6, v26, -v7
	v_mul_f32_e32 v7, v9, v29
	v_add_f32_e32 v6, v10, v6
	v_fma_f32 v7, v8, v28, -v7
	v_add_f32_e32 v6, v6, v7
	s_waitcnt vmcnt(0)
	v_mul_f32_e32 v35, v2, v31
	v_fmac_f32_e32 v35, v3, v30
	v_add_f32_e32 v34, v34, v35
	v_mul_f32_e32 v35, v4, v33
	v_fmac_f32_e32 v35, v5, v32
	v_add_f32_e32 v42, v34, v35
	ds_read_b128 v[34:37], v118 offset:608
	v_mul_f32_e32 v3, v3, v31
	v_fma_f32 v2, v2, v30, -v3
	v_mul_f32_e32 v3, v5, v33
	v_add_f32_e32 v2, v6, v2
	s_waitcnt lgkmcnt(0)
	v_mul_f32_e32 v43, v34, v39
	v_fmac_f32_e32 v43, v35, v38
	v_add_f32_e32 v42, v42, v43
	v_mul_f32_e32 v43, v36, v41
	v_fmac_f32_e32 v43, v37, v40
	v_add_f32_e32 v50, v42, v43
	ds_read_b128 v[42:45], v118 offset:624
	v_fma_f32 v3, v4, v32, -v3
	v_add_f32_e32 v2, v2, v3
	v_mul_f32_e32 v3, v35, v39
	v_fma_f32 v3, v34, v38, -v3
	s_waitcnt lgkmcnt(0)
	v_mul_f32_e32 v51, v42, v47
	v_fmac_f32_e32 v51, v43, v46
	v_add_f32_e32 v50, v50, v51
	v_mul_f32_e32 v51, v44, v49
	v_fmac_f32_e32 v51, v45, v48
	v_add_f32_e32 v58, v50, v51
	ds_read_b128 v[50:53], v118 offset:640
	v_add_f32_e32 v2, v2, v3
	v_mul_f32_e32 v3, v37, v41
	v_fma_f32 v3, v36, v40, -v3
	v_add_f32_e32 v2, v2, v3
	s_waitcnt lgkmcnt(0)
	v_mul_f32_e32 v59, v50, v55
	v_fmac_f32_e32 v59, v51, v54
	v_add_f32_e32 v58, v58, v59
	v_mul_f32_e32 v59, v52, v57
	v_fmac_f32_e32 v59, v53, v56
	v_add_f32_e32 v66, v58, v59
	ds_read_b128 v[58:61], v118 offset:656
	v_mul_f32_e32 v3, v43, v47
	v_fma_f32 v3, v42, v46, -v3
	v_add_f32_e32 v2, v2, v3
	v_mul_f32_e32 v3, v45, v49
	s_waitcnt lgkmcnt(0)
	v_mul_f32_e32 v67, v58, v63
	v_fmac_f32_e32 v67, v59, v62
	v_add_f32_e32 v66, v66, v67
	v_mul_f32_e32 v67, v60, v65
	v_fmac_f32_e32 v67, v61, v64
	v_add_f32_e32 v74, v66, v67
	ds_read_b128 v[66:69], v118 offset:672
	v_fma_f32 v3, v44, v48, -v3
	v_add_f32_e32 v2, v2, v3
	v_mul_f32_e32 v3, v51, v55
	v_fma_f32 v3, v50, v54, -v3
	s_waitcnt lgkmcnt(0)
	v_mul_f32_e32 v75, v66, v71
	v_fmac_f32_e32 v75, v67, v70
	v_add_f32_e32 v74, v74, v75
	v_mul_f32_e32 v75, v68, v73
	v_fmac_f32_e32 v75, v69, v72
	v_add_f32_e32 v82, v74, v75
	ds_read_b128 v[74:77], v118 offset:688
	v_add_f32_e32 v2, v2, v3
	v_mul_f32_e32 v3, v53, v57
	v_fma_f32 v3, v52, v56, -v3
	v_add_f32_e32 v2, v2, v3
	s_waitcnt lgkmcnt(0)
	v_mul_f32_e32 v83, v74, v79
	v_fmac_f32_e32 v83, v75, v78
	v_add_f32_e32 v82, v82, v83
	v_mul_f32_e32 v83, v76, v81
	v_fmac_f32_e32 v83, v77, v80
	v_add_f32_e32 v90, v82, v83
	ds_read_b128 v[82:85], v118 offset:704
	v_mul_f32_e32 v3, v59, v63
	v_fma_f32 v3, v58, v62, -v3
	v_add_f32_e32 v2, v2, v3
	v_mul_f32_e32 v3, v61, v65
	;; [unrolled: 36-line block ×4, first 2 shown]
	s_waitcnt lgkmcnt(0)
	v_mul_f32_e32 v140, v132, v137
	v_fmac_f32_e32 v140, v133, v136
	v_add_f32_e32 v119, v119, v140
	v_mul_f32_e32 v140, v134, v139
	v_fmac_f32_e32 v140, v135, v138
	v_add_f32_e32 v119, v119, v140
	ds_read_b128 v[140:143], v118 offset:816
	scratch_load_dwordx4 v[178:181], off, off offset:400
	scratch_load_dwordx4 v[182:185], off, off offset:416
	;; [unrolled: 1-line block ×4, first 2 shown]
	v_fma_f32 v3, v92, v96, -v3
	v_add_f32_e32 v2, v2, v3
	v_mul_f32_e32 v3, v99, v103
	v_fma_f32 v3, v98, v102, -v3
	v_add_f32_e32 v2, v2, v3
	v_mul_f32_e32 v3, v101, v105
	;; [unrolled: 3-line block ×10, first 2 shown]
	v_fma_f32 v3, v134, v138, -v3
	s_waitcnt lgkmcnt(0)
	v_mul_f32_e32 v148, v140, v145
	v_add_f32_e32 v2, v2, v3
	v_mul_f32_e32 v3, v141, v145
	v_fmac_f32_e32 v148, v141, v144
	v_fma_f32 v3, v140, v144, -v3
	v_add_f32_e32 v119, v119, v148
	v_mul_f32_e32 v148, v142, v147
	v_add_f32_e32 v2, v2, v3
	v_mul_f32_e32 v3, v143, v147
	v_fmac_f32_e32 v148, v143, v146
	v_fma_f32 v3, v142, v146, -v3
	v_add_f32_e32 v119, v119, v148
	;; [unrolled: 6-line block ×4, first 2 shown]
	v_add_f32_e32 v148, v2, v3
	v_mul_f32_e32 v2, v171, v175
	v_fma_f32 v194, v170, v174, -v2
	v_mul_f32_e32 v2, v173, v177
	v_fma_f32 v196, v172, v176, -v2
	ds_read_b128 v[2:5], v118 offset:864
	ds_read_b128 v[6:9], v118 offset:880
	;; [unrolled: 1-line block ×4, first 2 shown]
	v_pk_add_f32 v[18:19], v[148:149], v[194:195]
	s_waitcnt vmcnt(3) lgkmcnt(3)
	v_pk_mul_f32 v[20:21], v[2:3], v[178:179] op_sel:[1,1] op_sel_hi:[0,1]
	v_pk_fma_f32 v[22:23], v[2:3], v[178:179], v[20:21] neg_lo:[0,0,1] neg_hi:[0,0,1]
	v_pk_fma_f32 v[2:3], v[2:3], v[178:179], v[20:21] op_sel_hi:[1,0,1]
	v_pk_add_f32 v[18:19], v[18:19], v[196:197]
	v_mov_b32_e32 v23, v3
	v_pk_add_f32 v[2:3], v[18:19], v[22:23]
	v_mov_b32_e32 v18, v181
	v_pk_mul_f32 v[18:19], v[4:5], v[18:19] op_sel:[1,0] op_sel_hi:[0,0]
	v_pk_fma_f32 v[20:21], v[4:5], v[180:181], v[18:19] neg_lo:[0,0,1] neg_hi:[0,0,1]
	v_pk_fma_f32 v[4:5], v[4:5], v[180:181], v[18:19] op_sel_hi:[1,0,1]
	s_nop 0
	v_mov_b32_e32 v21, v5
	s_waitcnt vmcnt(2) lgkmcnt(2)
	v_pk_mul_f32 v[4:5], v[6:7], v[182:183] op_sel:[1,1] op_sel_hi:[0,1]
	v_pk_fma_f32 v[18:19], v[6:7], v[182:183], v[4:5] neg_lo:[0,0,1] neg_hi:[0,0,1]
	v_pk_fma_f32 v[4:5], v[6:7], v[182:183], v[4:5] op_sel_hi:[1,0,1]
	v_pk_add_f32 v[2:3], v[2:3], v[20:21]
	v_mov_b32_e32 v4, v185
	v_mov_b32_e32 v19, v5
	v_pk_mul_f32 v[4:5], v[8:9], v[4:5] op_sel:[1,0] op_sel_hi:[0,0]
	v_pk_fma_f32 v[6:7], v[8:9], v[184:185], v[4:5] neg_lo:[0,0,1] neg_hi:[0,0,1]
	v_pk_fma_f32 v[4:5], v[8:9], v[184:185], v[4:5] op_sel_hi:[1,0,1]
	v_pk_add_f32 v[2:3], v[2:3], v[18:19]
	v_mov_b32_e32 v7, v5
	s_waitcnt vmcnt(1) lgkmcnt(1)
	v_pk_mul_f32 v[4:5], v[10:11], v[186:187] op_sel:[1,1] op_sel_hi:[0,1]
	v_pk_add_f32 v[2:3], v[2:3], v[6:7]
	v_pk_fma_f32 v[6:7], v[10:11], v[186:187], v[4:5] neg_lo:[0,0,1] neg_hi:[0,0,1]
	v_pk_fma_f32 v[4:5], v[10:11], v[186:187], v[4:5] op_sel_hi:[1,0,1]
	s_nop 0
	v_mov_b32_e32 v4, v189
	v_mov_b32_e32 v7, v5
	v_pk_mul_f32 v[4:5], v[12:13], v[4:5] op_sel:[1,0] op_sel_hi:[0,0]
	v_pk_add_f32 v[2:3], v[2:3], v[6:7]
	v_pk_fma_f32 v[6:7], v[12:13], v[188:189], v[4:5] neg_lo:[0,0,1] neg_hi:[0,0,1]
	v_pk_fma_f32 v[4:5], v[12:13], v[188:189], v[4:5] op_sel_hi:[1,0,1]
	s_nop 0
	v_mov_b32_e32 v7, v5
	s_waitcnt vmcnt(0) lgkmcnt(0)
	v_pk_mul_f32 v[4:5], v[14:15], v[190:191] op_sel:[1,1] op_sel_hi:[0,1]
	v_pk_add_f32 v[2:3], v[2:3], v[6:7]
	v_pk_fma_f32 v[6:7], v[14:15], v[190:191], v[4:5] neg_lo:[0,0,1] neg_hi:[0,0,1]
	v_pk_fma_f32 v[4:5], v[14:15], v[190:191], v[4:5] op_sel_hi:[1,0,1]
	s_nop 0
	v_mov_b32_e32 v4, v193
	v_mov_b32_e32 v7, v5
	v_pk_mul_f32 v[4:5], v[16:17], v[4:5] op_sel:[1,0] op_sel_hi:[0,0]
	v_pk_add_f32 v[2:3], v[2:3], v[6:7]
	v_pk_fma_f32 v[6:7], v[16:17], v[192:193], v[4:5] neg_lo:[0,0,1] neg_hi:[0,0,1]
	v_pk_fma_f32 v[4:5], v[16:17], v[192:193], v[4:5] op_sel_hi:[1,0,1]
	s_nop 0
	v_mov_b32_e32 v7, v5
	scratch_load_dwordx2 v[4:5], off, off offset:72
	v_pk_add_f32 v[2:3], v[2:3], v[6:7]
	s_waitcnt vmcnt(0)
	v_pk_add_f32 v[2:3], v[4:5], v[2:3] neg_lo:[0,1] neg_hi:[0,1]
	scratch_store_dwordx2 off, v[2:3], off offset:72
	s_and_saveexec_b64 s[0:1], vcc
	s_cbranch_execz .LBB121_345
; %bb.344:
	scratch_load_dwordx2 v[2:3], off, off offset:64
	v_mov_b32_e32 v4, 0
	v_mov_b32_e32 v5, v4
	scratch_store_dwordx2 off, v[4:5], off offset:64
	s_waitcnt vmcnt(1)
	ds_write_b64 v1, v[2:3]
.LBB121_345:
	s_or_b64 exec, exec, s[0:1]
	s_waitcnt lgkmcnt(0)
	; wave barrier
	scratch_load_dwordx4 v[6:9], off, off offset:72
	scratch_load_dwordx4 v[14:17], off, off offset:88
	scratch_load_dwordx4 v[22:25], off, off offset:104
	scratch_load_dwordx4 v[30:33], off, off offset:120
	scratch_load_dwordx4 v[38:41], off, off offset:136
	scratch_load_dwordx4 v[46:49], off, off offset:152
	scratch_load_dwordx4 v[54:57], off, off offset:168
	scratch_load_dwordx4 v[62:65], off, off offset:184
	scratch_load_dwordx4 v[70:73], off, off offset:200
	scratch_load_dwordx4 v[78:81], off, off offset:216
	v_mov_b32_e32 v134, 0
	ds_read2_b64 v[2:5], v134 offset0:67 offset1:68
	ds_read2_b64 v[162:165], v134 offset0:103 offset1:104
	scratch_load_dwordx4 v[86:89], off, off offset:232
	scratch_load_dwordx4 v[94:97], off, off offset:248
	;; [unrolled: 1-line block ×11, first 2 shown]
	v_cmp_lt_u32_e32 vcc, 7, v0
	ds_read2_b64 v[170:173], v134 offset0:105 offset1:106
	ds_read2_b64 v[178:181], v134 offset0:107 offset1:108
	s_waitcnt vmcnt(20) lgkmcnt(3)
	v_mul_f32_e32 v10, v2, v7
	v_fmac_f32_e32 v10, v3, v6
	v_mul_f32_e32 v11, v4, v9
	v_add_f32_e32 v10, 0, v10
	v_fmac_f32_e32 v11, v5, v8
	v_add_f32_e32 v18, v10, v11
	ds_read2_b64 v[10:13], v134 offset0:69 offset1:70
	v_mul_f32_e32 v3, v3, v7
	v_fma_f32 v2, v2, v6, -v3
	v_mul_f32_e32 v3, v5, v9
	v_add_f32_e32 v2, 0, v2
	s_waitcnt vmcnt(19) lgkmcnt(0)
	v_mul_f32_e32 v19, v10, v15
	v_fmac_f32_e32 v19, v11, v14
	v_add_f32_e32 v18, v18, v19
	v_mul_f32_e32 v19, v12, v17
	v_fmac_f32_e32 v19, v13, v16
	v_add_f32_e32 v26, v18, v19
	ds_read2_b64 v[18:21], v134 offset0:71 offset1:72
	v_fma_f32 v3, v4, v8, -v3
	v_add_f32_e32 v2, v2, v3
	v_mul_f32_e32 v3, v11, v15
	v_fma_f32 v3, v10, v14, -v3
	s_waitcnt vmcnt(18) lgkmcnt(0)
	v_mul_f32_e32 v27, v18, v23
	v_fmac_f32_e32 v27, v19, v22
	v_add_f32_e32 v26, v26, v27
	v_mul_f32_e32 v27, v20, v25
	v_fmac_f32_e32 v27, v21, v24
	v_add_f32_e32 v34, v26, v27
	ds_read2_b64 v[26:29], v134 offset0:73 offset1:74
	v_add_f32_e32 v2, v2, v3
	v_mul_f32_e32 v3, v13, v17
	v_fma_f32 v3, v12, v16, -v3
	v_add_f32_e32 v2, v2, v3
	s_waitcnt vmcnt(17) lgkmcnt(0)
	v_mul_f32_e32 v35, v26, v31
	v_fmac_f32_e32 v35, v27, v30
	v_add_f32_e32 v34, v34, v35
	v_mul_f32_e32 v35, v28, v33
	v_fmac_f32_e32 v35, v29, v32
	v_add_f32_e32 v42, v34, v35
	ds_read2_b64 v[34:37], v134 offset0:75 offset1:76
	v_mul_f32_e32 v3, v19, v23
	v_fma_f32 v3, v18, v22, -v3
	v_add_f32_e32 v2, v2, v3
	v_mul_f32_e32 v3, v21, v25
	s_waitcnt vmcnt(16) lgkmcnt(0)
	v_mul_f32_e32 v43, v34, v39
	v_fmac_f32_e32 v43, v35, v38
	v_add_f32_e32 v42, v42, v43
	v_mul_f32_e32 v43, v36, v41
	v_fmac_f32_e32 v43, v37, v40
	v_add_f32_e32 v50, v42, v43
	ds_read2_b64 v[42:45], v134 offset0:77 offset1:78
	v_fma_f32 v3, v20, v24, -v3
	v_add_f32_e32 v2, v2, v3
	v_mul_f32_e32 v3, v27, v31
	v_fma_f32 v3, v26, v30, -v3
	s_waitcnt vmcnt(15) lgkmcnt(0)
	v_mul_f32_e32 v51, v42, v47
	v_fmac_f32_e32 v51, v43, v46
	v_add_f32_e32 v50, v50, v51
	v_mul_f32_e32 v51, v44, v49
	v_fmac_f32_e32 v51, v45, v48
	v_add_f32_e32 v58, v50, v51
	ds_read2_b64 v[50:53], v134 offset0:79 offset1:80
	v_add_f32_e32 v2, v2, v3
	v_mul_f32_e32 v3, v29, v33
	v_fma_f32 v3, v28, v32, -v3
	v_add_f32_e32 v2, v2, v3
	s_waitcnt vmcnt(14) lgkmcnt(0)
	v_mul_f32_e32 v59, v50, v55
	v_fmac_f32_e32 v59, v51, v54
	v_add_f32_e32 v58, v58, v59
	v_mul_f32_e32 v59, v52, v57
	v_fmac_f32_e32 v59, v53, v56
	v_add_f32_e32 v66, v58, v59
	ds_read2_b64 v[58:61], v134 offset0:81 offset1:82
	v_mul_f32_e32 v3, v35, v39
	v_fma_f32 v3, v34, v38, -v3
	v_add_f32_e32 v2, v2, v3
	v_mul_f32_e32 v3, v37, v41
	;; [unrolled: 36-line block ×5, first 2 shown]
	s_waitcnt vmcnt(4) lgkmcnt(0)
	v_mul_f32_e32 v140, v130, v137
	v_fmac_f32_e32 v140, v131, v136
	v_add_f32_e32 v135, v135, v140
	v_mul_f32_e32 v140, v132, v139
	v_fmac_f32_e32 v140, v133, v138
	v_add_f32_e32 v135, v135, v140
	ds_read2_b64 v[140:143], v134 offset0:101 offset1:102
	scratch_load_dwordx4 v[186:189], off, off offset:408
	scratch_load_dwordx4 v[190:193], off, off offset:424
	;; [unrolled: 1-line block ×3, first 2 shown]
	scratch_load_dwordx2 v[202:203], off, off offset:456
	v_fma_f32 v3, v84, v88, -v3
	v_add_f32_e32 v2, v2, v3
	v_mul_f32_e32 v3, v91, v95
	v_fma_f32 v3, v90, v94, -v3
	v_add_f32_e32 v2, v2, v3
	v_mul_f32_e32 v3, v93, v97
	;; [unrolled: 3-line block ×12, first 2 shown]
	v_fma_f32 v3, v132, v138, -v3
	s_waitcnt vmcnt(7) lgkmcnt(0)
	v_mul_f32_e32 v148, v140, v145
	v_add_f32_e32 v2, v2, v3
	v_mul_f32_e32 v3, v141, v145
	v_fmac_f32_e32 v148, v141, v144
	v_fma_f32 v3, v140, v144, -v3
	v_add_f32_e32 v135, v135, v148
	v_mul_f32_e32 v148, v142, v147
	v_add_f32_e32 v2, v2, v3
	v_mul_f32_e32 v3, v143, v147
	v_fmac_f32_e32 v148, v143, v146
	v_fma_f32 v3, v142, v146, -v3
	v_add_f32_e32 v135, v135, v148
	s_waitcnt vmcnt(6)
	v_mul_f32_e32 v148, v162, v167
	v_add_f32_e32 v2, v2, v3
	v_mul_f32_e32 v3, v163, v167
	v_fmac_f32_e32 v148, v163, v166
	v_fma_f32 v3, v162, v166, -v3
	v_add_f32_e32 v135, v135, v148
	v_mul_f32_e32 v148, v164, v169
	v_add_f32_e32 v2, v2, v3
	v_mul_f32_e32 v3, v165, v169
	v_fmac_f32_e32 v148, v165, v168
	v_fma_f32 v3, v164, v168, -v3
	v_add_f32_e32 v135, v135, v148
	s_waitcnt vmcnt(5)
	v_mul_f32_e32 v148, v170, v175
	v_add_f32_e32 v2, v2, v3
	v_mul_f32_e32 v3, v171, v175
	v_fmac_f32_e32 v148, v171, v174
	v_fma_f32 v3, v170, v174, -v3
	v_add_f32_e32 v149, v135, v148
	v_add_f32_e32 v148, v2, v3
	v_mul_f32_e32 v2, v173, v177
	v_mul_f32_e32 v199, v172, v177
	v_fma_f32 v198, v172, v176, -v2
	s_waitcnt vmcnt(4)
	v_mul_f32_e32 v2, v179, v183
	v_mov_b32_e32 v18, v185
	v_fmac_f32_e32 v199, v173, v176
	v_mul_f32_e32 v201, v178, v183
	v_fma_f32 v200, v178, v182, -v2
	ds_read2_b64 v[2:5], v134 offset0:109 offset1:110
	ds_read2_b64 v[6:9], v134 offset0:111 offset1:112
	;; [unrolled: 1-line block ×3, first 2 shown]
	ds_read_b64 v[14:15], v134 offset:920
	v_pk_mul_f32 v[18:19], v[180:181], v[18:19] op_sel:[1,0] op_sel_hi:[0,0]
	v_fmac_f32_e32 v201, v179, v182
	v_pk_add_f32 v[16:17], v[148:149], v[198:199]
	v_pk_fma_f32 v[20:21], v[180:181], v[184:185], v[18:19] neg_lo:[0,0,1] neg_hi:[0,0,1]
	v_pk_fma_f32 v[18:19], v[180:181], v[184:185], v[18:19] op_sel_hi:[1,0,1]
	v_pk_add_f32 v[16:17], v[16:17], v[200:201]
	v_mov_b32_e32 v21, v19
	s_waitcnt vmcnt(3) lgkmcnt(3)
	v_pk_mul_f32 v[18:19], v[2:3], v[186:187] op_sel:[1,1] op_sel_hi:[0,1]
	v_pk_add_f32 v[16:17], v[16:17], v[20:21]
	v_pk_fma_f32 v[20:21], v[2:3], v[186:187], v[18:19] neg_lo:[0,0,1] neg_hi:[0,0,1]
	v_pk_fma_f32 v[2:3], v[2:3], v[186:187], v[18:19] op_sel_hi:[1,0,1]
	s_nop 0
	v_mov_b32_e32 v21, v3
	v_pk_add_f32 v[2:3], v[16:17], v[20:21]
	v_mov_b32_e32 v16, v189
	v_pk_mul_f32 v[16:17], v[4:5], v[16:17] op_sel:[1,0] op_sel_hi:[0,0]
	v_pk_fma_f32 v[18:19], v[4:5], v[188:189], v[16:17] neg_lo:[0,0,1] neg_hi:[0,0,1]
	v_pk_fma_f32 v[4:5], v[4:5], v[188:189], v[16:17] op_sel_hi:[1,0,1]
	s_nop 0
	v_mov_b32_e32 v19, v5
	s_waitcnt vmcnt(2) lgkmcnt(2)
	v_pk_mul_f32 v[4:5], v[6:7], v[190:191] op_sel:[1,1] op_sel_hi:[0,1]
	v_pk_fma_f32 v[16:17], v[6:7], v[190:191], v[4:5] neg_lo:[0,0,1] neg_hi:[0,0,1]
	v_pk_fma_f32 v[4:5], v[6:7], v[190:191], v[4:5] op_sel_hi:[1,0,1]
	v_pk_add_f32 v[2:3], v[2:3], v[18:19]
	v_mov_b32_e32 v4, v193
	v_mov_b32_e32 v17, v5
	v_pk_mul_f32 v[4:5], v[8:9], v[4:5] op_sel:[1,0] op_sel_hi:[0,0]
	v_pk_fma_f32 v[6:7], v[8:9], v[192:193], v[4:5] neg_lo:[0,0,1] neg_hi:[0,0,1]
	v_pk_fma_f32 v[4:5], v[8:9], v[192:193], v[4:5] op_sel_hi:[1,0,1]
	v_pk_add_f32 v[2:3], v[2:3], v[16:17]
	v_mov_b32_e32 v7, v5
	s_waitcnt vmcnt(1) lgkmcnt(1)
	v_pk_mul_f32 v[4:5], v[10:11], v[194:195] op_sel:[1,1] op_sel_hi:[0,1]
	v_pk_add_f32 v[2:3], v[2:3], v[6:7]
	v_pk_fma_f32 v[6:7], v[10:11], v[194:195], v[4:5] neg_lo:[0,0,1] neg_hi:[0,0,1]
	v_pk_fma_f32 v[4:5], v[10:11], v[194:195], v[4:5] op_sel_hi:[1,0,1]
	s_nop 0
	v_mov_b32_e32 v4, v197
	v_mov_b32_e32 v7, v5
	v_pk_mul_f32 v[4:5], v[12:13], v[4:5] op_sel:[1,0] op_sel_hi:[0,0]
	v_pk_add_f32 v[2:3], v[2:3], v[6:7]
	v_pk_fma_f32 v[6:7], v[12:13], v[196:197], v[4:5] neg_lo:[0,0,1] neg_hi:[0,0,1]
	v_pk_fma_f32 v[4:5], v[12:13], v[196:197], v[4:5] op_sel_hi:[1,0,1]
	s_nop 0
	v_mov_b32_e32 v7, v5
	s_waitcnt vmcnt(0) lgkmcnt(0)
	v_pk_mul_f32 v[4:5], v[14:15], v[202:203] op_sel:[1,1] op_sel_hi:[0,1]
	v_pk_add_f32 v[2:3], v[2:3], v[6:7]
	v_pk_fma_f32 v[6:7], v[14:15], v[202:203], v[4:5] neg_lo:[0,0,1] neg_hi:[0,0,1]
	v_pk_fma_f32 v[4:5], v[14:15], v[202:203], v[4:5] op_sel_hi:[1,0,1]
	s_nop 0
	v_mov_b32_e32 v7, v5
	scratch_load_dwordx2 v[4:5], off, off offset:64
	v_pk_add_f32 v[2:3], v[2:3], v[6:7]
	s_waitcnt vmcnt(0)
	v_pk_add_f32 v[2:3], v[4:5], v[2:3] neg_lo:[0,1] neg_hi:[0,1]
	scratch_store_dwordx2 off, v[2:3], off offset:64
	s_and_saveexec_b64 s[0:1], vcc
	s_cbranch_execz .LBB121_347
; %bb.346:
	scratch_load_dwordx2 v[2:3], off, off offset:56
	v_mov_b32_e32 v135, v134
	scratch_store_dwordx2 off, v[134:135], off offset:56
	s_waitcnt vmcnt(1)
	ds_write_b64 v1, v[2:3]
.LBB121_347:
	s_or_b64 exec, exec, s[0:1]
	s_waitcnt lgkmcnt(0)
	; wave barrier
	ds_read_b128 v[14:17], v134 offset:528
	ds_read_b128 v[10:13], v134 offset:544
	;; [unrolled: 1-line block ×4, first 2 shown]
	scratch_load_dwordx4 v[18:21], off, off offset:64
	scratch_load_dwordx4 v[38:41], off, off offset:128
	;; [unrolled: 1-line block ×15, first 2 shown]
	v_cmp_lt_u32_e32 vcc, 6, v0
	scratch_load_dwordx4 v[46:49], off, off offset:144
	scratch_load_dwordx4 v[54:57], off, off offset:160
	;; [unrolled: 1-line block ×3, first 2 shown]
	ds_read_b128 v[162:165], v134 offset:816
	ds_read_b128 v[170:173], v134 offset:832
	;; [unrolled: 1-line block ×3, first 2 shown]
	s_waitcnt vmcnt(17) lgkmcnt(6)
	v_mul_f32_e32 v22, v14, v19
	v_fmac_f32_e32 v22, v15, v18
	v_mul_f32_e32 v23, v16, v21
	v_add_f32_e32 v22, 0, v22
	v_fmac_f32_e32 v23, v17, v20
	v_add_f32_e32 v26, v22, v23
	scratch_load_dwordx4 v[22:25], off, off offset:80
	v_mul_f32_e32 v15, v15, v19
	v_fma_f32 v14, v14, v18, -v15
	v_mul_f32_e32 v15, v17, v21
	v_add_f32_e32 v14, 0, v14
	v_fma_f32 v15, v16, v20, -v15
	v_add_f32_e32 v14, v14, v15
	s_waitcnt vmcnt(4) lgkmcnt(0)
	v_mul_f32_e32 v203, v178, v183
	v_mul_f32_e32 v205, v180, v185
	v_fmac_f32_e32 v203, v179, v182
	v_fmac_f32_e32 v205, v181, v184
	s_waitcnt vmcnt(0)
	v_mul_f32_e32 v27, v10, v23
	v_fmac_f32_e32 v27, v11, v22
	v_add_f32_e32 v26, v26, v27
	v_mul_f32_e32 v27, v12, v25
	v_fmac_f32_e32 v27, v13, v24
	v_add_f32_e32 v30, v26, v27
	scratch_load_dwordx4 v[26:29], off, off offset:96
	v_mul_f32_e32 v11, v11, v23
	v_fma_f32 v10, v10, v22, -v11
	v_mul_f32_e32 v11, v13, v25
	v_add_f32_e32 v10, v14, v10
	v_fma_f32 v11, v12, v24, -v11
	v_add_f32_e32 v10, v10, v11
	s_waitcnt vmcnt(0)
	v_mul_f32_e32 v31, v6, v27
	v_fmac_f32_e32 v31, v7, v26
	v_add_f32_e32 v30, v30, v31
	v_mul_f32_e32 v31, v8, v29
	v_fmac_f32_e32 v31, v9, v28
	v_add_f32_e32 v34, v30, v31
	scratch_load_dwordx4 v[30:33], off, off offset:112
	v_mul_f32_e32 v7, v7, v27
	v_fma_f32 v6, v6, v26, -v7
	v_mul_f32_e32 v7, v9, v29
	v_add_f32_e32 v6, v10, v6
	v_fma_f32 v7, v8, v28, -v7
	v_add_f32_e32 v6, v6, v7
	s_waitcnt vmcnt(0)
	v_mul_f32_e32 v35, v2, v31
	v_fmac_f32_e32 v35, v3, v30
	v_add_f32_e32 v34, v34, v35
	v_mul_f32_e32 v35, v4, v33
	v_fmac_f32_e32 v35, v5, v32
	v_add_f32_e32 v42, v34, v35
	ds_read_b128 v[34:37], v134 offset:592
	v_mul_f32_e32 v3, v3, v31
	v_fma_f32 v2, v2, v30, -v3
	v_mul_f32_e32 v3, v5, v33
	v_add_f32_e32 v2, v6, v2
	s_waitcnt lgkmcnt(0)
	v_mul_f32_e32 v43, v34, v39
	v_fmac_f32_e32 v43, v35, v38
	v_add_f32_e32 v42, v42, v43
	v_mul_f32_e32 v43, v36, v41
	v_fmac_f32_e32 v43, v37, v40
	v_add_f32_e32 v50, v42, v43
	ds_read_b128 v[42:45], v134 offset:608
	v_fma_f32 v3, v4, v32, -v3
	v_add_f32_e32 v2, v2, v3
	v_mul_f32_e32 v3, v35, v39
	v_fma_f32 v3, v34, v38, -v3
	s_waitcnt lgkmcnt(0)
	v_mul_f32_e32 v51, v42, v47
	v_fmac_f32_e32 v51, v43, v46
	v_add_f32_e32 v50, v50, v51
	v_mul_f32_e32 v51, v44, v49
	v_fmac_f32_e32 v51, v45, v48
	v_add_f32_e32 v58, v50, v51
	ds_read_b128 v[50:53], v134 offset:624
	v_add_f32_e32 v2, v2, v3
	v_mul_f32_e32 v3, v37, v41
	v_fma_f32 v3, v36, v40, -v3
	v_add_f32_e32 v2, v2, v3
	s_waitcnt lgkmcnt(0)
	v_mul_f32_e32 v59, v50, v55
	v_fmac_f32_e32 v59, v51, v54
	v_add_f32_e32 v58, v58, v59
	v_mul_f32_e32 v59, v52, v57
	v_fmac_f32_e32 v59, v53, v56
	v_add_f32_e32 v66, v58, v59
	ds_read_b128 v[58:61], v134 offset:640
	v_mul_f32_e32 v3, v43, v47
	v_fma_f32 v3, v42, v46, -v3
	v_add_f32_e32 v2, v2, v3
	v_mul_f32_e32 v3, v45, v49
	s_waitcnt lgkmcnt(0)
	v_mul_f32_e32 v67, v58, v63
	v_fmac_f32_e32 v67, v59, v62
	v_add_f32_e32 v66, v66, v67
	v_mul_f32_e32 v67, v60, v65
	v_fmac_f32_e32 v67, v61, v64
	v_add_f32_e32 v74, v66, v67
	ds_read_b128 v[66:69], v134 offset:656
	v_fma_f32 v3, v44, v48, -v3
	v_add_f32_e32 v2, v2, v3
	v_mul_f32_e32 v3, v51, v55
	v_fma_f32 v3, v50, v54, -v3
	s_waitcnt lgkmcnt(0)
	v_mul_f32_e32 v75, v66, v71
	v_fmac_f32_e32 v75, v67, v70
	v_add_f32_e32 v74, v74, v75
	v_mul_f32_e32 v75, v68, v73
	v_fmac_f32_e32 v75, v69, v72
	v_add_f32_e32 v82, v74, v75
	ds_read_b128 v[74:77], v134 offset:672
	v_add_f32_e32 v2, v2, v3
	v_mul_f32_e32 v3, v53, v57
	v_fma_f32 v3, v52, v56, -v3
	v_add_f32_e32 v2, v2, v3
	s_waitcnt lgkmcnt(0)
	v_mul_f32_e32 v83, v74, v79
	v_fmac_f32_e32 v83, v75, v78
	v_add_f32_e32 v82, v82, v83
	v_mul_f32_e32 v83, v76, v81
	v_fmac_f32_e32 v83, v77, v80
	v_add_f32_e32 v90, v82, v83
	ds_read_b128 v[82:85], v134 offset:688
	v_mul_f32_e32 v3, v59, v63
	v_fma_f32 v3, v58, v62, -v3
	v_add_f32_e32 v2, v2, v3
	v_mul_f32_e32 v3, v61, v65
	;; [unrolled: 36-line block ×4, first 2 shown]
	s_waitcnt lgkmcnt(0)
	v_mul_f32_e32 v140, v130, v137
	v_fmac_f32_e32 v140, v131, v136
	v_add_f32_e32 v135, v135, v140
	v_mul_f32_e32 v140, v132, v139
	v_fmac_f32_e32 v140, v133, v138
	v_add_f32_e32 v135, v135, v140
	ds_read_b128 v[140:143], v134 offset:800
	scratch_load_dwordx4 v[186:189], off, off offset:400
	scratch_load_dwordx4 v[190:193], off, off offset:416
	;; [unrolled: 1-line block ×4, first 2 shown]
	v_fma_f32 v3, v92, v96, -v3
	v_add_f32_e32 v2, v2, v3
	v_mul_f32_e32 v3, v99, v103
	v_fma_f32 v3, v98, v102, -v3
	v_add_f32_e32 v2, v2, v3
	v_mul_f32_e32 v3, v101, v105
	v_fma_f32 v3, v100, v104, -v3
	v_add_f32_e32 v2, v2, v3
	v_mul_f32_e32 v3, v107, v111
	v_fma_f32 v3, v106, v110, -v3
	v_add_f32_e32 v2, v2, v3
	v_mul_f32_e32 v3, v109, v113
	v_fma_f32 v3, v108, v112, -v3
	v_add_f32_e32 v2, v2, v3
	v_mul_f32_e32 v3, v115, v119
	v_fma_f32 v3, v114, v118, -v3
	v_add_f32_e32 v2, v2, v3
	v_mul_f32_e32 v3, v117, v121
	v_fma_f32 v3, v116, v120, -v3
	v_add_f32_e32 v2, v2, v3
	v_mul_f32_e32 v3, v123, v127
	v_fma_f32 v3, v122, v126, -v3
	v_add_f32_e32 v2, v2, v3
	v_mul_f32_e32 v3, v125, v129
	v_fma_f32 v3, v124, v128, -v3
	v_add_f32_e32 v2, v2, v3
	v_mul_f32_e32 v3, v131, v137
	v_fma_f32 v3, v130, v136, -v3
	v_add_f32_e32 v2, v2, v3
	v_mul_f32_e32 v3, v133, v139
	v_fma_f32 v3, v132, v138, -v3
	s_waitcnt lgkmcnt(0)
	v_mul_f32_e32 v148, v140, v145
	v_add_f32_e32 v2, v2, v3
	v_mul_f32_e32 v3, v141, v145
	v_fmac_f32_e32 v148, v141, v144
	v_fma_f32 v3, v140, v144, -v3
	v_add_f32_e32 v135, v135, v148
	v_mul_f32_e32 v148, v142, v147
	v_add_f32_e32 v2, v2, v3
	v_mul_f32_e32 v3, v143, v147
	v_fmac_f32_e32 v148, v143, v146
	v_fma_f32 v3, v142, v146, -v3
	v_add_f32_e32 v135, v135, v148
	;; [unrolled: 6-line block ×6, first 2 shown]
	v_add_f32_e32 v148, v2, v3
	v_mul_f32_e32 v2, v179, v183
	v_fma_f32 v202, v178, v182, -v2
	v_mul_f32_e32 v2, v181, v185
	v_fma_f32 v204, v180, v184, -v2
	ds_read_b128 v[2:5], v134 offset:864
	ds_read_b128 v[6:9], v134 offset:880
	;; [unrolled: 1-line block ×4, first 2 shown]
	v_pk_add_f32 v[18:19], v[148:149], v[202:203]
	s_waitcnt vmcnt(3) lgkmcnt(3)
	v_pk_mul_f32 v[20:21], v[2:3], v[186:187] op_sel:[1,1] op_sel_hi:[0,1]
	v_pk_fma_f32 v[22:23], v[2:3], v[186:187], v[20:21] neg_lo:[0,0,1] neg_hi:[0,0,1]
	v_pk_fma_f32 v[2:3], v[2:3], v[186:187], v[20:21] op_sel_hi:[1,0,1]
	v_pk_add_f32 v[18:19], v[18:19], v[204:205]
	v_mov_b32_e32 v23, v3
	v_pk_add_f32 v[2:3], v[18:19], v[22:23]
	v_mov_b32_e32 v18, v189
	v_pk_mul_f32 v[18:19], v[4:5], v[18:19] op_sel:[1,0] op_sel_hi:[0,0]
	v_pk_fma_f32 v[20:21], v[4:5], v[188:189], v[18:19] neg_lo:[0,0,1] neg_hi:[0,0,1]
	v_pk_fma_f32 v[4:5], v[4:5], v[188:189], v[18:19] op_sel_hi:[1,0,1]
	s_nop 0
	v_mov_b32_e32 v21, v5
	s_waitcnt vmcnt(2) lgkmcnt(2)
	v_pk_mul_f32 v[4:5], v[6:7], v[190:191] op_sel:[1,1] op_sel_hi:[0,1]
	v_pk_fma_f32 v[18:19], v[6:7], v[190:191], v[4:5] neg_lo:[0,0,1] neg_hi:[0,0,1]
	v_pk_fma_f32 v[4:5], v[6:7], v[190:191], v[4:5] op_sel_hi:[1,0,1]
	v_pk_add_f32 v[2:3], v[2:3], v[20:21]
	v_mov_b32_e32 v4, v193
	v_mov_b32_e32 v19, v5
	v_pk_mul_f32 v[4:5], v[8:9], v[4:5] op_sel:[1,0] op_sel_hi:[0,0]
	v_pk_fma_f32 v[6:7], v[8:9], v[192:193], v[4:5] neg_lo:[0,0,1] neg_hi:[0,0,1]
	v_pk_fma_f32 v[4:5], v[8:9], v[192:193], v[4:5] op_sel_hi:[1,0,1]
	v_pk_add_f32 v[2:3], v[2:3], v[18:19]
	v_mov_b32_e32 v7, v5
	s_waitcnt vmcnt(1) lgkmcnt(1)
	v_pk_mul_f32 v[4:5], v[10:11], v[194:195] op_sel:[1,1] op_sel_hi:[0,1]
	v_pk_add_f32 v[2:3], v[2:3], v[6:7]
	v_pk_fma_f32 v[6:7], v[10:11], v[194:195], v[4:5] neg_lo:[0,0,1] neg_hi:[0,0,1]
	v_pk_fma_f32 v[4:5], v[10:11], v[194:195], v[4:5] op_sel_hi:[1,0,1]
	s_nop 0
	v_mov_b32_e32 v4, v197
	v_mov_b32_e32 v7, v5
	v_pk_mul_f32 v[4:5], v[12:13], v[4:5] op_sel:[1,0] op_sel_hi:[0,0]
	v_pk_add_f32 v[2:3], v[2:3], v[6:7]
	v_pk_fma_f32 v[6:7], v[12:13], v[196:197], v[4:5] neg_lo:[0,0,1] neg_hi:[0,0,1]
	v_pk_fma_f32 v[4:5], v[12:13], v[196:197], v[4:5] op_sel_hi:[1,0,1]
	s_nop 0
	v_mov_b32_e32 v7, v5
	s_waitcnt vmcnt(0) lgkmcnt(0)
	v_pk_mul_f32 v[4:5], v[14:15], v[198:199] op_sel:[1,1] op_sel_hi:[0,1]
	v_pk_add_f32 v[2:3], v[2:3], v[6:7]
	v_pk_fma_f32 v[6:7], v[14:15], v[198:199], v[4:5] neg_lo:[0,0,1] neg_hi:[0,0,1]
	v_pk_fma_f32 v[4:5], v[14:15], v[198:199], v[4:5] op_sel_hi:[1,0,1]
	s_nop 0
	v_mov_b32_e32 v4, v201
	v_mov_b32_e32 v7, v5
	v_pk_mul_f32 v[4:5], v[16:17], v[4:5] op_sel:[1,0] op_sel_hi:[0,0]
	v_pk_add_f32 v[2:3], v[2:3], v[6:7]
	v_pk_fma_f32 v[6:7], v[16:17], v[200:201], v[4:5] neg_lo:[0,0,1] neg_hi:[0,0,1]
	v_pk_fma_f32 v[4:5], v[16:17], v[200:201], v[4:5] op_sel_hi:[1,0,1]
	s_nop 0
	v_mov_b32_e32 v7, v5
	scratch_load_dwordx2 v[4:5], off, off offset:56
	v_pk_add_f32 v[2:3], v[2:3], v[6:7]
	s_waitcnt vmcnt(0)
	v_pk_add_f32 v[2:3], v[4:5], v[2:3] neg_lo:[0,1] neg_hi:[0,1]
	scratch_store_dwordx2 off, v[2:3], off offset:56
	s_and_saveexec_b64 s[0:1], vcc
	s_cbranch_execz .LBB121_349
; %bb.348:
	scratch_load_dwordx2 v[2:3], off, off offset:48
	v_mov_b32_e32 v4, 0
	v_mov_b32_e32 v5, v4
	scratch_store_dwordx2 off, v[4:5], off offset:48
	s_waitcnt vmcnt(1)
	ds_write_b64 v1, v[2:3]
.LBB121_349:
	s_or_b64 exec, exec, s[0:1]
	s_waitcnt lgkmcnt(0)
	; wave barrier
	scratch_load_dwordx4 v[6:9], off, off offset:56
	scratch_load_dwordx4 v[14:17], off, off offset:72
	;; [unrolled: 1-line block ×10, first 2 shown]
	v_mov_b32_e32 v142, 0
	ds_read2_b64 v[2:5], v142 offset0:65 offset1:66
	ds_read2_b64 v[162:165], v142 offset0:101 offset1:102
	scratch_load_dwordx4 v[86:89], off, off offset:216
	scratch_load_dwordx4 v[94:97], off, off offset:232
	;; [unrolled: 1-line block ×12, first 2 shown]
	v_cmp_lt_u32_e32 vcc, 5, v0
	ds_read2_b64 v[170:173], v142 offset0:103 offset1:104
	ds_read2_b64 v[178:181], v142 offset0:105 offset1:106
	ds_read2_b64 v[186:189], v142 offset0:107 offset1:108
	s_waitcnt vmcnt(21) lgkmcnt(4)
	v_mul_f32_e32 v10, v2, v7
	v_fmac_f32_e32 v10, v3, v6
	v_mul_f32_e32 v11, v4, v9
	v_add_f32_e32 v10, 0, v10
	v_fmac_f32_e32 v11, v5, v8
	v_add_f32_e32 v18, v10, v11
	ds_read2_b64 v[10:13], v142 offset0:67 offset1:68
	v_mul_f32_e32 v3, v3, v7
	v_fma_f32 v2, v2, v6, -v3
	v_mul_f32_e32 v3, v5, v9
	v_add_f32_e32 v2, 0, v2
	s_waitcnt vmcnt(20) lgkmcnt(0)
	v_mul_f32_e32 v19, v10, v15
	v_fmac_f32_e32 v19, v11, v14
	v_add_f32_e32 v18, v18, v19
	v_mul_f32_e32 v19, v12, v17
	v_fmac_f32_e32 v19, v13, v16
	v_add_f32_e32 v26, v18, v19
	ds_read2_b64 v[18:21], v142 offset0:69 offset1:70
	v_fma_f32 v3, v4, v8, -v3
	v_add_f32_e32 v2, v2, v3
	v_mul_f32_e32 v3, v11, v15
	v_fma_f32 v3, v10, v14, -v3
	s_waitcnt vmcnt(19) lgkmcnt(0)
	v_mul_f32_e32 v27, v18, v23
	v_fmac_f32_e32 v27, v19, v22
	v_add_f32_e32 v26, v26, v27
	v_mul_f32_e32 v27, v20, v25
	v_fmac_f32_e32 v27, v21, v24
	v_add_f32_e32 v34, v26, v27
	ds_read2_b64 v[26:29], v142 offset0:71 offset1:72
	v_add_f32_e32 v2, v2, v3
	v_mul_f32_e32 v3, v13, v17
	v_fma_f32 v3, v12, v16, -v3
	v_add_f32_e32 v2, v2, v3
	s_waitcnt vmcnt(18) lgkmcnt(0)
	v_mul_f32_e32 v35, v26, v31
	v_fmac_f32_e32 v35, v27, v30
	v_add_f32_e32 v34, v34, v35
	v_mul_f32_e32 v35, v28, v33
	v_fmac_f32_e32 v35, v29, v32
	v_add_f32_e32 v42, v34, v35
	ds_read2_b64 v[34:37], v142 offset0:73 offset1:74
	v_mul_f32_e32 v3, v19, v23
	v_fma_f32 v3, v18, v22, -v3
	v_add_f32_e32 v2, v2, v3
	v_mul_f32_e32 v3, v21, v25
	s_waitcnt vmcnt(17) lgkmcnt(0)
	v_mul_f32_e32 v43, v34, v39
	v_fmac_f32_e32 v43, v35, v38
	v_add_f32_e32 v42, v42, v43
	v_mul_f32_e32 v43, v36, v41
	v_fmac_f32_e32 v43, v37, v40
	v_add_f32_e32 v50, v42, v43
	ds_read2_b64 v[42:45], v142 offset0:75 offset1:76
	v_fma_f32 v3, v20, v24, -v3
	v_add_f32_e32 v2, v2, v3
	v_mul_f32_e32 v3, v27, v31
	v_fma_f32 v3, v26, v30, -v3
	s_waitcnt vmcnt(16) lgkmcnt(0)
	v_mul_f32_e32 v51, v42, v47
	v_fmac_f32_e32 v51, v43, v46
	v_add_f32_e32 v50, v50, v51
	v_mul_f32_e32 v51, v44, v49
	v_fmac_f32_e32 v51, v45, v48
	v_add_f32_e32 v58, v50, v51
	ds_read2_b64 v[50:53], v142 offset0:77 offset1:78
	v_add_f32_e32 v2, v2, v3
	v_mul_f32_e32 v3, v29, v33
	v_fma_f32 v3, v28, v32, -v3
	v_add_f32_e32 v2, v2, v3
	s_waitcnt vmcnt(15) lgkmcnt(0)
	v_mul_f32_e32 v59, v50, v55
	v_fmac_f32_e32 v59, v51, v54
	v_add_f32_e32 v58, v58, v59
	v_mul_f32_e32 v59, v52, v57
	v_fmac_f32_e32 v59, v53, v56
	v_add_f32_e32 v66, v58, v59
	ds_read2_b64 v[58:61], v142 offset0:79 offset1:80
	v_mul_f32_e32 v3, v35, v39
	v_fma_f32 v3, v34, v38, -v3
	v_add_f32_e32 v2, v2, v3
	v_mul_f32_e32 v3, v37, v41
	;; [unrolled: 36-line block ×5, first 2 shown]
	s_waitcnt vmcnt(5) lgkmcnt(0)
	v_mul_f32_e32 v139, v130, v135
	v_fmac_f32_e32 v139, v131, v134
	v_add_f32_e32 v138, v138, v139
	v_mul_f32_e32 v139, v132, v137
	v_fmac_f32_e32 v139, v133, v136
	v_add_f32_e32 v143, v138, v139
	ds_read2_b64 v[138:141], v142 offset0:99 offset1:100
	scratch_load_dwordx4 v[194:197], off, off offset:408
	scratch_load_dwordx4 v[198:201], off, off offset:424
	;; [unrolled: 1-line block ×3, first 2 shown]
	scratch_load_dwordx2 v[210:211], off, off offset:456
	v_fma_f32 v3, v84, v88, -v3
	v_add_f32_e32 v2, v2, v3
	v_mul_f32_e32 v3, v91, v95
	v_fma_f32 v3, v90, v94, -v3
	v_add_f32_e32 v2, v2, v3
	v_mul_f32_e32 v3, v93, v97
	;; [unrolled: 3-line block ×12, first 2 shown]
	v_fma_f32 v3, v132, v136, -v3
	s_waitcnt vmcnt(8) lgkmcnt(0)
	v_mul_f32_e32 v148, v138, v145
	v_add_f32_e32 v2, v2, v3
	v_mul_f32_e32 v3, v139, v145
	v_fmac_f32_e32 v148, v139, v144
	v_fma_f32 v3, v138, v144, -v3
	v_add_f32_e32 v143, v143, v148
	v_mul_f32_e32 v148, v140, v147
	v_add_f32_e32 v2, v2, v3
	v_mul_f32_e32 v3, v141, v147
	v_fmac_f32_e32 v148, v141, v146
	v_fma_f32 v3, v140, v146, -v3
	v_add_f32_e32 v143, v143, v148
	s_waitcnt vmcnt(7)
	v_mul_f32_e32 v148, v162, v167
	v_add_f32_e32 v2, v2, v3
	v_mul_f32_e32 v3, v163, v167
	v_fmac_f32_e32 v148, v163, v166
	v_fma_f32 v3, v162, v166, -v3
	v_add_f32_e32 v143, v143, v148
	v_mul_f32_e32 v148, v164, v169
	v_add_f32_e32 v2, v2, v3
	v_mul_f32_e32 v3, v165, v169
	v_fmac_f32_e32 v148, v165, v168
	v_fma_f32 v3, v164, v168, -v3
	v_add_f32_e32 v143, v143, v148
	s_waitcnt vmcnt(6)
	;; [unrolled: 13-line block ×3, first 2 shown]
	v_mul_f32_e32 v148, v178, v183
	v_add_f32_e32 v2, v2, v3
	v_mul_f32_e32 v3, v179, v183
	v_fmac_f32_e32 v148, v179, v182
	v_fma_f32 v3, v178, v182, -v3
	v_add_f32_e32 v149, v143, v148
	v_add_f32_e32 v148, v2, v3
	v_mul_f32_e32 v2, v181, v185
	v_mul_f32_e32 v207, v180, v185
	v_fma_f32 v206, v180, v184, -v2
	s_waitcnt vmcnt(4)
	v_mul_f32_e32 v2, v187, v191
	v_mov_b32_e32 v18, v193
	v_fmac_f32_e32 v207, v181, v184
	v_mul_f32_e32 v209, v186, v191
	v_fma_f32 v208, v186, v190, -v2
	ds_read2_b64 v[2:5], v142 offset0:109 offset1:110
	ds_read2_b64 v[6:9], v142 offset0:111 offset1:112
	;; [unrolled: 1-line block ×3, first 2 shown]
	ds_read_b64 v[14:15], v142 offset:920
	v_pk_mul_f32 v[18:19], v[188:189], v[18:19] op_sel:[1,0] op_sel_hi:[0,0]
	v_fmac_f32_e32 v209, v187, v190
	v_pk_add_f32 v[16:17], v[148:149], v[206:207]
	v_pk_fma_f32 v[20:21], v[188:189], v[192:193], v[18:19] neg_lo:[0,0,1] neg_hi:[0,0,1]
	v_pk_fma_f32 v[18:19], v[188:189], v[192:193], v[18:19] op_sel_hi:[1,0,1]
	v_pk_add_f32 v[16:17], v[16:17], v[208:209]
	v_mov_b32_e32 v21, v19
	s_waitcnt vmcnt(3) lgkmcnt(3)
	v_pk_mul_f32 v[18:19], v[2:3], v[194:195] op_sel:[1,1] op_sel_hi:[0,1]
	v_pk_add_f32 v[16:17], v[16:17], v[20:21]
	v_pk_fma_f32 v[20:21], v[2:3], v[194:195], v[18:19] neg_lo:[0,0,1] neg_hi:[0,0,1]
	v_pk_fma_f32 v[2:3], v[2:3], v[194:195], v[18:19] op_sel_hi:[1,0,1]
	s_nop 0
	v_mov_b32_e32 v21, v3
	v_pk_add_f32 v[2:3], v[16:17], v[20:21]
	v_mov_b32_e32 v16, v197
	v_pk_mul_f32 v[16:17], v[4:5], v[16:17] op_sel:[1,0] op_sel_hi:[0,0]
	v_pk_fma_f32 v[18:19], v[4:5], v[196:197], v[16:17] neg_lo:[0,0,1] neg_hi:[0,0,1]
	v_pk_fma_f32 v[4:5], v[4:5], v[196:197], v[16:17] op_sel_hi:[1,0,1]
	s_nop 0
	v_mov_b32_e32 v19, v5
	s_waitcnt vmcnt(2) lgkmcnt(2)
	v_pk_mul_f32 v[4:5], v[6:7], v[198:199] op_sel:[1,1] op_sel_hi:[0,1]
	v_pk_fma_f32 v[16:17], v[6:7], v[198:199], v[4:5] neg_lo:[0,0,1] neg_hi:[0,0,1]
	v_pk_fma_f32 v[4:5], v[6:7], v[198:199], v[4:5] op_sel_hi:[1,0,1]
	v_pk_add_f32 v[2:3], v[2:3], v[18:19]
	v_mov_b32_e32 v4, v201
	v_mov_b32_e32 v17, v5
	v_pk_mul_f32 v[4:5], v[8:9], v[4:5] op_sel:[1,0] op_sel_hi:[0,0]
	v_pk_fma_f32 v[6:7], v[8:9], v[200:201], v[4:5] neg_lo:[0,0,1] neg_hi:[0,0,1]
	v_pk_fma_f32 v[4:5], v[8:9], v[200:201], v[4:5] op_sel_hi:[1,0,1]
	v_pk_add_f32 v[2:3], v[2:3], v[16:17]
	v_mov_b32_e32 v7, v5
	s_waitcnt vmcnt(1) lgkmcnt(1)
	v_pk_mul_f32 v[4:5], v[10:11], v[202:203] op_sel:[1,1] op_sel_hi:[0,1]
	v_pk_add_f32 v[2:3], v[2:3], v[6:7]
	v_pk_fma_f32 v[6:7], v[10:11], v[202:203], v[4:5] neg_lo:[0,0,1] neg_hi:[0,0,1]
	v_pk_fma_f32 v[4:5], v[10:11], v[202:203], v[4:5] op_sel_hi:[1,0,1]
	s_nop 0
	v_mov_b32_e32 v4, v205
	v_mov_b32_e32 v7, v5
	v_pk_mul_f32 v[4:5], v[12:13], v[4:5] op_sel:[1,0] op_sel_hi:[0,0]
	v_pk_add_f32 v[2:3], v[2:3], v[6:7]
	v_pk_fma_f32 v[6:7], v[12:13], v[204:205], v[4:5] neg_lo:[0,0,1] neg_hi:[0,0,1]
	v_pk_fma_f32 v[4:5], v[12:13], v[204:205], v[4:5] op_sel_hi:[1,0,1]
	s_nop 0
	v_mov_b32_e32 v7, v5
	s_waitcnt vmcnt(0) lgkmcnt(0)
	v_pk_mul_f32 v[4:5], v[14:15], v[210:211] op_sel:[1,1] op_sel_hi:[0,1]
	v_pk_add_f32 v[2:3], v[2:3], v[6:7]
	v_pk_fma_f32 v[6:7], v[14:15], v[210:211], v[4:5] neg_lo:[0,0,1] neg_hi:[0,0,1]
	v_pk_fma_f32 v[4:5], v[14:15], v[210:211], v[4:5] op_sel_hi:[1,0,1]
	s_nop 0
	v_mov_b32_e32 v7, v5
	scratch_load_dwordx2 v[4:5], off, off offset:48
	v_pk_add_f32 v[2:3], v[2:3], v[6:7]
	s_waitcnt vmcnt(0)
	v_pk_add_f32 v[2:3], v[4:5], v[2:3] neg_lo:[0,1] neg_hi:[0,1]
	scratch_store_dwordx2 off, v[2:3], off offset:48
	s_and_saveexec_b64 s[0:1], vcc
	s_cbranch_execz .LBB121_351
; %bb.350:
	scratch_load_dwordx2 v[2:3], off, off offset:40
	v_mov_b32_e32 v143, v142
	scratch_store_dwordx2 off, v[142:143], off offset:40
	s_waitcnt vmcnt(1)
	ds_write_b64 v1, v[2:3]
.LBB121_351:
	s_or_b64 exec, exec, s[0:1]
	s_waitcnt lgkmcnt(0)
	; wave barrier
	ds_read_b128 v[14:17], v142 offset:512
	ds_read_b128 v[10:13], v142 offset:528
	;; [unrolled: 1-line block ×4, first 2 shown]
	scratch_load_dwordx4 v[18:21], off, off offset:48
	scratch_load_dwordx4 v[38:41], off, off offset:112
	;; [unrolled: 1-line block ×16, first 2 shown]
	v_cmp_lt_u32_e32 vcc, 4, v0
	scratch_load_dwordx4 v[46:49], off, off offset:128
	scratch_load_dwordx4 v[54:57], off, off offset:144
	;; [unrolled: 1-line block ×3, first 2 shown]
	ds_read_b128 v[162:165], v142 offset:800
	ds_read_b128 v[170:173], v142 offset:816
	;; [unrolled: 1-line block ×4, first 2 shown]
	s_waitcnt vmcnt(18) lgkmcnt(7)
	v_mul_f32_e32 v22, v14, v19
	v_fmac_f32_e32 v22, v15, v18
	v_mul_f32_e32 v23, v16, v21
	v_add_f32_e32 v22, 0, v22
	v_fmac_f32_e32 v23, v17, v20
	v_add_f32_e32 v26, v22, v23
	scratch_load_dwordx4 v[22:25], off, off offset:64
	v_mul_f32_e32 v15, v15, v19
	v_fma_f32 v14, v14, v18, -v15
	v_mul_f32_e32 v15, v17, v21
	v_add_f32_e32 v14, 0, v14
	v_fma_f32 v15, v16, v20, -v15
	v_add_f32_e32 v14, v14, v15
	s_waitcnt vmcnt(4) lgkmcnt(0)
	v_mul_f32_e32 v211, v186, v191
	v_mul_f32_e32 v213, v188, v193
	v_fmac_f32_e32 v211, v187, v190
	v_fmac_f32_e32 v213, v189, v192
	s_waitcnt vmcnt(0)
	v_mul_f32_e32 v27, v10, v23
	v_fmac_f32_e32 v27, v11, v22
	v_add_f32_e32 v26, v26, v27
	v_mul_f32_e32 v27, v12, v25
	v_fmac_f32_e32 v27, v13, v24
	v_add_f32_e32 v30, v26, v27
	scratch_load_dwordx4 v[26:29], off, off offset:80
	v_mul_f32_e32 v11, v11, v23
	v_fma_f32 v10, v10, v22, -v11
	v_mul_f32_e32 v11, v13, v25
	v_add_f32_e32 v10, v14, v10
	v_fma_f32 v11, v12, v24, -v11
	v_add_f32_e32 v10, v10, v11
	s_waitcnt vmcnt(0)
	v_mul_f32_e32 v31, v6, v27
	v_fmac_f32_e32 v31, v7, v26
	v_add_f32_e32 v30, v30, v31
	v_mul_f32_e32 v31, v8, v29
	v_fmac_f32_e32 v31, v9, v28
	v_add_f32_e32 v34, v30, v31
	scratch_load_dwordx4 v[30:33], off, off offset:96
	v_mul_f32_e32 v7, v7, v27
	v_fma_f32 v6, v6, v26, -v7
	v_mul_f32_e32 v7, v9, v29
	v_add_f32_e32 v6, v10, v6
	v_fma_f32 v7, v8, v28, -v7
	v_add_f32_e32 v6, v6, v7
	s_waitcnt vmcnt(0)
	v_mul_f32_e32 v35, v2, v31
	v_fmac_f32_e32 v35, v3, v30
	v_add_f32_e32 v34, v34, v35
	v_mul_f32_e32 v35, v4, v33
	v_fmac_f32_e32 v35, v5, v32
	v_add_f32_e32 v42, v34, v35
	ds_read_b128 v[34:37], v142 offset:576
	v_mul_f32_e32 v3, v3, v31
	v_fma_f32 v2, v2, v30, -v3
	v_mul_f32_e32 v3, v5, v33
	v_add_f32_e32 v2, v6, v2
	s_waitcnt lgkmcnt(0)
	v_mul_f32_e32 v43, v34, v39
	v_fmac_f32_e32 v43, v35, v38
	v_add_f32_e32 v42, v42, v43
	v_mul_f32_e32 v43, v36, v41
	v_fmac_f32_e32 v43, v37, v40
	v_add_f32_e32 v50, v42, v43
	ds_read_b128 v[42:45], v142 offset:592
	v_fma_f32 v3, v4, v32, -v3
	v_add_f32_e32 v2, v2, v3
	v_mul_f32_e32 v3, v35, v39
	v_fma_f32 v3, v34, v38, -v3
	s_waitcnt lgkmcnt(0)
	v_mul_f32_e32 v51, v42, v47
	v_fmac_f32_e32 v51, v43, v46
	v_add_f32_e32 v50, v50, v51
	v_mul_f32_e32 v51, v44, v49
	v_fmac_f32_e32 v51, v45, v48
	v_add_f32_e32 v58, v50, v51
	ds_read_b128 v[50:53], v142 offset:608
	v_add_f32_e32 v2, v2, v3
	v_mul_f32_e32 v3, v37, v41
	v_fma_f32 v3, v36, v40, -v3
	v_add_f32_e32 v2, v2, v3
	s_waitcnt lgkmcnt(0)
	v_mul_f32_e32 v59, v50, v55
	v_fmac_f32_e32 v59, v51, v54
	v_add_f32_e32 v58, v58, v59
	v_mul_f32_e32 v59, v52, v57
	v_fmac_f32_e32 v59, v53, v56
	v_add_f32_e32 v66, v58, v59
	ds_read_b128 v[58:61], v142 offset:624
	v_mul_f32_e32 v3, v43, v47
	v_fma_f32 v3, v42, v46, -v3
	v_add_f32_e32 v2, v2, v3
	v_mul_f32_e32 v3, v45, v49
	s_waitcnt lgkmcnt(0)
	v_mul_f32_e32 v67, v58, v63
	v_fmac_f32_e32 v67, v59, v62
	v_add_f32_e32 v66, v66, v67
	v_mul_f32_e32 v67, v60, v65
	v_fmac_f32_e32 v67, v61, v64
	v_add_f32_e32 v74, v66, v67
	ds_read_b128 v[66:69], v142 offset:640
	v_fma_f32 v3, v44, v48, -v3
	v_add_f32_e32 v2, v2, v3
	v_mul_f32_e32 v3, v51, v55
	v_fma_f32 v3, v50, v54, -v3
	s_waitcnt lgkmcnt(0)
	v_mul_f32_e32 v75, v66, v71
	v_fmac_f32_e32 v75, v67, v70
	v_add_f32_e32 v74, v74, v75
	v_mul_f32_e32 v75, v68, v73
	v_fmac_f32_e32 v75, v69, v72
	v_add_f32_e32 v82, v74, v75
	ds_read_b128 v[74:77], v142 offset:656
	v_add_f32_e32 v2, v2, v3
	v_mul_f32_e32 v3, v53, v57
	v_fma_f32 v3, v52, v56, -v3
	v_add_f32_e32 v2, v2, v3
	s_waitcnt lgkmcnt(0)
	v_mul_f32_e32 v83, v74, v79
	v_fmac_f32_e32 v83, v75, v78
	v_add_f32_e32 v82, v82, v83
	v_mul_f32_e32 v83, v76, v81
	v_fmac_f32_e32 v83, v77, v80
	v_add_f32_e32 v90, v82, v83
	ds_read_b128 v[82:85], v142 offset:672
	v_mul_f32_e32 v3, v59, v63
	v_fma_f32 v3, v58, v62, -v3
	v_add_f32_e32 v2, v2, v3
	v_mul_f32_e32 v3, v61, v65
	;; [unrolled: 36-line block ×4, first 2 shown]
	s_waitcnt lgkmcnt(0)
	v_mul_f32_e32 v139, v130, v135
	v_fmac_f32_e32 v139, v131, v134
	v_add_f32_e32 v138, v138, v139
	v_mul_f32_e32 v139, v132, v137
	v_fmac_f32_e32 v139, v133, v136
	v_add_f32_e32 v143, v138, v139
	ds_read_b128 v[138:141], v142 offset:784
	scratch_load_dwordx4 v[194:197], off, off offset:400
	scratch_load_dwordx4 v[198:201], off, off offset:416
	;; [unrolled: 1-line block ×4, first 2 shown]
	v_fma_f32 v3, v92, v96, -v3
	v_add_f32_e32 v2, v2, v3
	v_mul_f32_e32 v3, v99, v103
	v_fma_f32 v3, v98, v102, -v3
	v_add_f32_e32 v2, v2, v3
	v_mul_f32_e32 v3, v101, v105
	;; [unrolled: 3-line block ×10, first 2 shown]
	v_fma_f32 v3, v132, v136, -v3
	s_waitcnt lgkmcnt(0)
	v_mul_f32_e32 v148, v138, v145
	v_add_f32_e32 v2, v2, v3
	v_mul_f32_e32 v3, v139, v145
	v_fmac_f32_e32 v148, v139, v144
	v_fma_f32 v3, v138, v144, -v3
	v_add_f32_e32 v143, v143, v148
	v_mul_f32_e32 v148, v140, v147
	v_add_f32_e32 v2, v2, v3
	v_mul_f32_e32 v3, v141, v147
	v_fmac_f32_e32 v148, v141, v146
	v_fma_f32 v3, v140, v146, -v3
	v_add_f32_e32 v143, v143, v148
	;; [unrolled: 6-line block ×8, first 2 shown]
	v_add_f32_e32 v148, v2, v3
	v_mul_f32_e32 v2, v187, v191
	v_fma_f32 v210, v186, v190, -v2
	v_mul_f32_e32 v2, v189, v193
	v_fma_f32 v212, v188, v192, -v2
	ds_read_b128 v[2:5], v142 offset:864
	ds_read_b128 v[6:9], v142 offset:880
	;; [unrolled: 1-line block ×4, first 2 shown]
	v_pk_add_f32 v[18:19], v[148:149], v[210:211]
	s_waitcnt vmcnt(3) lgkmcnt(3)
	v_pk_mul_f32 v[20:21], v[2:3], v[194:195] op_sel:[1,1] op_sel_hi:[0,1]
	v_pk_fma_f32 v[22:23], v[2:3], v[194:195], v[20:21] neg_lo:[0,0,1] neg_hi:[0,0,1]
	v_pk_fma_f32 v[2:3], v[2:3], v[194:195], v[20:21] op_sel_hi:[1,0,1]
	v_pk_add_f32 v[18:19], v[18:19], v[212:213]
	v_mov_b32_e32 v23, v3
	v_pk_add_f32 v[2:3], v[18:19], v[22:23]
	v_mov_b32_e32 v18, v197
	v_pk_mul_f32 v[18:19], v[4:5], v[18:19] op_sel:[1,0] op_sel_hi:[0,0]
	v_pk_fma_f32 v[20:21], v[4:5], v[196:197], v[18:19] neg_lo:[0,0,1] neg_hi:[0,0,1]
	v_pk_fma_f32 v[4:5], v[4:5], v[196:197], v[18:19] op_sel_hi:[1,0,1]
	s_nop 0
	v_mov_b32_e32 v21, v5
	s_waitcnt vmcnt(2) lgkmcnt(2)
	v_pk_mul_f32 v[4:5], v[6:7], v[198:199] op_sel:[1,1] op_sel_hi:[0,1]
	v_pk_fma_f32 v[18:19], v[6:7], v[198:199], v[4:5] neg_lo:[0,0,1] neg_hi:[0,0,1]
	v_pk_fma_f32 v[4:5], v[6:7], v[198:199], v[4:5] op_sel_hi:[1,0,1]
	v_pk_add_f32 v[2:3], v[2:3], v[20:21]
	v_mov_b32_e32 v4, v201
	v_mov_b32_e32 v19, v5
	v_pk_mul_f32 v[4:5], v[8:9], v[4:5] op_sel:[1,0] op_sel_hi:[0,0]
	v_pk_fma_f32 v[6:7], v[8:9], v[200:201], v[4:5] neg_lo:[0,0,1] neg_hi:[0,0,1]
	v_pk_fma_f32 v[4:5], v[8:9], v[200:201], v[4:5] op_sel_hi:[1,0,1]
	v_pk_add_f32 v[2:3], v[2:3], v[18:19]
	v_mov_b32_e32 v7, v5
	s_waitcnt vmcnt(1) lgkmcnt(1)
	v_pk_mul_f32 v[4:5], v[10:11], v[202:203] op_sel:[1,1] op_sel_hi:[0,1]
	v_pk_add_f32 v[2:3], v[2:3], v[6:7]
	v_pk_fma_f32 v[6:7], v[10:11], v[202:203], v[4:5] neg_lo:[0,0,1] neg_hi:[0,0,1]
	v_pk_fma_f32 v[4:5], v[10:11], v[202:203], v[4:5] op_sel_hi:[1,0,1]
	s_nop 0
	v_mov_b32_e32 v4, v205
	v_mov_b32_e32 v7, v5
	v_pk_mul_f32 v[4:5], v[12:13], v[4:5] op_sel:[1,0] op_sel_hi:[0,0]
	v_pk_add_f32 v[2:3], v[2:3], v[6:7]
	v_pk_fma_f32 v[6:7], v[12:13], v[204:205], v[4:5] neg_lo:[0,0,1] neg_hi:[0,0,1]
	v_pk_fma_f32 v[4:5], v[12:13], v[204:205], v[4:5] op_sel_hi:[1,0,1]
	s_nop 0
	v_mov_b32_e32 v7, v5
	s_waitcnt vmcnt(0) lgkmcnt(0)
	v_pk_mul_f32 v[4:5], v[14:15], v[206:207] op_sel:[1,1] op_sel_hi:[0,1]
	v_pk_add_f32 v[2:3], v[2:3], v[6:7]
	v_pk_fma_f32 v[6:7], v[14:15], v[206:207], v[4:5] neg_lo:[0,0,1] neg_hi:[0,0,1]
	v_pk_fma_f32 v[4:5], v[14:15], v[206:207], v[4:5] op_sel_hi:[1,0,1]
	s_nop 0
	v_mov_b32_e32 v4, v209
	v_mov_b32_e32 v7, v5
	v_pk_mul_f32 v[4:5], v[16:17], v[4:5] op_sel:[1,0] op_sel_hi:[0,0]
	v_pk_add_f32 v[2:3], v[2:3], v[6:7]
	v_pk_fma_f32 v[6:7], v[16:17], v[208:209], v[4:5] neg_lo:[0,0,1] neg_hi:[0,0,1]
	v_pk_fma_f32 v[4:5], v[16:17], v[208:209], v[4:5] op_sel_hi:[1,0,1]
	s_nop 0
	v_mov_b32_e32 v7, v5
	scratch_load_dwordx2 v[4:5], off, off offset:40
	v_pk_add_f32 v[2:3], v[2:3], v[6:7]
	s_waitcnt vmcnt(0)
	v_pk_add_f32 v[2:3], v[4:5], v[2:3] neg_lo:[0,1] neg_hi:[0,1]
	scratch_store_dwordx2 off, v[2:3], off offset:40
	s_and_saveexec_b64 s[0:1], vcc
	s_cbranch_execz .LBB121_353
; %bb.352:
	scratch_load_dwordx2 v[2:3], off, off offset:32
	v_mov_b32_e32 v4, 0
	v_mov_b32_e32 v5, v4
	scratch_store_dwordx2 off, v[4:5], off offset:32
	s_waitcnt vmcnt(1)
	ds_write_b64 v1, v[2:3]
.LBB121_353:
	s_or_b64 exec, exec, s[0:1]
	s_waitcnt lgkmcnt(0)
	; wave barrier
	scratch_load_dwordx4 v[6:9], off, off offset:40
	scratch_load_dwordx4 v[14:17], off, off offset:56
	scratch_load_dwordx4 v[22:25], off, off offset:72
	scratch_load_dwordx4 v[30:33], off, off offset:88
	scratch_load_dwordx4 v[38:41], off, off offset:104
	scratch_load_dwordx4 v[46:49], off, off offset:120
	scratch_load_dwordx4 v[54:57], off, off offset:136
	scratch_load_dwordx4 v[62:65], off, off offset:152
	scratch_load_dwordx4 v[70:73], off, off offset:168
	scratch_load_dwordx4 v[78:81], off, off offset:184
	v_mov_b32_e32 v162, 0
	ds_read2_b64 v[2:5], v162 offset0:63 offset1:64
	scratch_load_dwordx4 v[86:89], off, off offset:200
	scratch_load_dwordx4 v[94:97], off, off offset:216
	;; [unrolled: 1-line block ×13, first 2 shown]
	v_cmp_lt_u32_e32 vcc, 3, v0
	s_waitcnt vmcnt(22) lgkmcnt(0)
	v_mul_f32_e32 v10, v2, v7
	v_fmac_f32_e32 v10, v3, v6
	v_mul_f32_e32 v11, v4, v9
	v_add_f32_e32 v10, 0, v10
	v_fmac_f32_e32 v11, v5, v8
	v_add_f32_e32 v18, v10, v11
	ds_read2_b64 v[10:13], v162 offset0:65 offset1:66
	v_mul_f32_e32 v3, v3, v7
	v_fma_f32 v2, v2, v6, -v3
	v_mul_f32_e32 v3, v5, v9
	v_add_f32_e32 v2, 0, v2
	s_waitcnt vmcnt(21) lgkmcnt(0)
	v_mul_f32_e32 v19, v10, v15
	v_fmac_f32_e32 v19, v11, v14
	v_add_f32_e32 v18, v18, v19
	v_mul_f32_e32 v19, v12, v17
	v_fmac_f32_e32 v19, v13, v16
	v_add_f32_e32 v26, v18, v19
	ds_read2_b64 v[18:21], v162 offset0:67 offset1:68
	v_fma_f32 v3, v4, v8, -v3
	v_add_f32_e32 v2, v2, v3
	v_mul_f32_e32 v3, v11, v15
	v_fma_f32 v3, v10, v14, -v3
	s_waitcnt vmcnt(20) lgkmcnt(0)
	v_mul_f32_e32 v27, v18, v23
	v_fmac_f32_e32 v27, v19, v22
	v_add_f32_e32 v26, v26, v27
	v_mul_f32_e32 v27, v20, v25
	v_fmac_f32_e32 v27, v21, v24
	v_add_f32_e32 v34, v26, v27
	ds_read2_b64 v[26:29], v162 offset0:69 offset1:70
	v_add_f32_e32 v2, v2, v3
	v_mul_f32_e32 v3, v13, v17
	v_fma_f32 v3, v12, v16, -v3
	v_add_f32_e32 v2, v2, v3
	s_waitcnt vmcnt(19) lgkmcnt(0)
	v_mul_f32_e32 v35, v26, v31
	v_fmac_f32_e32 v35, v27, v30
	v_add_f32_e32 v34, v34, v35
	v_mul_f32_e32 v35, v28, v33
	v_fmac_f32_e32 v35, v29, v32
	v_add_f32_e32 v42, v34, v35
	ds_read2_b64 v[34:37], v162 offset0:71 offset1:72
	v_mul_f32_e32 v3, v19, v23
	v_fma_f32 v3, v18, v22, -v3
	v_add_f32_e32 v2, v2, v3
	v_mul_f32_e32 v3, v21, v25
	s_waitcnt vmcnt(18) lgkmcnt(0)
	v_mul_f32_e32 v43, v34, v39
	v_fmac_f32_e32 v43, v35, v38
	v_add_f32_e32 v42, v42, v43
	v_mul_f32_e32 v43, v36, v41
	v_fmac_f32_e32 v43, v37, v40
	v_add_f32_e32 v50, v42, v43
	ds_read2_b64 v[42:45], v162 offset0:73 offset1:74
	v_fma_f32 v3, v20, v24, -v3
	v_add_f32_e32 v2, v2, v3
	v_mul_f32_e32 v3, v27, v31
	v_fma_f32 v3, v26, v30, -v3
	s_waitcnt vmcnt(17) lgkmcnt(0)
	v_mul_f32_e32 v51, v42, v47
	v_fmac_f32_e32 v51, v43, v46
	v_add_f32_e32 v50, v50, v51
	v_mul_f32_e32 v51, v44, v49
	v_fmac_f32_e32 v51, v45, v48
	v_add_f32_e32 v58, v50, v51
	ds_read2_b64 v[50:53], v162 offset0:75 offset1:76
	v_add_f32_e32 v2, v2, v3
	v_mul_f32_e32 v3, v29, v33
	v_fma_f32 v3, v28, v32, -v3
	v_add_f32_e32 v2, v2, v3
	s_waitcnt vmcnt(16) lgkmcnt(0)
	v_mul_f32_e32 v59, v50, v55
	v_fmac_f32_e32 v59, v51, v54
	v_add_f32_e32 v58, v58, v59
	v_mul_f32_e32 v59, v52, v57
	v_fmac_f32_e32 v59, v53, v56
	v_add_f32_e32 v66, v58, v59
	ds_read2_b64 v[58:61], v162 offset0:77 offset1:78
	v_mul_f32_e32 v3, v35, v39
	v_fma_f32 v3, v34, v38, -v3
	v_add_f32_e32 v2, v2, v3
	v_mul_f32_e32 v3, v37, v41
	;; [unrolled: 36-line block ×6, first 2 shown]
	s_waitcnt vmcnt(3) lgkmcnt(0)
	v_mul_f32_e32 v176, v168, v173
	v_fmac_f32_e32 v176, v169, v172
	v_add_f32_e32 v163, v163, v176
	v_mul_f32_e32 v176, v170, v175
	v_fmac_f32_e32 v176, v171, v174
	v_add_f32_e32 v163, v163, v176
	ds_read2_b64 v[176:179], v162 offset0:103 offset1:104
	v_fma_f32 v3, v100, v104, -v3
	v_add_f32_e32 v2, v2, v3
	v_mul_f32_e32 v3, v107, v111
	v_fma_f32 v3, v106, v110, -v3
	s_waitcnt vmcnt(2) lgkmcnt(0)
	v_mul_f32_e32 v184, v176, v181
	v_fmac_f32_e32 v184, v177, v180
	v_add_f32_e32 v163, v163, v184
	v_mul_f32_e32 v184, v178, v183
	v_fmac_f32_e32 v184, v179, v182
	v_add_f32_e32 v163, v163, v184
	ds_read2_b64 v[184:187], v162 offset0:105 offset1:106
	v_add_f32_e32 v2, v2, v3
	v_mul_f32_e32 v3, v109, v113
	v_fma_f32 v3, v108, v112, -v3
	v_add_f32_e32 v2, v2, v3
	s_waitcnt vmcnt(1) lgkmcnt(0)
	v_mul_f32_e32 v192, v184, v189
	v_fmac_f32_e32 v192, v185, v188
	v_add_f32_e32 v213, v163, v192
	ds_read2_b64 v[192:195], v162 offset0:107 offset1:108
	scratch_load_dwordx4 v[200:203], off, off offset:408
	scratch_load_dwordx4 v[204:207], off, off offset:424
	;; [unrolled: 1-line block ×3, first 2 shown]
	scratch_load_dwordx2 v[218:219], off, off offset:456
	v_mul_f32_e32 v3, v115, v119
	v_fma_f32 v3, v114, v118, -v3
	v_add_f32_e32 v2, v2, v3
	v_mul_f32_e32 v3, v117, v121
	v_fma_f32 v3, v116, v120, -v3
	v_add_f32_e32 v2, v2, v3
	;; [unrolled: 3-line block ×15, first 2 shown]
	v_mul_f32_e32 v2, v187, v191
	v_mul_f32_e32 v215, v186, v191
	v_fma_f32 v214, v186, v190, -v2
	s_waitcnt vmcnt(4) lgkmcnt(0)
	v_mul_f32_e32 v2, v193, v197
	v_mov_b32_e32 v18, v199
	v_fmac_f32_e32 v215, v187, v190
	v_mul_f32_e32 v217, v192, v197
	v_fma_f32 v216, v192, v196, -v2
	ds_read2_b64 v[2:5], v162 offset0:109 offset1:110
	ds_read2_b64 v[6:9], v162 offset0:111 offset1:112
	ds_read2_b64 v[10:13], v162 offset0:113 offset1:114
	ds_read_b64 v[14:15], v162 offset:920
	v_pk_mul_f32 v[18:19], v[194:195], v[18:19] op_sel:[1,0] op_sel_hi:[0,0]
	v_fmac_f32_e32 v217, v193, v196
	v_pk_add_f32 v[16:17], v[212:213], v[214:215]
	v_pk_fma_f32 v[20:21], v[194:195], v[198:199], v[18:19] neg_lo:[0,0,1] neg_hi:[0,0,1]
	v_pk_fma_f32 v[18:19], v[194:195], v[198:199], v[18:19] op_sel_hi:[1,0,1]
	v_pk_add_f32 v[16:17], v[16:17], v[216:217]
	v_mov_b32_e32 v21, v19
	v_pk_add_f32 v[16:17], v[16:17], v[20:21]
	s_waitcnt vmcnt(3) lgkmcnt(3)
	v_pk_mul_f32 v[18:19], v[2:3], v[200:201] op_sel:[1,1] op_sel_hi:[0,1]
	v_pk_fma_f32 v[20:21], v[2:3], v[200:201], v[18:19] neg_lo:[0,0,1] neg_hi:[0,0,1]
	v_pk_fma_f32 v[2:3], v[2:3], v[200:201], v[18:19] op_sel_hi:[1,0,1]
	s_nop 0
	v_mov_b32_e32 v21, v3
	v_pk_add_f32 v[2:3], v[16:17], v[20:21]
	v_mov_b32_e32 v16, v203
	v_pk_mul_f32 v[16:17], v[4:5], v[16:17] op_sel:[1,0] op_sel_hi:[0,0]
	v_pk_fma_f32 v[18:19], v[4:5], v[202:203], v[16:17] neg_lo:[0,0,1] neg_hi:[0,0,1]
	v_pk_fma_f32 v[4:5], v[4:5], v[202:203], v[16:17] op_sel_hi:[1,0,1]
	s_nop 0
	v_mov_b32_e32 v19, v5
	s_waitcnt vmcnt(2) lgkmcnt(2)
	v_pk_mul_f32 v[4:5], v[6:7], v[204:205] op_sel:[1,1] op_sel_hi:[0,1]
	v_pk_fma_f32 v[16:17], v[6:7], v[204:205], v[4:5] neg_lo:[0,0,1] neg_hi:[0,0,1]
	v_pk_fma_f32 v[4:5], v[6:7], v[204:205], v[4:5] op_sel_hi:[1,0,1]
	v_pk_add_f32 v[2:3], v[2:3], v[18:19]
	v_mov_b32_e32 v4, v207
	v_mov_b32_e32 v17, v5
	v_pk_mul_f32 v[4:5], v[8:9], v[4:5] op_sel:[1,0] op_sel_hi:[0,0]
	v_pk_fma_f32 v[6:7], v[8:9], v[206:207], v[4:5] neg_lo:[0,0,1] neg_hi:[0,0,1]
	v_pk_fma_f32 v[4:5], v[8:9], v[206:207], v[4:5] op_sel_hi:[1,0,1]
	v_pk_add_f32 v[2:3], v[2:3], v[16:17]
	v_mov_b32_e32 v7, v5
	s_waitcnt vmcnt(1) lgkmcnt(1)
	v_pk_mul_f32 v[4:5], v[10:11], v[208:209] op_sel:[1,1] op_sel_hi:[0,1]
	v_pk_add_f32 v[2:3], v[2:3], v[6:7]
	v_pk_fma_f32 v[6:7], v[10:11], v[208:209], v[4:5] neg_lo:[0,0,1] neg_hi:[0,0,1]
	v_pk_fma_f32 v[4:5], v[10:11], v[208:209], v[4:5] op_sel_hi:[1,0,1]
	s_nop 0
	v_mov_b32_e32 v4, v211
	v_mov_b32_e32 v7, v5
	v_pk_mul_f32 v[4:5], v[12:13], v[4:5] op_sel:[1,0] op_sel_hi:[0,0]
	v_pk_add_f32 v[2:3], v[2:3], v[6:7]
	v_pk_fma_f32 v[6:7], v[12:13], v[210:211], v[4:5] neg_lo:[0,0,1] neg_hi:[0,0,1]
	v_pk_fma_f32 v[4:5], v[12:13], v[210:211], v[4:5] op_sel_hi:[1,0,1]
	s_nop 0
	v_mov_b32_e32 v7, v5
	s_waitcnt vmcnt(0) lgkmcnt(0)
	v_pk_mul_f32 v[4:5], v[14:15], v[218:219] op_sel:[1,1] op_sel_hi:[0,1]
	v_pk_add_f32 v[2:3], v[2:3], v[6:7]
	v_pk_fma_f32 v[6:7], v[14:15], v[218:219], v[4:5] neg_lo:[0,0,1] neg_hi:[0,0,1]
	v_pk_fma_f32 v[4:5], v[14:15], v[218:219], v[4:5] op_sel_hi:[1,0,1]
	s_nop 0
	v_mov_b32_e32 v7, v5
	scratch_load_dwordx2 v[4:5], off, off offset:32
	v_pk_add_f32 v[2:3], v[2:3], v[6:7]
	s_waitcnt vmcnt(0)
	v_pk_add_f32 v[2:3], v[4:5], v[2:3] neg_lo:[0,1] neg_hi:[0,1]
	scratch_store_dwordx2 off, v[2:3], off offset:32
	s_and_saveexec_b64 s[0:1], vcc
	s_cbranch_execz .LBB121_355
; %bb.354:
	scratch_load_dwordx2 v[2:3], off, off offset:24
	v_mov_b32_e32 v163, v162
	scratch_store_dwordx2 off, v[162:163], off offset:24
	s_waitcnt vmcnt(1)
	ds_write_b64 v1, v[2:3]
.LBB121_355:
	s_or_b64 exec, exec, s[0:1]
	s_waitcnt lgkmcnt(0)
	; wave barrier
	ds_read_b128 v[14:17], v162 offset:496
	ds_read_b128 v[10:13], v162 offset:512
	;; [unrolled: 1-line block ×4, first 2 shown]
	scratch_load_dwordx4 v[18:21], off, off offset:32
	scratch_load_dwordx4 v[38:41], off, off offset:96
	;; [unrolled: 1-line block ×17, first 2 shown]
	v_cmp_lt_u32_e32 vcc, 2, v0
	scratch_load_dwordx4 v[46:49], off, off offset:112
	scratch_load_dwordx4 v[54:57], off, off offset:128
	;; [unrolled: 1-line block ×3, first 2 shown]
	s_waitcnt vmcnt(19) lgkmcnt(3)
	v_mul_f32_e32 v22, v14, v19
	v_fmac_f32_e32 v22, v15, v18
	v_mul_f32_e32 v23, v16, v21
	v_add_f32_e32 v22, 0, v22
	v_fmac_f32_e32 v23, v17, v20
	v_add_f32_e32 v26, v22, v23
	scratch_load_dwordx4 v[22:25], off, off offset:48
	v_mul_f32_e32 v15, v15, v19
	v_fma_f32 v14, v14, v18, -v15
	v_mul_f32_e32 v15, v17, v21
	v_add_f32_e32 v14, 0, v14
	v_fma_f32 v15, v16, v20, -v15
	v_add_f32_e32 v14, v14, v15
	s_waitcnt vmcnt(0) lgkmcnt(2)
	v_mul_f32_e32 v27, v10, v23
	v_fmac_f32_e32 v27, v11, v22
	v_add_f32_e32 v26, v26, v27
	v_mul_f32_e32 v27, v12, v25
	v_fmac_f32_e32 v27, v13, v24
	v_add_f32_e32 v30, v26, v27
	scratch_load_dwordx4 v[26:29], off, off offset:64
	v_mul_f32_e32 v11, v11, v23
	v_fma_f32 v10, v10, v22, -v11
	v_mul_f32_e32 v11, v13, v25
	v_add_f32_e32 v10, v14, v10
	v_fma_f32 v11, v12, v24, -v11
	v_add_f32_e32 v10, v10, v11
	s_waitcnt vmcnt(0) lgkmcnt(1)
	v_mul_f32_e32 v31, v6, v27
	v_fmac_f32_e32 v31, v7, v26
	v_add_f32_e32 v30, v30, v31
	v_mul_f32_e32 v31, v8, v29
	;; [unrolled: 14-line block ×3, first 2 shown]
	v_fmac_f32_e32 v35, v5, v32
	v_add_f32_e32 v42, v34, v35
	ds_read_b128 v[34:37], v162 offset:560
	v_mul_f32_e32 v3, v3, v31
	v_fma_f32 v2, v2, v30, -v3
	v_mul_f32_e32 v3, v5, v33
	v_add_f32_e32 v2, v6, v2
	s_waitcnt lgkmcnt(0)
	v_mul_f32_e32 v43, v34, v39
	v_fmac_f32_e32 v43, v35, v38
	v_add_f32_e32 v42, v42, v43
	v_mul_f32_e32 v43, v36, v41
	v_fmac_f32_e32 v43, v37, v40
	v_add_f32_e32 v50, v42, v43
	ds_read_b128 v[42:45], v162 offset:576
	v_fma_f32 v3, v4, v32, -v3
	v_add_f32_e32 v2, v2, v3
	v_mul_f32_e32 v3, v35, v39
	v_fma_f32 v3, v34, v38, -v3
	s_waitcnt lgkmcnt(0)
	v_mul_f32_e32 v51, v42, v47
	v_fmac_f32_e32 v51, v43, v46
	v_add_f32_e32 v50, v50, v51
	v_mul_f32_e32 v51, v44, v49
	v_fmac_f32_e32 v51, v45, v48
	v_add_f32_e32 v58, v50, v51
	ds_read_b128 v[50:53], v162 offset:592
	v_add_f32_e32 v2, v2, v3
	v_mul_f32_e32 v3, v37, v41
	v_fma_f32 v3, v36, v40, -v3
	v_add_f32_e32 v2, v2, v3
	s_waitcnt lgkmcnt(0)
	v_mul_f32_e32 v59, v50, v55
	v_fmac_f32_e32 v59, v51, v54
	v_add_f32_e32 v58, v58, v59
	v_mul_f32_e32 v59, v52, v57
	v_fmac_f32_e32 v59, v53, v56
	v_add_f32_e32 v66, v58, v59
	ds_read_b128 v[58:61], v162 offset:608
	v_mul_f32_e32 v3, v43, v47
	v_fma_f32 v3, v42, v46, -v3
	v_add_f32_e32 v2, v2, v3
	v_mul_f32_e32 v3, v45, v49
	s_waitcnt lgkmcnt(0)
	v_mul_f32_e32 v67, v58, v63
	v_fmac_f32_e32 v67, v59, v62
	v_add_f32_e32 v66, v66, v67
	v_mul_f32_e32 v67, v60, v65
	v_fmac_f32_e32 v67, v61, v64
	v_add_f32_e32 v74, v66, v67
	ds_read_b128 v[66:69], v162 offset:624
	v_fma_f32 v3, v44, v48, -v3
	v_add_f32_e32 v2, v2, v3
	v_mul_f32_e32 v3, v51, v55
	v_fma_f32 v3, v50, v54, -v3
	s_waitcnt lgkmcnt(0)
	v_mul_f32_e32 v75, v66, v71
	v_fmac_f32_e32 v75, v67, v70
	v_add_f32_e32 v74, v74, v75
	v_mul_f32_e32 v75, v68, v73
	v_fmac_f32_e32 v75, v69, v72
	v_add_f32_e32 v82, v74, v75
	ds_read_b128 v[74:77], v162 offset:640
	v_add_f32_e32 v2, v2, v3
	v_mul_f32_e32 v3, v53, v57
	v_fma_f32 v3, v52, v56, -v3
	v_add_f32_e32 v2, v2, v3
	s_waitcnt lgkmcnt(0)
	v_mul_f32_e32 v83, v74, v79
	v_fmac_f32_e32 v83, v75, v78
	v_add_f32_e32 v82, v82, v83
	v_mul_f32_e32 v83, v76, v81
	v_fmac_f32_e32 v83, v77, v80
	v_add_f32_e32 v90, v82, v83
	ds_read_b128 v[82:85], v162 offset:656
	v_mul_f32_e32 v3, v59, v63
	v_fma_f32 v3, v58, v62, -v3
	v_add_f32_e32 v2, v2, v3
	v_mul_f32_e32 v3, v61, v65
	;; [unrolled: 36-line block ×5, first 2 shown]
	s_waitcnt lgkmcnt(0)
	v_mul_f32_e32 v176, v168, v173
	v_fmac_f32_e32 v176, v169, v172
	v_add_f32_e32 v163, v163, v176
	v_mul_f32_e32 v176, v170, v175
	v_fmac_f32_e32 v176, v171, v174
	v_add_f32_e32 v163, v163, v176
	ds_read_b128 v[176:179], v162 offset:816
	v_fma_f32 v3, v108, v112, -v3
	v_add_f32_e32 v2, v2, v3
	v_mul_f32_e32 v3, v115, v119
	v_fma_f32 v3, v114, v118, -v3
	s_waitcnt lgkmcnt(0)
	v_mul_f32_e32 v184, v176, v181
	v_fmac_f32_e32 v184, v177, v180
	v_add_f32_e32 v163, v163, v184
	v_mul_f32_e32 v184, v178, v183
	v_fmac_f32_e32 v184, v179, v182
	v_add_f32_e32 v163, v163, v184
	ds_read_b128 v[184:187], v162 offset:832
	v_add_f32_e32 v2, v2, v3
	v_mul_f32_e32 v3, v117, v121
	v_fma_f32 v3, v116, v120, -v3
	v_add_f32_e32 v2, v2, v3
	s_waitcnt lgkmcnt(0)
	v_mul_f32_e32 v192, v184, v189
	v_fmac_f32_e32 v192, v185, v188
	v_add_f32_e32 v163, v163, v192
	v_mul_f32_e32 v192, v186, v191
	v_fmac_f32_e32 v192, v187, v190
	v_add_f32_e32 v217, v163, v192
	ds_read_b128 v[192:195], v162 offset:848
	scratch_load_dwordx4 v[200:203], off, off offset:400
	scratch_load_dwordx4 v[204:207], off, off offset:416
	;; [unrolled: 1-line block ×4, first 2 shown]
	v_mul_f32_e32 v3, v123, v127
	v_fma_f32 v3, v122, v126, -v3
	v_add_f32_e32 v2, v2, v3
	v_mul_f32_e32 v3, v125, v129
	v_fma_f32 v3, v124, v128, -v3
	v_add_f32_e32 v2, v2, v3
	;; [unrolled: 3-line block ×14, first 2 shown]
	s_waitcnt lgkmcnt(0)
	v_mul_f32_e32 v2, v193, v197
	v_fma_f32 v218, v192, v196, -v2
	v_mul_f32_e32 v2, v195, v199
	v_fma_f32 v220, v194, v198, -v2
	ds_read_b128 v[2:5], v162 offset:864
	ds_read_b128 v[6:9], v162 offset:880
	ds_read_b128 v[10:13], v162 offset:896
	ds_read_b128 v[14:17], v162 offset:912
	v_mul_f32_e32 v219, v192, v197
	v_fmac_f32_e32 v219, v193, v196
	v_mul_f32_e32 v221, v194, v199
	v_fmac_f32_e32 v221, v195, v198
	v_pk_add_f32 v[18:19], v[216:217], v[218:219]
	s_waitcnt vmcnt(3) lgkmcnt(3)
	v_pk_mul_f32 v[20:21], v[2:3], v[200:201] op_sel:[1,1] op_sel_hi:[0,1]
	v_pk_fma_f32 v[22:23], v[2:3], v[200:201], v[20:21] neg_lo:[0,0,1] neg_hi:[0,0,1]
	v_pk_fma_f32 v[2:3], v[2:3], v[200:201], v[20:21] op_sel_hi:[1,0,1]
	v_pk_add_f32 v[18:19], v[18:19], v[220:221]
	v_mov_b32_e32 v23, v3
	v_pk_add_f32 v[2:3], v[18:19], v[22:23]
	v_mov_b32_e32 v18, v203
	v_pk_mul_f32 v[18:19], v[4:5], v[18:19] op_sel:[1,0] op_sel_hi:[0,0]
	v_pk_fma_f32 v[20:21], v[4:5], v[202:203], v[18:19] neg_lo:[0,0,1] neg_hi:[0,0,1]
	v_pk_fma_f32 v[4:5], v[4:5], v[202:203], v[18:19] op_sel_hi:[1,0,1]
	s_nop 0
	v_mov_b32_e32 v21, v5
	s_waitcnt vmcnt(2) lgkmcnt(2)
	v_pk_mul_f32 v[4:5], v[6:7], v[204:205] op_sel:[1,1] op_sel_hi:[0,1]
	v_pk_fma_f32 v[18:19], v[6:7], v[204:205], v[4:5] neg_lo:[0,0,1] neg_hi:[0,0,1]
	v_pk_fma_f32 v[4:5], v[6:7], v[204:205], v[4:5] op_sel_hi:[1,0,1]
	v_pk_add_f32 v[2:3], v[2:3], v[20:21]
	v_mov_b32_e32 v4, v207
	v_mov_b32_e32 v19, v5
	v_pk_mul_f32 v[4:5], v[8:9], v[4:5] op_sel:[1,0] op_sel_hi:[0,0]
	v_pk_fma_f32 v[6:7], v[8:9], v[206:207], v[4:5] neg_lo:[0,0,1] neg_hi:[0,0,1]
	v_pk_fma_f32 v[4:5], v[8:9], v[206:207], v[4:5] op_sel_hi:[1,0,1]
	v_pk_add_f32 v[2:3], v[2:3], v[18:19]
	v_mov_b32_e32 v7, v5
	s_waitcnt vmcnt(1) lgkmcnt(1)
	v_pk_mul_f32 v[4:5], v[10:11], v[208:209] op_sel:[1,1] op_sel_hi:[0,1]
	v_pk_add_f32 v[2:3], v[2:3], v[6:7]
	v_pk_fma_f32 v[6:7], v[10:11], v[208:209], v[4:5] neg_lo:[0,0,1] neg_hi:[0,0,1]
	v_pk_fma_f32 v[4:5], v[10:11], v[208:209], v[4:5] op_sel_hi:[1,0,1]
	s_nop 0
	v_mov_b32_e32 v4, v211
	v_mov_b32_e32 v7, v5
	v_pk_mul_f32 v[4:5], v[12:13], v[4:5] op_sel:[1,0] op_sel_hi:[0,0]
	v_pk_add_f32 v[2:3], v[2:3], v[6:7]
	v_pk_fma_f32 v[6:7], v[12:13], v[210:211], v[4:5] neg_lo:[0,0,1] neg_hi:[0,0,1]
	v_pk_fma_f32 v[4:5], v[12:13], v[210:211], v[4:5] op_sel_hi:[1,0,1]
	s_nop 0
	v_mov_b32_e32 v7, v5
	s_waitcnt vmcnt(0) lgkmcnt(0)
	v_pk_mul_f32 v[4:5], v[14:15], v[212:213] op_sel:[1,1] op_sel_hi:[0,1]
	v_pk_add_f32 v[2:3], v[2:3], v[6:7]
	v_pk_fma_f32 v[6:7], v[14:15], v[212:213], v[4:5] neg_lo:[0,0,1] neg_hi:[0,0,1]
	v_pk_fma_f32 v[4:5], v[14:15], v[212:213], v[4:5] op_sel_hi:[1,0,1]
	s_nop 0
	v_mov_b32_e32 v4, v215
	v_mov_b32_e32 v7, v5
	v_pk_mul_f32 v[4:5], v[16:17], v[4:5] op_sel:[1,0] op_sel_hi:[0,0]
	v_pk_add_f32 v[2:3], v[2:3], v[6:7]
	v_pk_fma_f32 v[6:7], v[16:17], v[214:215], v[4:5] neg_lo:[0,0,1] neg_hi:[0,0,1]
	v_pk_fma_f32 v[4:5], v[16:17], v[214:215], v[4:5] op_sel_hi:[1,0,1]
	s_nop 0
	v_mov_b32_e32 v7, v5
	scratch_load_dwordx2 v[4:5], off, off offset:24
	v_pk_add_f32 v[2:3], v[2:3], v[6:7]
	s_waitcnt vmcnt(0)
	v_pk_add_f32 v[2:3], v[4:5], v[2:3] neg_lo:[0,1] neg_hi:[0,1]
	scratch_store_dwordx2 off, v[2:3], off offset:24
	s_and_saveexec_b64 s[0:1], vcc
	s_cbranch_execz .LBB121_357
; %bb.356:
	scratch_load_dwordx2 v[2:3], off, off offset:16
	v_mov_b32_e32 v4, 0
	v_mov_b32_e32 v5, v4
	scratch_store_dwordx2 off, v[4:5], off offset:16
	s_waitcnt vmcnt(1)
	ds_write_b64 v1, v[2:3]
.LBB121_357:
	s_or_b64 exec, exec, s[0:1]
	s_waitcnt lgkmcnt(0)
	; wave barrier
	scratch_load_dwordx4 v[6:9], off, off offset:24
	scratch_load_dwordx4 v[14:17], off, off offset:40
	;; [unrolled: 1-line block ×10, first 2 shown]
	v_mov_b32_e32 v162, 0
	ds_read2_b64 v[2:5], v162 offset0:61 offset1:62
	scratch_load_dwordx4 v[86:89], off, off offset:184
	scratch_load_dwordx4 v[94:97], off, off offset:200
	;; [unrolled: 1-line block ×14, first 2 shown]
	v_cmp_lt_u32_e32 vcc, 1, v0
	s_waitcnt vmcnt(23) lgkmcnt(0)
	v_mul_f32_e32 v10, v2, v7
	v_fmac_f32_e32 v10, v3, v6
	v_mul_f32_e32 v11, v4, v9
	v_add_f32_e32 v10, 0, v10
	v_fmac_f32_e32 v11, v5, v8
	v_add_f32_e32 v18, v10, v11
	ds_read2_b64 v[10:13], v162 offset0:63 offset1:64
	v_mul_f32_e32 v3, v3, v7
	v_fma_f32 v2, v2, v6, -v3
	v_mul_f32_e32 v3, v5, v9
	v_add_f32_e32 v2, 0, v2
	s_waitcnt vmcnt(22) lgkmcnt(0)
	v_mul_f32_e32 v19, v10, v15
	v_fmac_f32_e32 v19, v11, v14
	v_add_f32_e32 v18, v18, v19
	v_mul_f32_e32 v19, v12, v17
	v_fmac_f32_e32 v19, v13, v16
	v_add_f32_e32 v26, v18, v19
	ds_read2_b64 v[18:21], v162 offset0:65 offset1:66
	v_fma_f32 v3, v4, v8, -v3
	v_add_f32_e32 v2, v2, v3
	v_mul_f32_e32 v3, v11, v15
	v_fma_f32 v3, v10, v14, -v3
	s_waitcnt vmcnt(21) lgkmcnt(0)
	v_mul_f32_e32 v27, v18, v23
	v_fmac_f32_e32 v27, v19, v22
	v_add_f32_e32 v26, v26, v27
	v_mul_f32_e32 v27, v20, v25
	v_fmac_f32_e32 v27, v21, v24
	v_add_f32_e32 v34, v26, v27
	ds_read2_b64 v[26:29], v162 offset0:67 offset1:68
	v_add_f32_e32 v2, v2, v3
	v_mul_f32_e32 v3, v13, v17
	v_fma_f32 v3, v12, v16, -v3
	v_add_f32_e32 v2, v2, v3
	s_waitcnt vmcnt(20) lgkmcnt(0)
	v_mul_f32_e32 v35, v26, v31
	v_fmac_f32_e32 v35, v27, v30
	v_add_f32_e32 v34, v34, v35
	v_mul_f32_e32 v35, v28, v33
	v_fmac_f32_e32 v35, v29, v32
	v_add_f32_e32 v42, v34, v35
	ds_read2_b64 v[34:37], v162 offset0:69 offset1:70
	v_mul_f32_e32 v3, v19, v23
	v_fma_f32 v3, v18, v22, -v3
	v_add_f32_e32 v2, v2, v3
	v_mul_f32_e32 v3, v21, v25
	s_waitcnt vmcnt(19) lgkmcnt(0)
	v_mul_f32_e32 v43, v34, v39
	v_fmac_f32_e32 v43, v35, v38
	v_add_f32_e32 v42, v42, v43
	v_mul_f32_e32 v43, v36, v41
	v_fmac_f32_e32 v43, v37, v40
	v_add_f32_e32 v50, v42, v43
	ds_read2_b64 v[42:45], v162 offset0:71 offset1:72
	v_fma_f32 v3, v20, v24, -v3
	v_add_f32_e32 v2, v2, v3
	v_mul_f32_e32 v3, v27, v31
	v_fma_f32 v3, v26, v30, -v3
	s_waitcnt vmcnt(18) lgkmcnt(0)
	v_mul_f32_e32 v51, v42, v47
	v_fmac_f32_e32 v51, v43, v46
	v_add_f32_e32 v50, v50, v51
	v_mul_f32_e32 v51, v44, v49
	v_fmac_f32_e32 v51, v45, v48
	v_add_f32_e32 v58, v50, v51
	ds_read2_b64 v[50:53], v162 offset0:73 offset1:74
	v_add_f32_e32 v2, v2, v3
	v_mul_f32_e32 v3, v29, v33
	v_fma_f32 v3, v28, v32, -v3
	v_add_f32_e32 v2, v2, v3
	s_waitcnt vmcnt(17) lgkmcnt(0)
	v_mul_f32_e32 v59, v50, v55
	v_fmac_f32_e32 v59, v51, v54
	v_add_f32_e32 v58, v58, v59
	v_mul_f32_e32 v59, v52, v57
	v_fmac_f32_e32 v59, v53, v56
	v_add_f32_e32 v66, v58, v59
	ds_read2_b64 v[58:61], v162 offset0:75 offset1:76
	v_mul_f32_e32 v3, v35, v39
	v_fma_f32 v3, v34, v38, -v3
	v_add_f32_e32 v2, v2, v3
	v_mul_f32_e32 v3, v37, v41
	;; [unrolled: 36-line block ×7, first 2 shown]
	s_waitcnt vmcnt(1) lgkmcnt(0)
	v_mul_f32_e32 v200, v192, v197
	v_fmac_f32_e32 v200, v193, v196
	v_add_f32_e32 v221, v163, v200
	ds_read2_b64 v[200:203], v162 offset0:107 offset1:108
	scratch_load_dwordx4 v[208:211], off, off offset:408
	scratch_load_dwordx4 v[212:215], off, off offset:424
	;; [unrolled: 1-line block ×3, first 2 shown]
	scratch_load_dwordx2 v[226:227], off, off offset:456
	v_fma_f32 v3, v116, v120, -v3
	v_add_f32_e32 v2, v2, v3
	v_mul_f32_e32 v3, v123, v127
	v_fma_f32 v3, v122, v126, -v3
	v_add_f32_e32 v2, v2, v3
	v_mul_f32_e32 v3, v125, v129
	;; [unrolled: 3-line block ×16, first 2 shown]
	v_mul_f32_e32 v223, v194, v199
	v_fma_f32 v222, v194, v198, -v2
	s_waitcnt vmcnt(4) lgkmcnt(0)
	v_mul_f32_e32 v2, v201, v205
	v_mov_b32_e32 v18, v207
	v_fmac_f32_e32 v223, v195, v198
	v_mul_f32_e32 v225, v200, v205
	v_fma_f32 v224, v200, v204, -v2
	ds_read2_b64 v[2:5], v162 offset0:109 offset1:110
	ds_read2_b64 v[6:9], v162 offset0:111 offset1:112
	;; [unrolled: 1-line block ×3, first 2 shown]
	ds_read_b64 v[14:15], v162 offset:920
	v_pk_mul_f32 v[18:19], v[202:203], v[18:19] op_sel:[1,0] op_sel_hi:[0,0]
	v_fmac_f32_e32 v225, v201, v204
	v_pk_add_f32 v[16:17], v[220:221], v[222:223]
	v_pk_fma_f32 v[20:21], v[202:203], v[206:207], v[18:19] neg_lo:[0,0,1] neg_hi:[0,0,1]
	v_pk_fma_f32 v[18:19], v[202:203], v[206:207], v[18:19] op_sel_hi:[1,0,1]
	v_pk_add_f32 v[16:17], v[16:17], v[224:225]
	v_mov_b32_e32 v21, v19
	v_pk_add_f32 v[16:17], v[16:17], v[20:21]
	s_waitcnt vmcnt(3) lgkmcnt(3)
	v_pk_mul_f32 v[18:19], v[2:3], v[208:209] op_sel:[1,1] op_sel_hi:[0,1]
	v_pk_fma_f32 v[20:21], v[2:3], v[208:209], v[18:19] neg_lo:[0,0,1] neg_hi:[0,0,1]
	v_pk_fma_f32 v[2:3], v[2:3], v[208:209], v[18:19] op_sel_hi:[1,0,1]
	s_nop 0
	v_mov_b32_e32 v21, v3
	v_pk_add_f32 v[2:3], v[16:17], v[20:21]
	v_mov_b32_e32 v16, v211
	v_pk_mul_f32 v[16:17], v[4:5], v[16:17] op_sel:[1,0] op_sel_hi:[0,0]
	v_pk_fma_f32 v[18:19], v[4:5], v[210:211], v[16:17] neg_lo:[0,0,1] neg_hi:[0,0,1]
	v_pk_fma_f32 v[4:5], v[4:5], v[210:211], v[16:17] op_sel_hi:[1,0,1]
	s_nop 0
	v_mov_b32_e32 v19, v5
	s_waitcnt vmcnt(2) lgkmcnt(2)
	v_pk_mul_f32 v[4:5], v[6:7], v[212:213] op_sel:[1,1] op_sel_hi:[0,1]
	v_pk_fma_f32 v[16:17], v[6:7], v[212:213], v[4:5] neg_lo:[0,0,1] neg_hi:[0,0,1]
	v_pk_fma_f32 v[4:5], v[6:7], v[212:213], v[4:5] op_sel_hi:[1,0,1]
	v_pk_add_f32 v[2:3], v[2:3], v[18:19]
	v_mov_b32_e32 v4, v215
	v_mov_b32_e32 v17, v5
	v_pk_mul_f32 v[4:5], v[8:9], v[4:5] op_sel:[1,0] op_sel_hi:[0,0]
	v_pk_fma_f32 v[6:7], v[8:9], v[214:215], v[4:5] neg_lo:[0,0,1] neg_hi:[0,0,1]
	v_pk_fma_f32 v[4:5], v[8:9], v[214:215], v[4:5] op_sel_hi:[1,0,1]
	v_pk_add_f32 v[2:3], v[2:3], v[16:17]
	v_mov_b32_e32 v7, v5
	s_waitcnt vmcnt(1) lgkmcnt(1)
	v_pk_mul_f32 v[4:5], v[10:11], v[216:217] op_sel:[1,1] op_sel_hi:[0,1]
	v_pk_add_f32 v[2:3], v[2:3], v[6:7]
	v_pk_fma_f32 v[6:7], v[10:11], v[216:217], v[4:5] neg_lo:[0,0,1] neg_hi:[0,0,1]
	v_pk_fma_f32 v[4:5], v[10:11], v[216:217], v[4:5] op_sel_hi:[1,0,1]
	s_nop 0
	v_mov_b32_e32 v4, v219
	v_mov_b32_e32 v7, v5
	v_pk_mul_f32 v[4:5], v[12:13], v[4:5] op_sel:[1,0] op_sel_hi:[0,0]
	v_pk_add_f32 v[2:3], v[2:3], v[6:7]
	v_pk_fma_f32 v[6:7], v[12:13], v[218:219], v[4:5] neg_lo:[0,0,1] neg_hi:[0,0,1]
	v_pk_fma_f32 v[4:5], v[12:13], v[218:219], v[4:5] op_sel_hi:[1,0,1]
	s_nop 0
	v_mov_b32_e32 v7, v5
	s_waitcnt vmcnt(0) lgkmcnt(0)
	v_pk_mul_f32 v[4:5], v[14:15], v[226:227] op_sel:[1,1] op_sel_hi:[0,1]
	v_pk_add_f32 v[2:3], v[2:3], v[6:7]
	v_pk_fma_f32 v[6:7], v[14:15], v[226:227], v[4:5] neg_lo:[0,0,1] neg_hi:[0,0,1]
	v_pk_fma_f32 v[4:5], v[14:15], v[226:227], v[4:5] op_sel_hi:[1,0,1]
	s_nop 0
	v_mov_b32_e32 v7, v5
	scratch_load_dwordx2 v[4:5], off, off offset:16
	v_pk_add_f32 v[2:3], v[2:3], v[6:7]
	s_waitcnt vmcnt(0)
	v_pk_add_f32 v[2:3], v[4:5], v[2:3] neg_lo:[0,1] neg_hi:[0,1]
	scratch_store_dwordx2 off, v[2:3], off offset:16
	s_and_saveexec_b64 s[0:1], vcc
	s_cbranch_execz .LBB121_359
; %bb.358:
	scratch_load_dwordx2 v[2:3], off, off offset:8
	v_mov_b32_e32 v163, v162
	scratch_store_dwordx2 off, v[162:163], off offset:8
	s_waitcnt vmcnt(1)
	ds_write_b64 v1, v[2:3]
.LBB121_359:
	s_or_b64 exec, exec, s[0:1]
	s_waitcnt lgkmcnt(0)
	; wave barrier
	ds_read_b128 v[14:17], v162 offset:480
	ds_read_b128 v[10:13], v162 offset:496
	;; [unrolled: 1-line block ×4, first 2 shown]
	scratch_load_dwordx4 v[18:21], off, off offset:16
	scratch_load_dwordx4 v[38:41], off, off offset:80
	;; [unrolled: 1-line block ×18, first 2 shown]
	v_cmp_ne_u32_e32 vcc, 0, v0
	scratch_load_dwordx4 v[46:49], off, off offset:96
	scratch_load_dwordx4 v[54:57], off, off offset:112
	;; [unrolled: 1-line block ×3, first 2 shown]
	s_waitcnt vmcnt(20) lgkmcnt(3)
	v_mul_f32_e32 v22, v14, v19
	v_fmac_f32_e32 v22, v15, v18
	v_mul_f32_e32 v23, v16, v21
	v_add_f32_e32 v22, 0, v22
	v_fmac_f32_e32 v23, v17, v20
	v_add_f32_e32 v26, v22, v23
	scratch_load_dwordx4 v[22:25], off, off offset:32
	v_mul_f32_e32 v15, v15, v19
	v_fma_f32 v14, v14, v18, -v15
	v_mul_f32_e32 v15, v17, v21
	v_add_f32_e32 v14, 0, v14
	v_fma_f32 v15, v16, v20, -v15
	v_add_f32_e32 v14, v14, v15
	s_waitcnt vmcnt(0) lgkmcnt(2)
	v_mul_f32_e32 v27, v10, v23
	v_fmac_f32_e32 v27, v11, v22
	v_add_f32_e32 v26, v26, v27
	v_mul_f32_e32 v27, v12, v25
	v_fmac_f32_e32 v27, v13, v24
	v_add_f32_e32 v30, v26, v27
	scratch_load_dwordx4 v[26:29], off, off offset:48
	v_mul_f32_e32 v11, v11, v23
	v_fma_f32 v10, v10, v22, -v11
	v_mul_f32_e32 v11, v13, v25
	v_add_f32_e32 v10, v14, v10
	v_fma_f32 v11, v12, v24, -v11
	v_add_f32_e32 v10, v10, v11
	s_waitcnt vmcnt(0) lgkmcnt(1)
	v_mul_f32_e32 v31, v6, v27
	v_fmac_f32_e32 v31, v7, v26
	v_add_f32_e32 v30, v30, v31
	v_mul_f32_e32 v31, v8, v29
	;; [unrolled: 14-line block ×3, first 2 shown]
	v_fmac_f32_e32 v35, v5, v32
	v_add_f32_e32 v42, v34, v35
	ds_read_b128 v[34:37], v162 offset:544
	v_mul_f32_e32 v3, v3, v31
	v_fma_f32 v2, v2, v30, -v3
	v_mul_f32_e32 v3, v5, v33
	v_add_f32_e32 v2, v6, v2
	s_waitcnt lgkmcnt(0)
	v_mul_f32_e32 v43, v34, v39
	v_fmac_f32_e32 v43, v35, v38
	v_add_f32_e32 v42, v42, v43
	v_mul_f32_e32 v43, v36, v41
	v_fmac_f32_e32 v43, v37, v40
	v_add_f32_e32 v50, v42, v43
	ds_read_b128 v[42:45], v162 offset:560
	v_fma_f32 v3, v4, v32, -v3
	v_add_f32_e32 v2, v2, v3
	v_mul_f32_e32 v3, v35, v39
	v_fma_f32 v3, v34, v38, -v3
	s_waitcnt lgkmcnt(0)
	v_mul_f32_e32 v51, v42, v47
	v_fmac_f32_e32 v51, v43, v46
	v_add_f32_e32 v50, v50, v51
	v_mul_f32_e32 v51, v44, v49
	v_fmac_f32_e32 v51, v45, v48
	v_add_f32_e32 v58, v50, v51
	ds_read_b128 v[50:53], v162 offset:576
	v_add_f32_e32 v2, v2, v3
	v_mul_f32_e32 v3, v37, v41
	v_fma_f32 v3, v36, v40, -v3
	v_add_f32_e32 v2, v2, v3
	s_waitcnt lgkmcnt(0)
	v_mul_f32_e32 v59, v50, v55
	v_fmac_f32_e32 v59, v51, v54
	v_add_f32_e32 v58, v58, v59
	v_mul_f32_e32 v59, v52, v57
	v_fmac_f32_e32 v59, v53, v56
	v_add_f32_e32 v66, v58, v59
	ds_read_b128 v[58:61], v162 offset:592
	v_mul_f32_e32 v3, v43, v47
	v_fma_f32 v3, v42, v46, -v3
	v_add_f32_e32 v2, v2, v3
	v_mul_f32_e32 v3, v45, v49
	s_waitcnt lgkmcnt(0)
	v_mul_f32_e32 v67, v58, v63
	v_fmac_f32_e32 v67, v59, v62
	v_add_f32_e32 v66, v66, v67
	v_mul_f32_e32 v67, v60, v65
	v_fmac_f32_e32 v67, v61, v64
	v_add_f32_e32 v74, v66, v67
	ds_read_b128 v[66:69], v162 offset:608
	v_fma_f32 v3, v44, v48, -v3
	v_add_f32_e32 v2, v2, v3
	v_mul_f32_e32 v3, v51, v55
	v_fma_f32 v3, v50, v54, -v3
	s_waitcnt lgkmcnt(0)
	v_mul_f32_e32 v75, v66, v71
	v_fmac_f32_e32 v75, v67, v70
	v_add_f32_e32 v74, v74, v75
	v_mul_f32_e32 v75, v68, v73
	v_fmac_f32_e32 v75, v69, v72
	v_add_f32_e32 v82, v74, v75
	ds_read_b128 v[74:77], v162 offset:624
	v_add_f32_e32 v2, v2, v3
	v_mul_f32_e32 v3, v53, v57
	v_fma_f32 v3, v52, v56, -v3
	v_add_f32_e32 v2, v2, v3
	s_waitcnt lgkmcnt(0)
	v_mul_f32_e32 v83, v74, v79
	v_fmac_f32_e32 v83, v75, v78
	v_add_f32_e32 v82, v82, v83
	v_mul_f32_e32 v83, v76, v81
	v_fmac_f32_e32 v83, v77, v80
	v_add_f32_e32 v90, v82, v83
	ds_read_b128 v[82:85], v162 offset:640
	v_mul_f32_e32 v3, v59, v63
	v_fma_f32 v3, v58, v62, -v3
	v_add_f32_e32 v2, v2, v3
	v_mul_f32_e32 v3, v61, v65
	;; [unrolled: 36-line block ×6, first 2 shown]
	s_waitcnt lgkmcnt(0)
	v_mul_f32_e32 v200, v192, v197
	v_fmac_f32_e32 v200, v193, v196
	v_add_f32_e32 v163, v163, v200
	v_mul_f32_e32 v200, v194, v199
	v_fmac_f32_e32 v200, v195, v198
	v_add_f32_e32 v225, v163, v200
	ds_read_b128 v[200:203], v162 offset:848
	scratch_load_dwordx4 v[208:211], off, off offset:400
	scratch_load_dwordx4 v[212:215], off, off offset:416
	;; [unrolled: 1-line block ×4, first 2 shown]
	v_fma_f32 v3, v124, v128, -v3
	v_add_f32_e32 v2, v2, v3
	v_mul_f32_e32 v3, v131, v135
	v_fma_f32 v3, v130, v134, -v3
	v_add_f32_e32 v2, v2, v3
	v_mul_f32_e32 v3, v133, v137
	;; [unrolled: 3-line block ×14, first 2 shown]
	v_fma_f32 v3, v194, v198, -v3
	v_add_f32_e32 v224, v2, v3
	s_waitcnt lgkmcnt(0)
	v_mul_f32_e32 v2, v201, v205
	v_fma_f32 v226, v200, v204, -v2
	v_mul_f32_e32 v2, v203, v207
	v_fma_f32 v228, v202, v206, -v2
	ds_read_b128 v[2:5], v162 offset:864
	ds_read_b128 v[6:9], v162 offset:880
	;; [unrolled: 1-line block ×4, first 2 shown]
	v_mul_f32_e32 v227, v200, v205
	v_fmac_f32_e32 v227, v201, v204
	v_mul_f32_e32 v229, v202, v207
	v_fmac_f32_e32 v229, v203, v206
	v_pk_add_f32 v[18:19], v[224:225], v[226:227]
	s_waitcnt vmcnt(3) lgkmcnt(3)
	v_pk_mul_f32 v[20:21], v[2:3], v[208:209] op_sel:[1,1] op_sel_hi:[0,1]
	v_pk_fma_f32 v[22:23], v[2:3], v[208:209], v[20:21] neg_lo:[0,0,1] neg_hi:[0,0,1]
	v_pk_fma_f32 v[2:3], v[2:3], v[208:209], v[20:21] op_sel_hi:[1,0,1]
	v_pk_add_f32 v[18:19], v[18:19], v[228:229]
	v_mov_b32_e32 v23, v3
	v_pk_add_f32 v[2:3], v[18:19], v[22:23]
	v_mov_b32_e32 v18, v211
	v_pk_mul_f32 v[18:19], v[4:5], v[18:19] op_sel:[1,0] op_sel_hi:[0,0]
	v_pk_fma_f32 v[20:21], v[4:5], v[210:211], v[18:19] neg_lo:[0,0,1] neg_hi:[0,0,1]
	v_pk_fma_f32 v[4:5], v[4:5], v[210:211], v[18:19] op_sel_hi:[1,0,1]
	s_nop 0
	v_mov_b32_e32 v21, v5
	s_waitcnt vmcnt(2) lgkmcnt(2)
	v_pk_mul_f32 v[4:5], v[6:7], v[212:213] op_sel:[1,1] op_sel_hi:[0,1]
	v_pk_fma_f32 v[18:19], v[6:7], v[212:213], v[4:5] neg_lo:[0,0,1] neg_hi:[0,0,1]
	v_pk_fma_f32 v[4:5], v[6:7], v[212:213], v[4:5] op_sel_hi:[1,0,1]
	v_pk_add_f32 v[2:3], v[2:3], v[20:21]
	v_mov_b32_e32 v4, v215
	v_mov_b32_e32 v19, v5
	v_pk_mul_f32 v[4:5], v[8:9], v[4:5] op_sel:[1,0] op_sel_hi:[0,0]
	v_pk_fma_f32 v[6:7], v[8:9], v[214:215], v[4:5] neg_lo:[0,0,1] neg_hi:[0,0,1]
	v_pk_fma_f32 v[4:5], v[8:9], v[214:215], v[4:5] op_sel_hi:[1,0,1]
	v_pk_add_f32 v[2:3], v[2:3], v[18:19]
	v_mov_b32_e32 v7, v5
	s_waitcnt vmcnt(1) lgkmcnt(1)
	v_pk_mul_f32 v[4:5], v[10:11], v[216:217] op_sel:[1,1] op_sel_hi:[0,1]
	v_pk_add_f32 v[2:3], v[2:3], v[6:7]
	v_pk_fma_f32 v[6:7], v[10:11], v[216:217], v[4:5] neg_lo:[0,0,1] neg_hi:[0,0,1]
	v_pk_fma_f32 v[4:5], v[10:11], v[216:217], v[4:5] op_sel_hi:[1,0,1]
	s_nop 0
	v_mov_b32_e32 v4, v219
	v_mov_b32_e32 v7, v5
	v_pk_mul_f32 v[4:5], v[12:13], v[4:5] op_sel:[1,0] op_sel_hi:[0,0]
	v_pk_add_f32 v[2:3], v[2:3], v[6:7]
	v_pk_fma_f32 v[6:7], v[12:13], v[218:219], v[4:5] neg_lo:[0,0,1] neg_hi:[0,0,1]
	v_pk_fma_f32 v[4:5], v[12:13], v[218:219], v[4:5] op_sel_hi:[1,0,1]
	s_nop 0
	v_mov_b32_e32 v7, v5
	s_waitcnt vmcnt(0) lgkmcnt(0)
	v_pk_mul_f32 v[4:5], v[14:15], v[220:221] op_sel:[1,1] op_sel_hi:[0,1]
	v_pk_add_f32 v[2:3], v[2:3], v[6:7]
	v_pk_fma_f32 v[6:7], v[14:15], v[220:221], v[4:5] neg_lo:[0,0,1] neg_hi:[0,0,1]
	v_pk_fma_f32 v[4:5], v[14:15], v[220:221], v[4:5] op_sel_hi:[1,0,1]
	s_nop 0
	v_mov_b32_e32 v4, v223
	v_mov_b32_e32 v7, v5
	v_pk_mul_f32 v[4:5], v[16:17], v[4:5] op_sel:[1,0] op_sel_hi:[0,0]
	v_pk_add_f32 v[2:3], v[2:3], v[6:7]
	v_pk_fma_f32 v[6:7], v[16:17], v[222:223], v[4:5] neg_lo:[0,0,1] neg_hi:[0,0,1]
	v_pk_fma_f32 v[4:5], v[16:17], v[222:223], v[4:5] op_sel_hi:[1,0,1]
	s_nop 0
	v_mov_b32_e32 v7, v5
	scratch_load_dwordx2 v[4:5], off, off offset:8
	v_pk_add_f32 v[2:3], v[2:3], v[6:7]
	s_waitcnt vmcnt(0)
	v_pk_add_f32 v[2:3], v[4:5], v[2:3] neg_lo:[0,1] neg_hi:[0,1]
	scratch_store_dwordx2 off, v[2:3], off offset:8
	s_and_saveexec_b64 s[0:1], vcc
	s_cbranch_execz .LBB121_361
; %bb.360:
	scratch_load_dwordx2 v[2:3], off, off
	v_mov_b32_e32 v4, 0
	v_mov_b32_e32 v5, v4
	scratch_store_dwordx2 off, v[4:5], off
	s_waitcnt vmcnt(1)
	ds_write_b64 v1, v[2:3]
.LBB121_361:
	s_or_b64 exec, exec, s[0:1]
	s_waitcnt lgkmcnt(0)
	; wave barrier
	scratch_load_dwordx4 v[4:7], off, off offset:8
	scratch_load_dwordx4 v[12:15], off, off offset:24
	;; [unrolled: 1-line block ×10, first 2 shown]
	v_mov_b32_e32 v148, 0
	ds_read2_b64 v[0:3], v148 offset0:59 offset1:60
	scratch_load_dwordx4 v[84:87], off, off offset:168
	scratch_load_dwordx4 v[92:95], off, off offset:184
	;; [unrolled: 1-line block ×15, first 2 shown]
	s_and_b64 vcc, exec, s[10:11]
	s_waitcnt vmcnt(24) lgkmcnt(0)
	v_mul_f32_e32 v8, v0, v5
	v_fmac_f32_e32 v8, v1, v4
	v_mul_f32_e32 v9, v2, v7
	v_add_f32_e32 v8, 0, v8
	v_fmac_f32_e32 v9, v3, v6
	v_add_f32_e32 v16, v8, v9
	ds_read2_b64 v[8:11], v148 offset0:61 offset1:62
	v_mul_f32_e32 v1, v1, v5
	v_fma_f32 v0, v0, v4, -v1
	v_mul_f32_e32 v1, v3, v7
	v_add_f32_e32 v0, 0, v0
	s_waitcnt vmcnt(23) lgkmcnt(0)
	v_mul_f32_e32 v17, v8, v13
	v_fmac_f32_e32 v17, v9, v12
	v_add_f32_e32 v16, v16, v17
	v_mul_f32_e32 v17, v10, v15
	v_fmac_f32_e32 v17, v11, v14
	v_add_f32_e32 v24, v16, v17
	ds_read2_b64 v[16:19], v148 offset0:63 offset1:64
	v_fma_f32 v1, v2, v6, -v1
	v_add_f32_e32 v0, v0, v1
	v_mul_f32_e32 v1, v9, v13
	v_fma_f32 v1, v8, v12, -v1
	s_waitcnt vmcnt(22) lgkmcnt(0)
	v_mul_f32_e32 v25, v16, v21
	v_fmac_f32_e32 v25, v17, v20
	v_add_f32_e32 v24, v24, v25
	v_mul_f32_e32 v25, v18, v23
	v_fmac_f32_e32 v25, v19, v22
	v_add_f32_e32 v32, v24, v25
	ds_read2_b64 v[24:27], v148 offset0:65 offset1:66
	v_add_f32_e32 v0, v0, v1
	v_mul_f32_e32 v1, v11, v15
	v_fma_f32 v1, v10, v14, -v1
	v_add_f32_e32 v0, v0, v1
	s_waitcnt vmcnt(21) lgkmcnt(0)
	v_mul_f32_e32 v33, v24, v29
	v_fmac_f32_e32 v33, v25, v28
	v_add_f32_e32 v32, v32, v33
	v_mul_f32_e32 v33, v26, v31
	v_fmac_f32_e32 v33, v27, v30
	v_add_f32_e32 v40, v32, v33
	ds_read2_b64 v[32:35], v148 offset0:67 offset1:68
	v_mul_f32_e32 v1, v17, v21
	v_fma_f32 v1, v16, v20, -v1
	v_add_f32_e32 v0, v0, v1
	v_mul_f32_e32 v1, v19, v23
	s_waitcnt vmcnt(20) lgkmcnt(0)
	v_mul_f32_e32 v41, v32, v37
	v_fmac_f32_e32 v41, v33, v36
	v_add_f32_e32 v40, v40, v41
	v_mul_f32_e32 v41, v34, v39
	v_fmac_f32_e32 v41, v35, v38
	v_add_f32_e32 v48, v40, v41
	ds_read2_b64 v[40:43], v148 offset0:69 offset1:70
	v_fma_f32 v1, v18, v22, -v1
	v_add_f32_e32 v0, v0, v1
	v_mul_f32_e32 v1, v25, v29
	v_fma_f32 v1, v24, v28, -v1
	s_waitcnt vmcnt(19) lgkmcnt(0)
	v_mul_f32_e32 v49, v40, v45
	v_fmac_f32_e32 v49, v41, v44
	v_add_f32_e32 v48, v48, v49
	v_mul_f32_e32 v49, v42, v47
	v_fmac_f32_e32 v49, v43, v46
	v_add_f32_e32 v56, v48, v49
	ds_read2_b64 v[48:51], v148 offset0:71 offset1:72
	v_add_f32_e32 v0, v0, v1
	v_mul_f32_e32 v1, v27, v31
	v_fma_f32 v1, v26, v30, -v1
	v_add_f32_e32 v0, v0, v1
	s_waitcnt vmcnt(18) lgkmcnt(0)
	v_mul_f32_e32 v57, v48, v53
	v_fmac_f32_e32 v57, v49, v52
	v_add_f32_e32 v56, v56, v57
	v_mul_f32_e32 v57, v50, v55
	v_fmac_f32_e32 v57, v51, v54
	v_add_f32_e32 v64, v56, v57
	ds_read2_b64 v[56:59], v148 offset0:73 offset1:74
	v_mul_f32_e32 v1, v33, v37
	v_fma_f32 v1, v32, v36, -v1
	v_add_f32_e32 v0, v0, v1
	v_mul_f32_e32 v1, v35, v39
	;; [unrolled: 36-line block ×7, first 2 shown]
	s_waitcnt vmcnt(2) lgkmcnt(0)
	v_mul_f32_e32 v198, v190, v195
	v_fmac_f32_e32 v198, v191, v194
	v_add_f32_e32 v149, v149, v198
	v_mul_f32_e32 v198, v192, v197
	v_fmac_f32_e32 v198, v193, v196
	v_add_f32_e32 v149, v149, v198
	ds_read2_b64 v[198:201], v148 offset0:105 offset1:106
	v_fma_f32 v1, v114, v118, -v1
	v_add_f32_e32 v0, v0, v1
	v_mul_f32_e32 v1, v121, v125
	v_fma_f32 v1, v120, v124, -v1
	s_waitcnt vmcnt(1) lgkmcnt(0)
	v_mul_f32_e32 v206, v198, v203
	v_fmac_f32_e32 v206, v199, v202
	v_add_f32_e32 v227, v149, v206
	ds_read2_b64 v[206:209], v148 offset0:107 offset1:108
	scratch_load_dwordx4 v[214:217], off, off offset:408
	scratch_load_dwordx4 v[218:221], off, off offset:424
	;; [unrolled: 1-line block ×3, first 2 shown]
	scratch_load_dwordx2 v[232:233], off, off offset:456
	v_add_f32_e32 v0, v0, v1
	v_mul_f32_e32 v1, v123, v127
	v_fma_f32 v1, v122, v126, -v1
	v_add_f32_e32 v0, v0, v1
	v_mul_f32_e32 v1, v129, v133
	v_fma_f32 v1, v128, v132, -v1
	;; [unrolled: 3-line block ×16, first 2 shown]
	v_add_f32_e32 v226, v0, v1
	v_mul_f32_e32 v0, v201, v205
	v_mul_f32_e32 v229, v200, v205
	v_fma_f32 v228, v200, v204, -v0
	s_waitcnt vmcnt(4) lgkmcnt(0)
	v_mul_f32_e32 v0, v207, v211
	v_mov_b32_e32 v16, v213
	v_fmac_f32_e32 v229, v201, v204
	v_mul_f32_e32 v231, v206, v211
	v_fma_f32 v230, v206, v210, -v0
	ds_read2_b64 v[0:3], v148 offset0:109 offset1:110
	ds_read2_b64 v[4:7], v148 offset0:111 offset1:112
	;; [unrolled: 1-line block ×3, first 2 shown]
	ds_read_b64 v[12:13], v148 offset:920
	v_pk_mul_f32 v[16:17], v[208:209], v[16:17] op_sel:[1,0] op_sel_hi:[0,0]
	v_fmac_f32_e32 v231, v207, v210
	v_pk_add_f32 v[14:15], v[226:227], v[228:229]
	v_pk_fma_f32 v[18:19], v[208:209], v[212:213], v[16:17] neg_lo:[0,0,1] neg_hi:[0,0,1]
	v_pk_fma_f32 v[16:17], v[208:209], v[212:213], v[16:17] op_sel_hi:[1,0,1]
	v_pk_add_f32 v[14:15], v[14:15], v[230:231]
	v_mov_b32_e32 v19, v17
	v_pk_add_f32 v[14:15], v[14:15], v[18:19]
	s_waitcnt vmcnt(3) lgkmcnt(3)
	v_pk_mul_f32 v[16:17], v[0:1], v[214:215] op_sel:[1,1] op_sel_hi:[0,1]
	v_pk_fma_f32 v[18:19], v[0:1], v[214:215], v[16:17] neg_lo:[0,0,1] neg_hi:[0,0,1]
	v_pk_fma_f32 v[0:1], v[0:1], v[214:215], v[16:17] op_sel_hi:[1,0,1]
	s_nop 0
	v_mov_b32_e32 v19, v1
	v_pk_add_f32 v[0:1], v[14:15], v[18:19]
	v_mov_b32_e32 v14, v217
	v_pk_mul_f32 v[14:15], v[2:3], v[14:15] op_sel:[1,0] op_sel_hi:[0,0]
	v_pk_fma_f32 v[16:17], v[2:3], v[216:217], v[14:15] neg_lo:[0,0,1] neg_hi:[0,0,1]
	v_pk_fma_f32 v[2:3], v[2:3], v[216:217], v[14:15] op_sel_hi:[1,0,1]
	s_nop 0
	v_mov_b32_e32 v17, v3
	s_waitcnt vmcnt(2) lgkmcnt(2)
	v_pk_mul_f32 v[2:3], v[4:5], v[218:219] op_sel:[1,1] op_sel_hi:[0,1]
	v_pk_fma_f32 v[14:15], v[4:5], v[218:219], v[2:3] neg_lo:[0,0,1] neg_hi:[0,0,1]
	v_pk_fma_f32 v[2:3], v[4:5], v[218:219], v[2:3] op_sel_hi:[1,0,1]
	v_pk_add_f32 v[0:1], v[0:1], v[16:17]
	v_mov_b32_e32 v2, v221
	v_mov_b32_e32 v15, v3
	v_pk_mul_f32 v[2:3], v[6:7], v[2:3] op_sel:[1,0] op_sel_hi:[0,0]
	v_pk_fma_f32 v[4:5], v[6:7], v[220:221], v[2:3] neg_lo:[0,0,1] neg_hi:[0,0,1]
	v_pk_fma_f32 v[2:3], v[6:7], v[220:221], v[2:3] op_sel_hi:[1,0,1]
	v_pk_add_f32 v[0:1], v[0:1], v[14:15]
	v_mov_b32_e32 v5, v3
	s_waitcnt vmcnt(1) lgkmcnt(1)
	v_pk_mul_f32 v[2:3], v[8:9], v[222:223] op_sel:[1,1] op_sel_hi:[0,1]
	v_pk_add_f32 v[0:1], v[0:1], v[4:5]
	v_pk_fma_f32 v[4:5], v[8:9], v[222:223], v[2:3] neg_lo:[0,0,1] neg_hi:[0,0,1]
	v_pk_fma_f32 v[2:3], v[8:9], v[222:223], v[2:3] op_sel_hi:[1,0,1]
	s_nop 0
	v_mov_b32_e32 v2, v225
	v_mov_b32_e32 v5, v3
	v_pk_mul_f32 v[2:3], v[10:11], v[2:3] op_sel:[1,0] op_sel_hi:[0,0]
	v_pk_add_f32 v[0:1], v[0:1], v[4:5]
	v_pk_fma_f32 v[4:5], v[10:11], v[224:225], v[2:3] neg_lo:[0,0,1] neg_hi:[0,0,1]
	v_pk_fma_f32 v[2:3], v[10:11], v[224:225], v[2:3] op_sel_hi:[1,0,1]
	s_nop 0
	v_mov_b32_e32 v5, v3
	s_waitcnt vmcnt(0) lgkmcnt(0)
	v_pk_mul_f32 v[2:3], v[12:13], v[232:233] op_sel:[1,1] op_sel_hi:[0,1]
	v_pk_add_f32 v[0:1], v[0:1], v[4:5]
	v_pk_fma_f32 v[4:5], v[12:13], v[232:233], v[2:3] neg_lo:[0,0,1] neg_hi:[0,0,1]
	v_pk_fma_f32 v[2:3], v[12:13], v[232:233], v[2:3] op_sel_hi:[1,0,1]
	s_nop 0
	v_mov_b32_e32 v5, v3
	scratch_load_dwordx2 v[2:3], off, off
	v_pk_add_f32 v[0:1], v[0:1], v[4:5]
	s_waitcnt vmcnt(0)
	v_pk_add_f32 v[0:1], v[2:3], v[0:1] neg_lo:[0,1] neg_hi:[0,1]
	scratch_store_dwordx2 off, v[0:1], off
	s_cbranch_vccz .LBB121_476
; %bb.362:
	global_load_dword v0, v148, s[8:9] offset:224
	s_waitcnt vmcnt(0)
	v_readfirstlane_b32 s0, v0
	s_add_i32 s0, s0, -1
	s_cmp_lg_u32 s0, 56
	s_cbranch_scc0 .LBB121_364
; %bb.363:
	s_lshl_b32 s0, s0, 3
	s_nop 0
	scratch_load_dwordx2 v[0:1], off, s0
	scratch_load_dwordx2 v[2:3], off, off offset:448
	s_waitcnt vmcnt(1)
	scratch_store_dwordx2 off, v[0:1], off offset:448
	s_waitcnt vmcnt(1)
	scratch_store_dwordx2 off, v[2:3], s0
.LBB121_364:
	v_mov_b32_e32 v0, 0
	global_load_dword v1, v0, s[8:9] offset:220
	s_waitcnt vmcnt(0)
	v_readfirstlane_b32 s0, v1
	s_add_i32 s0, s0, -1
	s_cmp_eq_u32 s0, 55
	s_cbranch_scc1 .LBB121_366
; %bb.365:
	s_lshl_b32 s0, s0, 3
	s_nop 0
	scratch_load_dwordx2 v[2:3], off, s0
	scratch_load_dwordx2 v[4:5], off, off offset:440
	s_waitcnt vmcnt(1)
	scratch_store_dwordx2 off, v[2:3], off offset:440
	s_waitcnt vmcnt(1)
	scratch_store_dwordx2 off, v[4:5], s0
.LBB121_366:
	global_load_dword v0, v0, s[8:9] offset:216
	s_waitcnt vmcnt(0)
	v_readfirstlane_b32 s0, v0
	s_add_i32 s0, s0, -1
	s_cmp_eq_u32 s0, 54
	s_cbranch_scc1 .LBB121_368
; %bb.367:
	s_lshl_b32 s0, s0, 3
	s_nop 0
	scratch_load_dwordx2 v[0:1], off, s0
	scratch_load_dwordx2 v[2:3], off, off offset:432
	s_waitcnt vmcnt(1)
	scratch_store_dwordx2 off, v[0:1], off offset:432
	s_waitcnt vmcnt(1)
	scratch_store_dwordx2 off, v[2:3], s0
.LBB121_368:
	v_mov_b32_e32 v0, 0
	global_load_dword v1, v0, s[8:9] offset:212
	s_waitcnt vmcnt(0)
	v_readfirstlane_b32 s0, v1
	s_add_i32 s0, s0, -1
	s_cmp_eq_u32 s0, 53
	s_cbranch_scc1 .LBB121_370
; %bb.369:
	s_lshl_b32 s0, s0, 3
	s_nop 0
	scratch_load_dwordx2 v[2:3], off, s0
	scratch_load_dwordx2 v[4:5], off, off offset:424
	s_waitcnt vmcnt(1)
	scratch_store_dwordx2 off, v[2:3], off offset:424
	s_waitcnt vmcnt(1)
	scratch_store_dwordx2 off, v[4:5], s0
.LBB121_370:
	global_load_dword v0, v0, s[8:9] offset:208
	s_waitcnt vmcnt(0)
	v_readfirstlane_b32 s0, v0
	s_add_i32 s0, s0, -1
	s_cmp_eq_u32 s0, 52
	s_cbranch_scc1 .LBB121_372
; %bb.371:
	s_lshl_b32 s0, s0, 3
	s_nop 0
	scratch_load_dwordx2 v[0:1], off, s0
	scratch_load_dwordx2 v[2:3], off, off offset:416
	s_waitcnt vmcnt(1)
	scratch_store_dwordx2 off, v[0:1], off offset:416
	s_waitcnt vmcnt(1)
	scratch_store_dwordx2 off, v[2:3], s0
.LBB121_372:
	;; [unrolled: 33-line block ×27, first 2 shown]
	v_mov_b32_e32 v0, 0
	global_load_dword v1, v0, s[8:9] offset:4
	s_waitcnt vmcnt(0)
	v_readfirstlane_b32 s0, v1
	s_add_i32 s0, s0, -1
	s_cmp_eq_u32 s0, 1
	s_cbranch_scc1 .LBB121_474
; %bb.473:
	s_lshl_b32 s0, s0, 3
	s_nop 0
	scratch_load_dwordx2 v[2:3], off, s0
	scratch_load_dwordx2 v[4:5], off, off offset:8
	s_waitcnt vmcnt(1)
	scratch_store_dwordx2 off, v[2:3], off offset:8
	s_waitcnt vmcnt(1)
	scratch_store_dwordx2 off, v[4:5], s0
.LBB121_474:
	global_load_dword v2, v0, s[8:9]
	s_nop 0
	scratch_load_dwordx2 v[0:1], off, off
	s_waitcnt vmcnt(1)
	v_readfirstlane_b32 s0, v2
	s_add_i32 s0, s0, -1
	s_cmp_eq_u32 s0, 0
	s_cbranch_scc1 .LBB121_476
; %bb.475:
	s_lshl_b32 s0, s0, 3
	s_nop 0
	scratch_load_dwordx2 v[2:3], off, s0
	s_waitcnt vmcnt(0)
	scratch_store_dwordx2 off, v[2:3], off
	scratch_store_dwordx2 off, v[0:1], s0
	scratch_load_dwordx2 v[0:1], off, off
.LBB121_476:
	s_waitcnt vmcnt(0)
	flat_store_dwordx2 v[150:151], v[0:1]
	scratch_load_dwordx2 v[0:1], off, off offset:8
	v_accvgpr_read_b32 v3, a1
	v_accvgpr_read_b32 v2, a0
	s_waitcnt vmcnt(0)
	flat_store_dwordx2 v[2:3], v[0:1]
	scratch_load_dwordx2 v[0:1], off, off offset:16
	v_accvgpr_read_b32 v2, a2
	v_accvgpr_read_b32 v3, a3
	;; [unrolled: 5-line block ×41, first 2 shown]
	s_waitcnt vmcnt(0)
	flat_store_dwordx2 v[2:3], v[0:1]
	scratch_load_dwordx2 v[0:1], off, off offset:336
	s_waitcnt vmcnt(0)
	flat_store_dwordx2 v[234:235], v[0:1]
	scratch_load_dwordx2 v[0:1], off, off offset:344
	;; [unrolled: 3-line block ×16, first 2 shown]
	s_waitcnt vmcnt(0)
	flat_store_dwordx2 v[160:161], v[0:1]
	s_endpgm
	.section	.rodata,"a",@progbits
	.p2align	6, 0x0
	.amdhsa_kernel _ZN9rocsolver6v33100L18getri_kernel_smallILi58E19rocblas_complex_numIfEPKPS3_EEvT1_iilPiilS8_bb
		.amdhsa_group_segment_fixed_size 932
		.amdhsa_private_segment_fixed_size 480
		.amdhsa_kernarg_size 60
		.amdhsa_user_sgpr_count 2
		.amdhsa_user_sgpr_dispatch_ptr 0
		.amdhsa_user_sgpr_queue_ptr 0
		.amdhsa_user_sgpr_kernarg_segment_ptr 1
		.amdhsa_user_sgpr_dispatch_id 0
		.amdhsa_user_sgpr_kernarg_preload_length 0
		.amdhsa_user_sgpr_kernarg_preload_offset 0
		.amdhsa_user_sgpr_private_segment_size 0
		.amdhsa_uses_dynamic_stack 0
		.amdhsa_enable_private_segment 1
		.amdhsa_system_sgpr_workgroup_id_x 1
		.amdhsa_system_sgpr_workgroup_id_y 0
		.amdhsa_system_sgpr_workgroup_id_z 0
		.amdhsa_system_sgpr_workgroup_info 0
		.amdhsa_system_vgpr_workitem_id 0
		.amdhsa_next_free_vgpr 338
		.amdhsa_next_free_sgpr 17
		.amdhsa_accum_offset 256
		.amdhsa_reserve_vcc 1
		.amdhsa_float_round_mode_32 0
		.amdhsa_float_round_mode_16_64 0
		.amdhsa_float_denorm_mode_32 3
		.amdhsa_float_denorm_mode_16_64 3
		.amdhsa_dx10_clamp 1
		.amdhsa_ieee_mode 1
		.amdhsa_fp16_overflow 0
		.amdhsa_tg_split 0
		.amdhsa_exception_fp_ieee_invalid_op 0
		.amdhsa_exception_fp_denorm_src 0
		.amdhsa_exception_fp_ieee_div_zero 0
		.amdhsa_exception_fp_ieee_overflow 0
		.amdhsa_exception_fp_ieee_underflow 0
		.amdhsa_exception_fp_ieee_inexact 0
		.amdhsa_exception_int_div_zero 0
	.end_amdhsa_kernel
	.section	.text._ZN9rocsolver6v33100L18getri_kernel_smallILi58E19rocblas_complex_numIfEPKPS3_EEvT1_iilPiilS8_bb,"axG",@progbits,_ZN9rocsolver6v33100L18getri_kernel_smallILi58E19rocblas_complex_numIfEPKPS3_EEvT1_iilPiilS8_bb,comdat
.Lfunc_end121:
	.size	_ZN9rocsolver6v33100L18getri_kernel_smallILi58E19rocblas_complex_numIfEPKPS3_EEvT1_iilPiilS8_bb, .Lfunc_end121-_ZN9rocsolver6v33100L18getri_kernel_smallILi58E19rocblas_complex_numIfEPKPS3_EEvT1_iilPiilS8_bb
                                        ; -- End function
	.set _ZN9rocsolver6v33100L18getri_kernel_smallILi58E19rocblas_complex_numIfEPKPS3_EEvT1_iilPiilS8_bb.num_vgpr, 256
	.set _ZN9rocsolver6v33100L18getri_kernel_smallILi58E19rocblas_complex_numIfEPKPS3_EEvT1_iilPiilS8_bb.num_agpr, 82
	.set _ZN9rocsolver6v33100L18getri_kernel_smallILi58E19rocblas_complex_numIfEPKPS3_EEvT1_iilPiilS8_bb.numbered_sgpr, 17
	.set _ZN9rocsolver6v33100L18getri_kernel_smallILi58E19rocblas_complex_numIfEPKPS3_EEvT1_iilPiilS8_bb.num_named_barrier, 0
	.set _ZN9rocsolver6v33100L18getri_kernel_smallILi58E19rocblas_complex_numIfEPKPS3_EEvT1_iilPiilS8_bb.private_seg_size, 480
	.set _ZN9rocsolver6v33100L18getri_kernel_smallILi58E19rocblas_complex_numIfEPKPS3_EEvT1_iilPiilS8_bb.uses_vcc, 1
	.set _ZN9rocsolver6v33100L18getri_kernel_smallILi58E19rocblas_complex_numIfEPKPS3_EEvT1_iilPiilS8_bb.uses_flat_scratch, 0
	.set _ZN9rocsolver6v33100L18getri_kernel_smallILi58E19rocblas_complex_numIfEPKPS3_EEvT1_iilPiilS8_bb.has_dyn_sized_stack, 0
	.set _ZN9rocsolver6v33100L18getri_kernel_smallILi58E19rocblas_complex_numIfEPKPS3_EEvT1_iilPiilS8_bb.has_recursion, 0
	.set _ZN9rocsolver6v33100L18getri_kernel_smallILi58E19rocblas_complex_numIfEPKPS3_EEvT1_iilPiilS8_bb.has_indirect_call, 0
	.section	.AMDGPU.csdata,"",@progbits
; Kernel info:
; codeLenInByte = 95244
; TotalNumSgprs: 23
; NumVgprs: 256
; NumAgprs: 82
; TotalNumVgprs: 338
; ScratchSize: 480
; MemoryBound: 0
; FloatMode: 240
; IeeeMode: 1
; LDSByteSize: 932 bytes/workgroup (compile time only)
; SGPRBlocks: 2
; VGPRBlocks: 42
; NumSGPRsForWavesPerEU: 23
; NumVGPRsForWavesPerEU: 338
; AccumOffset: 256
; Occupancy: 1
; WaveLimiterHint : 1
; COMPUTE_PGM_RSRC2:SCRATCH_EN: 1
; COMPUTE_PGM_RSRC2:USER_SGPR: 2
; COMPUTE_PGM_RSRC2:TRAP_HANDLER: 0
; COMPUTE_PGM_RSRC2:TGID_X_EN: 1
; COMPUTE_PGM_RSRC2:TGID_Y_EN: 0
; COMPUTE_PGM_RSRC2:TGID_Z_EN: 0
; COMPUTE_PGM_RSRC2:TIDIG_COMP_CNT: 0
; COMPUTE_PGM_RSRC3_GFX90A:ACCUM_OFFSET: 63
; COMPUTE_PGM_RSRC3_GFX90A:TG_SPLIT: 0
	.section	.text._ZN9rocsolver6v33100L18getri_kernel_smallILi59E19rocblas_complex_numIfEPKPS3_EEvT1_iilPiilS8_bb,"axG",@progbits,_ZN9rocsolver6v33100L18getri_kernel_smallILi59E19rocblas_complex_numIfEPKPS3_EEvT1_iilPiilS8_bb,comdat
	.globl	_ZN9rocsolver6v33100L18getri_kernel_smallILi59E19rocblas_complex_numIfEPKPS3_EEvT1_iilPiilS8_bb ; -- Begin function _ZN9rocsolver6v33100L18getri_kernel_smallILi59E19rocblas_complex_numIfEPKPS3_EEvT1_iilPiilS8_bb
	.p2align	8
	.type	_ZN9rocsolver6v33100L18getri_kernel_smallILi59E19rocblas_complex_numIfEPKPS3_EEvT1_iilPiilS8_bb,@function
_ZN9rocsolver6v33100L18getri_kernel_smallILi59E19rocblas_complex_numIfEPKPS3_EEvT1_iilPiilS8_bb: ; @_ZN9rocsolver6v33100L18getri_kernel_smallILi59E19rocblas_complex_numIfEPKPS3_EEvT1_iilPiilS8_bb
; %bb.0:
	v_cmp_gt_u32_e32 vcc, 59, v0
	s_and_saveexec_b64 s[4:5], vcc
	s_cbranch_execz .LBB122_250
; %bb.1:
	s_load_dword s14, s[0:1], 0x38
	s_load_dwordx2 s[8:9], s[0:1], 0x0
	s_load_dwordx4 s[4:7], s[0:1], 0x28
	s_waitcnt lgkmcnt(0)
	s_bitcmp1_b32 s14, 8
	s_cselect_b64 s[10:11], -1, 0
	s_ashr_i32 s3, s2, 31
	s_lshl_b64 s[12:13], s[2:3], 3
	s_add_u32 s8, s8, s12
	s_addc_u32 s9, s9, s13
	s_load_dwordx2 s[12:13], s[8:9], 0x0
	s_bfe_u32 s8, s14, 0x10008
	s_cmp_eq_u32 s8, 0
                                        ; implicit-def: $sgpr8_sgpr9
	s_cbranch_scc1 .LBB122_3
; %bb.2:
	s_load_dword s8, s[0:1], 0x20
	s_load_dwordx2 s[14:15], s[0:1], 0x18
	s_mul_i32 s9, s4, s3
	s_mul_hi_u32 s16, s4, s2
	s_add_i32 s16, s16, s9
	s_mul_i32 s5, s5, s2
	s_add_i32 s5, s16, s5
	s_mul_i32 s4, s4, s2
	s_waitcnt lgkmcnt(0)
	s_ashr_i32 s9, s8, 31
	s_lshl_b64 s[4:5], s[4:5], 2
	s_add_u32 s14, s14, s4
	s_addc_u32 s15, s15, s5
	s_lshl_b64 s[4:5], s[8:9], 2
	s_add_u32 s8, s14, s4
	s_addc_u32 s9, s15, s5
.LBB122_3:
	s_load_dwordx2 s[4:5], s[0:1], 0x8
	s_load_dword s14, s[0:1], 0x38
	v_lshlrev_b32_e32 v2, 3, v0
	v_mov_b32_e32 v3, 0
	s_waitcnt lgkmcnt(0)
	s_ashr_i32 s1, s4, 31
	s_mov_b32 s0, s4
	s_lshl_b64 s[0:1], s[0:1], 3
	s_add_u32 s0, s12, s0
	s_addc_u32 s1, s13, s1
	v_lshl_add_u64 v[150:151], s[0:1], 0, v[2:3]
	flat_load_dwordx2 v[4:5], v[150:151]
	s_mov_b32 s12, s5
	s_ashr_i32 s13, s5, 31
	v_lshl_add_u64 v[6:7], s[12:13], 3, v[150:151]
	v_accvgpr_write_b32 a0, v6
	s_add_i32 s4, s5, s5
	v_accvgpr_write_b32 a1, v7
	s_bitcmp0_b32 s14, 0
	s_waitcnt vmcnt(0) lgkmcnt(0)
	scratch_store_dwordx2 off, v[4:5], off
	flat_load_dwordx2 v[4:5], v[6:7]
	v_add_u32_e32 v6, s4, v0
	v_ashrrev_i32_e32 v7, 31, v6
	v_lshl_add_u64 v[8:9], v[6:7], 3, s[0:1]
	v_add_u32_e32 v6, s5, v6
	v_accvgpr_write_b32 a2, v8
	v_ashrrev_i32_e32 v7, 31, v6
	v_accvgpr_write_b32 a3, v9
	s_waitcnt vmcnt(0) lgkmcnt(0)
	scratch_store_dwordx2 off, v[4:5], off offset:8
	flat_load_dwordx2 v[4:5], v[8:9]
	v_lshl_add_u64 v[8:9], v[6:7], 3, s[0:1]
	v_add_u32_e32 v6, s5, v6
	v_accvgpr_write_b32 a4, v8
	v_ashrrev_i32_e32 v7, 31, v6
	v_accvgpr_write_b32 a5, v9
	s_waitcnt vmcnt(0) lgkmcnt(0)
	scratch_store_dwordx2 off, v[4:5], off offset:16
	flat_load_dwordx2 v[4:5], v[8:9]
	;; [unrolled: 8-line block ×41, first 2 shown]
	v_lshl_add_u64 v[8:9], v[6:7], 3, s[0:1]
	v_add_u32_e32 v6, s5, v6
	v_ashrrev_i32_e32 v7, 31, v6
	v_lshl_add_u64 v[238:239], v[6:7], 3, s[0:1]
	v_add_u32_e32 v6, s5, v6
	v_ashrrev_i32_e32 v7, 31, v6
	;; [unrolled: 3-line block ×15, first 2 shown]
	v_lshl_add_u64 v[162:163], v[6:7], 3, s[0:1]
	v_accvgpr_write_b32 a85, v9
	v_accvgpr_write_b32 a84, v8
	s_mov_b64 s[4:5], -1
	s_waitcnt vmcnt(0) lgkmcnt(0)
	scratch_store_dwordx2 off, v[4:5], off offset:336
	flat_load_dwordx2 v[4:5], v[8:9]
	s_waitcnt vmcnt(0) lgkmcnt(0)
	scratch_store_dwordx2 off, v[4:5], off offset:344
	flat_load_dwordx2 v[4:5], v[238:239]
	;; [unrolled: 3-line block ×16, first 2 shown]
	s_waitcnt vmcnt(0) lgkmcnt(0)
	scratch_store_dwordx2 off, v[4:5], off offset:464
	s_cbranch_scc1 .LBB122_248
; %bb.4:
	v_cmp_eq_u32_e64 s[0:1], 0, v0
	s_and_saveexec_b64 s[4:5], s[0:1]
; %bb.5:
	v_mov_b32_e32 v1, 0
	ds_write_b32 v1, v1 offset:472
; %bb.6:
	s_or_b64 exec, exec, s[4:5]
	s_waitcnt lgkmcnt(0)
	; wave barrier
	scratch_load_dwordx2 v[4:5], v2, off
	s_waitcnt vmcnt(0)
	v_cmp_eq_f32_e32 vcc, 0, v4
	v_cmp_eq_f32_e64 s[4:5], 0, v5
	s_and_b64 s[4:5], vcc, s[4:5]
	s_and_saveexec_b64 s[12:13], s[4:5]
	s_cbranch_execz .LBB122_10
; %bb.7:
	v_mov_b32_e32 v1, 0
	ds_read_b32 v4, v1 offset:472
	v_add_u32_e32 v3, 1, v0
	s_waitcnt lgkmcnt(0)
	v_readfirstlane_b32 s4, v4
	s_cmp_eq_u32 s4, 0
	s_cselect_b64 s[14:15], -1, 0
	v_cmp_gt_i32_e32 vcc, s4, v3
	s_or_b64 s[14:15], s[14:15], vcc
	s_and_b64 exec, exec, s[14:15]
	s_cbranch_execz .LBB122_10
; %bb.8:
	s_mov_b64 s[14:15], 0
	v_mov_b32_e32 v4, s4
.LBB122_9:                              ; =>This Inner Loop Header: Depth=1
	ds_cmpst_rtn_b32 v4, v1, v4, v3 offset:472
	s_waitcnt lgkmcnt(0)
	v_cmp_ne_u32_e32 vcc, 0, v4
	v_cmp_le_i32_e64 s[4:5], v4, v3
	s_and_b64 s[4:5], vcc, s[4:5]
	s_and_b64 s[4:5], exec, s[4:5]
	s_or_b64 s[14:15], s[4:5], s[14:15]
	s_andn2_b64 exec, exec, s[14:15]
	s_cbranch_execnz .LBB122_9
.LBB122_10:
	s_or_b64 exec, exec, s[12:13]
	v_mov_b32_e32 v3, 0
	; wave barrier
	ds_read_b32 v1, v3 offset:472
	s_and_saveexec_b64 s[4:5], s[0:1]
	s_cbranch_execz .LBB122_12
; %bb.11:
	s_lshl_b64 s[12:13], s[2:3], 2
	s_add_u32 s12, s6, s12
	s_addc_u32 s13, s7, s13
	s_waitcnt lgkmcnt(0)
	global_store_dword v3, v1, s[12:13]
.LBB122_12:
	s_or_b64 exec, exec, s[4:5]
	s_waitcnt lgkmcnt(0)
	v_cmp_ne_u32_e32 vcc, 0, v1
	s_mov_b64 s[4:5], 0
	s_cbranch_vccnz .LBB122_248
; %bb.13:
	v_mov_b32_e32 v3, v2
	scratch_load_dwordx2 v[4:5], v3, off
                                        ; implicit-def: $vgpr7
                                        ; implicit-def: $vgpr8
	s_waitcnt vmcnt(0)
	v_cmp_ngt_f32_e64 s[4:5], |v4|, |v5|
	s_and_saveexec_b64 s[12:13], s[4:5]
	s_xor_b64 s[4:5], exec, s[12:13]
	s_cbranch_execz .LBB122_15
; %bb.14:
	v_div_scale_f32 v1, s[12:13], v5, v5, v4
	v_rcp_f32_e32 v6, v1
	v_div_scale_f32 v7, vcc, v4, v5, v4
	v_fma_f32 v8, -v1, v6, 1.0
	v_fmac_f32_e32 v6, v8, v6
	v_mul_f32_e32 v8, v7, v6
	v_fma_f32 v9, -v1, v8, v7
	v_fmac_f32_e32 v8, v9, v6
	v_fma_f32 v1, -v1, v8, v7
	v_div_fmas_f32 v1, v1, v6, v8
	v_div_fixup_f32 v1, v1, v5, v4
	v_fmac_f32_e32 v5, v4, v1
	v_div_scale_f32 v4, s[12:13], v5, v5, -1.0
	v_rcp_f32_e32 v6, v4
	s_nop 0
	v_fma_f32 v7, -v4, v6, 1.0
	v_fmac_f32_e32 v6, v7, v6
	v_div_scale_f32 v7, vcc, -1.0, v5, -1.0
	v_mul_f32_e32 v8, v7, v6
	v_fma_f32 v9, -v4, v8, v7
	v_fmac_f32_e32 v8, v9, v6
	v_fma_f32 v4, -v4, v8, v7
	v_div_fmas_f32 v4, v4, v6, v8
	v_div_fixup_f32 v7, v4, v5, -1.0
	v_mul_f32_e32 v8, v1, v7
	v_xor_b32_e32 v6, 0x80000000, v8
                                        ; implicit-def: $vgpr4_vgpr5
.LBB122_15:
	s_andn2_saveexec_b64 s[4:5], s[4:5]
	s_cbranch_execz .LBB122_17
; %bb.16:
	v_div_scale_f32 v1, s[12:13], v4, v4, v5
	v_rcp_f32_e32 v6, v1
	v_div_scale_f32 v7, vcc, v5, v4, v5
	v_fma_f32 v8, -v1, v6, 1.0
	v_fmac_f32_e32 v6, v8, v6
	v_mul_f32_e32 v8, v7, v6
	v_fma_f32 v9, -v1, v8, v7
	v_fmac_f32_e32 v8, v9, v6
	v_fma_f32 v1, -v1, v8, v7
	v_div_fmas_f32 v1, v1, v6, v8
	v_div_fixup_f32 v1, v1, v4, v5
	v_fmac_f32_e32 v4, v5, v1
	v_div_scale_f32 v5, s[12:13], v4, v4, 1.0
	v_rcp_f32_e32 v6, v5
	s_nop 0
	v_fma_f32 v7, -v5, v6, 1.0
	v_fmac_f32_e32 v6, v7, v6
	v_div_scale_f32 v7, vcc, 1.0, v4, 1.0
	v_mul_f32_e32 v8, v7, v6
	v_fma_f32 v9, -v5, v8, v7
	v_fmac_f32_e32 v8, v9, v6
	v_fma_f32 v5, -v5, v8, v7
	v_div_fmas_f32 v5, v5, v6, v8
	v_div_fixup_f32 v6, v5, v4, 1.0
	v_xor_b32_e32 v8, 0x80000000, v6
	v_mul_f32_e64 v7, v1, -v6
.LBB122_17:
	s_or_b64 exec, exec, s[4:5]
	scratch_store_dwordx2 v3, v[6:7], off
	scratch_load_dwordx2 v[4:5], off, off offset:8
	v_xor_b32_e32 v9, 0x80000000, v7
	v_add_u32_e32 v1, 0x1e0, v2
	s_waitcnt vmcnt(0)
	ds_write2_b64 v2, v[8:9], v[4:5] offset1:60
	s_waitcnt lgkmcnt(0)
	; wave barrier
	s_and_saveexec_b64 s[4:5], s[0:1]
	s_cbranch_execz .LBB122_19
; %bb.18:
	scratch_load_dwordx2 v[4:5], v3, off
	ds_read_b64 v[6:7], v1
	v_mov_b32_e32 v8, 0
	ds_read_b64 v[8:9], v8 offset:8
	s_waitcnt vmcnt(0) lgkmcnt(1)
	v_pk_mul_f32 v[10:11], v[6:7], v[4:5] op_sel:[1,1] op_sel_hi:[0,1]
	v_pk_fma_f32 v[12:13], v[6:7], v[4:5], v[10:11] neg_lo:[0,0,1] neg_hi:[0,0,1]
	v_pk_fma_f32 v[4:5], v[6:7], v[4:5], v[10:11] op_sel_hi:[1,0,1]
	s_nop 0
	v_mov_b32_e32 v13, v5
	v_pk_add_f32 v[4:5], v[12:13], 0 op_sel_hi:[1,0]
	s_waitcnt lgkmcnt(0)
	v_pk_mul_f32 v[6:7], v[4:5], v[8:9] op_sel:[1,1] op_sel_hi:[0,1]
	v_pk_fma_f32 v[10:11], v[4:5], v[8:9], v[6:7] neg_lo:[0,0,1] neg_hi:[0,0,1]
	v_pk_fma_f32 v[4:5], v[4:5], v[8:9], v[6:7] op_sel_hi:[1,0,1]
	s_nop 0
	v_mov_b32_e32 v11, v5
	scratch_store_dwordx2 off, v[10:11], off offset:8
.LBB122_19:
	s_or_b64 exec, exec, s[4:5]
	; wave barrier
	scratch_load_dwordx2 v[4:5], off, off offset:16
	v_cmp_gt_u32_e32 vcc, 2, v0
	s_waitcnt vmcnt(0)
	ds_write_b64 v1, v[4:5]
	s_waitcnt lgkmcnt(0)
	; wave barrier
	s_and_saveexec_b64 s[4:5], vcc
	s_cbranch_execz .LBB122_23
; %bb.20:
	scratch_load_dwordx2 v[4:5], v3, off
	ds_read_b64 v[6:7], v1
	s_waitcnt vmcnt(0) lgkmcnt(0)
	v_pk_mul_f32 v[8:9], v[6:7], v[4:5] op_sel:[1,1] op_sel_hi:[0,1]
	v_pk_fma_f32 v[10:11], v[6:7], v[4:5], v[8:9] neg_lo:[0,0,1] neg_hi:[0,0,1]
	v_pk_fma_f32 v[4:5], v[6:7], v[4:5], v[8:9] op_sel_hi:[1,0,1]
	s_nop 0
	v_mov_b32_e32 v11, v5
	v_pk_add_f32 v[4:5], v[10:11], 0 op_sel_hi:[1,0]
	s_and_saveexec_b64 s[12:13], s[0:1]
	s_cbranch_execz .LBB122_22
; %bb.21:
	scratch_load_dwordx2 v[6:7], off, off offset:8
	v_mov_b32_e32 v3, 0
	ds_read_b64 v[8:9], v3 offset:488
	s_waitcnt vmcnt(0) lgkmcnt(0)
	v_pk_mul_f32 v[10:11], v[8:9], v[6:7] op_sel:[1,1] op_sel_hi:[0,1]
	v_pk_fma_f32 v[12:13], v[8:9], v[6:7], v[10:11] neg_lo:[0,0,1] neg_hi:[0,0,1]
	v_pk_fma_f32 v[6:7], v[8:9], v[6:7], v[10:11] op_sel_hi:[1,0,1]
	s_nop 0
	v_mov_b32_e32 v13, v7
	v_pk_add_f32 v[4:5], v[4:5], v[12:13]
.LBB122_22:
	s_or_b64 exec, exec, s[12:13]
	v_mov_b32_e32 v3, 0
	ds_read_b64 v[6:7], v3 offset:16
	s_waitcnt lgkmcnt(0)
	v_pk_mul_f32 v[8:9], v[4:5], v[6:7] op_sel:[1,1] op_sel_hi:[0,1]
	v_pk_fma_f32 v[10:11], v[4:5], v[6:7], v[8:9] neg_lo:[0,0,1] neg_hi:[0,0,1]
	v_pk_fma_f32 v[4:5], v[4:5], v[6:7], v[8:9] op_sel_hi:[1,0,1]
	s_nop 0
	v_mov_b32_e32 v11, v5
	scratch_store_dwordx2 off, v[10:11], off offset:16
.LBB122_23:
	s_or_b64 exec, exec, s[4:5]
	; wave barrier
	scratch_load_dwordx2 v[4:5], off, off offset:24
	v_cmp_gt_u32_e32 vcc, 3, v0
	v_add_u32_e32 v6, -1, v0
	s_waitcnt vmcnt(0)
	ds_write_b64 v1, v[4:5]
	s_waitcnt lgkmcnt(0)
	; wave barrier
	s_and_saveexec_b64 s[0:1], vcc
	s_cbranch_execz .LBB122_27
; %bb.24:
	v_mov_b32_e32 v4, 0
	v_add_u32_e32 v3, -1, v0
	v_add_u32_e32 v7, 0x1e0, v2
	v_mov_b32_e32 v8, v2
	s_mov_b64 s[4:5], 0
	v_mov_b32_e32 v5, v4
.LBB122_25:                             ; =>This Inner Loop Header: Depth=1
	scratch_load_dwordx2 v[10:11], v8, off
	ds_read_b64 v[12:13], v7
	v_add_u32_e32 v3, 1, v3
	v_cmp_lt_u32_e32 vcc, 1, v3
	v_add_u32_e32 v7, 8, v7
	v_add_u32_e32 v8, 8, v8
	s_or_b64 s[4:5], vcc, s[4:5]
	s_waitcnt vmcnt(0) lgkmcnt(0)
	v_pk_mul_f32 v[14:15], v[12:13], v[10:11] op_sel:[1,1] op_sel_hi:[0,1]
	v_pk_fma_f32 v[16:17], v[12:13], v[10:11], v[14:15] neg_lo:[0,0,1] neg_hi:[0,0,1]
	v_pk_fma_f32 v[10:11], v[12:13], v[10:11], v[14:15] op_sel_hi:[1,0,1]
	s_nop 0
	v_mov_b32_e32 v17, v11
	v_pk_add_f32 v[4:5], v[4:5], v[16:17]
	s_andn2_b64 exec, exec, s[4:5]
	s_cbranch_execnz .LBB122_25
; %bb.26:
	s_or_b64 exec, exec, s[4:5]
	v_mov_b32_e32 v3, 0
	ds_read_b64 v[8:9], v3 offset:24
	s_waitcnt lgkmcnt(0)
	v_pk_mul_f32 v[10:11], v[4:5], v[8:9] op_sel:[1,1] op_sel_hi:[0,1]
	v_pk_fma_f32 v[12:13], v[4:5], v[8:9], v[10:11] neg_lo:[0,0,1] neg_hi:[0,0,1]
	v_pk_fma_f32 v[4:5], v[4:5], v[8:9], v[10:11] op_sel_hi:[1,0,1]
	s_nop 0
	v_mov_b32_e32 v13, v5
	scratch_store_dwordx2 off, v[12:13], off offset:24
.LBB122_27:
	s_or_b64 exec, exec, s[0:1]
	; wave barrier
	scratch_load_dwordx2 v[4:5], off, off offset:32
	v_cmp_gt_u32_e32 vcc, 4, v0
	s_waitcnt vmcnt(0)
	ds_write_b64 v1, v[4:5]
	s_waitcnt lgkmcnt(0)
	; wave barrier
	s_and_saveexec_b64 s[0:1], vcc
	s_cbranch_execz .LBB122_31
; %bb.28:
	v_mov_b32_e32 v4, 0
	v_add_u32_e32 v3, -1, v0
	v_add_u32_e32 v7, 0x1e0, v2
	v_mov_b32_e32 v8, v2
	s_mov_b64 s[4:5], 0
	v_mov_b32_e32 v5, v4
.LBB122_29:                             ; =>This Inner Loop Header: Depth=1
	scratch_load_dwordx2 v[10:11], v8, off
	ds_read_b64 v[12:13], v7
	v_add_u32_e32 v3, 1, v3
	v_cmp_lt_u32_e32 vcc, 2, v3
	v_add_u32_e32 v7, 8, v7
	v_add_u32_e32 v8, 8, v8
	s_or_b64 s[4:5], vcc, s[4:5]
	s_waitcnt vmcnt(0) lgkmcnt(0)
	v_pk_mul_f32 v[14:15], v[12:13], v[10:11] op_sel:[1,1] op_sel_hi:[0,1]
	v_pk_fma_f32 v[16:17], v[12:13], v[10:11], v[14:15] neg_lo:[0,0,1] neg_hi:[0,0,1]
	v_pk_fma_f32 v[10:11], v[12:13], v[10:11], v[14:15] op_sel_hi:[1,0,1]
	s_nop 0
	v_mov_b32_e32 v17, v11
	v_pk_add_f32 v[4:5], v[4:5], v[16:17]
	s_andn2_b64 exec, exec, s[4:5]
	s_cbranch_execnz .LBB122_29
; %bb.30:
	s_or_b64 exec, exec, s[4:5]
	v_mov_b32_e32 v3, 0
	ds_read_b64 v[8:9], v3 offset:32
	s_waitcnt lgkmcnt(0)
	v_pk_mul_f32 v[10:11], v[4:5], v[8:9] op_sel:[1,1] op_sel_hi:[0,1]
	v_pk_fma_f32 v[12:13], v[4:5], v[8:9], v[10:11] neg_lo:[0,0,1] neg_hi:[0,0,1]
	v_pk_fma_f32 v[4:5], v[4:5], v[8:9], v[10:11] op_sel_hi:[1,0,1]
	s_nop 0
	v_mov_b32_e32 v13, v5
	scratch_store_dwordx2 off, v[12:13], off offset:32
.LBB122_31:
	s_or_b64 exec, exec, s[0:1]
	; wave barrier
	scratch_load_dwordx2 v[4:5], off, off offset:40
	v_cmp_gt_u32_e32 vcc, 5, v0
	;; [unrolled: 46-line block ×19, first 2 shown]
	s_waitcnt vmcnt(0)
	ds_write_b64 v1, v[4:5]
	s_waitcnt lgkmcnt(0)
	; wave barrier
	s_and_saveexec_b64 s[0:1], vcc
	s_cbranch_execz .LBB122_103
; %bb.100:
	v_mov_b32_e32 v4, 0
	v_add_u32_e32 v3, -1, v0
	v_add_u32_e32 v7, 0x1e0, v2
	v_mov_b32_e32 v8, v2
	s_mov_b64 s[4:5], 0
	v_mov_b32_e32 v5, v4
.LBB122_101:                            ; =>This Inner Loop Header: Depth=1
	scratch_load_dwordx2 v[10:11], v8, off
	ds_read_b64 v[12:13], v7
	v_add_u32_e32 v3, 1, v3
	v_cmp_lt_u32_e32 vcc, 20, v3
	v_add_u32_e32 v7, 8, v7
	v_add_u32_e32 v8, 8, v8
	s_or_b64 s[4:5], vcc, s[4:5]
	s_waitcnt vmcnt(0) lgkmcnt(0)
	v_pk_mul_f32 v[14:15], v[12:13], v[10:11] op_sel:[1,1] op_sel_hi:[0,1]
	v_pk_fma_f32 v[16:17], v[12:13], v[10:11], v[14:15] neg_lo:[0,0,1] neg_hi:[0,0,1]
	v_pk_fma_f32 v[10:11], v[12:13], v[10:11], v[14:15] op_sel_hi:[1,0,1]
	s_nop 0
	v_mov_b32_e32 v17, v11
	v_pk_add_f32 v[4:5], v[4:5], v[16:17]
	s_andn2_b64 exec, exec, s[4:5]
	s_cbranch_execnz .LBB122_101
; %bb.102:
	s_or_b64 exec, exec, s[4:5]
	v_mov_b32_e32 v3, 0
	ds_read_b64 v[8:9], v3 offset:176
	s_waitcnt lgkmcnt(0)
	v_pk_mul_f32 v[10:11], v[4:5], v[8:9] op_sel:[1,1] op_sel_hi:[0,1]
	v_pk_fma_f32 v[12:13], v[4:5], v[8:9], v[10:11] neg_lo:[0,0,1] neg_hi:[0,0,1]
	v_pk_fma_f32 v[4:5], v[4:5], v[8:9], v[10:11] op_sel_hi:[1,0,1]
	s_nop 0
	v_mov_b32_e32 v13, v5
	scratch_store_dwordx2 off, v[12:13], off offset:176
.LBB122_103:
	s_or_b64 exec, exec, s[0:1]
	; wave barrier
	scratch_load_dwordx2 v[4:5], off, off offset:184
	v_cmp_gt_u32_e32 vcc, 23, v0
	s_waitcnt vmcnt(0)
	ds_write_b64 v1, v[4:5]
	s_waitcnt lgkmcnt(0)
	; wave barrier
	s_and_saveexec_b64 s[0:1], vcc
	s_cbranch_execz .LBB122_107
; %bb.104:
	v_mov_b32_e32 v4, 0
	v_add_u32_e32 v3, -1, v0
	v_add_u32_e32 v7, 0x1e0, v2
	v_mov_b32_e32 v8, v2
	s_mov_b64 s[4:5], 0
	v_mov_b32_e32 v5, v4
.LBB122_105:                            ; =>This Inner Loop Header: Depth=1
	scratch_load_dwordx2 v[10:11], v8, off
	ds_read_b64 v[12:13], v7
	v_add_u32_e32 v3, 1, v3
	v_cmp_lt_u32_e32 vcc, 21, v3
	v_add_u32_e32 v7, 8, v7
	v_add_u32_e32 v8, 8, v8
	s_or_b64 s[4:5], vcc, s[4:5]
	s_waitcnt vmcnt(0) lgkmcnt(0)
	v_pk_mul_f32 v[14:15], v[12:13], v[10:11] op_sel:[1,1] op_sel_hi:[0,1]
	v_pk_fma_f32 v[16:17], v[12:13], v[10:11], v[14:15] neg_lo:[0,0,1] neg_hi:[0,0,1]
	v_pk_fma_f32 v[10:11], v[12:13], v[10:11], v[14:15] op_sel_hi:[1,0,1]
	s_nop 0
	v_mov_b32_e32 v17, v11
	v_pk_add_f32 v[4:5], v[4:5], v[16:17]
	s_andn2_b64 exec, exec, s[4:5]
	s_cbranch_execnz .LBB122_105
; %bb.106:
	s_or_b64 exec, exec, s[4:5]
	v_mov_b32_e32 v3, 0
	ds_read_b64 v[8:9], v3 offset:184
	s_waitcnt lgkmcnt(0)
	v_pk_mul_f32 v[10:11], v[4:5], v[8:9] op_sel:[1,1] op_sel_hi:[0,1]
	v_pk_fma_f32 v[12:13], v[4:5], v[8:9], v[10:11] neg_lo:[0,0,1] neg_hi:[0,0,1]
	v_pk_fma_f32 v[4:5], v[4:5], v[8:9], v[10:11] op_sel_hi:[1,0,1]
	s_nop 0
	v_mov_b32_e32 v13, v5
	scratch_store_dwordx2 off, v[12:13], off offset:184
.LBB122_107:
	s_or_b64 exec, exec, s[0:1]
	; wave barrier
	scratch_load_dwordx2 v[4:5], off, off offset:192
	v_cmp_gt_u32_e32 vcc, 24, v0
	;; [unrolled: 46-line block ×35, first 2 shown]
	s_waitcnt vmcnt(0)
	ds_write_b64 v1, v[4:5]
	s_waitcnt lgkmcnt(0)
	; wave barrier
	s_and_saveexec_b64 s[0:1], vcc
	s_cbranch_execz .LBB122_243
; %bb.240:
	v_mov_b32_e32 v4, 0
	v_add_u32_e32 v3, -1, v0
	v_add_u32_e32 v7, 0x1e0, v2
	v_mov_b32_e32 v8, v2
	s_mov_b64 s[4:5], 0
	v_mov_b32_e32 v5, v4
.LBB122_241:                            ; =>This Inner Loop Header: Depth=1
	scratch_load_dwordx2 v[10:11], v8, off
	ds_read_b64 v[12:13], v7
	v_add_u32_e32 v3, 1, v3
	v_cmp_lt_u32_e32 vcc, 55, v3
	v_add_u32_e32 v7, 8, v7
	v_add_u32_e32 v8, 8, v8
	s_or_b64 s[4:5], vcc, s[4:5]
	s_waitcnt vmcnt(0) lgkmcnt(0)
	v_pk_mul_f32 v[14:15], v[12:13], v[10:11] op_sel:[1,1] op_sel_hi:[0,1]
	v_pk_fma_f32 v[16:17], v[12:13], v[10:11], v[14:15] neg_lo:[0,0,1] neg_hi:[0,0,1]
	v_pk_fma_f32 v[10:11], v[12:13], v[10:11], v[14:15] op_sel_hi:[1,0,1]
	s_nop 0
	v_mov_b32_e32 v17, v11
	v_pk_add_f32 v[4:5], v[4:5], v[16:17]
	s_andn2_b64 exec, exec, s[4:5]
	s_cbranch_execnz .LBB122_241
; %bb.242:
	s_or_b64 exec, exec, s[4:5]
	v_mov_b32_e32 v3, 0
	ds_read_b64 v[8:9], v3 offset:456
	s_waitcnt lgkmcnt(0)
	v_pk_mul_f32 v[10:11], v[4:5], v[8:9] op_sel:[1,1] op_sel_hi:[0,1]
	v_pk_fma_f32 v[12:13], v[4:5], v[8:9], v[10:11] neg_lo:[0,0,1] neg_hi:[0,0,1]
	v_pk_fma_f32 v[4:5], v[4:5], v[8:9], v[10:11] op_sel_hi:[1,0,1]
	s_nop 0
	v_mov_b32_e32 v13, v5
	scratch_store_dwordx2 off, v[12:13], off offset:456
.LBB122_243:
	s_or_b64 exec, exec, s[0:1]
	; wave barrier
	scratch_load_dwordx2 v[4:5], off, off offset:464
	v_cmp_ne_u32_e32 vcc, 58, v0
	s_waitcnt vmcnt(0)
	ds_write_b64 v1, v[4:5]
	s_waitcnt lgkmcnt(0)
	; wave barrier
	s_and_saveexec_b64 s[0:1], vcc
	s_cbranch_execz .LBB122_247
; %bb.244:
	v_add_u32_e32 v1, 0x1e0, v2
	v_mov_b32_e32 v4, v2
	v_mov_b32_e32 v2, 0
	s_mov_b64 s[4:5], 0
	v_mov_b32_e32 v3, v2
.LBB122_245:                            ; =>This Inner Loop Header: Depth=1
	scratch_load_dwordx2 v[8:9], v4, off
	ds_read_b64 v[10:11], v1
	v_add_u32_e32 v6, 1, v6
	v_cmp_lt_u32_e32 vcc, 56, v6
	v_add_u32_e32 v1, 8, v1
	v_add_u32_e32 v4, 8, v4
	s_or_b64 s[4:5], vcc, s[4:5]
	s_waitcnt vmcnt(0) lgkmcnt(0)
	v_pk_mul_f32 v[12:13], v[10:11], v[8:9] op_sel:[1,1] op_sel_hi:[0,1]
	v_pk_fma_f32 v[14:15], v[10:11], v[8:9], v[12:13] neg_lo:[0,0,1] neg_hi:[0,0,1]
	v_pk_fma_f32 v[8:9], v[10:11], v[8:9], v[12:13] op_sel_hi:[1,0,1]
	s_nop 0
	v_mov_b32_e32 v15, v9
	v_pk_add_f32 v[2:3], v[2:3], v[14:15]
	s_andn2_b64 exec, exec, s[4:5]
	s_cbranch_execnz .LBB122_245
; %bb.246:
	s_or_b64 exec, exec, s[4:5]
	v_mov_b32_e32 v1, 0
	ds_read_b64 v[4:5], v1 offset:464
	s_waitcnt lgkmcnt(0)
	v_pk_mul_f32 v[6:7], v[2:3], v[4:5] op_sel:[1,1] op_sel_hi:[0,1]
	v_pk_fma_f32 v[8:9], v[2:3], v[4:5], v[6:7] neg_lo:[0,0,1] neg_hi:[0,0,1]
	v_pk_fma_f32 v[2:3], v[2:3], v[4:5], v[6:7] op_sel_hi:[1,0,1]
	s_nop 0
	v_mov_b32_e32 v9, v3
	scratch_store_dwordx2 off, v[8:9], off offset:464
.LBB122_247:
	s_or_b64 exec, exec, s[0:1]
	s_mov_b64 s[4:5], -1
	; wave barrier
.LBB122_248:
	s_and_b64 vcc, exec, s[4:5]
	s_cbranch_vccz .LBB122_250
; %bb.249:
	s_lshl_b64 s[0:1], s[2:3], 2
	s_add_u32 s0, s6, s0
	s_addc_u32 s1, s7, s1
	v_mov_b32_e32 v1, 0
	global_load_dword v1, v1, s[0:1]
	s_waitcnt vmcnt(0)
	v_cmp_ne_u32_e32 vcc, 0, v1
	s_cbranch_vccz .LBB122_251
.LBB122_250:
	s_endpgm
.LBB122_251:
	v_mov_b32_e32 v1, 0x1e0
	v_lshl_add_u32 v1, v0, 3, v1
	v_cmp_eq_u32_e32 vcc, 58, v0
	s_and_saveexec_b64 s[0:1], vcc
	s_cbranch_execz .LBB122_253
; %bb.252:
	scratch_load_dwordx2 v[2:3], off, off offset:456
	v_mov_b32_e32 v4, 0
	v_mov_b32_e32 v5, v4
	scratch_store_dwordx2 off, v[4:5], off offset:456
	s_waitcnt vmcnt(1)
	ds_write_b64 v1, v[2:3]
.LBB122_253:
	s_or_b64 exec, exec, s[0:1]
	s_waitcnt lgkmcnt(0)
	; wave barrier
	scratch_load_dwordx2 v[4:5], off, off offset:464
	scratch_load_dwordx2 v[6:7], off, off offset:456
	v_mov_b32_e32 v2, 0
	ds_read_b64 v[8:9], v2 offset:944
	v_cmp_lt_u32_e32 vcc, 56, v0
	s_waitcnt vmcnt(1) lgkmcnt(0)
	v_pk_mul_f32 v[10:11], v[8:9], v[4:5] op_sel:[1,1] op_sel_hi:[0,1]
	v_pk_fma_f32 v[12:13], v[8:9], v[4:5], v[10:11] neg_lo:[0,0,1] neg_hi:[0,0,1]
	v_pk_fma_f32 v[4:5], v[8:9], v[4:5], v[10:11] op_sel_hi:[1,0,1]
	s_nop 0
	v_mov_b32_e32 v13, v5
	v_pk_add_f32 v[4:5], v[12:13], 0 op_sel_hi:[1,0]
	s_waitcnt vmcnt(0)
	v_pk_add_f32 v[4:5], v[6:7], v[4:5] neg_lo:[0,1] neg_hi:[0,1]
	scratch_store_dwordx2 off, v[4:5], off offset:456
	s_and_saveexec_b64 s[0:1], vcc
	s_cbranch_execz .LBB122_255
; %bb.254:
	scratch_load_dwordx2 v[4:5], off, off offset:448
	v_mov_b32_e32 v3, v2
	scratch_store_dwordx2 off, v[2:3], off offset:448
	s_waitcnt vmcnt(1)
	ds_write_b64 v1, v[4:5]
.LBB122_255:
	s_or_b64 exec, exec, s[0:1]
	s_waitcnt lgkmcnt(0)
	; wave barrier
	scratch_load_dwordx4 v[4:7], off, off offset:456
	scratch_load_dwordx2 v[12:13], off, off offset:448
	ds_read2_b64 v[8:11], v2 offset0:117 offset1:118
	v_cmp_lt_u32_e32 vcc, 55, v0
	s_waitcnt vmcnt(1) lgkmcnt(0)
	v_pk_mul_f32 v[2:3], v[8:9], v[4:5] op_sel:[1,1] op_sel_hi:[0,1]
	v_mov_b32_e32 v14, v7
	v_pk_fma_f32 v[16:17], v[8:9], v[4:5], v[2:3] neg_lo:[0,0,1] neg_hi:[0,0,1]
	v_pk_fma_f32 v[2:3], v[8:9], v[4:5], v[2:3] op_sel_hi:[1,0,1]
	v_pk_mul_f32 v[4:5], v[10:11], v[14:15] op_sel:[1,0] op_sel_hi:[0,0]
	v_mov_b32_e32 v17, v3
	v_pk_fma_f32 v[2:3], v[10:11], v[6:7], v[4:5] neg_lo:[0,0,1] neg_hi:[0,0,1]
	v_pk_fma_f32 v[4:5], v[10:11], v[6:7], v[4:5] op_sel_hi:[1,0,1]
	v_pk_add_f32 v[6:7], v[16:17], 0 op_sel_hi:[1,0]
	v_mov_b32_e32 v3, v5
	v_pk_add_f32 v[2:3], v[6:7], v[2:3]
	s_waitcnt vmcnt(0)
	v_pk_add_f32 v[2:3], v[12:13], v[2:3] neg_lo:[0,1] neg_hi:[0,1]
	scratch_store_dwordx2 off, v[2:3], off offset:448
	s_and_saveexec_b64 s[0:1], vcc
	s_cbranch_execz .LBB122_257
; %bb.256:
	scratch_load_dwordx2 v[2:3], off, off offset:440
	v_mov_b32_e32 v4, 0
	v_mov_b32_e32 v5, v4
	scratch_store_dwordx2 off, v[4:5], off offset:440
	s_waitcnt vmcnt(1)
	ds_write_b64 v1, v[2:3]
.LBB122_257:
	s_or_b64 exec, exec, s[0:1]
	s_waitcnt lgkmcnt(0)
	; wave barrier
	scratch_load_dwordx4 v[4:7], off, off offset:448
	scratch_load_dwordx2 v[12:13], off, off offset:464
	scratch_load_dwordx2 v[14:15], off, off offset:440
	v_mov_b32_e32 v2, 0
	ds_read_b128 v[8:11], v2 offset:928
	ds_read_b64 v[16:17], v2 offset:944
	v_cmp_lt_u32_e32 vcc, 54, v0
	s_waitcnt vmcnt(2) lgkmcnt(1)
	v_pk_mul_f32 v[18:19], v[8:9], v[4:5] op_sel:[1,1] op_sel_hi:[0,1]
	v_mov_b32_e32 v20, v7
	v_pk_fma_f32 v[24:25], v[8:9], v[4:5], v[18:19] neg_lo:[0,0,1] neg_hi:[0,0,1]
	v_pk_fma_f32 v[4:5], v[8:9], v[4:5], v[18:19] op_sel_hi:[1,0,1]
	v_pk_mul_f32 v[8:9], v[10:11], v[20:21] op_sel:[1,0] op_sel_hi:[0,0]
	s_waitcnt vmcnt(1) lgkmcnt(0)
	v_pk_mul_f32 v[22:23], v[16:17], v[12:13] op_sel:[1,1] op_sel_hi:[0,1]
	v_mov_b32_e32 v25, v5
	v_pk_fma_f32 v[4:5], v[10:11], v[6:7], v[8:9] neg_lo:[0,0,1] neg_hi:[0,0,1]
	v_pk_fma_f32 v[6:7], v[10:11], v[6:7], v[8:9] op_sel_hi:[1,0,1]
	v_pk_fma_f32 v[18:19], v[16:17], v[12:13], v[22:23] neg_lo:[0,0,1] neg_hi:[0,0,1]
	v_pk_fma_f32 v[12:13], v[16:17], v[12:13], v[22:23] op_sel_hi:[1,0,1]
	v_pk_add_f32 v[8:9], v[24:25], 0 op_sel_hi:[1,0]
	v_mov_b32_e32 v5, v7
	v_mov_b32_e32 v19, v13
	v_pk_add_f32 v[4:5], v[8:9], v[4:5]
	s_nop 0
	v_pk_add_f32 v[4:5], v[4:5], v[18:19]
	s_waitcnt vmcnt(0)
	v_pk_add_f32 v[4:5], v[14:15], v[4:5] neg_lo:[0,1] neg_hi:[0,1]
	scratch_store_dwordx2 off, v[4:5], off offset:440
	s_and_saveexec_b64 s[0:1], vcc
	s_cbranch_execz .LBB122_259
; %bb.258:
	scratch_load_dwordx2 v[4:5], off, off offset:432
	v_mov_b32_e32 v3, v2
	scratch_store_dwordx2 off, v[2:3], off offset:432
	s_waitcnt vmcnt(1)
	ds_write_b64 v1, v[4:5]
.LBB122_259:
	s_or_b64 exec, exec, s[0:1]
	s_waitcnt lgkmcnt(0)
	; wave barrier
	scratch_load_dwordx4 v[4:7], off, off offset:440
	scratch_load_dwordx4 v[8:11], off, off offset:456
	scratch_load_dwordx2 v[20:21], off, off offset:432
	ds_read2_b64 v[12:15], v2 offset0:115 offset1:116
	ds_read2_b64 v[16:19], v2 offset0:117 offset1:118
	v_cmp_lt_u32_e32 vcc, 53, v0
	s_waitcnt vmcnt(2) lgkmcnt(1)
	v_pk_mul_f32 v[2:3], v[12:13], v[4:5] op_sel:[1,1] op_sel_hi:[0,1]
	v_mov_b32_e32 v22, v7
	s_waitcnt vmcnt(1) lgkmcnt(0)
	v_pk_mul_f32 v[24:25], v[16:17], v[8:9] op_sel:[1,1] op_sel_hi:[0,1]
	v_mov_b32_e32 v26, v11
	v_pk_fma_f32 v[28:29], v[12:13], v[4:5], v[2:3] neg_lo:[0,0,1] neg_hi:[0,0,1]
	v_pk_fma_f32 v[2:3], v[12:13], v[4:5], v[2:3] op_sel_hi:[1,0,1]
	v_pk_mul_f32 v[4:5], v[14:15], v[22:23] op_sel:[1,0] op_sel_hi:[0,0]
	v_pk_fma_f32 v[12:13], v[16:17], v[8:9], v[24:25] neg_lo:[0,0,1] neg_hi:[0,0,1]
	v_pk_fma_f32 v[8:9], v[16:17], v[8:9], v[24:25] op_sel_hi:[1,0,1]
	v_pk_mul_f32 v[16:17], v[18:19], v[26:27] op_sel:[1,0] op_sel_hi:[0,0]
	v_mov_b32_e32 v29, v3
	v_pk_fma_f32 v[2:3], v[14:15], v[6:7], v[4:5] neg_lo:[0,0,1] neg_hi:[0,0,1]
	v_pk_fma_f32 v[4:5], v[14:15], v[6:7], v[4:5] op_sel_hi:[1,0,1]
	v_mov_b32_e32 v13, v9
	v_pk_fma_f32 v[6:7], v[18:19], v[10:11], v[16:17] neg_lo:[0,0,1] neg_hi:[0,0,1]
	v_pk_fma_f32 v[8:9], v[18:19], v[10:11], v[16:17] op_sel_hi:[1,0,1]
	v_pk_add_f32 v[10:11], v[28:29], 0 op_sel_hi:[1,0]
	v_mov_b32_e32 v3, v5
	v_pk_add_f32 v[2:3], v[10:11], v[2:3]
	v_mov_b32_e32 v7, v9
	v_pk_add_f32 v[2:3], v[2:3], v[12:13]
	s_nop 0
	v_pk_add_f32 v[2:3], v[2:3], v[6:7]
	s_waitcnt vmcnt(0)
	v_pk_add_f32 v[2:3], v[20:21], v[2:3] neg_lo:[0,1] neg_hi:[0,1]
	scratch_store_dwordx2 off, v[2:3], off offset:432
	s_and_saveexec_b64 s[0:1], vcc
	s_cbranch_execz .LBB122_261
; %bb.260:
	scratch_load_dwordx2 v[2:3], off, off offset:424
	v_mov_b32_e32 v4, 0
	v_mov_b32_e32 v5, v4
	scratch_store_dwordx2 off, v[4:5], off offset:424
	s_waitcnt vmcnt(1)
	ds_write_b64 v1, v[2:3]
.LBB122_261:
	s_or_b64 exec, exec, s[0:1]
	s_waitcnt lgkmcnt(0)
	; wave barrier
	scratch_load_dwordx4 v[4:7], off, off offset:432
	scratch_load_dwordx4 v[8:11], off, off offset:448
	scratch_load_dwordx2 v[20:21], off, off offset:464
	scratch_load_dwordx2 v[22:23], off, off offset:424
	v_mov_b32_e32 v2, 0
	ds_read_b128 v[12:15], v2 offset:912
	ds_read_b128 v[16:19], v2 offset:928
	ds_read_b64 v[24:25], v2 offset:944
	v_cmp_lt_u32_e32 vcc, 52, v0
	s_waitcnt vmcnt(3) lgkmcnt(2)
	v_pk_mul_f32 v[26:27], v[12:13], v[4:5] op_sel:[1,1] op_sel_hi:[0,1]
	v_mov_b32_e32 v28, v7
	v_pk_fma_f32 v[36:37], v[12:13], v[4:5], v[26:27] neg_lo:[0,0,1] neg_hi:[0,0,1]
	v_pk_fma_f32 v[4:5], v[12:13], v[4:5], v[26:27] op_sel_hi:[1,0,1]
	v_pk_mul_f32 v[12:13], v[14:15], v[28:29] op_sel:[1,0] op_sel_hi:[0,0]
	s_waitcnt vmcnt(2) lgkmcnt(1)
	v_pk_mul_f32 v[30:31], v[16:17], v[8:9] op_sel:[1,1] op_sel_hi:[0,1]
	v_mov_b32_e32 v32, v11
	v_mov_b32_e32 v37, v5
	v_pk_fma_f32 v[4:5], v[14:15], v[6:7], v[12:13] neg_lo:[0,0,1] neg_hi:[0,0,1]
	v_pk_fma_f32 v[6:7], v[14:15], v[6:7], v[12:13] op_sel_hi:[1,0,1]
	v_pk_fma_f32 v[26:27], v[16:17], v[8:9], v[30:31] neg_lo:[0,0,1] neg_hi:[0,0,1]
	v_pk_fma_f32 v[8:9], v[16:17], v[8:9], v[30:31] op_sel_hi:[1,0,1]
	v_pk_mul_f32 v[16:17], v[18:19], v[32:33] op_sel:[1,0] op_sel_hi:[0,0]
	v_pk_add_f32 v[12:13], v[36:37], 0 op_sel_hi:[1,0]
	v_mov_b32_e32 v5, v7
	s_waitcnt vmcnt(1) lgkmcnt(0)
	v_pk_mul_f32 v[34:35], v[24:25], v[20:21] op_sel:[1,1] op_sel_hi:[0,1]
	v_mov_b32_e32 v27, v9
	v_pk_fma_f32 v[8:9], v[18:19], v[10:11], v[16:17] neg_lo:[0,0,1] neg_hi:[0,0,1]
	v_pk_fma_f32 v[10:11], v[18:19], v[10:11], v[16:17] op_sel_hi:[1,0,1]
	v_pk_add_f32 v[4:5], v[12:13], v[4:5]
	v_pk_fma_f32 v[28:29], v[24:25], v[20:21], v[34:35] neg_lo:[0,0,1] neg_hi:[0,0,1]
	v_pk_fma_f32 v[20:21], v[24:25], v[20:21], v[34:35] op_sel_hi:[1,0,1]
	v_mov_b32_e32 v9, v11
	v_pk_add_f32 v[4:5], v[4:5], v[26:27]
	v_mov_b32_e32 v29, v21
	v_pk_add_f32 v[4:5], v[4:5], v[8:9]
	s_nop 0
	v_pk_add_f32 v[4:5], v[4:5], v[28:29]
	s_waitcnt vmcnt(0)
	v_pk_add_f32 v[4:5], v[22:23], v[4:5] neg_lo:[0,1] neg_hi:[0,1]
	scratch_store_dwordx2 off, v[4:5], off offset:424
	s_and_saveexec_b64 s[0:1], vcc
	s_cbranch_execz .LBB122_263
; %bb.262:
	scratch_load_dwordx2 v[4:5], off, off offset:416
	v_mov_b32_e32 v3, v2
	scratch_store_dwordx2 off, v[2:3], off offset:416
	s_waitcnt vmcnt(1)
	ds_write_b64 v1, v[4:5]
.LBB122_263:
	s_or_b64 exec, exec, s[0:1]
	s_waitcnt lgkmcnt(0)
	; wave barrier
	scratch_load_dwordx4 v[4:7], off, off offset:424
	scratch_load_dwordx4 v[8:11], off, off offset:440
	;; [unrolled: 1-line block ×3, first 2 shown]
	scratch_load_dwordx2 v[28:29], off, off offset:416
	ds_read2_b64 v[16:19], v2 offset0:113 offset1:114
	ds_read2_b64 v[20:23], v2 offset0:115 offset1:116
	;; [unrolled: 1-line block ×3, first 2 shown]
	v_cmp_lt_u32_e32 vcc, 51, v0
	s_waitcnt vmcnt(3) lgkmcnt(2)
	v_pk_mul_f32 v[2:3], v[16:17], v[4:5] op_sel:[1,1] op_sel_hi:[0,1]
	v_mov_b32_e32 v30, v7
	s_waitcnt vmcnt(2) lgkmcnt(1)
	v_pk_mul_f32 v[32:33], v[20:21], v[8:9] op_sel:[1,1] op_sel_hi:[0,1]
	v_mov_b32_e32 v34, v11
	;; [unrolled: 3-line block ×3, first 2 shown]
	v_pk_fma_f32 v[40:41], v[16:17], v[4:5], v[2:3] neg_lo:[0,0,1] neg_hi:[0,0,1]
	v_pk_fma_f32 v[2:3], v[16:17], v[4:5], v[2:3] op_sel_hi:[1,0,1]
	v_pk_mul_f32 v[4:5], v[18:19], v[30:31] op_sel:[1,0] op_sel_hi:[0,0]
	v_pk_fma_f32 v[16:17], v[20:21], v[8:9], v[32:33] neg_lo:[0,0,1] neg_hi:[0,0,1]
	v_pk_fma_f32 v[8:9], v[20:21], v[8:9], v[32:33] op_sel_hi:[1,0,1]
	v_pk_mul_f32 v[20:21], v[22:23], v[34:35] op_sel:[1,0] op_sel_hi:[0,0]
	;; [unrolled: 3-line block ×3, first 2 shown]
	v_mov_b32_e32 v41, v3
	v_pk_fma_f32 v[2:3], v[18:19], v[6:7], v[4:5] neg_lo:[0,0,1] neg_hi:[0,0,1]
	v_pk_fma_f32 v[4:5], v[18:19], v[6:7], v[4:5] op_sel_hi:[1,0,1]
	v_mov_b32_e32 v17, v9
	v_pk_fma_f32 v[6:7], v[22:23], v[10:11], v[20:21] neg_lo:[0,0,1] neg_hi:[0,0,1]
	v_pk_fma_f32 v[8:9], v[22:23], v[10:11], v[20:21] op_sel_hi:[1,0,1]
	;; [unrolled: 3-line block ×3, first 2 shown]
	v_pk_add_f32 v[14:15], v[40:41], 0 op_sel_hi:[1,0]
	v_mov_b32_e32 v3, v5
	v_pk_add_f32 v[2:3], v[14:15], v[2:3]
	v_mov_b32_e32 v7, v9
	v_pk_add_f32 v[2:3], v[2:3], v[16:17]
	;; [unrolled: 2-line block ×3, first 2 shown]
	s_nop 0
	v_pk_add_f32 v[2:3], v[2:3], v[30:31]
	s_nop 0
	v_pk_add_f32 v[2:3], v[2:3], v[10:11]
	s_waitcnt vmcnt(0)
	v_pk_add_f32 v[2:3], v[28:29], v[2:3] neg_lo:[0,1] neg_hi:[0,1]
	scratch_store_dwordx2 off, v[2:3], off offset:416
	s_and_saveexec_b64 s[0:1], vcc
	s_cbranch_execz .LBB122_265
; %bb.264:
	scratch_load_dwordx2 v[2:3], off, off offset:408
	v_mov_b32_e32 v4, 0
	v_mov_b32_e32 v5, v4
	scratch_store_dwordx2 off, v[4:5], off offset:408
	s_waitcnt vmcnt(1)
	ds_write_b64 v1, v[2:3]
.LBB122_265:
	s_or_b64 exec, exec, s[0:1]
	s_waitcnt lgkmcnt(0)
	; wave barrier
	scratch_load_dwordx4 v[4:7], off, off offset:416
	scratch_load_dwordx4 v[8:11], off, off offset:432
	;; [unrolled: 1-line block ×3, first 2 shown]
	scratch_load_dwordx2 v[28:29], off, off offset:464
	scratch_load_dwordx2 v[30:31], off, off offset:408
	v_mov_b32_e32 v2, 0
	ds_read_b128 v[16:19], v2 offset:896
	ds_read_b128 v[20:23], v2 offset:912
	;; [unrolled: 1-line block ×3, first 2 shown]
	ds_read_b64 v[32:33], v2 offset:944
	v_cmp_lt_u32_e32 vcc, 50, v0
	s_waitcnt vmcnt(4) lgkmcnt(3)
	v_pk_mul_f32 v[34:35], v[16:17], v[4:5] op_sel:[1,1] op_sel_hi:[0,1]
	v_mov_b32_e32 v36, v7
	v_pk_fma_f32 v[48:49], v[16:17], v[4:5], v[34:35] neg_lo:[0,0,1] neg_hi:[0,0,1]
	v_pk_fma_f32 v[4:5], v[16:17], v[4:5], v[34:35] op_sel_hi:[1,0,1]
	v_pk_mul_f32 v[16:17], v[18:19], v[36:37] op_sel:[1,0] op_sel_hi:[0,0]
	s_waitcnt vmcnt(3) lgkmcnt(2)
	v_pk_mul_f32 v[38:39], v[20:21], v[8:9] op_sel:[1,1] op_sel_hi:[0,1]
	v_mov_b32_e32 v40, v11
	v_mov_b32_e32 v49, v5
	v_pk_fma_f32 v[4:5], v[18:19], v[6:7], v[16:17] neg_lo:[0,0,1] neg_hi:[0,0,1]
	v_pk_fma_f32 v[6:7], v[18:19], v[6:7], v[16:17] op_sel_hi:[1,0,1]
	v_pk_fma_f32 v[34:35], v[20:21], v[8:9], v[38:39] neg_lo:[0,0,1] neg_hi:[0,0,1]
	v_pk_fma_f32 v[8:9], v[20:21], v[8:9], v[38:39] op_sel_hi:[1,0,1]
	v_pk_mul_f32 v[20:21], v[22:23], v[40:41] op_sel:[1,0] op_sel_hi:[0,0]
	v_pk_add_f32 v[16:17], v[48:49], 0 op_sel_hi:[1,0]
	v_mov_b32_e32 v5, v7
	s_waitcnt vmcnt(2) lgkmcnt(1)
	v_pk_mul_f32 v[42:43], v[24:25], v[12:13] op_sel:[1,1] op_sel_hi:[0,1]
	v_mov_b32_e32 v44, v15
	v_mov_b32_e32 v35, v9
	v_pk_fma_f32 v[8:9], v[22:23], v[10:11], v[20:21] neg_lo:[0,0,1] neg_hi:[0,0,1]
	v_pk_fma_f32 v[10:11], v[22:23], v[10:11], v[20:21] op_sel_hi:[1,0,1]
	v_pk_add_f32 v[4:5], v[16:17], v[4:5]
	v_pk_fma_f32 v[36:37], v[24:25], v[12:13], v[42:43] neg_lo:[0,0,1] neg_hi:[0,0,1]
	v_pk_fma_f32 v[12:13], v[24:25], v[12:13], v[42:43] op_sel_hi:[1,0,1]
	v_pk_mul_f32 v[24:25], v[26:27], v[44:45] op_sel:[1,0] op_sel_hi:[0,0]
	v_mov_b32_e32 v9, v11
	v_pk_add_f32 v[4:5], v[4:5], v[34:35]
	s_waitcnt vmcnt(1) lgkmcnt(0)
	v_pk_mul_f32 v[46:47], v[32:33], v[28:29] op_sel:[1,1] op_sel_hi:[0,1]
	v_mov_b32_e32 v37, v13
	v_pk_fma_f32 v[12:13], v[26:27], v[14:15], v[24:25] neg_lo:[0,0,1] neg_hi:[0,0,1]
	v_pk_fma_f32 v[14:15], v[26:27], v[14:15], v[24:25] op_sel_hi:[1,0,1]
	v_pk_add_f32 v[4:5], v[4:5], v[8:9]
	v_pk_fma_f32 v[38:39], v[32:33], v[28:29], v[46:47] neg_lo:[0,0,1] neg_hi:[0,0,1]
	v_pk_fma_f32 v[28:29], v[32:33], v[28:29], v[46:47] op_sel_hi:[1,0,1]
	v_mov_b32_e32 v13, v15
	v_pk_add_f32 v[4:5], v[4:5], v[36:37]
	v_mov_b32_e32 v39, v29
	v_pk_add_f32 v[4:5], v[4:5], v[12:13]
	s_nop 0
	v_pk_add_f32 v[4:5], v[4:5], v[38:39]
	s_waitcnt vmcnt(0)
	v_pk_add_f32 v[4:5], v[30:31], v[4:5] neg_lo:[0,1] neg_hi:[0,1]
	scratch_store_dwordx2 off, v[4:5], off offset:408
	s_and_saveexec_b64 s[0:1], vcc
	s_cbranch_execz .LBB122_267
; %bb.266:
	scratch_load_dwordx2 v[4:5], off, off offset:400
	v_mov_b32_e32 v3, v2
	scratch_store_dwordx2 off, v[2:3], off offset:400
	s_waitcnt vmcnt(1)
	ds_write_b64 v1, v[4:5]
.LBB122_267:
	s_or_b64 exec, exec, s[0:1]
	s_waitcnt lgkmcnt(0)
	; wave barrier
	scratch_load_dwordx4 v[4:7], off, off offset:408
	scratch_load_dwordx4 v[8:11], off, off offset:424
	;; [unrolled: 1-line block ×4, first 2 shown]
	ds_read2_b64 v[20:23], v2 offset0:111 offset1:112
	ds_read2_b64 v[24:27], v2 offset0:113 offset1:114
	;; [unrolled: 1-line block ×4, first 2 shown]
	v_cmp_lt_u32_e32 vcc, 49, v0
	s_waitcnt vmcnt(3) lgkmcnt(3)
	v_pk_mul_f32 v[2:3], v[20:21], v[4:5] op_sel:[1,1] op_sel_hi:[0,1]
	v_pk_fma_f32 v[36:37], v[20:21], v[4:5], v[2:3] neg_lo:[0,0,1] neg_hi:[0,0,1]
	v_pk_fma_f32 v[2:3], v[20:21], v[4:5], v[2:3] op_sel_hi:[1,0,1]
	v_mov_b32_e32 v4, v7
	v_pk_mul_f32 v[4:5], v[22:23], v[4:5] op_sel:[1,0] op_sel_hi:[0,0]
	v_pk_fma_f32 v[20:21], v[22:23], v[6:7], v[4:5] neg_lo:[0,0,1] neg_hi:[0,0,1]
	v_pk_fma_f32 v[4:5], v[22:23], v[6:7], v[4:5] op_sel_hi:[1,0,1]
	v_mov_b32_e32 v37, v3
	v_mov_b32_e32 v21, v5
	s_waitcnt vmcnt(2) lgkmcnt(2)
	v_pk_mul_f32 v[4:5], v[24:25], v[8:9] op_sel:[1,1] op_sel_hi:[0,1]
	v_pk_fma_f32 v[6:7], v[24:25], v[8:9], v[4:5] neg_lo:[0,0,1] neg_hi:[0,0,1]
	v_pk_fma_f32 v[4:5], v[24:25], v[8:9], v[4:5] op_sel_hi:[1,0,1]
	v_pk_add_f32 v[2:3], v[36:37], 0 op_sel_hi:[1,0]
	v_mov_b32_e32 v4, v11
	v_pk_add_f32 v[2:3], v[2:3], v[20:21]
	v_mov_b32_e32 v7, v5
	v_pk_mul_f32 v[4:5], v[26:27], v[4:5] op_sel:[1,0] op_sel_hi:[0,0]
	v_pk_add_f32 v[2:3], v[2:3], v[6:7]
	v_pk_fma_f32 v[6:7], v[26:27], v[10:11], v[4:5] neg_lo:[0,0,1] neg_hi:[0,0,1]
	v_pk_fma_f32 v[4:5], v[26:27], v[10:11], v[4:5] op_sel_hi:[1,0,1]
	s_nop 0
	v_mov_b32_e32 v7, v5
	s_waitcnt vmcnt(1) lgkmcnt(1)
	v_pk_mul_f32 v[4:5], v[28:29], v[12:13] op_sel:[1,1] op_sel_hi:[0,1]
	v_pk_add_f32 v[2:3], v[2:3], v[6:7]
	v_pk_fma_f32 v[6:7], v[28:29], v[12:13], v[4:5] neg_lo:[0,0,1] neg_hi:[0,0,1]
	v_pk_fma_f32 v[4:5], v[28:29], v[12:13], v[4:5] op_sel_hi:[1,0,1]
	s_nop 0
	v_mov_b32_e32 v4, v15
	v_mov_b32_e32 v7, v5
	v_pk_mul_f32 v[4:5], v[30:31], v[4:5] op_sel:[1,0] op_sel_hi:[0,0]
	v_pk_add_f32 v[2:3], v[2:3], v[6:7]
	v_pk_fma_f32 v[6:7], v[30:31], v[14:15], v[4:5] neg_lo:[0,0,1] neg_hi:[0,0,1]
	v_pk_fma_f32 v[4:5], v[30:31], v[14:15], v[4:5] op_sel_hi:[1,0,1]
	s_nop 0
	v_mov_b32_e32 v7, v5
	s_waitcnt vmcnt(0) lgkmcnt(0)
	v_pk_mul_f32 v[4:5], v[32:33], v[16:17] op_sel:[1,1] op_sel_hi:[0,1]
	v_pk_add_f32 v[2:3], v[2:3], v[6:7]
	v_pk_fma_f32 v[6:7], v[32:33], v[16:17], v[4:5] neg_lo:[0,0,1] neg_hi:[0,0,1]
	v_pk_fma_f32 v[4:5], v[32:33], v[16:17], v[4:5] op_sel_hi:[1,0,1]
	s_nop 0
	v_mov_b32_e32 v4, v19
	v_mov_b32_e32 v7, v5
	v_pk_mul_f32 v[4:5], v[34:35], v[4:5] op_sel:[1,0] op_sel_hi:[0,0]
	v_pk_add_f32 v[2:3], v[2:3], v[6:7]
	v_pk_fma_f32 v[6:7], v[34:35], v[18:19], v[4:5] neg_lo:[0,0,1] neg_hi:[0,0,1]
	v_pk_fma_f32 v[4:5], v[34:35], v[18:19], v[4:5] op_sel_hi:[1,0,1]
	s_nop 0
	v_mov_b32_e32 v7, v5
	scratch_load_dwordx2 v[4:5], off, off offset:400
	v_pk_add_f32 v[2:3], v[2:3], v[6:7]
	s_waitcnt vmcnt(0)
	v_pk_add_f32 v[2:3], v[4:5], v[2:3] neg_lo:[0,1] neg_hi:[0,1]
	scratch_store_dwordx2 off, v[2:3], off offset:400
	s_and_saveexec_b64 s[0:1], vcc
	s_cbranch_execz .LBB122_269
; %bb.268:
	scratch_load_dwordx2 v[2:3], off, off offset:392
	v_mov_b32_e32 v4, 0
	v_mov_b32_e32 v5, v4
	scratch_store_dwordx2 off, v[4:5], off offset:392
	s_waitcnt vmcnt(1)
	ds_write_b64 v1, v[2:3]
.LBB122_269:
	s_or_b64 exec, exec, s[0:1]
	v_mov_b32_e32 v2, 0
	s_waitcnt lgkmcnt(0)
	; wave barrier
	ds_read_b128 v[4:7], v2 offset:880
	ds_read_b128 v[8:11], v2 offset:896
	;; [unrolled: 1-line block ×4, first 2 shown]
	scratch_load_dwordx4 v[20:23], off, off offset:400
	scratch_load_dwordx4 v[24:27], off, off offset:416
	;; [unrolled: 1-line block ×4, first 2 shown]
	scratch_load_dwordx2 v[38:39], off, off offset:464
	v_cmp_lt_u32_e32 vcc, 48, v0
	s_waitcnt vmcnt(4) lgkmcnt(3)
	v_mul_f32_e32 v37, v4, v21
	v_mul_f32_e32 v3, v5, v21
	v_fmac_f32_e32 v37, v5, v20
	v_fma_f32 v36, v4, v20, -v3
	v_pk_add_f32 v[20:21], v[36:37], 0 op_sel_hi:[1,0]
	v_mov_b32_e32 v36, v23
	v_pk_mul_f32 v[36:37], v[6:7], v[36:37] op_sel:[1,0] op_sel_hi:[0,0]
	v_pk_fma_f32 v[40:41], v[6:7], v[22:23], v[36:37] neg_lo:[0,0,1] neg_hi:[0,0,1]
	v_pk_fma_f32 v[6:7], v[6:7], v[22:23], v[36:37] op_sel_hi:[1,0,1]
	ds_read_b64 v[4:5], v2 offset:944
	v_mov_b32_e32 v41, v7
	v_pk_add_f32 v[6:7], v[20:21], v[40:41]
	s_waitcnt vmcnt(3) lgkmcnt(3)
	v_pk_mul_f32 v[20:21], v[8:9], v[24:25] op_sel:[1,1] op_sel_hi:[0,1]
	v_pk_fma_f32 v[22:23], v[8:9], v[24:25], v[20:21] neg_lo:[0,0,1] neg_hi:[0,0,1]
	v_pk_fma_f32 v[8:9], v[8:9], v[24:25], v[20:21] op_sel_hi:[1,0,1]
	s_nop 0
	v_mov_b32_e32 v8, v27
	v_mov_b32_e32 v23, v9
	v_pk_mul_f32 v[8:9], v[10:11], v[8:9] op_sel:[1,0] op_sel_hi:[0,0]
	v_pk_fma_f32 v[20:21], v[10:11], v[26:27], v[8:9] neg_lo:[0,0,1] neg_hi:[0,0,1]
	v_pk_fma_f32 v[8:9], v[10:11], v[26:27], v[8:9] op_sel_hi:[1,0,1]
	v_pk_add_f32 v[6:7], v[6:7], v[22:23]
	v_mov_b32_e32 v21, v9
	s_waitcnt vmcnt(2) lgkmcnt(2)
	v_pk_mul_f32 v[8:9], v[12:13], v[28:29] op_sel:[1,1] op_sel_hi:[0,1]
	v_pk_fma_f32 v[10:11], v[12:13], v[28:29], v[8:9] neg_lo:[0,0,1] neg_hi:[0,0,1]
	v_pk_fma_f32 v[8:9], v[12:13], v[28:29], v[8:9] op_sel_hi:[1,0,1]
	v_pk_add_f32 v[6:7], v[6:7], v[20:21]
	v_mov_b32_e32 v8, v31
	v_mov_b32_e32 v11, v9
	v_pk_mul_f32 v[8:9], v[14:15], v[8:9] op_sel:[1,0] op_sel_hi:[0,0]
	v_pk_add_f32 v[6:7], v[6:7], v[10:11]
	v_pk_fma_f32 v[10:11], v[14:15], v[30:31], v[8:9] neg_lo:[0,0,1] neg_hi:[0,0,1]
	v_pk_fma_f32 v[8:9], v[14:15], v[30:31], v[8:9] op_sel_hi:[1,0,1]
	s_nop 0
	v_mov_b32_e32 v11, v9
	s_waitcnt vmcnt(1) lgkmcnt(1)
	v_pk_mul_f32 v[8:9], v[16:17], v[32:33] op_sel:[1,1] op_sel_hi:[0,1]
	v_pk_add_f32 v[6:7], v[6:7], v[10:11]
	v_pk_fma_f32 v[10:11], v[16:17], v[32:33], v[8:9] neg_lo:[0,0,1] neg_hi:[0,0,1]
	v_pk_fma_f32 v[8:9], v[16:17], v[32:33], v[8:9] op_sel_hi:[1,0,1]
	s_nop 0
	v_mov_b32_e32 v8, v35
	v_mov_b32_e32 v11, v9
	v_pk_mul_f32 v[8:9], v[18:19], v[8:9] op_sel:[1,0] op_sel_hi:[0,0]
	v_pk_add_f32 v[6:7], v[6:7], v[10:11]
	v_pk_fma_f32 v[10:11], v[18:19], v[34:35], v[8:9] neg_lo:[0,0,1] neg_hi:[0,0,1]
	v_pk_fma_f32 v[8:9], v[18:19], v[34:35], v[8:9] op_sel_hi:[1,0,1]
	s_nop 0
	v_mov_b32_e32 v11, v9
	s_waitcnt vmcnt(0) lgkmcnt(0)
	v_pk_mul_f32 v[8:9], v[4:5], v[38:39] op_sel:[1,1] op_sel_hi:[0,1]
	v_pk_add_f32 v[6:7], v[6:7], v[10:11]
	v_pk_fma_f32 v[10:11], v[4:5], v[38:39], v[8:9] neg_lo:[0,0,1] neg_hi:[0,0,1]
	v_pk_fma_f32 v[4:5], v[4:5], v[38:39], v[8:9] op_sel_hi:[1,0,1]
	s_nop 0
	v_mov_b32_e32 v11, v5
	v_pk_add_f32 v[4:5], v[6:7], v[10:11]
	scratch_load_dwordx2 v[6:7], off, off offset:392
	s_waitcnt vmcnt(0)
	v_pk_add_f32 v[4:5], v[6:7], v[4:5] neg_lo:[0,1] neg_hi:[0,1]
	scratch_store_dwordx2 off, v[4:5], off offset:392
	s_and_saveexec_b64 s[0:1], vcc
	s_cbranch_execz .LBB122_271
; %bb.270:
	scratch_load_dwordx2 v[4:5], off, off offset:384
	v_mov_b32_e32 v3, v2
	scratch_store_dwordx2 off, v[2:3], off offset:384
	s_waitcnt vmcnt(1)
	ds_write_b64 v1, v[4:5]
.LBB122_271:
	s_or_b64 exec, exec, s[0:1]
	s_waitcnt lgkmcnt(0)
	; wave barrier
	scratch_load_dwordx4 v[8:11], off, off offset:392
	ds_read2_b64 v[4:7], v2 offset0:109 offset1:110
	scratch_load_dwordx4 v[12:15], off, off offset:408
	scratch_load_dwordx4 v[16:19], off, off offset:424
	;; [unrolled: 1-line block ×4, first 2 shown]
	v_cmp_lt_u32_e32 vcc, 47, v0
	s_waitcnt vmcnt(4) lgkmcnt(0)
	v_mul_f32_e32 v3, v5, v9
	v_mul_f32_e32 v37, v4, v9
	;; [unrolled: 1-line block ×3, first 2 shown]
	v_fma_f32 v36, v4, v8, -v3
	v_mul_f32_e32 v3, v7, v11
	v_fmac_f32_e32 v37, v5, v8
	v_fmac_f32_e32 v39, v7, v10
	v_fma_f32 v38, v6, v10, -v3
	ds_read2_b64 v[4:7], v2 offset0:111 offset1:112
	ds_read2_b64 v[8:11], v2 offset0:113 offset1:114
	;; [unrolled: 1-line block ×4, first 2 shown]
	v_pk_add_f32 v[2:3], v[36:37], 0 op_sel_hi:[1,0]
	s_waitcnt vmcnt(3) lgkmcnt(3)
	v_pk_mul_f32 v[36:37], v[4:5], v[12:13] op_sel:[1,1] op_sel_hi:[0,1]
	v_pk_add_f32 v[2:3], v[2:3], v[38:39]
	v_pk_fma_f32 v[38:39], v[4:5], v[12:13], v[36:37] neg_lo:[0,0,1] neg_hi:[0,0,1]
	v_pk_fma_f32 v[4:5], v[4:5], v[12:13], v[36:37] op_sel_hi:[1,0,1]
	s_nop 0
	v_mov_b32_e32 v4, v15
	v_mov_b32_e32 v39, v5
	v_pk_mul_f32 v[4:5], v[6:7], v[4:5] op_sel:[1,0] op_sel_hi:[0,0]
	v_pk_fma_f32 v[12:13], v[6:7], v[14:15], v[4:5] neg_lo:[0,0,1] neg_hi:[0,0,1]
	v_pk_fma_f32 v[4:5], v[6:7], v[14:15], v[4:5] op_sel_hi:[1,0,1]
	v_pk_add_f32 v[2:3], v[2:3], v[38:39]
	v_mov_b32_e32 v13, v5
	s_waitcnt vmcnt(2) lgkmcnt(2)
	v_pk_mul_f32 v[4:5], v[8:9], v[16:17] op_sel:[1,1] op_sel_hi:[0,1]
	v_pk_fma_f32 v[6:7], v[8:9], v[16:17], v[4:5] neg_lo:[0,0,1] neg_hi:[0,0,1]
	v_pk_fma_f32 v[4:5], v[8:9], v[16:17], v[4:5] op_sel_hi:[1,0,1]
	v_pk_add_f32 v[2:3], v[2:3], v[12:13]
	v_mov_b32_e32 v4, v19
	v_mov_b32_e32 v7, v5
	v_pk_mul_f32 v[4:5], v[10:11], v[4:5] op_sel:[1,0] op_sel_hi:[0,0]
	v_pk_add_f32 v[2:3], v[2:3], v[6:7]
	v_pk_fma_f32 v[6:7], v[10:11], v[18:19], v[4:5] neg_lo:[0,0,1] neg_hi:[0,0,1]
	v_pk_fma_f32 v[4:5], v[10:11], v[18:19], v[4:5] op_sel_hi:[1,0,1]
	s_nop 0
	v_mov_b32_e32 v7, v5
	s_waitcnt vmcnt(1) lgkmcnt(1)
	v_pk_mul_f32 v[4:5], v[28:29], v[20:21] op_sel:[1,1] op_sel_hi:[0,1]
	v_pk_add_f32 v[2:3], v[2:3], v[6:7]
	v_pk_fma_f32 v[6:7], v[28:29], v[20:21], v[4:5] neg_lo:[0,0,1] neg_hi:[0,0,1]
	v_pk_fma_f32 v[4:5], v[28:29], v[20:21], v[4:5] op_sel_hi:[1,0,1]
	s_nop 0
	v_mov_b32_e32 v4, v23
	v_mov_b32_e32 v7, v5
	v_pk_mul_f32 v[4:5], v[30:31], v[4:5] op_sel:[1,0] op_sel_hi:[0,0]
	v_pk_add_f32 v[2:3], v[2:3], v[6:7]
	v_pk_fma_f32 v[6:7], v[30:31], v[22:23], v[4:5] neg_lo:[0,0,1] neg_hi:[0,0,1]
	v_pk_fma_f32 v[4:5], v[30:31], v[22:23], v[4:5] op_sel_hi:[1,0,1]
	s_nop 0
	v_mov_b32_e32 v7, v5
	s_waitcnt vmcnt(0) lgkmcnt(0)
	v_pk_mul_f32 v[4:5], v[32:33], v[24:25] op_sel:[1,1] op_sel_hi:[0,1]
	v_pk_add_f32 v[2:3], v[2:3], v[6:7]
	v_pk_fma_f32 v[6:7], v[32:33], v[24:25], v[4:5] neg_lo:[0,0,1] neg_hi:[0,0,1]
	v_pk_fma_f32 v[4:5], v[32:33], v[24:25], v[4:5] op_sel_hi:[1,0,1]
	s_nop 0
	v_mov_b32_e32 v4, v27
	v_mov_b32_e32 v7, v5
	v_pk_mul_f32 v[4:5], v[34:35], v[4:5] op_sel:[1,0] op_sel_hi:[0,0]
	v_pk_add_f32 v[2:3], v[2:3], v[6:7]
	v_pk_fma_f32 v[6:7], v[34:35], v[26:27], v[4:5] neg_lo:[0,0,1] neg_hi:[0,0,1]
	v_pk_fma_f32 v[4:5], v[34:35], v[26:27], v[4:5] op_sel_hi:[1,0,1]
	s_nop 0
	v_mov_b32_e32 v7, v5
	scratch_load_dwordx2 v[4:5], off, off offset:384
	v_pk_add_f32 v[2:3], v[2:3], v[6:7]
	s_waitcnt vmcnt(0)
	v_pk_add_f32 v[2:3], v[4:5], v[2:3] neg_lo:[0,1] neg_hi:[0,1]
	scratch_store_dwordx2 off, v[2:3], off offset:384
	s_and_saveexec_b64 s[0:1], vcc
	s_cbranch_execz .LBB122_273
; %bb.272:
	scratch_load_dwordx2 v[2:3], off, off offset:376
	v_mov_b32_e32 v4, 0
	v_mov_b32_e32 v5, v4
	scratch_store_dwordx2 off, v[4:5], off offset:376
	s_waitcnt vmcnt(1)
	ds_write_b64 v1, v[2:3]
.LBB122_273:
	s_or_b64 exec, exec, s[0:1]
	v_mov_b32_e32 v2, 0
	s_waitcnt lgkmcnt(0)
	; wave barrier
	ds_read_b128 v[4:7], v2 offset:864
	ds_read_b128 v[8:11], v2 offset:880
	;; [unrolled: 1-line block ×4, first 2 shown]
	scratch_load_dwordx4 v[20:23], off, off offset:384
	scratch_load_dwordx4 v[24:27], off, off offset:400
	;; [unrolled: 1-line block ×5, first 2 shown]
	scratch_load_dwordx2 v[46:47], off, off offset:464
	v_cmp_lt_u32_e32 vcc, 46, v0
	s_waitcnt vmcnt(5) lgkmcnt(3)
	v_mul_f32_e32 v3, v4, v21
	v_fmac_f32_e32 v3, v5, v20
	v_add_f32_e32 v41, 0, v3
	v_mul_f32_e32 v3, v5, v21
	v_fma_f32 v3, v4, v20, -v3
	v_mul_f32_e32 v43, v6, v23
	v_add_f32_e32 v40, 0, v3
	v_mul_f32_e32 v3, v7, v23
	v_fmac_f32_e32 v43, v7, v22
	v_fma_f32 v42, v6, v22, -v3
	s_waitcnt vmcnt(4)
	v_mov_b32_e32 v22, v27
	s_waitcnt lgkmcnt(2)
	v_mul_f32_e32 v45, v8, v25
	v_mul_f32_e32 v3, v9, v25
	v_pk_mul_f32 v[22:23], v[10:11], v[22:23] op_sel:[1,0] op_sel_hi:[0,0]
	v_fmac_f32_e32 v45, v9, v24
	v_fma_f32 v44, v8, v24, -v3
	v_pk_add_f32 v[20:21], v[40:41], v[42:43]
	v_pk_fma_f32 v[24:25], v[10:11], v[26:27], v[22:23] neg_lo:[0,0,1] neg_hi:[0,0,1]
	v_pk_fma_f32 v[10:11], v[10:11], v[26:27], v[22:23] op_sel_hi:[1,0,1]
	v_pk_add_f32 v[20:21], v[20:21], v[44:45]
	v_mov_b32_e32 v25, v11
	v_pk_add_f32 v[10:11], v[20:21], v[24:25]
	s_waitcnt vmcnt(3) lgkmcnt(1)
	v_pk_mul_f32 v[20:21], v[12:13], v[28:29] op_sel:[1,1] op_sel_hi:[0,1]
	v_pk_fma_f32 v[22:23], v[12:13], v[28:29], v[20:21] neg_lo:[0,0,1] neg_hi:[0,0,1]
	v_pk_fma_f32 v[12:13], v[12:13], v[28:29], v[20:21] op_sel_hi:[1,0,1]
	ds_read_b128 v[4:7], v2 offset:928
	ds_read_b64 v[8:9], v2 offset:944
	v_mov_b32_e32 v12, v31
	v_mov_b32_e32 v23, v13
	v_pk_mul_f32 v[12:13], v[14:15], v[12:13] op_sel:[1,0] op_sel_hi:[0,0]
	v_pk_fma_f32 v[20:21], v[14:15], v[30:31], v[12:13] neg_lo:[0,0,1] neg_hi:[0,0,1]
	v_pk_fma_f32 v[12:13], v[14:15], v[30:31], v[12:13] op_sel_hi:[1,0,1]
	v_pk_add_f32 v[10:11], v[10:11], v[22:23]
	v_mov_b32_e32 v21, v13
	s_waitcnt vmcnt(2) lgkmcnt(2)
	v_pk_mul_f32 v[12:13], v[16:17], v[32:33] op_sel:[1,1] op_sel_hi:[0,1]
	v_pk_fma_f32 v[14:15], v[16:17], v[32:33], v[12:13] neg_lo:[0,0,1] neg_hi:[0,0,1]
	v_pk_fma_f32 v[12:13], v[16:17], v[32:33], v[12:13] op_sel_hi:[1,0,1]
	v_pk_add_f32 v[10:11], v[10:11], v[20:21]
	v_mov_b32_e32 v12, v35
	v_mov_b32_e32 v15, v13
	v_pk_mul_f32 v[12:13], v[18:19], v[12:13] op_sel:[1,0] op_sel_hi:[0,0]
	v_pk_add_f32 v[10:11], v[10:11], v[14:15]
	v_pk_fma_f32 v[14:15], v[18:19], v[34:35], v[12:13] neg_lo:[0,0,1] neg_hi:[0,0,1]
	v_pk_fma_f32 v[12:13], v[18:19], v[34:35], v[12:13] op_sel_hi:[1,0,1]
	s_nop 0
	v_mov_b32_e32 v15, v13
	s_waitcnt vmcnt(1) lgkmcnt(1)
	v_pk_mul_f32 v[12:13], v[4:5], v[36:37] op_sel:[1,1] op_sel_hi:[0,1]
	v_pk_add_f32 v[10:11], v[10:11], v[14:15]
	v_pk_fma_f32 v[14:15], v[4:5], v[36:37], v[12:13] neg_lo:[0,0,1] neg_hi:[0,0,1]
	v_pk_fma_f32 v[4:5], v[4:5], v[36:37], v[12:13] op_sel_hi:[1,0,1]
	s_nop 0
	v_mov_b32_e32 v15, v5
	v_pk_add_f32 v[4:5], v[10:11], v[14:15]
	v_mov_b32_e32 v10, v39
	v_pk_mul_f32 v[10:11], v[6:7], v[10:11] op_sel:[1,0] op_sel_hi:[0,0]
	v_pk_fma_f32 v[12:13], v[6:7], v[38:39], v[10:11] neg_lo:[0,0,1] neg_hi:[0,0,1]
	v_pk_fma_f32 v[6:7], v[6:7], v[38:39], v[10:11] op_sel_hi:[1,0,1]
	s_nop 0
	v_mov_b32_e32 v13, v7
	s_waitcnt vmcnt(0) lgkmcnt(0)
	v_pk_mul_f32 v[6:7], v[8:9], v[46:47] op_sel:[1,1] op_sel_hi:[0,1]
	v_pk_fma_f32 v[10:11], v[8:9], v[46:47], v[6:7] neg_lo:[0,0,1] neg_hi:[0,0,1]
	v_pk_fma_f32 v[6:7], v[8:9], v[46:47], v[6:7] op_sel_hi:[1,0,1]
	v_pk_add_f32 v[4:5], v[4:5], v[12:13]
	v_mov_b32_e32 v11, v7
	scratch_load_dwordx2 v[6:7], off, off offset:376
	v_pk_add_f32 v[4:5], v[4:5], v[10:11]
	s_waitcnt vmcnt(0)
	v_pk_add_f32 v[4:5], v[6:7], v[4:5] neg_lo:[0,1] neg_hi:[0,1]
	scratch_store_dwordx2 off, v[4:5], off offset:376
	s_and_saveexec_b64 s[0:1], vcc
	s_cbranch_execz .LBB122_275
; %bb.274:
	scratch_load_dwordx2 v[4:5], off, off offset:368
	v_mov_b32_e32 v3, v2
	scratch_store_dwordx2 off, v[2:3], off offset:368
	s_waitcnt vmcnt(1)
	ds_write_b64 v1, v[4:5]
.LBB122_275:
	s_or_b64 exec, exec, s[0:1]
	s_waitcnt lgkmcnt(0)
	; wave barrier
	scratch_load_dwordx4 v[8:11], off, off offset:376
	scratch_load_dwordx4 v[16:19], off, off offset:392
	ds_read2_b64 v[4:7], v2 offset0:107 offset1:108
	v_cmp_lt_u32_e32 vcc, 45, v0
	s_waitcnt vmcnt(1) lgkmcnt(0)
	v_mul_f32_e32 v3, v4, v9
	v_fmac_f32_e32 v3, v5, v8
	v_mul_f32_e32 v12, v6, v11
	v_add_f32_e32 v3, 0, v3
	v_fmac_f32_e32 v12, v7, v10
	v_add_f32_e32 v37, v3, v12
	ds_read2_b64 v[12:15], v2 offset0:109 offset1:110
	scratch_load_dwordx4 v[20:23], off, off offset:408
	scratch_load_dwordx4 v[24:27], off, off offset:424
	;; [unrolled: 1-line block ×4, first 2 shown]
	v_mul_f32_e32 v3, v5, v9
	v_fma_f32 v3, v4, v8, -v3
	v_mul_f32_e32 v4, v7, v11
	v_add_f32_e32 v3, 0, v3
	v_fma_f32 v4, v6, v10, -v4
	v_add_f32_e32 v36, v3, v4
	s_waitcnt vmcnt(4) lgkmcnt(0)
	v_mul_f32_e32 v3, v13, v17
	v_mul_f32_e32 v39, v12, v17
	;; [unrolled: 1-line block ×3, first 2 shown]
	v_fma_f32 v38, v12, v16, -v3
	v_mul_f32_e32 v3, v15, v19
	v_fmac_f32_e32 v39, v13, v16
	v_fmac_f32_e32 v41, v15, v18
	v_fma_f32 v40, v14, v18, -v3
	ds_read2_b64 v[4:7], v2 offset0:111 offset1:112
	ds_read2_b64 v[8:11], v2 offset0:113 offset1:114
	;; [unrolled: 1-line block ×4, first 2 shown]
	v_pk_add_f32 v[2:3], v[36:37], v[38:39]
	s_waitcnt vmcnt(3) lgkmcnt(3)
	v_pk_mul_f32 v[36:37], v[4:5], v[20:21] op_sel:[1,1] op_sel_hi:[0,1]
	v_pk_fma_f32 v[38:39], v[4:5], v[20:21], v[36:37] neg_lo:[0,0,1] neg_hi:[0,0,1]
	v_pk_fma_f32 v[4:5], v[4:5], v[20:21], v[36:37] op_sel_hi:[1,0,1]
	v_pk_add_f32 v[2:3], v[2:3], v[40:41]
	v_mov_b32_e32 v4, v23
	v_mov_b32_e32 v39, v5
	v_pk_mul_f32 v[4:5], v[6:7], v[4:5] op_sel:[1,0] op_sel_hi:[0,0]
	v_pk_fma_f32 v[20:21], v[6:7], v[22:23], v[4:5] neg_lo:[0,0,1] neg_hi:[0,0,1]
	v_pk_fma_f32 v[4:5], v[6:7], v[22:23], v[4:5] op_sel_hi:[1,0,1]
	v_pk_add_f32 v[2:3], v[2:3], v[38:39]
	v_mov_b32_e32 v21, v5
	s_waitcnt vmcnt(2) lgkmcnt(2)
	v_pk_mul_f32 v[4:5], v[8:9], v[24:25] op_sel:[1,1] op_sel_hi:[0,1]
	v_pk_fma_f32 v[6:7], v[8:9], v[24:25], v[4:5] neg_lo:[0,0,1] neg_hi:[0,0,1]
	v_pk_fma_f32 v[4:5], v[8:9], v[24:25], v[4:5] op_sel_hi:[1,0,1]
	v_pk_add_f32 v[2:3], v[2:3], v[20:21]
	v_mov_b32_e32 v4, v27
	v_mov_b32_e32 v7, v5
	v_pk_mul_f32 v[4:5], v[10:11], v[4:5] op_sel:[1,0] op_sel_hi:[0,0]
	v_pk_add_f32 v[2:3], v[2:3], v[6:7]
	v_pk_fma_f32 v[6:7], v[10:11], v[26:27], v[4:5] neg_lo:[0,0,1] neg_hi:[0,0,1]
	v_pk_fma_f32 v[4:5], v[10:11], v[26:27], v[4:5] op_sel_hi:[1,0,1]
	s_nop 0
	v_mov_b32_e32 v7, v5
	s_waitcnt vmcnt(1) lgkmcnt(1)
	v_pk_mul_f32 v[4:5], v[12:13], v[28:29] op_sel:[1,1] op_sel_hi:[0,1]
	v_pk_add_f32 v[2:3], v[2:3], v[6:7]
	v_pk_fma_f32 v[6:7], v[12:13], v[28:29], v[4:5] neg_lo:[0,0,1] neg_hi:[0,0,1]
	v_pk_fma_f32 v[4:5], v[12:13], v[28:29], v[4:5] op_sel_hi:[1,0,1]
	s_nop 0
	v_mov_b32_e32 v4, v31
	v_mov_b32_e32 v7, v5
	v_pk_mul_f32 v[4:5], v[14:15], v[4:5] op_sel:[1,0] op_sel_hi:[0,0]
	v_pk_add_f32 v[2:3], v[2:3], v[6:7]
	v_pk_fma_f32 v[6:7], v[14:15], v[30:31], v[4:5] neg_lo:[0,0,1] neg_hi:[0,0,1]
	v_pk_fma_f32 v[4:5], v[14:15], v[30:31], v[4:5] op_sel_hi:[1,0,1]
	s_nop 0
	v_mov_b32_e32 v7, v5
	s_waitcnt vmcnt(0) lgkmcnt(0)
	v_pk_mul_f32 v[4:5], v[16:17], v[32:33] op_sel:[1,1] op_sel_hi:[0,1]
	v_pk_add_f32 v[2:3], v[2:3], v[6:7]
	v_pk_fma_f32 v[6:7], v[16:17], v[32:33], v[4:5] neg_lo:[0,0,1] neg_hi:[0,0,1]
	v_pk_fma_f32 v[4:5], v[16:17], v[32:33], v[4:5] op_sel_hi:[1,0,1]
	s_nop 0
	v_mov_b32_e32 v4, v35
	v_mov_b32_e32 v7, v5
	v_pk_mul_f32 v[4:5], v[18:19], v[4:5] op_sel:[1,0] op_sel_hi:[0,0]
	v_pk_add_f32 v[2:3], v[2:3], v[6:7]
	v_pk_fma_f32 v[6:7], v[18:19], v[34:35], v[4:5] neg_lo:[0,0,1] neg_hi:[0,0,1]
	v_pk_fma_f32 v[4:5], v[18:19], v[34:35], v[4:5] op_sel_hi:[1,0,1]
	s_nop 0
	v_mov_b32_e32 v7, v5
	scratch_load_dwordx2 v[4:5], off, off offset:368
	v_pk_add_f32 v[2:3], v[2:3], v[6:7]
	s_waitcnt vmcnt(0)
	v_pk_add_f32 v[2:3], v[4:5], v[2:3] neg_lo:[0,1] neg_hi:[0,1]
	scratch_store_dwordx2 off, v[2:3], off offset:368
	s_and_saveexec_b64 s[0:1], vcc
	s_cbranch_execz .LBB122_277
; %bb.276:
	scratch_load_dwordx2 v[2:3], off, off offset:360
	v_mov_b32_e32 v4, 0
	v_mov_b32_e32 v5, v4
	scratch_store_dwordx2 off, v[4:5], off offset:360
	s_waitcnt vmcnt(1)
	ds_write_b64 v1, v[2:3]
.LBB122_277:
	s_or_b64 exec, exec, s[0:1]
	v_mov_b32_e32 v2, 0
	s_waitcnt lgkmcnt(0)
	; wave barrier
	ds_read_b128 v[4:7], v2 offset:848
	ds_read_b128 v[8:11], v2 offset:864
	;; [unrolled: 1-line block ×4, first 2 shown]
	scratch_load_dwordx4 v[20:23], off, off offset:368
	v_cmp_lt_u32_e32 vcc, 44, v0
	s_waitcnt vmcnt(0) lgkmcnt(3)
	v_mul_f32_e32 v3, v4, v21
	v_fmac_f32_e32 v3, v5, v20
	v_mul_f32_e32 v24, v6, v23
	v_add_f32_e32 v3, 0, v3
	v_fmac_f32_e32 v24, v7, v22
	v_add_f32_e32 v3, v3, v24
	scratch_load_dwordx4 v[24:27], off, off offset:384
	s_waitcnt vmcnt(0) lgkmcnt(2)
	v_mul_f32_e32 v28, v8, v25
	v_fmac_f32_e32 v28, v9, v24
	v_add_f32_e32 v45, v3, v28
	scratch_load_dwordx4 v[28:31], off, off offset:400
	scratch_load_dwordx4 v[32:35], off, off offset:416
	;; [unrolled: 1-line block ×4, first 2 shown]
	scratch_load_dwordx2 v[50:51], off, off offset:464
	v_mul_f32_e32 v3, v5, v21
	v_fma_f32 v3, v4, v20, -v3
	v_mul_f32_e32 v4, v7, v23
	v_add_f32_e32 v3, 0, v3
	v_fma_f32 v4, v6, v22, -v4
	v_add_f32_e32 v3, v3, v4
	v_mul_f32_e32 v4, v9, v25
	v_fma_f32 v4, v8, v24, -v4
	v_mul_f32_e32 v47, v10, v27
	v_add_f32_e32 v44, v3, v4
	v_mul_f32_e32 v3, v11, v27
	v_fmac_f32_e32 v47, v11, v26
	v_fma_f32 v46, v10, v26, -v3
	v_pk_add_f32 v[20:21], v[44:45], v[46:47]
	s_waitcnt vmcnt(4)
	v_mov_b32_e32 v22, v31
	s_waitcnt lgkmcnt(1)
	v_mul_f32_e32 v49, v12, v29
	v_mul_f32_e32 v3, v13, v29
	v_pk_mul_f32 v[22:23], v[14:15], v[22:23] op_sel:[1,0] op_sel_hi:[0,0]
	v_fmac_f32_e32 v49, v13, v28
	v_fma_f32 v48, v12, v28, -v3
	v_pk_fma_f32 v[24:25], v[14:15], v[30:31], v[22:23] neg_lo:[0,0,1] neg_hi:[0,0,1]
	v_pk_fma_f32 v[14:15], v[14:15], v[30:31], v[22:23] op_sel_hi:[1,0,1]
	v_pk_add_f32 v[20:21], v[20:21], v[48:49]
	v_mov_b32_e32 v25, v15
	v_pk_add_f32 v[14:15], v[20:21], v[24:25]
	s_waitcnt vmcnt(3) lgkmcnt(0)
	v_pk_mul_f32 v[20:21], v[16:17], v[32:33] op_sel:[1,1] op_sel_hi:[0,1]
	v_pk_fma_f32 v[22:23], v[16:17], v[32:33], v[20:21] neg_lo:[0,0,1] neg_hi:[0,0,1]
	v_pk_fma_f32 v[16:17], v[16:17], v[32:33], v[20:21] op_sel_hi:[1,0,1]
	ds_read_b128 v[4:7], v2 offset:912
	ds_read_b128 v[8:11], v2 offset:928
	ds_read_b64 v[12:13], v2 offset:944
	v_mov_b32_e32 v16, v35
	v_mov_b32_e32 v23, v17
	v_pk_mul_f32 v[16:17], v[18:19], v[16:17] op_sel:[1,0] op_sel_hi:[0,0]
	v_pk_fma_f32 v[20:21], v[18:19], v[34:35], v[16:17] neg_lo:[0,0,1] neg_hi:[0,0,1]
	v_pk_fma_f32 v[16:17], v[18:19], v[34:35], v[16:17] op_sel_hi:[1,0,1]
	v_pk_add_f32 v[14:15], v[14:15], v[22:23]
	v_mov_b32_e32 v21, v17
	s_waitcnt vmcnt(2) lgkmcnt(2)
	v_pk_mul_f32 v[16:17], v[4:5], v[36:37] op_sel:[1,1] op_sel_hi:[0,1]
	v_pk_fma_f32 v[18:19], v[4:5], v[36:37], v[16:17] neg_lo:[0,0,1] neg_hi:[0,0,1]
	v_pk_fma_f32 v[4:5], v[4:5], v[36:37], v[16:17] op_sel_hi:[1,0,1]
	v_pk_add_f32 v[14:15], v[14:15], v[20:21]
	v_mov_b32_e32 v19, v5
	v_pk_add_f32 v[4:5], v[14:15], v[18:19]
	v_mov_b32_e32 v14, v39
	v_pk_mul_f32 v[14:15], v[6:7], v[14:15] op_sel:[1,0] op_sel_hi:[0,0]
	v_pk_fma_f32 v[16:17], v[6:7], v[38:39], v[14:15] neg_lo:[0,0,1] neg_hi:[0,0,1]
	v_pk_fma_f32 v[6:7], v[6:7], v[38:39], v[14:15] op_sel_hi:[1,0,1]
	s_nop 0
	v_mov_b32_e32 v17, v7
	s_waitcnt vmcnt(1) lgkmcnt(1)
	v_pk_mul_f32 v[6:7], v[8:9], v[40:41] op_sel:[1,1] op_sel_hi:[0,1]
	v_pk_fma_f32 v[14:15], v[8:9], v[40:41], v[6:7] neg_lo:[0,0,1] neg_hi:[0,0,1]
	v_pk_fma_f32 v[6:7], v[8:9], v[40:41], v[6:7] op_sel_hi:[1,0,1]
	v_pk_add_f32 v[4:5], v[4:5], v[16:17]
	v_mov_b32_e32 v6, v43
	v_mov_b32_e32 v15, v7
	v_pk_mul_f32 v[6:7], v[10:11], v[6:7] op_sel:[1,0] op_sel_hi:[0,0]
	v_pk_fma_f32 v[8:9], v[10:11], v[42:43], v[6:7] neg_lo:[0,0,1] neg_hi:[0,0,1]
	v_pk_fma_f32 v[6:7], v[10:11], v[42:43], v[6:7] op_sel_hi:[1,0,1]
	v_pk_add_f32 v[4:5], v[4:5], v[14:15]
	v_mov_b32_e32 v9, v7
	s_waitcnt vmcnt(0) lgkmcnt(0)
	v_pk_mul_f32 v[6:7], v[12:13], v[50:51] op_sel:[1,1] op_sel_hi:[0,1]
	v_pk_add_f32 v[4:5], v[4:5], v[8:9]
	v_pk_fma_f32 v[8:9], v[12:13], v[50:51], v[6:7] neg_lo:[0,0,1] neg_hi:[0,0,1]
	v_pk_fma_f32 v[6:7], v[12:13], v[50:51], v[6:7] op_sel_hi:[1,0,1]
	s_nop 0
	v_mov_b32_e32 v9, v7
	scratch_load_dwordx2 v[6:7], off, off offset:360
	v_pk_add_f32 v[4:5], v[4:5], v[8:9]
	s_waitcnt vmcnt(0)
	v_pk_add_f32 v[4:5], v[6:7], v[4:5] neg_lo:[0,1] neg_hi:[0,1]
	scratch_store_dwordx2 off, v[4:5], off offset:360
	s_and_saveexec_b64 s[0:1], vcc
	s_cbranch_execz .LBB122_279
; %bb.278:
	scratch_load_dwordx2 v[4:5], off, off offset:352
	v_mov_b32_e32 v3, v2
	scratch_store_dwordx2 off, v[2:3], off offset:352
	s_waitcnt vmcnt(1)
	ds_write_b64 v1, v[4:5]
.LBB122_279:
	s_or_b64 exec, exec, s[0:1]
	s_waitcnt lgkmcnt(0)
	; wave barrier
	scratch_load_dwordx4 v[8:11], off, off offset:360
	scratch_load_dwordx4 v[16:19], off, off offset:376
	ds_read2_b64 v[4:7], v2 offset0:105 offset1:106
	scratch_load_dwordx4 v[24:27], off, off offset:392
	v_cmp_lt_u32_e32 vcc, 43, v0
	s_waitcnt vmcnt(2) lgkmcnt(0)
	v_mul_f32_e32 v3, v4, v9
	v_fmac_f32_e32 v3, v5, v8
	v_mul_f32_e32 v12, v6, v11
	v_add_f32_e32 v3, 0, v3
	v_fmac_f32_e32 v12, v7, v10
	v_add_f32_e32 v3, v3, v12
	ds_read2_b64 v[12:15], v2 offset0:107 offset1:108
	s_waitcnt vmcnt(1) lgkmcnt(0)
	v_mul_f32_e32 v20, v12, v17
	v_fmac_f32_e32 v20, v13, v16
	v_add_f32_e32 v3, v3, v20
	v_mul_f32_e32 v20, v14, v19
	v_fmac_f32_e32 v20, v15, v18
	v_add_f32_e32 v45, v3, v20
	ds_read2_b64 v[20:23], v2 offset0:109 offset1:110
	scratch_load_dwordx4 v[28:31], off, off offset:408
	scratch_load_dwordx4 v[32:35], off, off offset:424
	scratch_load_dwordx4 v[36:39], off, off offset:440
	scratch_load_dwordx4 v[40:43], off, off offset:456
	v_mul_f32_e32 v3, v5, v9
	v_fma_f32 v3, v4, v8, -v3
	v_mul_f32_e32 v4, v7, v11
	v_add_f32_e32 v3, 0, v3
	v_fma_f32 v4, v6, v10, -v4
	v_add_f32_e32 v3, v3, v4
	v_mul_f32_e32 v4, v13, v17
	v_fma_f32 v4, v12, v16, -v4
	v_add_f32_e32 v3, v3, v4
	v_mul_f32_e32 v4, v15, v19
	v_fma_f32 v4, v14, v18, -v4
	v_add_f32_e32 v44, v3, v4
	ds_read2_b64 v[4:7], v2 offset0:111 offset1:112
	ds_read2_b64 v[8:11], v2 offset0:113 offset1:114
	;; [unrolled: 1-line block ×4, first 2 shown]
	s_waitcnt vmcnt(4) lgkmcnt(4)
	v_mul_f32_e32 v47, v20, v25
	v_mul_f32_e32 v3, v21, v25
	v_fmac_f32_e32 v47, v21, v24
	v_mul_f32_e32 v49, v22, v27
	v_fma_f32 v46, v20, v24, -v3
	v_mul_f32_e32 v3, v23, v27
	v_fmac_f32_e32 v49, v23, v26
	v_fma_f32 v48, v22, v26, -v3
	v_pk_add_f32 v[2:3], v[44:45], v[46:47]
	s_waitcnt vmcnt(3) lgkmcnt(3)
	v_pk_mul_f32 v[20:21], v[4:5], v[28:29] op_sel:[1,1] op_sel_hi:[0,1]
	v_pk_fma_f32 v[22:23], v[4:5], v[28:29], v[20:21] neg_lo:[0,0,1] neg_hi:[0,0,1]
	v_pk_fma_f32 v[4:5], v[4:5], v[28:29], v[20:21] op_sel_hi:[1,0,1]
	v_pk_add_f32 v[2:3], v[2:3], v[48:49]
	v_mov_b32_e32 v4, v31
	v_mov_b32_e32 v23, v5
	v_pk_mul_f32 v[4:5], v[6:7], v[4:5] op_sel:[1,0] op_sel_hi:[0,0]
	v_pk_fma_f32 v[20:21], v[6:7], v[30:31], v[4:5] neg_lo:[0,0,1] neg_hi:[0,0,1]
	v_pk_fma_f32 v[4:5], v[6:7], v[30:31], v[4:5] op_sel_hi:[1,0,1]
	v_pk_add_f32 v[2:3], v[2:3], v[22:23]
	v_mov_b32_e32 v21, v5
	s_waitcnt vmcnt(2) lgkmcnt(2)
	v_pk_mul_f32 v[4:5], v[8:9], v[32:33] op_sel:[1,1] op_sel_hi:[0,1]
	v_pk_fma_f32 v[6:7], v[8:9], v[32:33], v[4:5] neg_lo:[0,0,1] neg_hi:[0,0,1]
	v_pk_fma_f32 v[4:5], v[8:9], v[32:33], v[4:5] op_sel_hi:[1,0,1]
	v_pk_add_f32 v[2:3], v[2:3], v[20:21]
	v_mov_b32_e32 v4, v35
	v_mov_b32_e32 v7, v5
	v_pk_mul_f32 v[4:5], v[10:11], v[4:5] op_sel:[1,0] op_sel_hi:[0,0]
	v_pk_add_f32 v[2:3], v[2:3], v[6:7]
	v_pk_fma_f32 v[6:7], v[10:11], v[34:35], v[4:5] neg_lo:[0,0,1] neg_hi:[0,0,1]
	v_pk_fma_f32 v[4:5], v[10:11], v[34:35], v[4:5] op_sel_hi:[1,0,1]
	s_nop 0
	v_mov_b32_e32 v7, v5
	s_waitcnt vmcnt(1) lgkmcnt(1)
	v_pk_mul_f32 v[4:5], v[12:13], v[36:37] op_sel:[1,1] op_sel_hi:[0,1]
	v_pk_add_f32 v[2:3], v[2:3], v[6:7]
	v_pk_fma_f32 v[6:7], v[12:13], v[36:37], v[4:5] neg_lo:[0,0,1] neg_hi:[0,0,1]
	v_pk_fma_f32 v[4:5], v[12:13], v[36:37], v[4:5] op_sel_hi:[1,0,1]
	s_nop 0
	v_mov_b32_e32 v4, v39
	v_mov_b32_e32 v7, v5
	v_pk_mul_f32 v[4:5], v[14:15], v[4:5] op_sel:[1,0] op_sel_hi:[0,0]
	v_pk_add_f32 v[2:3], v[2:3], v[6:7]
	v_pk_fma_f32 v[6:7], v[14:15], v[38:39], v[4:5] neg_lo:[0,0,1] neg_hi:[0,0,1]
	v_pk_fma_f32 v[4:5], v[14:15], v[38:39], v[4:5] op_sel_hi:[1,0,1]
	s_nop 0
	v_mov_b32_e32 v7, v5
	s_waitcnt vmcnt(0) lgkmcnt(0)
	v_pk_mul_f32 v[4:5], v[16:17], v[40:41] op_sel:[1,1] op_sel_hi:[0,1]
	v_pk_add_f32 v[2:3], v[2:3], v[6:7]
	v_pk_fma_f32 v[6:7], v[16:17], v[40:41], v[4:5] neg_lo:[0,0,1] neg_hi:[0,0,1]
	v_pk_fma_f32 v[4:5], v[16:17], v[40:41], v[4:5] op_sel_hi:[1,0,1]
	s_nop 0
	v_mov_b32_e32 v4, v43
	v_mov_b32_e32 v7, v5
	v_pk_mul_f32 v[4:5], v[18:19], v[4:5] op_sel:[1,0] op_sel_hi:[0,0]
	v_pk_add_f32 v[2:3], v[2:3], v[6:7]
	v_pk_fma_f32 v[6:7], v[18:19], v[42:43], v[4:5] neg_lo:[0,0,1] neg_hi:[0,0,1]
	v_pk_fma_f32 v[4:5], v[18:19], v[42:43], v[4:5] op_sel_hi:[1,0,1]
	s_nop 0
	v_mov_b32_e32 v7, v5
	scratch_load_dwordx2 v[4:5], off, off offset:352
	v_pk_add_f32 v[2:3], v[2:3], v[6:7]
	s_waitcnt vmcnt(0)
	v_pk_add_f32 v[2:3], v[4:5], v[2:3] neg_lo:[0,1] neg_hi:[0,1]
	scratch_store_dwordx2 off, v[2:3], off offset:352
	s_and_saveexec_b64 s[0:1], vcc
	s_cbranch_execz .LBB122_281
; %bb.280:
	scratch_load_dwordx2 v[2:3], off, off offset:344
	v_mov_b32_e32 v4, 0
	v_mov_b32_e32 v5, v4
	scratch_store_dwordx2 off, v[4:5], off offset:344
	s_waitcnt vmcnt(1)
	ds_write_b64 v1, v[2:3]
.LBB122_281:
	s_or_b64 exec, exec, s[0:1]
	s_waitcnt lgkmcnt(0)
	; wave barrier
	scratch_load_dwordx4 v[4:7], off, off offset:352
	scratch_load_dwordx4 v[8:11], off, off offset:368
	;; [unrolled: 1-line block ×7, first 2 shown]
	scratch_load_dwordx2 v[60:61], off, off offset:464
	scratch_load_dwordx2 v[62:63], off, off offset:344
	v_mov_b32_e32 v2, 0
	ds_read_b128 v[32:35], v2 offset:832
	ds_read_b128 v[36:39], v2 offset:848
	;; [unrolled: 1-line block ×7, first 2 shown]
	ds_read_b64 v[64:65], v2 offset:944
	v_cmp_lt_u32_e32 vcc, 42, v0
	s_waitcnt vmcnt(8) lgkmcnt(7)
	v_mul_f32_e32 v71, v34, v7
	v_mul_f32_e32 v3, v32, v5
	s_waitcnt vmcnt(7) lgkmcnt(6)
	v_mul_f32_e32 v75, v36, v9
	s_waitcnt vmcnt(6) lgkmcnt(5)
	v_mul_f32_e32 v83, v40, v13
	v_mul_f32_e32 v67, v42, v15
	;; [unrolled: 1-line block ×5, first 2 shown]
	s_waitcnt vmcnt(5)
	v_mov_b32_e32 v70, v19
	s_waitcnt vmcnt(3) lgkmcnt(2)
	v_pk_mul_f32 v[76:77], v[52:53], v[24:25] op_sel:[1,1] op_sel_hi:[0,1]
	s_waitcnt vmcnt(2) lgkmcnt(1)
	v_pk_mul_f32 v[80:81], v[56:57], v[28:29] op_sel:[1,1] op_sel_hi:[0,1]
	v_fmac_f32_e32 v71, v35, v6
	v_mul_f32_e32 v7, v35, v7
	v_mul_f32_e32 v9, v37, v9
	v_fmac_f32_e32 v3, v33, v4
	v_fmac_f32_e32 v75, v37, v8
	;; [unrolled: 1-line block ×4, first 2 shown]
	v_fma_f32 v32, v32, v4, -v5
	v_fma_f32 v37, v40, v12, -v13
	;; [unrolled: 1-line block ×3, first 2 shown]
	v_pk_mul_f32 v[4:5], v[46:47], v[70:71] op_sel:[1,0] op_sel_hi:[0,0]
	v_pk_fma_f32 v[12:13], v[52:53], v[24:25], v[76:77] neg_lo:[0,0,1] neg_hi:[0,0,1]
	v_pk_fma_f32 v[14:15], v[52:53], v[24:25], v[76:77] op_sel_hi:[1,0,1]
	v_pk_fma_f32 v[24:25], v[56:57], v[28:29], v[80:81] op_sel_hi:[1,0,1]
	v_fma_f32 v34, v34, v6, -v7
	v_add_f32_e32 v3, 0, v3
	v_add_f32_e32 v24, 0, v32
	v_pk_fma_f32 v[32:33], v[46:47], v[18:19], v[4:5] neg_lo:[0,0,1] neg_hi:[0,0,1]
	v_pk_fma_f32 v[4:5], v[46:47], v[18:19], v[4:5] op_sel_hi:[1,0,1]
	v_mul_f32_e32 v79, v38, v11
	v_mul_f32_e32 v11, v39, v11
	v_fma_f32 v35, v36, v8, -v9
	v_add_f32_e32 v3, v3, v71
	v_add_f32_e32 v4, v24, v34
	v_fmac_f32_e32 v79, v39, v10
	v_fma_f32 v36, v38, v10, -v11
	v_add_f32_e32 v3, v3, v75
	v_add_f32_e32 v4, v4, v35
	;; [unrolled: 1-line block ×4, first 2 shown]
	v_mul_f32_e32 v69, v44, v17
	v_mul_f32_e32 v17, v45, v17
	v_mov_b32_e32 v33, v5
	v_add_f32_e32 v5, v3, v83
	v_add_f32_e32 v4, v4, v37
	v_pk_mul_f32 v[72:73], v[48:49], v[20:21] op_sel:[1,1] op_sel_hi:[0,1]
	v_mov_b32_e32 v74, v23
	v_fmac_f32_e32 v69, v45, v16
	v_fma_f32 v68, v44, v16, -v17
	v_pk_add_f32 v[4:5], v[4:5], v[66:67]
	v_pk_fma_f32 v[6:7], v[48:49], v[20:21], v[72:73] neg_lo:[0,0,1] neg_hi:[0,0,1]
	v_pk_fma_f32 v[8:9], v[48:49], v[20:21], v[72:73] op_sel_hi:[1,0,1]
	v_pk_mul_f32 v[10:11], v[50:51], v[74:75] op_sel:[1,0] op_sel_hi:[0,0]
	v_pk_add_f32 v[4:5], v[4:5], v[68:69]
	v_mov_b32_e32 v78, v27
	v_mov_b32_e32 v7, v9
	v_pk_fma_f32 v[8:9], v[50:51], v[22:23], v[10:11] neg_lo:[0,0,1] neg_hi:[0,0,1]
	v_pk_fma_f32 v[10:11], v[50:51], v[22:23], v[10:11] op_sel_hi:[1,0,1]
	v_pk_add_f32 v[4:5], v[4:5], v[32:33]
	v_pk_mul_f32 v[16:17], v[54:55], v[78:79] op_sel:[1,0] op_sel_hi:[0,0]
	v_mov_b32_e32 v9, v11
	v_pk_add_f32 v[4:5], v[4:5], v[6:7]
	v_mov_b32_e32 v82, v31
	v_mov_b32_e32 v13, v15
	v_pk_fma_f32 v[14:15], v[54:55], v[26:27], v[16:17] neg_lo:[0,0,1] neg_hi:[0,0,1]
	v_pk_fma_f32 v[16:17], v[54:55], v[26:27], v[16:17] op_sel_hi:[1,0,1]
	v_pk_add_f32 v[4:5], v[4:5], v[8:9]
	v_pk_fma_f32 v[20:21], v[56:57], v[28:29], v[80:81] neg_lo:[0,0,1] neg_hi:[0,0,1]
	v_pk_mul_f32 v[28:29], v[58:59], v[82:83] op_sel:[1,0] op_sel_hi:[0,0]
	v_mov_b32_e32 v15, v17
	v_pk_add_f32 v[4:5], v[4:5], v[12:13]
	v_mov_b32_e32 v21, v25
	v_pk_add_f32 v[4:5], v[4:5], v[14:15]
	v_pk_fma_f32 v[6:7], v[58:59], v[30:31], v[28:29] neg_lo:[0,0,1] neg_hi:[0,0,1]
	v_pk_fma_f32 v[8:9], v[58:59], v[30:31], v[28:29] op_sel_hi:[1,0,1]
	v_pk_add_f32 v[4:5], v[4:5], v[20:21]
	v_mov_b32_e32 v7, v9
	v_pk_add_f32 v[4:5], v[4:5], v[6:7]
	s_waitcnt vmcnt(1) lgkmcnt(0)
	v_pk_mul_f32 v[6:7], v[64:65], v[60:61] op_sel:[1,1] op_sel_hi:[0,1]
	v_pk_fma_f32 v[8:9], v[64:65], v[60:61], v[6:7] neg_lo:[0,0,1] neg_hi:[0,0,1]
	v_pk_fma_f32 v[6:7], v[64:65], v[60:61], v[6:7] op_sel_hi:[1,0,1]
	s_nop 0
	v_mov_b32_e32 v9, v7
	v_pk_add_f32 v[4:5], v[4:5], v[8:9]
	s_waitcnt vmcnt(0)
	v_pk_add_f32 v[4:5], v[62:63], v[4:5] neg_lo:[0,1] neg_hi:[0,1]
	scratch_store_dwordx2 off, v[4:5], off offset:344
	s_and_saveexec_b64 s[0:1], vcc
	s_cbranch_execz .LBB122_283
; %bb.282:
	scratch_load_dwordx2 v[4:5], off, off offset:336
	v_mov_b32_e32 v3, v2
	scratch_store_dwordx2 off, v[2:3], off offset:336
	s_waitcnt vmcnt(1)
	ds_write_b64 v1, v[4:5]
.LBB122_283:
	s_or_b64 exec, exec, s[0:1]
	s_waitcnt lgkmcnt(0)
	; wave barrier
	scratch_load_dwordx4 v[4:7], off, off offset:344
	scratch_load_dwordx4 v[8:11], off, off offset:360
	scratch_load_dwordx4 v[12:15], off, off offset:376
	scratch_load_dwordx4 v[16:19], off, off offset:392
	scratch_load_dwordx4 v[20:23], off, off offset:408
	scratch_load_dwordx4 v[24:27], off, off offset:424
	scratch_load_dwordx4 v[28:31], off, off offset:440
	ds_read2_b64 v[32:35], v2 offset0:103 offset1:104
	ds_read2_b64 v[36:39], v2 offset0:105 offset1:106
	;; [unrolled: 1-line block ×4, first 2 shown]
	scratch_load_dwordx4 v[48:51], off, off offset:456
	ds_read2_b64 v[52:55], v2 offset0:111 offset1:112
	ds_read2_b64 v[56:59], v2 offset0:113 offset1:114
	;; [unrolled: 1-line block ×4, first 2 shown]
	scratch_load_dwordx2 v[2:3], off, off offset:336
	v_cmp_lt_u32_e32 vcc, 41, v0
	s_waitcnt vmcnt(8) lgkmcnt(7)
	v_mul_f32_e32 v75, v32, v5
	v_mul_f32_e32 v79, v34, v7
	s_waitcnt vmcnt(7) lgkmcnt(6)
	v_mul_f32_e32 v83, v36, v9
	v_mul_f32_e32 v84, v38, v11
	;; [unrolled: 3-line block ×3, first 2 shown]
	v_mul_f32_e32 v5, v33, v5
	v_mul_f32_e32 v7, v35, v7
	;; [unrolled: 1-line block ×6, first 2 shown]
	s_waitcnt vmcnt(4) lgkmcnt(3)
	v_pk_mul_f32 v[72:73], v[52:53], v[20:21] op_sel:[1,1] op_sel_hi:[0,1]
	v_mov_b32_e32 v74, v23
	s_waitcnt vmcnt(3) lgkmcnt(2)
	v_pk_mul_f32 v[76:77], v[56:57], v[24:25] op_sel:[1,1] op_sel_hi:[0,1]
	v_mov_b32_e32 v78, v27
	v_fmac_f32_e32 v75, v33, v4
	v_fmac_f32_e32 v79, v35, v6
	;; [unrolled: 1-line block ×6, first 2 shown]
	v_fma_f32 v32, v32, v4, -v5
	v_fma_f32 v33, v34, v6, -v7
	;; [unrolled: 1-line block ×6, first 2 shown]
	v_pk_fma_f32 v[4:5], v[52:53], v[20:21], v[72:73] neg_lo:[0,0,1] neg_hi:[0,0,1]
	v_pk_fma_f32 v[6:7], v[52:53], v[20:21], v[72:73] op_sel_hi:[1,0,1]
	v_pk_mul_f32 v[8:9], v[54:55], v[74:75] op_sel:[1,0] op_sel_hi:[0,0]
	v_pk_fma_f32 v[10:11], v[56:57], v[24:25], v[76:77] neg_lo:[0,0,1] neg_hi:[0,0,1]
	v_pk_fma_f32 v[12:13], v[56:57], v[24:25], v[76:77] op_sel_hi:[1,0,1]
	v_pk_mul_f32 v[14:15], v[58:59], v[78:79] op_sel:[1,0] op_sel_hi:[0,0]
	v_add_f32_e32 v24, 0, v75
	v_add_f32_e32 v25, 0, v32
	v_mov_b32_e32 v5, v7
	v_pk_fma_f32 v[6:7], v[54:55], v[22:23], v[8:9] neg_lo:[0,0,1] neg_hi:[0,0,1]
	v_pk_fma_f32 v[8:9], v[54:55], v[22:23], v[8:9] op_sel_hi:[1,0,1]
	v_mov_b32_e32 v11, v13
	v_pk_fma_f32 v[12:13], v[58:59], v[26:27], v[14:15] neg_lo:[0,0,1] neg_hi:[0,0,1]
	v_pk_fma_f32 v[14:15], v[58:59], v[26:27], v[14:15] op_sel_hi:[1,0,1]
	v_add_f32_e32 v8, v24, v79
	v_add_f32_e32 v14, v25, v33
	v_mov_b32_e32 v7, v9
	v_add_f32_e32 v8, v8, v83
	v_add_f32_e32 v9, v14, v34
	;; [unrolled: 1-line block ×4, first 2 shown]
	v_mul_f32_e32 v69, v44, v17
	v_mul_f32_e32 v17, v45, v17
	v_add_f32_e32 v8, v8, v85
	v_add_f32_e32 v14, v9, v36
	v_mul_f32_e32 v71, v46, v19
	v_mul_f32_e32 v19, v47, v19
	v_fmac_f32_e32 v69, v45, v16
	v_fma_f32 v68, v44, v16, -v17
	v_add_f32_e32 v9, v8, v86
	v_add_f32_e32 v8, v14, v37
	v_fmac_f32_e32 v71, v47, v18
	v_fma_f32 v70, v46, v18, -v19
	v_pk_add_f32 v[8:9], v[8:9], v[68:69]
	s_waitcnt vmcnt(2) lgkmcnt(1)
	v_pk_mul_f32 v[80:81], v[60:61], v[28:29] op_sel:[1,1] op_sel_hi:[0,1]
	v_mov_b32_e32 v82, v31
	v_pk_add_f32 v[8:9], v[8:9], v[70:71]
	v_pk_fma_f32 v[16:17], v[60:61], v[28:29], v[80:81] neg_lo:[0,0,1] neg_hi:[0,0,1]
	v_pk_fma_f32 v[18:19], v[60:61], v[28:29], v[80:81] op_sel_hi:[1,0,1]
	v_pk_mul_f32 v[20:21], v[62:63], v[82:83] op_sel:[1,0] op_sel_hi:[0,0]
	v_pk_add_f32 v[4:5], v[8:9], v[4:5]
	v_mov_b32_e32 v17, v19
	v_pk_fma_f32 v[18:19], v[62:63], v[30:31], v[20:21] neg_lo:[0,0,1] neg_hi:[0,0,1]
	v_pk_add_f32 v[4:5], v[4:5], v[6:7]
	v_pk_fma_f32 v[6:7], v[62:63], v[30:31], v[20:21] op_sel_hi:[1,0,1]
	v_mov_b32_e32 v13, v15
	v_pk_add_f32 v[4:5], v[4:5], v[10:11]
	v_mov_b32_e32 v19, v7
	s_waitcnt vmcnt(1) lgkmcnt(0)
	v_pk_mul_f32 v[6:7], v[64:65], v[48:49] op_sel:[1,1] op_sel_hi:[0,1]
	v_pk_add_f32 v[4:5], v[4:5], v[12:13]
	v_pk_fma_f32 v[8:9], v[64:65], v[48:49], v[6:7] neg_lo:[0,0,1] neg_hi:[0,0,1]
	v_pk_fma_f32 v[6:7], v[64:65], v[48:49], v[6:7] op_sel_hi:[1,0,1]
	v_pk_add_f32 v[4:5], v[4:5], v[16:17]
	v_mov_b32_e32 v6, v51
	v_pk_add_f32 v[4:5], v[4:5], v[18:19]
	v_mov_b32_e32 v9, v7
	v_pk_mul_f32 v[6:7], v[66:67], v[6:7] op_sel:[1,0] op_sel_hi:[0,0]
	v_pk_add_f32 v[4:5], v[4:5], v[8:9]
	v_pk_fma_f32 v[8:9], v[66:67], v[50:51], v[6:7] neg_lo:[0,0,1] neg_hi:[0,0,1]
	v_pk_fma_f32 v[6:7], v[66:67], v[50:51], v[6:7] op_sel_hi:[1,0,1]
	s_nop 0
	v_mov_b32_e32 v9, v7
	v_pk_add_f32 v[4:5], v[4:5], v[8:9]
	s_waitcnt vmcnt(0)
	v_pk_add_f32 v[2:3], v[2:3], v[4:5] neg_lo:[0,1] neg_hi:[0,1]
	scratch_store_dwordx2 off, v[2:3], off offset:336
	s_and_saveexec_b64 s[0:1], vcc
	s_cbranch_execz .LBB122_285
; %bb.284:
	scratch_load_dwordx2 v[2:3], off, off offset:328
	v_mov_b32_e32 v4, 0
	v_mov_b32_e32 v5, v4
	scratch_store_dwordx2 off, v[4:5], off offset:328
	s_waitcnt vmcnt(1)
	ds_write_b64 v1, v[2:3]
.LBB122_285:
	s_or_b64 exec, exec, s[0:1]
	s_waitcnt lgkmcnt(0)
	; wave barrier
	scratch_load_dwordx4 v[4:7], off, off offset:336
	scratch_load_dwordx4 v[8:11], off, off offset:352
	;; [unrolled: 1-line block ×8, first 2 shown]
	scratch_load_dwordx2 v[68:69], off, off offset:464
	scratch_load_dwordx2 v[70:71], off, off offset:328
	v_mov_b32_e32 v2, 0
	ds_read_b128 v[36:39], v2 offset:816
	ds_read_b128 v[40:43], v2 offset:832
	;; [unrolled: 1-line block ×8, first 2 shown]
	ds_read_b64 v[72:73], v2 offset:944
	v_cmp_lt_u32_e32 vcc, 40, v0
	s_waitcnt vmcnt(9) lgkmcnt(8)
	v_mul_f32_e32 v79, v38, v7
	v_mul_f32_e32 v3, v36, v5
	s_waitcnt vmcnt(8) lgkmcnt(7)
	v_mul_f32_e32 v83, v40, v9
	s_waitcnt vmcnt(7) lgkmcnt(6)
	v_mul_f32_e32 v87, v44, v13
	v_mul_f32_e32 v5, v37, v5
	;; [unrolled: 1-line block ×5, first 2 shown]
	s_waitcnt vmcnt(5)
	v_mov_b32_e32 v78, v23
	s_waitcnt vmcnt(3) lgkmcnt(2)
	v_pk_mul_f32 v[84:85], v[60:61], v[28:29] op_sel:[1,1] op_sel_hi:[0,1]
	v_fmac_f32_e32 v79, v39, v6
	v_mul_f32_e32 v86, v42, v11
	v_mul_f32_e32 v89, v48, v17
	;; [unrolled: 1-line block ×4, first 2 shown]
	v_fmac_f32_e32 v3, v37, v4
	v_fmac_f32_e32 v87, v45, v12
	v_fma_f32 v36, v36, v4, -v5
	v_fma_f32 v37, v38, v6, -v7
	;; [unrolled: 1-line block ×4, first 2 shown]
	v_pk_mul_f32 v[4:5], v[54:55], v[78:79] op_sel:[1,0] op_sel_hi:[0,0]
	v_pk_fma_f32 v[12:13], v[60:61], v[28:29], v[84:85] neg_lo:[0,0,1] neg_hi:[0,0,1]
	v_fmac_f32_e32 v89, v49, v16
	v_fma_f32 v39, v42, v10, -v11
	v_fma_f32 v42, v48, v16, -v17
	v_add_f32_e32 v3, 0, v3
	v_add_f32_e32 v13, 0, v36
	v_pk_fma_f32 v[16:17], v[54:55], v[22:23], v[4:5] neg_lo:[0,0,1] neg_hi:[0,0,1]
	v_pk_fma_f32 v[4:5], v[54:55], v[22:23], v[4:5] op_sel_hi:[1,0,1]
	v_fmac_f32_e32 v83, v41, v8
	v_add_f32_e32 v3, v3, v79
	v_add_f32_e32 v4, v13, v37
	v_fmac_f32_e32 v86, v43, v10
	v_add_f32_e32 v3, v3, v83
	v_add_f32_e32 v4, v4, v38
	v_mul_f32_e32 v88, v46, v15
	v_mul_f32_e32 v15, v47, v15
	v_add_f32_e32 v3, v3, v86
	v_add_f32_e32 v4, v4, v39
	v_fmac_f32_e32 v88, v47, v14
	v_fma_f32 v41, v46, v14, -v15
	v_add_f32_e32 v3, v3, v87
	v_add_f32_e32 v4, v4, v40
	v_mul_f32_e32 v75, v50, v19
	v_mul_f32_e32 v19, v51, v19
	v_add_f32_e32 v3, v3, v88
	v_add_f32_e32 v4, v4, v41
	v_mul_f32_e32 v77, v52, v21
	v_mul_f32_e32 v21, v53, v21
	v_fmac_f32_e32 v75, v51, v18
	v_fma_f32 v74, v50, v18, -v19
	v_mov_b32_e32 v17, v5
	v_add_f32_e32 v5, v3, v89
	v_add_f32_e32 v4, v4, v42
	v_pk_mul_f32 v[80:81], v[56:57], v[24:25] op_sel:[1,1] op_sel_hi:[0,1]
	v_fmac_f32_e32 v77, v53, v20
	v_fma_f32 v76, v52, v20, -v21
	v_pk_add_f32 v[4:5], v[4:5], v[74:75]
	v_mov_b32_e32 v82, v27
	v_pk_fma_f32 v[6:7], v[56:57], v[24:25], v[80:81] neg_lo:[0,0,1] neg_hi:[0,0,1]
	v_pk_fma_f32 v[8:9], v[56:57], v[24:25], v[80:81] op_sel_hi:[1,0,1]
	v_pk_add_f32 v[4:5], v[4:5], v[76:77]
	v_pk_mul_f32 v[10:11], v[58:59], v[82:83] op_sel:[1,0] op_sel_hi:[0,0]
	v_mov_b32_e32 v7, v9
	v_pk_add_f32 v[4:5], v[4:5], v[16:17]
	v_pk_fma_f32 v[8:9], v[58:59], v[26:27], v[10:11] neg_lo:[0,0,1] neg_hi:[0,0,1]
	v_pk_fma_f32 v[10:11], v[58:59], v[26:27], v[10:11] op_sel_hi:[1,0,1]
	v_pk_add_f32 v[4:5], v[4:5], v[6:7]
	v_mov_b32_e32 v6, v31
	v_pk_fma_f32 v[14:15], v[60:61], v[28:29], v[84:85] op_sel_hi:[1,0,1]
	v_mov_b32_e32 v9, v11
	v_pk_mul_f32 v[6:7], v[62:63], v[6:7] op_sel:[1,0] op_sel_hi:[0,0]
	v_pk_add_f32 v[4:5], v[4:5], v[8:9]
	v_mov_b32_e32 v13, v15
	v_pk_fma_f32 v[8:9], v[62:63], v[30:31], v[6:7] neg_lo:[0,0,1] neg_hi:[0,0,1]
	v_pk_fma_f32 v[6:7], v[62:63], v[30:31], v[6:7] op_sel_hi:[1,0,1]
	v_pk_add_f32 v[4:5], v[4:5], v[12:13]
	v_mov_b32_e32 v9, v7
	s_waitcnt vmcnt(2) lgkmcnt(1)
	v_pk_mul_f32 v[6:7], v[64:65], v[32:33] op_sel:[1,1] op_sel_hi:[0,1]
	v_pk_add_f32 v[4:5], v[4:5], v[8:9]
	v_pk_fma_f32 v[8:9], v[64:65], v[32:33], v[6:7] neg_lo:[0,0,1] neg_hi:[0,0,1]
	v_pk_fma_f32 v[6:7], v[64:65], v[32:33], v[6:7] op_sel_hi:[1,0,1]
	s_nop 0
	v_mov_b32_e32 v6, v35
	v_mov_b32_e32 v9, v7
	v_pk_mul_f32 v[6:7], v[66:67], v[6:7] op_sel:[1,0] op_sel_hi:[0,0]
	v_pk_add_f32 v[4:5], v[4:5], v[8:9]
	v_pk_fma_f32 v[8:9], v[66:67], v[34:35], v[6:7] neg_lo:[0,0,1] neg_hi:[0,0,1]
	v_pk_fma_f32 v[6:7], v[66:67], v[34:35], v[6:7] op_sel_hi:[1,0,1]
	s_nop 0
	v_mov_b32_e32 v9, v7
	s_waitcnt vmcnt(1) lgkmcnt(0)
	v_pk_mul_f32 v[6:7], v[72:73], v[68:69] op_sel:[1,1] op_sel_hi:[0,1]
	v_pk_add_f32 v[4:5], v[4:5], v[8:9]
	v_pk_fma_f32 v[8:9], v[72:73], v[68:69], v[6:7] neg_lo:[0,0,1] neg_hi:[0,0,1]
	v_pk_fma_f32 v[6:7], v[72:73], v[68:69], v[6:7] op_sel_hi:[1,0,1]
	s_nop 0
	v_mov_b32_e32 v9, v7
	v_pk_add_f32 v[4:5], v[4:5], v[8:9]
	s_waitcnt vmcnt(0)
	v_pk_add_f32 v[4:5], v[70:71], v[4:5] neg_lo:[0,1] neg_hi:[0,1]
	scratch_store_dwordx2 off, v[4:5], off offset:328
	s_and_saveexec_b64 s[0:1], vcc
	s_cbranch_execz .LBB122_287
; %bb.286:
	scratch_load_dwordx2 v[4:5], off, off offset:320
	v_mov_b32_e32 v3, v2
	scratch_store_dwordx2 off, v[2:3], off offset:320
	s_waitcnt vmcnt(1)
	ds_write_b64 v1, v[4:5]
.LBB122_287:
	s_or_b64 exec, exec, s[0:1]
	s_waitcnt lgkmcnt(0)
	; wave barrier
	scratch_load_dwordx4 v[4:7], off, off offset:328
	scratch_load_dwordx4 v[8:11], off, off offset:344
	;; [unrolled: 1-line block ×7, first 2 shown]
	ds_read2_b64 v[32:35], v2 offset0:101 offset1:102
	ds_read2_b64 v[36:39], v2 offset0:103 offset1:104
	;; [unrolled: 1-line block ×4, first 2 shown]
	scratch_load_dwordx4 v[48:51], off, off offset:440
	scratch_load_dwordx4 v[52:55], off, off offset:456
	ds_read2_b64 v[56:59], v2 offset0:109 offset1:110
	ds_read2_b64 v[60:63], v2 offset0:111 offset1:112
	;; [unrolled: 1-line block ×5, first 2 shown]
	scratch_load_dwordx2 v[2:3], off, off offset:320
	v_cmp_lt_u32_e32 vcc, 39, v0
	s_waitcnt vmcnt(9) lgkmcnt(8)
	v_mul_f32_e32 v83, v32, v5
	v_mul_f32_e32 v86, v34, v7
	s_waitcnt vmcnt(8) lgkmcnt(7)
	v_mul_f32_e32 v87, v36, v9
	s_waitcnt vmcnt(7) lgkmcnt(6)
	v_mul_f32_e32 v89, v40, v13
	v_mul_f32_e32 v5, v33, v5
	;; [unrolled: 1-line block ×5, first 2 shown]
	s_waitcnt vmcnt(4) lgkmcnt(3)
	v_pk_mul_f32 v[80:81], v[60:61], v[24:25] op_sel:[1,1] op_sel_hi:[0,1]
	v_mov_b32_e32 v82, v27
	s_waitcnt vmcnt(3) lgkmcnt(2)
	v_pk_mul_f32 v[84:85], v[64:65], v[28:29] op_sel:[1,1] op_sel_hi:[0,1]
	v_fmac_f32_e32 v83, v33, v4
	v_mul_f32_e32 v90, v42, v15
	v_mul_f32_e32 v91, v44, v17
	;; [unrolled: 1-line block ×4, first 2 shown]
	v_fmac_f32_e32 v86, v35, v6
	v_fmac_f32_e32 v87, v37, v8
	v_fmac_f32_e32 v89, v41, v12
	v_fma_f32 v32, v32, v4, -v5
	v_fma_f32 v33, v34, v6, -v7
	;; [unrolled: 1-line block ×4, first 2 shown]
	v_pk_fma_f32 v[4:5], v[60:61], v[24:25], v[80:81] neg_lo:[0,0,1] neg_hi:[0,0,1]
	v_pk_fma_f32 v[6:7], v[60:61], v[24:25], v[80:81] op_sel_hi:[1,0,1]
	v_pk_mul_f32 v[8:9], v[62:63], v[82:83] op_sel:[1,0] op_sel_hi:[0,0]
	v_pk_fma_f32 v[12:13], v[64:65], v[28:29], v[84:85] op_sel_hi:[1,0,1]
	v_fmac_f32_e32 v90, v43, v14
	v_fma_f32 v14, v42, v14, -v15
	v_fma_f32 v15, v44, v16, -v17
	v_add_f32_e32 v12, 0, v83
	v_add_f32_e32 v17, 0, v32
	v_mov_b32_e32 v5, v7
	v_pk_fma_f32 v[6:7], v[62:63], v[26:27], v[8:9] neg_lo:[0,0,1] neg_hi:[0,0,1]
	v_pk_fma_f32 v[8:9], v[62:63], v[26:27], v[8:9] op_sel_hi:[1,0,1]
	v_mul_f32_e32 v88, v38, v11
	v_mul_f32_e32 v11, v39, v11
	v_add_f32_e32 v8, v12, v86
	v_add_f32_e32 v12, v17, v33
	v_fmac_f32_e32 v88, v39, v10
	v_fma_f32 v35, v38, v10, -v11
	v_mov_b32_e32 v7, v9
	v_add_f32_e32 v8, v8, v87
	v_add_f32_e32 v9, v12, v34
	;; [unrolled: 1-line block ×6, first 2 shown]
	v_mul_f32_e32 v92, v46, v19
	v_mul_f32_e32 v19, v47, v19
	v_fmac_f32_e32 v91, v45, v16
	v_add_f32_e32 v8, v8, v90
	v_add_f32_e32 v9, v9, v14
	v_mul_f32_e32 v77, v56, v21
	v_mul_f32_e32 v21, v57, v21
	v_fmac_f32_e32 v92, v47, v18
	v_fma_f32 v16, v46, v18, -v19
	v_add_f32_e32 v8, v8, v91
	v_add_f32_e32 v12, v9, v15
	v_mul_f32_e32 v79, v58, v23
	v_mul_f32_e32 v23, v59, v23
	v_fmac_f32_e32 v77, v57, v20
	v_fma_f32 v76, v56, v20, -v21
	v_add_f32_e32 v9, v8, v92
	v_add_f32_e32 v8, v12, v16
	v_fmac_f32_e32 v79, v59, v22
	v_fma_f32 v78, v58, v22, -v23
	v_pk_add_f32 v[8:9], v[8:9], v[76:77]
	v_pk_fma_f32 v[10:11], v[64:65], v[28:29], v[84:85] neg_lo:[0,0,1] neg_hi:[0,0,1]
	v_pk_add_f32 v[8:9], v[8:9], v[78:79]
	v_mov_b32_e32 v11, v13
	v_pk_add_f32 v[4:5], v[8:9], v[4:5]
	s_nop 0
	v_pk_add_f32 v[4:5], v[4:5], v[6:7]
	v_mov_b32_e32 v6, v31
	v_pk_mul_f32 v[6:7], v[66:67], v[6:7] op_sel:[1,0] op_sel_hi:[0,0]
	v_pk_fma_f32 v[8:9], v[66:67], v[30:31], v[6:7] neg_lo:[0,0,1] neg_hi:[0,0,1]
	v_pk_fma_f32 v[6:7], v[66:67], v[30:31], v[6:7] op_sel_hi:[1,0,1]
	v_pk_add_f32 v[4:5], v[4:5], v[10:11]
	v_mov_b32_e32 v9, v7
	s_waitcnt vmcnt(2) lgkmcnt(1)
	v_pk_mul_f32 v[6:7], v[68:69], v[48:49] op_sel:[1,1] op_sel_hi:[0,1]
	v_pk_add_f32 v[4:5], v[4:5], v[8:9]
	v_pk_fma_f32 v[8:9], v[68:69], v[48:49], v[6:7] neg_lo:[0,0,1] neg_hi:[0,0,1]
	v_pk_fma_f32 v[6:7], v[68:69], v[48:49], v[6:7] op_sel_hi:[1,0,1]
	s_nop 0
	v_mov_b32_e32 v6, v51
	v_mov_b32_e32 v9, v7
	v_pk_mul_f32 v[6:7], v[70:71], v[6:7] op_sel:[1,0] op_sel_hi:[0,0]
	v_pk_add_f32 v[4:5], v[4:5], v[8:9]
	v_pk_fma_f32 v[8:9], v[70:71], v[50:51], v[6:7] neg_lo:[0,0,1] neg_hi:[0,0,1]
	v_pk_fma_f32 v[6:7], v[70:71], v[50:51], v[6:7] op_sel_hi:[1,0,1]
	s_nop 0
	v_mov_b32_e32 v9, v7
	s_waitcnt vmcnt(1) lgkmcnt(0)
	v_pk_mul_f32 v[6:7], v[72:73], v[52:53] op_sel:[1,1] op_sel_hi:[0,1]
	v_pk_add_f32 v[4:5], v[4:5], v[8:9]
	v_pk_fma_f32 v[8:9], v[72:73], v[52:53], v[6:7] neg_lo:[0,0,1] neg_hi:[0,0,1]
	v_pk_fma_f32 v[6:7], v[72:73], v[52:53], v[6:7] op_sel_hi:[1,0,1]
	s_nop 0
	v_mov_b32_e32 v6, v55
	v_mov_b32_e32 v9, v7
	v_pk_mul_f32 v[6:7], v[74:75], v[6:7] op_sel:[1,0] op_sel_hi:[0,0]
	v_pk_add_f32 v[4:5], v[4:5], v[8:9]
	v_pk_fma_f32 v[8:9], v[74:75], v[54:55], v[6:7] neg_lo:[0,0,1] neg_hi:[0,0,1]
	v_pk_fma_f32 v[6:7], v[74:75], v[54:55], v[6:7] op_sel_hi:[1,0,1]
	s_nop 0
	v_mov_b32_e32 v9, v7
	v_pk_add_f32 v[4:5], v[4:5], v[8:9]
	s_waitcnt vmcnt(0)
	v_pk_add_f32 v[2:3], v[2:3], v[4:5] neg_lo:[0,1] neg_hi:[0,1]
	scratch_store_dwordx2 off, v[2:3], off offset:320
	s_and_saveexec_b64 s[0:1], vcc
	s_cbranch_execz .LBB122_289
; %bb.288:
	scratch_load_dwordx2 v[2:3], off, off offset:312
	v_mov_b32_e32 v4, 0
	v_mov_b32_e32 v5, v4
	scratch_store_dwordx2 off, v[4:5], off offset:312
	s_waitcnt vmcnt(1)
	ds_write_b64 v1, v[2:3]
.LBB122_289:
	s_or_b64 exec, exec, s[0:1]
	s_waitcnt lgkmcnt(0)
	; wave barrier
	scratch_load_dwordx4 v[4:7], off, off offset:320
	scratch_load_dwordx4 v[8:11], off, off offset:336
	;; [unrolled: 1-line block ×9, first 2 shown]
	scratch_load_dwordx2 v[76:77], off, off offset:464
	scratch_load_dwordx2 v[78:79], off, off offset:312
	v_mov_b32_e32 v2, 0
	ds_read_b128 v[40:43], v2 offset:800
	ds_read_b128 v[44:47], v2 offset:816
	;; [unrolled: 1-line block ×9, first 2 shown]
	ds_read_b64 v[80:81], v2 offset:944
	v_cmp_lt_u32_e32 vcc, 38, v0
	s_waitcnt vmcnt(10) lgkmcnt(9)
	v_mul_f32_e32 v87, v42, v7
	v_mul_f32_e32 v3, v40, v5
	;; [unrolled: 1-line block ×3, first 2 shown]
	v_fmac_f32_e32 v87, v43, v6
	s_waitcnt vmcnt(9) lgkmcnt(8)
	v_mul_f32_e32 v88, v44, v9
	s_waitcnt vmcnt(5)
	v_mov_b32_e32 v86, v27
	v_mul_f32_e32 v89, v46, v11
	s_waitcnt lgkmcnt(7)
	v_mul_f32_e32 v91, v50, v15
	v_mul_f32_e32 v7, v43, v7
	;; [unrolled: 1-line block ×5, first 2 shown]
	v_fmac_f32_e32 v3, v41, v4
	v_fma_f32 v40, v40, v4, -v5
	s_waitcnt lgkmcnt(4)
	v_pk_mul_f32 v[4:5], v[62:63], v[86:87] op_sel:[1,0] op_sel_hi:[0,0]
	v_fmac_f32_e32 v88, v45, v8
	v_fma_f32 v41, v42, v6, -v7
	v_fma_f32 v8, v44, v8, -v9
	;; [unrolled: 1-line block ×4, first 2 shown]
	v_add_f32_e32 v3, 0, v3
	v_add_f32_e32 v15, 0, v40
	v_pk_fma_f32 v[6:7], v[62:63], v[26:27], v[4:5] neg_lo:[0,0,1] neg_hi:[0,0,1]
	v_pk_fma_f32 v[4:5], v[62:63], v[26:27], v[4:5] op_sel_hi:[1,0,1]
	v_add_f32_e32 v3, v3, v87
	v_add_f32_e32 v4, v15, v41
	v_mul_f32_e32 v90, v48, v13
	v_mul_f32_e32 v13, v49, v13
	v_fmac_f32_e32 v89, v47, v10
	v_add_f32_e32 v3, v3, v88
	v_add_f32_e32 v4, v4, v8
	v_fmac_f32_e32 v90, v49, v12
	v_fma_f32 v10, v48, v12, -v13
	v_add_f32_e32 v3, v3, v89
	v_add_f32_e32 v4, v4, v9
	v_mul_f32_e32 v92, v52, v17
	v_mul_f32_e32 v17, v53, v17
	v_fmac_f32_e32 v91, v51, v14
	v_add_f32_e32 v3, v3, v90
	v_add_f32_e32 v4, v4, v10
	v_mul_f32_e32 v93, v54, v19
	v_mul_f32_e32 v19, v55, v19
	v_fmac_f32_e32 v92, v53, v16
	v_fma_f32 v12, v52, v16, -v17
	v_add_f32_e32 v3, v3, v91
	v_add_f32_e32 v4, v4, v11
	v_mul_f32_e32 v94, v56, v21
	v_mul_f32_e32 v21, v57, v21
	v_fmac_f32_e32 v93, v55, v18
	v_fma_f32 v13, v54, v18, -v19
	;; [unrolled: 6-line block ×4, first 2 shown]
	v_mov_b32_e32 v7, v5
	v_add_f32_e32 v5, v3, v94
	v_add_f32_e32 v4, v4, v14
	v_fmac_f32_e32 v85, v61, v24
	v_fma_f32 v84, v60, v24, -v25
	v_pk_add_f32 v[4:5], v[4:5], v[82:83]
	s_nop 0
	v_pk_add_f32 v[4:5], v[4:5], v[84:85]
	s_nop 0
	v_pk_add_f32 v[4:5], v[4:5], v[6:7]
	s_waitcnt vmcnt(4) lgkmcnt(3)
	v_pk_mul_f32 v[6:7], v[64:65], v[28:29] op_sel:[1,1] op_sel_hi:[0,1]
	v_pk_fma_f32 v[8:9], v[64:65], v[28:29], v[6:7] neg_lo:[0,0,1] neg_hi:[0,0,1]
	v_pk_fma_f32 v[6:7], v[64:65], v[28:29], v[6:7] op_sel_hi:[1,0,1]
	s_nop 0
	v_mov_b32_e32 v6, v31
	v_mov_b32_e32 v9, v7
	v_pk_mul_f32 v[6:7], v[66:67], v[6:7] op_sel:[1,0] op_sel_hi:[0,0]
	v_pk_add_f32 v[4:5], v[4:5], v[8:9]
	v_pk_fma_f32 v[8:9], v[66:67], v[30:31], v[6:7] neg_lo:[0,0,1] neg_hi:[0,0,1]
	v_pk_fma_f32 v[6:7], v[66:67], v[30:31], v[6:7] op_sel_hi:[1,0,1]
	s_nop 0
	v_mov_b32_e32 v9, v7
	s_waitcnt vmcnt(3) lgkmcnt(2)
	v_pk_mul_f32 v[6:7], v[68:69], v[32:33] op_sel:[1,1] op_sel_hi:[0,1]
	v_pk_add_f32 v[4:5], v[4:5], v[8:9]
	v_pk_fma_f32 v[8:9], v[68:69], v[32:33], v[6:7] neg_lo:[0,0,1] neg_hi:[0,0,1]
	v_pk_fma_f32 v[6:7], v[68:69], v[32:33], v[6:7] op_sel_hi:[1,0,1]
	s_nop 0
	v_mov_b32_e32 v6, v35
	v_mov_b32_e32 v9, v7
	v_pk_mul_f32 v[6:7], v[70:71], v[6:7] op_sel:[1,0] op_sel_hi:[0,0]
	v_pk_add_f32 v[4:5], v[4:5], v[8:9]
	v_pk_fma_f32 v[8:9], v[70:71], v[34:35], v[6:7] neg_lo:[0,0,1] neg_hi:[0,0,1]
	v_pk_fma_f32 v[6:7], v[70:71], v[34:35], v[6:7] op_sel_hi:[1,0,1]
	s_nop 0
	v_mov_b32_e32 v9, v7
	s_waitcnt vmcnt(2) lgkmcnt(1)
	v_pk_mul_f32 v[6:7], v[72:73], v[36:37] op_sel:[1,1] op_sel_hi:[0,1]
	v_pk_add_f32 v[4:5], v[4:5], v[8:9]
	;; [unrolled: 14-line block ×3, first 2 shown]
	v_pk_fma_f32 v[8:9], v[80:81], v[76:77], v[6:7] neg_lo:[0,0,1] neg_hi:[0,0,1]
	v_pk_fma_f32 v[6:7], v[80:81], v[76:77], v[6:7] op_sel_hi:[1,0,1]
	s_nop 0
	v_mov_b32_e32 v9, v7
	v_pk_add_f32 v[4:5], v[4:5], v[8:9]
	s_waitcnt vmcnt(0)
	v_pk_add_f32 v[4:5], v[78:79], v[4:5] neg_lo:[0,1] neg_hi:[0,1]
	scratch_store_dwordx2 off, v[4:5], off offset:312
	s_and_saveexec_b64 s[0:1], vcc
	s_cbranch_execz .LBB122_291
; %bb.290:
	scratch_load_dwordx2 v[4:5], off, off offset:304
	v_mov_b32_e32 v3, v2
	scratch_store_dwordx2 off, v[2:3], off offset:304
	s_waitcnt vmcnt(1)
	ds_write_b64 v1, v[4:5]
.LBB122_291:
	s_or_b64 exec, exec, s[0:1]
	s_waitcnt lgkmcnt(0)
	; wave barrier
	scratch_load_dwordx4 v[4:7], off, off offset:312
	scratch_load_dwordx4 v[8:11], off, off offset:328
	;; [unrolled: 1-line block ×7, first 2 shown]
	ds_read2_b64 v[32:35], v2 offset0:99 offset1:100
	ds_read2_b64 v[36:39], v2 offset0:101 offset1:102
	;; [unrolled: 1-line block ×6, first 2 shown]
	scratch_load_dwordx4 v[56:59], off, off offset:424
	scratch_load_dwordx4 v[60:63], off, off offset:440
	;; [unrolled: 1-line block ×3, first 2 shown]
	ds_read2_b64 v[68:71], v2 offset0:111 offset1:112
	ds_read2_b64 v[72:75], v2 offset0:113 offset1:114
	;; [unrolled: 1-line block ×4, first 2 shown]
	scratch_load_dwordx2 v[2:3], off, off offset:304
	v_cmp_lt_u32_e32 vcc, 37, v0
	s_waitcnt vmcnt(10) lgkmcnt(9)
	v_mul_f32_e32 v90, v32, v5
	v_mul_f32_e32 v5, v33, v5
	;; [unrolled: 1-line block ×3, first 2 shown]
	s_waitcnt vmcnt(9) lgkmcnt(8)
	v_mul_f32_e32 v92, v36, v9
	s_waitcnt vmcnt(8) lgkmcnt(7)
	v_mul_f32_e32 v95, v42, v15
	v_mul_f32_e32 v7, v35, v7
	;; [unrolled: 1-line block ×4, first 2 shown]
	v_fmac_f32_e32 v90, v33, v4
	v_fma_f32 v4, v32, v4, -v5
	v_fmac_f32_e32 v91, v35, v6
	v_fmac_f32_e32 v95, v43, v14
	v_fma_f32 v5, v34, v6, -v7
	v_fma_f32 v6, v36, v8, -v9
	v_fma_f32 v9, v42, v14, -v15
	v_add_f32_e32 v14, 0, v90
	v_add_f32_e32 v4, 0, v4
	v_mul_f32_e32 v93, v38, v11
	v_mul_f32_e32 v11, v39, v11
	v_fmac_f32_e32 v92, v37, v8
	v_add_f32_e32 v14, v14, v91
	v_add_f32_e32 v4, v4, v5
	v_mul_f32_e32 v94, v40, v13
	v_mul_f32_e32 v13, v41, v13
	v_fmac_f32_e32 v93, v39, v10
	v_fma_f32 v7, v38, v10, -v11
	v_add_f32_e32 v5, v14, v92
	v_add_f32_e32 v4, v4, v6
	v_fmac_f32_e32 v94, v41, v12
	v_fma_f32 v8, v40, v12, -v13
	v_add_f32_e32 v5, v5, v93
	v_add_f32_e32 v4, v4, v7
	s_waitcnt vmcnt(7) lgkmcnt(6)
	v_mul_f32_e32 v96, v44, v17
	v_mul_f32_e32 v17, v45, v17
	v_add_f32_e32 v5, v5, v94
	v_add_f32_e32 v4, v4, v8
	v_mul_f32_e32 v97, v46, v19
	v_mul_f32_e32 v19, v47, v19
	v_fmac_f32_e32 v96, v45, v16
	v_fma_f32 v10, v44, v16, -v17
	v_add_f32_e32 v5, v5, v95
	v_add_f32_e32 v4, v4, v9
	s_waitcnt vmcnt(6) lgkmcnt(5)
	v_mul_f32_e32 v98, v48, v21
	v_mul_f32_e32 v21, v49, v21
	v_fmac_f32_e32 v97, v47, v18
	v_fma_f32 v11, v46, v18, -v19
	v_add_f32_e32 v5, v5, v96
	v_add_f32_e32 v4, v4, v10
	v_mul_f32_e32 v99, v50, v23
	v_mul_f32_e32 v23, v51, v23
	v_fmac_f32_e32 v98, v49, v20
	v_fma_f32 v12, v48, v20, -v21
	v_add_f32_e32 v5, v5, v97
	v_add_f32_e32 v4, v4, v11
	s_waitcnt vmcnt(5) lgkmcnt(4)
	v_mul_f32_e32 v85, v52, v25
	v_mul_f32_e32 v25, v53, v25
	v_fmac_f32_e32 v99, v51, v22
	v_fma_f32 v13, v50, v22, -v23
	v_add_f32_e32 v5, v5, v98
	v_add_f32_e32 v4, v4, v12
	v_mul_f32_e32 v87, v54, v27
	v_mul_f32_e32 v27, v55, v27
	s_waitcnt vmcnt(4) lgkmcnt(3)
	v_pk_mul_f32 v[88:89], v[68:69], v[28:29] op_sel:[1,1] op_sel_hi:[0,1]
	v_fmac_f32_e32 v85, v53, v24
	v_fma_f32 v84, v52, v24, -v25
	v_add_f32_e32 v5, v5, v99
	v_add_f32_e32 v4, v4, v13
	v_fmac_f32_e32 v87, v55, v26
	v_fma_f32 v86, v54, v26, -v27
	v_pk_add_f32 v[4:5], v[4:5], v[84:85]
	v_pk_fma_f32 v[6:7], v[68:69], v[28:29], v[88:89] neg_lo:[0,0,1] neg_hi:[0,0,1]
	v_pk_fma_f32 v[8:9], v[68:69], v[28:29], v[88:89] op_sel_hi:[1,0,1]
	v_pk_add_f32 v[4:5], v[4:5], v[86:87]
	v_mov_b32_e32 v7, v9
	v_pk_add_f32 v[4:5], v[4:5], v[6:7]
	v_mov_b32_e32 v6, v31
	v_pk_mul_f32 v[6:7], v[70:71], v[6:7] op_sel:[1,0] op_sel_hi:[0,0]
	v_pk_fma_f32 v[8:9], v[70:71], v[30:31], v[6:7] neg_lo:[0,0,1] neg_hi:[0,0,1]
	v_pk_fma_f32 v[6:7], v[70:71], v[30:31], v[6:7] op_sel_hi:[1,0,1]
	s_nop 0
	v_mov_b32_e32 v9, v7
	s_waitcnt vmcnt(3) lgkmcnt(2)
	v_pk_mul_f32 v[6:7], v[72:73], v[56:57] op_sel:[1,1] op_sel_hi:[0,1]
	v_pk_add_f32 v[4:5], v[4:5], v[8:9]
	v_pk_fma_f32 v[8:9], v[72:73], v[56:57], v[6:7] neg_lo:[0,0,1] neg_hi:[0,0,1]
	v_pk_fma_f32 v[6:7], v[72:73], v[56:57], v[6:7] op_sel_hi:[1,0,1]
	s_nop 0
	v_mov_b32_e32 v6, v59
	v_mov_b32_e32 v9, v7
	v_pk_mul_f32 v[6:7], v[74:75], v[6:7] op_sel:[1,0] op_sel_hi:[0,0]
	v_pk_add_f32 v[4:5], v[4:5], v[8:9]
	v_pk_fma_f32 v[8:9], v[74:75], v[58:59], v[6:7] neg_lo:[0,0,1] neg_hi:[0,0,1]
	v_pk_fma_f32 v[6:7], v[74:75], v[58:59], v[6:7] op_sel_hi:[1,0,1]
	s_nop 0
	v_mov_b32_e32 v9, v7
	s_waitcnt vmcnt(2) lgkmcnt(1)
	v_pk_mul_f32 v[6:7], v[76:77], v[60:61] op_sel:[1,1] op_sel_hi:[0,1]
	v_pk_add_f32 v[4:5], v[4:5], v[8:9]
	v_pk_fma_f32 v[8:9], v[76:77], v[60:61], v[6:7] neg_lo:[0,0,1] neg_hi:[0,0,1]
	v_pk_fma_f32 v[6:7], v[76:77], v[60:61], v[6:7] op_sel_hi:[1,0,1]
	s_nop 0
	v_mov_b32_e32 v6, v63
	v_mov_b32_e32 v9, v7
	v_pk_mul_f32 v[6:7], v[78:79], v[6:7] op_sel:[1,0] op_sel_hi:[0,0]
	v_pk_add_f32 v[4:5], v[4:5], v[8:9]
	;; [unrolled: 14-line block ×3, first 2 shown]
	v_pk_fma_f32 v[8:9], v[82:83], v[66:67], v[6:7] neg_lo:[0,0,1] neg_hi:[0,0,1]
	v_pk_fma_f32 v[6:7], v[82:83], v[66:67], v[6:7] op_sel_hi:[1,0,1]
	s_nop 0
	v_mov_b32_e32 v9, v7
	v_pk_add_f32 v[4:5], v[4:5], v[8:9]
	s_waitcnt vmcnt(0)
	v_pk_add_f32 v[2:3], v[2:3], v[4:5] neg_lo:[0,1] neg_hi:[0,1]
	scratch_store_dwordx2 off, v[2:3], off offset:304
	s_and_saveexec_b64 s[0:1], vcc
	s_cbranch_execz .LBB122_293
; %bb.292:
	scratch_load_dwordx2 v[2:3], off, off offset:296
	v_mov_b32_e32 v4, 0
	v_mov_b32_e32 v5, v4
	scratch_store_dwordx2 off, v[4:5], off offset:296
	s_waitcnt vmcnt(1)
	ds_write_b64 v1, v[2:3]
.LBB122_293:
	s_or_b64 exec, exec, s[0:1]
	s_waitcnt lgkmcnt(0)
	; wave barrier
	scratch_load_dwordx4 v[2:5], off, off offset:304
	scratch_load_dwordx4 v[6:9], off, off offset:320
	;; [unrolled: 1-line block ×10, first 2 shown]
	scratch_load_dwordx2 v[76:77], off, off offset:464
	scratch_load_dwordx2 v[78:79], off, off offset:296
	v_mov_b32_e32 v10, 0
	ds_read_b128 v[44:47], v10 offset:784
	ds_read_b128 v[48:51], v10 offset:800
	;; [unrolled: 1-line block ×8, first 2 shown]
	v_cmp_lt_u32_e32 vcc, 36, v0
	s_waitcnt vmcnt(11) lgkmcnt(7)
	v_mul_f32_e32 v11, v44, v3
	v_mul_f32_e32 v3, v45, v3
	v_mul_f32_e32 v80, v46, v5
	v_mul_f32_e32 v5, v47, v5
	v_fmac_f32_e32 v11, v45, v2
	v_fma_f32 v2, v44, v2, -v3
	s_waitcnt vmcnt(10) lgkmcnt(6)
	v_mul_f32_e32 v82, v48, v7
	v_mul_f32_e32 v7, v49, v7
	v_fma_f32 v3, v46, v4, -v5
	v_add_f32_e32 v2, 0, v2
	v_mul_f32_e32 v84, v50, v9
	v_mul_f32_e32 v9, v51, v9
	v_fmac_f32_e32 v80, v47, v4
	v_fma_f32 v4, v48, v6, -v7
	v_add_f32_e32 v11, 0, v11
	v_add_f32_e32 v2, v2, v3
	s_waitcnt vmcnt(9) lgkmcnt(5)
	v_mul_f32_e32 v85, v52, v13
	v_mul_f32_e32 v13, v53, v13
	v_fmac_f32_e32 v82, v49, v6
	v_fma_f32 v5, v50, v8, -v9
	v_add_f32_e32 v11, v11, v80
	v_add_f32_e32 v2, v2, v4
	v_mul_f32_e32 v86, v54, v15
	v_mul_f32_e32 v15, v55, v15
	v_fmac_f32_e32 v84, v51, v8
	v_fma_f32 v6, v52, v12, -v13
	v_add_f32_e32 v3, v11, v82
	v_add_f32_e32 v2, v2, v5
	s_waitcnt vmcnt(8) lgkmcnt(4)
	v_mul_f32_e32 v87, v56, v17
	v_mul_f32_e32 v17, v57, v17
	v_fmac_f32_e32 v85, v53, v12
	v_fma_f32 v7, v54, v14, -v15
	v_add_f32_e32 v3, v3, v84
	;; [unrolled: 13-line block ×4, first 2 shown]
	v_add_f32_e32 v2, v2, v12
	v_fmac_f32_e32 v90, v63, v22
	v_fma_f32 v14, v64, v24, -v25
	v_add_f32_e32 v3, v3, v89
	v_add_f32_e32 v2, v2, v13
	v_mul_f32_e32 v81, v66, v27
	v_fmac_f32_e32 v91, v65, v24
	v_add_f32_e32 v3, v3, v90
	v_add_f32_e32 v12, v2, v14
	v_mul_f32_e32 v2, v67, v27
	s_waitcnt vmcnt(5)
	v_mov_b32_e32 v16, v31
	s_waitcnt lgkmcnt(1)
	v_mul_f32_e32 v83, v68, v29
	v_fmac_f32_e32 v81, v67, v26
	v_add_f32_e32 v13, v3, v91
	v_fma_f32 v80, v66, v26, -v2
	v_mul_f32_e32 v2, v69, v29
	v_pk_mul_f32 v[16:17], v[70:71], v[16:17] op_sel:[1,0] op_sel_hi:[0,0]
	v_fmac_f32_e32 v83, v69, v28
	v_fma_f32 v82, v68, v28, -v2
	v_pk_add_f32 v[12:13], v[12:13], v[80:81]
	v_pk_fma_f32 v[18:19], v[70:71], v[30:31], v[16:17] neg_lo:[0,0,1] neg_hi:[0,0,1]
	v_pk_fma_f32 v[16:17], v[70:71], v[30:31], v[16:17] op_sel_hi:[1,0,1]
	v_pk_add_f32 v[12:13], v[12:13], v[82:83]
	v_mov_b32_e32 v19, v17
	s_waitcnt vmcnt(4) lgkmcnt(0)
	v_pk_mul_f32 v[16:17], v[72:73], v[32:33] op_sel:[1,1] op_sel_hi:[0,1]
	v_pk_add_f32 v[12:13], v[12:13], v[18:19]
	v_pk_fma_f32 v[18:19], v[72:73], v[32:33], v[16:17] neg_lo:[0,0,1] neg_hi:[0,0,1]
	v_pk_fma_f32 v[16:17], v[72:73], v[32:33], v[16:17] op_sel_hi:[1,0,1]
	ds_read_b128 v[2:5], v10 offset:912
	ds_read_b128 v[6:9], v10 offset:928
	ds_read_b64 v[14:15], v10 offset:944
	v_mov_b32_e32 v16, v35
	v_mov_b32_e32 v19, v17
	v_pk_mul_f32 v[16:17], v[74:75], v[16:17] op_sel:[1,0] op_sel_hi:[0,0]
	v_pk_add_f32 v[12:13], v[12:13], v[18:19]
	v_pk_fma_f32 v[18:19], v[74:75], v[34:35], v[16:17] neg_lo:[0,0,1] neg_hi:[0,0,1]
	v_pk_fma_f32 v[16:17], v[74:75], v[34:35], v[16:17] op_sel_hi:[1,0,1]
	s_nop 0
	v_mov_b32_e32 v19, v17
	s_waitcnt vmcnt(3) lgkmcnt(2)
	v_pk_mul_f32 v[16:17], v[2:3], v[36:37] op_sel:[1,1] op_sel_hi:[0,1]
	v_pk_add_f32 v[12:13], v[12:13], v[18:19]
	v_pk_fma_f32 v[18:19], v[2:3], v[36:37], v[16:17] neg_lo:[0,0,1] neg_hi:[0,0,1]
	v_pk_fma_f32 v[2:3], v[2:3], v[36:37], v[16:17] op_sel_hi:[1,0,1]
	s_nop 0
	v_mov_b32_e32 v19, v3
	v_pk_add_f32 v[2:3], v[12:13], v[18:19]
	v_mov_b32_e32 v12, v39
	v_pk_mul_f32 v[12:13], v[4:5], v[12:13] op_sel:[1,0] op_sel_hi:[0,0]
	v_pk_fma_f32 v[16:17], v[4:5], v[38:39], v[12:13] neg_lo:[0,0,1] neg_hi:[0,0,1]
	v_pk_fma_f32 v[4:5], v[4:5], v[38:39], v[12:13] op_sel_hi:[1,0,1]
	s_nop 0
	v_mov_b32_e32 v17, v5
	s_waitcnt vmcnt(2) lgkmcnt(1)
	v_pk_mul_f32 v[4:5], v[6:7], v[40:41] op_sel:[1,1] op_sel_hi:[0,1]
	v_pk_fma_f32 v[12:13], v[6:7], v[40:41], v[4:5] neg_lo:[0,0,1] neg_hi:[0,0,1]
	v_pk_fma_f32 v[4:5], v[6:7], v[40:41], v[4:5] op_sel_hi:[1,0,1]
	v_pk_add_f32 v[2:3], v[2:3], v[16:17]
	v_mov_b32_e32 v4, v43
	v_mov_b32_e32 v13, v5
	v_pk_mul_f32 v[4:5], v[8:9], v[4:5] op_sel:[1,0] op_sel_hi:[0,0]
	v_pk_fma_f32 v[6:7], v[8:9], v[42:43], v[4:5] neg_lo:[0,0,1] neg_hi:[0,0,1]
	v_pk_fma_f32 v[4:5], v[8:9], v[42:43], v[4:5] op_sel_hi:[1,0,1]
	v_pk_add_f32 v[2:3], v[2:3], v[12:13]
	v_mov_b32_e32 v7, v5
	s_waitcnt vmcnt(1) lgkmcnt(0)
	v_pk_mul_f32 v[4:5], v[14:15], v[76:77] op_sel:[1,1] op_sel_hi:[0,1]
	v_pk_add_f32 v[2:3], v[2:3], v[6:7]
	v_pk_fma_f32 v[6:7], v[14:15], v[76:77], v[4:5] neg_lo:[0,0,1] neg_hi:[0,0,1]
	v_pk_fma_f32 v[4:5], v[14:15], v[76:77], v[4:5] op_sel_hi:[1,0,1]
	s_nop 0
	v_mov_b32_e32 v7, v5
	v_pk_add_f32 v[2:3], v[2:3], v[6:7]
	s_waitcnt vmcnt(0)
	v_pk_add_f32 v[2:3], v[78:79], v[2:3] neg_lo:[0,1] neg_hi:[0,1]
	scratch_store_dwordx2 off, v[2:3], off offset:296
	s_and_saveexec_b64 s[0:1], vcc
	s_cbranch_execz .LBB122_295
; %bb.294:
	scratch_load_dwordx2 v[2:3], off, off offset:288
	v_mov_b32_e32 v11, v10
	scratch_store_dwordx2 off, v[10:11], off offset:288
	s_waitcnt vmcnt(1)
	ds_write_b64 v1, v[2:3]
.LBB122_295:
	s_or_b64 exec, exec, s[0:1]
	s_waitcnt lgkmcnt(0)
	; wave barrier
	scratch_load_dwordx4 v[6:9], off, off offset:296
	scratch_load_dwordx4 v[12:15], off, off offset:312
	;; [unrolled: 1-line block ×7, first 2 shown]
	ds_read2_b64 v[36:39], v10 offset0:97 offset1:98
	ds_read2_b64 v[40:43], v10 offset0:99 offset1:100
	ds_read2_b64 v[44:47], v10 offset0:101 offset1:102
	ds_read2_b64 v[48:51], v10 offset0:103 offset1:104
	ds_read2_b64 v[52:55], v10 offset0:105 offset1:106
	ds_read2_b64 v[56:59], v10 offset0:107 offset1:108
	scratch_load_dwordx4 v[60:63], off, off offset:408
	scratch_load_dwordx4 v[64:67], off, off offset:424
	;; [unrolled: 1-line block ×4, first 2 shown]
	ds_read2_b64 v[72:75], v10 offset0:109 offset1:110
	ds_read2_b64 v[76:79], v10 offset0:111 offset1:112
	scratch_load_dwordx2 v[80:81], off, off offset:288
	v_cmp_lt_u32_e32 vcc, 35, v0
	s_waitcnt vmcnt(11) lgkmcnt(7)
	v_mul_f32_e32 v11, v36, v7
	v_mul_f32_e32 v82, v38, v9
	;; [unrolled: 1-line block ×3, first 2 shown]
	v_fmac_f32_e32 v11, v37, v6
	s_waitcnt vmcnt(10) lgkmcnt(6)
	v_mul_f32_e32 v84, v40, v13
	v_mul_f32_e32 v9, v39, v9
	v_fmac_f32_e32 v82, v39, v8
	v_fma_f32 v6, v36, v6, -v7
	v_add_f32_e32 v11, 0, v11
	v_mul_f32_e32 v86, v42, v15
	v_fmac_f32_e32 v84, v41, v12
	v_fma_f32 v7, v38, v8, -v9
	v_add_f32_e32 v6, 0, v6
	v_add_f32_e32 v11, v11, v82
	s_waitcnt vmcnt(9) lgkmcnt(5)
	v_mul_f32_e32 v87, v44, v17
	v_mul_f32_e32 v13, v41, v13
	v_fmac_f32_e32 v86, v43, v14
	v_add_f32_e32 v6, v6, v7
	v_add_f32_e32 v7, v11, v84
	v_mul_f32_e32 v88, v46, v19
	v_mul_f32_e32 v15, v43, v15
	v_fmac_f32_e32 v87, v45, v16
	v_fma_f32 v8, v40, v12, -v13
	v_add_f32_e32 v7, v7, v86
	s_waitcnt vmcnt(8) lgkmcnt(4)
	v_mul_f32_e32 v89, v48, v21
	v_mul_f32_e32 v17, v45, v17
	v_fmac_f32_e32 v88, v47, v18
	v_fma_f32 v9, v42, v14, -v15
	v_add_f32_e32 v6, v6, v8
	v_add_f32_e32 v7, v7, v87
	v_mul_f32_e32 v90, v50, v23
	v_mul_f32_e32 v19, v47, v19
	v_fmac_f32_e32 v89, v49, v20
	v_fma_f32 v12, v44, v16, -v17
	v_add_f32_e32 v6, v6, v9
	v_add_f32_e32 v7, v7, v88
	s_waitcnt vmcnt(7) lgkmcnt(3)
	v_mul_f32_e32 v91, v52, v25
	v_mul_f32_e32 v21, v49, v21
	v_fmac_f32_e32 v90, v51, v22
	v_fma_f32 v13, v46, v18, -v19
	v_add_f32_e32 v6, v6, v12
	v_add_f32_e32 v7, v7, v89
	v_mul_f32_e32 v92, v54, v27
	v_mul_f32_e32 v23, v51, v23
	v_fmac_f32_e32 v91, v53, v24
	v_fma_f32 v14, v48, v20, -v21
	v_add_f32_e32 v6, v6, v13
	;; [unrolled: 13-line block ×3, first 2 shown]
	v_add_f32_e32 v7, v7, v92
	v_mul_f32_e32 v29, v57, v29
	v_fmac_f32_e32 v94, v59, v30
	v_fma_f32 v17, v54, v26, -v27
	v_add_f32_e32 v6, v6, v16
	v_add_f32_e32 v7, v7, v93
	v_fma_f32 v18, v56, v28, -v29
	v_add_f32_e32 v6, v6, v17
	v_add_f32_e32 v21, v7, v94
	v_mul_f32_e32 v7, v59, v31
	v_add_f32_e32 v6, v6, v18
	v_fma_f32 v7, v58, v30, -v7
	s_waitcnt vmcnt(5) lgkmcnt(1)
	v_mul_f32_e32 v83, v72, v33
	v_add_f32_e32 v20, v6, v7
	v_mul_f32_e32 v6, v73, v33
	v_fmac_f32_e32 v83, v73, v32
	v_fma_f32 v82, v72, v32, -v6
	v_mul_f32_e32 v6, v75, v35
	v_fma_f32 v84, v74, v34, -v6
	ds_read2_b64 v[6:9], v10 offset0:113 offset1:114
	ds_read2_b64 v[12:15], v10 offset0:115 offset1:116
	ds_read2_b64 v[16:19], v10 offset0:117 offset1:118
	v_pk_add_f32 v[10:11], v[20:21], v[82:83]
	s_waitcnt vmcnt(4) lgkmcnt(3)
	v_pk_mul_f32 v[20:21], v[76:77], v[60:61] op_sel:[1,1] op_sel_hi:[0,1]
	v_mul_f32_e32 v85, v74, v35
	v_pk_fma_f32 v[22:23], v[76:77], v[60:61], v[20:21] neg_lo:[0,0,1] neg_hi:[0,0,1]
	v_pk_fma_f32 v[20:21], v[76:77], v[60:61], v[20:21] op_sel_hi:[1,0,1]
	v_fmac_f32_e32 v85, v75, v34
	v_mov_b32_e32 v20, v63
	v_pk_add_f32 v[10:11], v[10:11], v[84:85]
	v_mov_b32_e32 v23, v21
	v_pk_mul_f32 v[20:21], v[78:79], v[20:21] op_sel:[1,0] op_sel_hi:[0,0]
	v_pk_add_f32 v[10:11], v[10:11], v[22:23]
	v_pk_fma_f32 v[22:23], v[78:79], v[62:63], v[20:21] neg_lo:[0,0,1] neg_hi:[0,0,1]
	v_pk_fma_f32 v[20:21], v[78:79], v[62:63], v[20:21] op_sel_hi:[1,0,1]
	s_nop 0
	v_mov_b32_e32 v23, v21
	s_waitcnt vmcnt(3) lgkmcnt(2)
	v_pk_mul_f32 v[20:21], v[6:7], v[64:65] op_sel:[1,1] op_sel_hi:[0,1]
	v_pk_add_f32 v[10:11], v[10:11], v[22:23]
	v_pk_fma_f32 v[22:23], v[6:7], v[64:65], v[20:21] neg_lo:[0,0,1] neg_hi:[0,0,1]
	v_pk_fma_f32 v[6:7], v[6:7], v[64:65], v[20:21] op_sel_hi:[1,0,1]
	s_nop 0
	v_mov_b32_e32 v23, v7
	v_pk_add_f32 v[6:7], v[10:11], v[22:23]
	v_mov_b32_e32 v10, v67
	v_pk_mul_f32 v[10:11], v[8:9], v[10:11] op_sel:[1,0] op_sel_hi:[0,0]
	v_pk_fma_f32 v[20:21], v[8:9], v[66:67], v[10:11] neg_lo:[0,0,1] neg_hi:[0,0,1]
	v_pk_fma_f32 v[8:9], v[8:9], v[66:67], v[10:11] op_sel_hi:[1,0,1]
	s_nop 0
	v_mov_b32_e32 v21, v9
	s_waitcnt vmcnt(2) lgkmcnt(1)
	v_pk_mul_f32 v[8:9], v[12:13], v[68:69] op_sel:[1,1] op_sel_hi:[0,1]
	v_pk_fma_f32 v[10:11], v[12:13], v[68:69], v[8:9] neg_lo:[0,0,1] neg_hi:[0,0,1]
	v_pk_fma_f32 v[8:9], v[12:13], v[68:69], v[8:9] op_sel_hi:[1,0,1]
	v_pk_add_f32 v[6:7], v[6:7], v[20:21]
	v_mov_b32_e32 v8, v71
	v_mov_b32_e32 v11, v9
	v_pk_mul_f32 v[8:9], v[14:15], v[8:9] op_sel:[1,0] op_sel_hi:[0,0]
	v_pk_add_f32 v[6:7], v[6:7], v[10:11]
	v_pk_fma_f32 v[10:11], v[14:15], v[70:71], v[8:9] neg_lo:[0,0,1] neg_hi:[0,0,1]
	v_pk_fma_f32 v[8:9], v[14:15], v[70:71], v[8:9] op_sel_hi:[1,0,1]
	s_nop 0
	v_mov_b32_e32 v11, v9
	s_waitcnt vmcnt(1) lgkmcnt(0)
	v_pk_mul_f32 v[8:9], v[16:17], v[2:3] op_sel:[1,1] op_sel_hi:[0,1]
	v_pk_add_f32 v[6:7], v[6:7], v[10:11]
	v_pk_fma_f32 v[10:11], v[16:17], v[2:3], v[8:9] neg_lo:[0,0,1] neg_hi:[0,0,1]
	v_pk_fma_f32 v[2:3], v[16:17], v[2:3], v[8:9] op_sel_hi:[1,0,1]
	s_nop 0
	v_mov_b32_e32 v11, v3
	v_pk_add_f32 v[2:3], v[6:7], v[10:11]
	v_mov_b32_e32 v6, v5
	v_pk_mul_f32 v[6:7], v[18:19], v[6:7] op_sel:[1,0] op_sel_hi:[0,0]
	v_pk_fma_f32 v[8:9], v[18:19], v[4:5], v[6:7] neg_lo:[0,0,1] neg_hi:[0,0,1]
	v_pk_fma_f32 v[4:5], v[18:19], v[4:5], v[6:7] op_sel_hi:[1,0,1]
	s_nop 0
	v_mov_b32_e32 v9, v5
	v_pk_add_f32 v[2:3], v[2:3], v[8:9]
	s_waitcnt vmcnt(0)
	v_pk_add_f32 v[2:3], v[80:81], v[2:3] neg_lo:[0,1] neg_hi:[0,1]
	scratch_store_dwordx2 off, v[2:3], off offset:288
	s_and_saveexec_b64 s[0:1], vcc
	s_cbranch_execz .LBB122_297
; %bb.296:
	scratch_load_dwordx2 v[2:3], off, off offset:280
	v_mov_b32_e32 v4, 0
	v_mov_b32_e32 v5, v4
	scratch_store_dwordx2 off, v[4:5], off offset:280
	s_waitcnt vmcnt(1)
	ds_write_b64 v1, v[2:3]
.LBB122_297:
	s_or_b64 exec, exec, s[0:1]
	s_waitcnt lgkmcnt(0)
	; wave barrier
	scratch_load_dwordx4 v[6:9], off, off offset:288
	scratch_load_dwordx4 v[14:17], off, off offset:304
	;; [unrolled: 1-line block ×11, first 2 shown]
	scratch_load_dwordx2 v[22:23], off, off offset:464
	scratch_load_dwordx2 v[36:37], off, off offset:280
	v_mov_b32_e32 v38, 0
	ds_read_b128 v[52:55], v38 offset:768
	ds_read_b128 v[56:59], v38 offset:784
	;; [unrolled: 1-line block ×8, first 2 shown]
	v_cmp_lt_u32_e32 vcc, 34, v0
	s_waitcnt vmcnt(12) lgkmcnt(7)
	v_mul_f32_e32 v39, v52, v7
	v_mul_f32_e32 v84, v54, v9
	;; [unrolled: 1-line block ×3, first 2 shown]
	v_fmac_f32_e32 v39, v53, v6
	s_waitcnt vmcnt(8) lgkmcnt(3)
	v_mul_f32_e32 v93, v68, v19
	v_mul_f32_e32 v19, v69, v19
	;; [unrolled: 1-line block ×4, first 2 shown]
	v_fmac_f32_e32 v84, v55, v8
	v_fmac_f32_e32 v93, v69, v18
	v_fma_f32 v6, v52, v6, -v7
	v_fma_f32 v18, v68, v18, -v19
	v_add_f32_e32 v19, 0, v39
	v_mul_f32_e32 v88, v58, v17
	v_fmac_f32_e32 v86, v57, v14
	v_fma_f32 v7, v54, v8, -v9
	v_add_f32_e32 v6, 0, v6
	v_add_f32_e32 v19, v19, v84
	v_mul_f32_e32 v89, v60, v25
	v_fmac_f32_e32 v88, v59, v16
	v_add_f32_e32 v6, v6, v7
	v_add_f32_e32 v7, v19, v86
	v_mul_f32_e32 v90, v62, v27
	v_fmac_f32_e32 v89, v61, v24
	v_add_f32_e32 v7, v7, v88
	v_mul_f32_e32 v91, v64, v29
	v_mul_f32_e32 v15, v57, v15
	v_fmac_f32_e32 v90, v63, v26
	v_add_f32_e32 v7, v7, v89
	v_mul_f32_e32 v92, v66, v31
	v_mul_f32_e32 v17, v59, v17
	v_fmac_f32_e32 v91, v65, v28
	v_fma_f32 v8, v56, v14, -v15
	v_add_f32_e32 v7, v7, v90
	v_mul_f32_e32 v25, v61, v25
	v_fmac_f32_e32 v92, v67, v30
	v_fma_f32 v9, v58, v16, -v17
	v_add_f32_e32 v6, v6, v8
	v_add_f32_e32 v7, v7, v91
	v_mul_f32_e32 v94, v70, v21
	v_mul_f32_e32 v27, v63, v27
	v_fma_f32 v14, v60, v24, -v25
	v_add_f32_e32 v6, v6, v9
	v_add_f32_e32 v7, v7, v92
	s_waitcnt vmcnt(7) lgkmcnt(2)
	v_mul_f32_e32 v95, v72, v33
	v_mul_f32_e32 v29, v65, v29
	v_fmac_f32_e32 v94, v71, v20
	v_fma_f32 v15, v62, v26, -v27
	v_add_f32_e32 v6, v6, v14
	v_add_f32_e32 v7, v7, v93
	v_mul_f32_e32 v96, v74, v35
	v_mul_f32_e32 v31, v67, v31
	v_fmac_f32_e32 v95, v73, v32
	v_fma_f32 v16, v64, v28, -v29
	v_add_f32_e32 v6, v6, v15
	v_add_f32_e32 v7, v7, v94
	s_waitcnt vmcnt(6) lgkmcnt(1)
	v_mul_f32_e32 v97, v76, v41
	v_fmac_f32_e32 v96, v75, v34
	v_fma_f32 v17, v66, v30, -v31
	v_add_f32_e32 v6, v6, v16
	v_add_f32_e32 v7, v7, v95
	v_mul_f32_e32 v21, v71, v21
	v_fmac_f32_e32 v97, v77, v40
	v_add_f32_e32 v6, v6, v17
	v_add_f32_e32 v7, v7, v96
	;; [unrolled: 1-line block ×4, first 2 shown]
	v_fma_f32 v7, v70, v20, -v21
	v_add_f32_e32 v6, v6, v7
	v_mul_f32_e32 v7, v73, v33
	v_fma_f32 v7, v72, v32, -v7
	v_add_f32_e32 v6, v6, v7
	v_mul_f32_e32 v7, v75, v35
	;; [unrolled: 3-line block ×4, first 2 shown]
	v_mul_f32_e32 v85, v78, v43
	v_fma_f32 v84, v78, v42, -v6
	s_waitcnt vmcnt(5) lgkmcnt(0)
	v_mul_f32_e32 v6, v81, v45
	v_mov_b32_e32 v28, v47
	v_mul_f32_e32 v87, v80, v45
	v_fmac_f32_e32 v85, v79, v42
	v_fma_f32 v86, v80, v44, -v6
	ds_read_b128 v[6:9], v38 offset:896
	ds_read_b128 v[14:17], v38 offset:912
	;; [unrolled: 1-line block ×3, first 2 shown]
	ds_read_b64 v[26:27], v38 offset:944
	v_pk_mul_f32 v[28:29], v[82:83], v[28:29] op_sel:[1,0] op_sel_hi:[0,0]
	v_fmac_f32_e32 v87, v81, v44
	v_pk_add_f32 v[24:25], v[24:25], v[84:85]
	v_pk_fma_f32 v[30:31], v[82:83], v[46:47], v[28:29] neg_lo:[0,0,1] neg_hi:[0,0,1]
	v_pk_fma_f32 v[28:29], v[82:83], v[46:47], v[28:29] op_sel_hi:[1,0,1]
	v_pk_add_f32 v[24:25], v[24:25], v[86:87]
	v_mov_b32_e32 v31, v29
	s_waitcnt vmcnt(4) lgkmcnt(3)
	v_pk_mul_f32 v[28:29], v[6:7], v[48:49] op_sel:[1,1] op_sel_hi:[0,1]
	v_pk_add_f32 v[24:25], v[24:25], v[30:31]
	v_pk_fma_f32 v[30:31], v[6:7], v[48:49], v[28:29] neg_lo:[0,0,1] neg_hi:[0,0,1]
	v_pk_fma_f32 v[6:7], v[6:7], v[48:49], v[28:29] op_sel_hi:[1,0,1]
	s_nop 0
	v_mov_b32_e32 v31, v7
	v_pk_add_f32 v[6:7], v[24:25], v[30:31]
	v_mov_b32_e32 v24, v51
	v_pk_mul_f32 v[24:25], v[8:9], v[24:25] op_sel:[1,0] op_sel_hi:[0,0]
	v_pk_fma_f32 v[28:29], v[8:9], v[50:51], v[24:25] neg_lo:[0,0,1] neg_hi:[0,0,1]
	v_pk_fma_f32 v[8:9], v[8:9], v[50:51], v[24:25] op_sel_hi:[1,0,1]
	s_nop 0
	v_mov_b32_e32 v29, v9
	s_waitcnt vmcnt(3) lgkmcnt(2)
	v_pk_mul_f32 v[8:9], v[14:15], v[10:11] op_sel:[1,1] op_sel_hi:[0,1]
	v_pk_fma_f32 v[24:25], v[14:15], v[10:11], v[8:9] neg_lo:[0,0,1] neg_hi:[0,0,1]
	v_pk_fma_f32 v[8:9], v[14:15], v[10:11], v[8:9] op_sel_hi:[1,0,1]
	v_pk_add_f32 v[6:7], v[6:7], v[28:29]
	v_mov_b32_e32 v8, v13
	v_mov_b32_e32 v25, v9
	v_pk_mul_f32 v[8:9], v[16:17], v[8:9] op_sel:[1,0] op_sel_hi:[0,0]
	v_pk_fma_f32 v[10:11], v[16:17], v[12:13], v[8:9] neg_lo:[0,0,1] neg_hi:[0,0,1]
	v_pk_fma_f32 v[8:9], v[16:17], v[12:13], v[8:9] op_sel_hi:[1,0,1]
	v_pk_add_f32 v[6:7], v[6:7], v[24:25]
	v_mov_b32_e32 v11, v9
	s_waitcnt vmcnt(2) lgkmcnt(1)
	v_pk_mul_f32 v[8:9], v[18:19], v[2:3] op_sel:[1,1] op_sel_hi:[0,1]
	v_pk_add_f32 v[6:7], v[6:7], v[10:11]
	v_pk_fma_f32 v[10:11], v[18:19], v[2:3], v[8:9] neg_lo:[0,0,1] neg_hi:[0,0,1]
	v_pk_fma_f32 v[2:3], v[18:19], v[2:3], v[8:9] op_sel_hi:[1,0,1]
	s_nop 0
	v_mov_b32_e32 v11, v3
	v_pk_add_f32 v[2:3], v[6:7], v[10:11]
	v_mov_b32_e32 v6, v5
	v_pk_mul_f32 v[6:7], v[20:21], v[6:7] op_sel:[1,0] op_sel_hi:[0,0]
	v_pk_fma_f32 v[8:9], v[20:21], v[4:5], v[6:7] neg_lo:[0,0,1] neg_hi:[0,0,1]
	v_pk_fma_f32 v[4:5], v[20:21], v[4:5], v[6:7] op_sel_hi:[1,0,1]
	s_nop 0
	v_mov_b32_e32 v9, v5
	s_waitcnt vmcnt(1) lgkmcnt(0)
	v_pk_mul_f32 v[4:5], v[26:27], v[22:23] op_sel:[1,1] op_sel_hi:[0,1]
	v_pk_fma_f32 v[6:7], v[26:27], v[22:23], v[4:5] neg_lo:[0,0,1] neg_hi:[0,0,1]
	v_pk_fma_f32 v[4:5], v[26:27], v[22:23], v[4:5] op_sel_hi:[1,0,1]
	v_pk_add_f32 v[2:3], v[2:3], v[8:9]
	v_mov_b32_e32 v7, v5
	v_pk_add_f32 v[2:3], v[2:3], v[6:7]
	s_waitcnt vmcnt(0)
	v_pk_add_f32 v[2:3], v[36:37], v[2:3] neg_lo:[0,1] neg_hi:[0,1]
	scratch_store_dwordx2 off, v[2:3], off offset:280
	s_and_saveexec_b64 s[0:1], vcc
	s_cbranch_execz .LBB122_299
; %bb.298:
	scratch_load_dwordx2 v[2:3], off, off offset:272
	v_mov_b32_e32 v39, v38
	scratch_store_dwordx2 off, v[38:39], off offset:272
	s_waitcnt vmcnt(1)
	ds_write_b64 v1, v[2:3]
.LBB122_299:
	s_or_b64 exec, exec, s[0:1]
	s_waitcnt lgkmcnt(0)
	; wave barrier
	scratch_load_dwordx4 v[2:5], off, off offset:280
	scratch_load_dwordx4 v[14:17], off, off offset:296
	;; [unrolled: 1-line block ×8, first 2 shown]
	ds_read2_b64 v[48:51], v38 offset0:95 offset1:96
	ds_read2_b64 v[52:55], v38 offset0:97 offset1:98
	;; [unrolled: 1-line block ×8, first 2 shown]
	scratch_load_dwordx4 v[80:83], off, off offset:408
	scratch_load_dwordx4 v[26:29], off, off offset:424
	;; [unrolled: 1-line block ×4, first 2 shown]
	scratch_load_dwordx2 v[84:85], off, off offset:272
	v_cmp_lt_u32_e32 vcc, 33, v0
	s_waitcnt vmcnt(12) lgkmcnt(7)
	v_mul_f32_e32 v39, v48, v3
	v_mul_f32_e32 v86, v50, v5
	;; [unrolled: 1-line block ×3, first 2 shown]
	v_fmac_f32_e32 v39, v49, v2
	s_waitcnt vmcnt(8) lgkmcnt(3)
	v_mul_f32_e32 v95, v64, v19
	v_mul_f32_e32 v19, v65, v19
	;; [unrolled: 1-line block ×4, first 2 shown]
	v_fmac_f32_e32 v86, v51, v4
	v_fmac_f32_e32 v95, v65, v18
	v_fma_f32 v2, v48, v2, -v3
	v_fma_f32 v18, v64, v18, -v19
	v_add_f32_e32 v19, 0, v39
	v_mul_f32_e32 v90, v54, v17
	v_fmac_f32_e32 v88, v53, v14
	v_fma_f32 v3, v50, v4, -v5
	v_add_f32_e32 v2, 0, v2
	v_add_f32_e32 v19, v19, v86
	v_mul_f32_e32 v91, v56, v31
	v_fmac_f32_e32 v90, v55, v16
	v_add_f32_e32 v2, v2, v3
	v_add_f32_e32 v3, v19, v88
	v_mul_f32_e32 v92, v58, v33
	v_fmac_f32_e32 v91, v57, v30
	v_add_f32_e32 v3, v3, v90
	v_mul_f32_e32 v93, v60, v41
	v_fmac_f32_e32 v92, v59, v32
	;; [unrolled: 3-line block ×4, first 2 shown]
	v_add_f32_e32 v3, v3, v93
	v_mul_f32_e32 v96, v66, v21
	v_mul_f32_e32 v17, v55, v17
	v_fma_f32 v4, v52, v14, -v15
	v_add_f32_e32 v3, v3, v94
	s_waitcnt vmcnt(7) lgkmcnt(2)
	v_mul_f32_e32 v97, v68, v23
	v_mul_f32_e32 v31, v57, v31
	v_fmac_f32_e32 v96, v67, v20
	v_fma_f32 v5, v54, v16, -v17
	v_add_f32_e32 v2, v2, v4
	v_add_f32_e32 v3, v3, v95
	v_mul_f32_e32 v98, v70, v25
	v_mul_f32_e32 v33, v59, v33
	v_fmac_f32_e32 v97, v69, v22
	v_fma_f32 v14, v56, v30, -v31
	v_add_f32_e32 v2, v2, v5
	v_add_f32_e32 v3, v3, v96
	s_waitcnt vmcnt(6) lgkmcnt(1)
	v_mul_f32_e32 v99, v72, v35
	v_mul_f32_e32 v41, v61, v41
	v_fmac_f32_e32 v98, v71, v24
	v_fma_f32 v15, v58, v32, -v33
	v_add_f32_e32 v2, v2, v14
	v_add_f32_e32 v3, v3, v97
	v_mul_f32_e32 v100, v74, v37
	v_mul_f32_e32 v43, v63, v43
	v_fmac_f32_e32 v99, v73, v34
	v_fma_f32 v16, v60, v40, -v41
	v_add_f32_e32 v2, v2, v15
	v_add_f32_e32 v3, v3, v98
	v_fmac_f32_e32 v100, v75, v36
	v_fma_f32 v17, v62, v42, -v43
	v_add_f32_e32 v2, v2, v16
	v_add_f32_e32 v3, v3, v99
	;; [unrolled: 1-line block ×4, first 2 shown]
	v_mul_f32_e32 v3, v67, v21
	v_add_f32_e32 v2, v2, v18
	v_fma_f32 v3, v66, v20, -v3
	v_add_f32_e32 v2, v2, v3
	v_mul_f32_e32 v3, v69, v23
	v_fma_f32 v3, v68, v22, -v3
	v_add_f32_e32 v2, v2, v3
	v_mul_f32_e32 v3, v71, v25
	;; [unrolled: 3-line block ×4, first 2 shown]
	v_fma_f32 v3, v74, v36, -v3
	v_add_f32_e32 v30, v2, v3
	s_waitcnt vmcnt(5) lgkmcnt(0)
	v_mul_f32_e32 v2, v77, v45
	v_fma_f32 v86, v76, v44, -v2
	v_mul_f32_e32 v2, v79, v47
	v_fma_f32 v88, v78, v46, -v2
	ds_read2_b64 v[2:5], v38 offset0:111 offset1:112
	ds_read2_b64 v[14:17], v38 offset0:113 offset1:114
	;; [unrolled: 1-line block ×4, first 2 shown]
	v_mul_f32_e32 v87, v76, v45
	v_mul_f32_e32 v89, v78, v47
	v_fmac_f32_e32 v87, v77, v44
	s_waitcnt vmcnt(4) lgkmcnt(3)
	v_pk_mul_f32 v[32:33], v[2:3], v[80:81] op_sel:[1,1] op_sel_hi:[0,1]
	v_fmac_f32_e32 v89, v79, v46
	v_pk_add_f32 v[30:31], v[30:31], v[86:87]
	v_pk_fma_f32 v[34:35], v[2:3], v[80:81], v[32:33] neg_lo:[0,0,1] neg_hi:[0,0,1]
	v_pk_fma_f32 v[2:3], v[2:3], v[80:81], v[32:33] op_sel_hi:[1,0,1]
	v_pk_add_f32 v[30:31], v[30:31], v[88:89]
	v_mov_b32_e32 v35, v3
	v_pk_add_f32 v[2:3], v[30:31], v[34:35]
	v_mov_b32_e32 v30, v83
	v_pk_mul_f32 v[30:31], v[4:5], v[30:31] op_sel:[1,0] op_sel_hi:[0,0]
	v_pk_fma_f32 v[32:33], v[4:5], v[82:83], v[30:31] neg_lo:[0,0,1] neg_hi:[0,0,1]
	v_pk_fma_f32 v[4:5], v[4:5], v[82:83], v[30:31] op_sel_hi:[1,0,1]
	s_nop 0
	v_mov_b32_e32 v33, v5
	s_waitcnt vmcnt(3) lgkmcnt(2)
	v_pk_mul_f32 v[4:5], v[14:15], v[26:27] op_sel:[1,1] op_sel_hi:[0,1]
	v_pk_fma_f32 v[30:31], v[14:15], v[26:27], v[4:5] neg_lo:[0,0,1] neg_hi:[0,0,1]
	v_pk_fma_f32 v[4:5], v[14:15], v[26:27], v[4:5] op_sel_hi:[1,0,1]
	v_pk_add_f32 v[2:3], v[2:3], v[32:33]
	v_mov_b32_e32 v4, v29
	v_mov_b32_e32 v31, v5
	v_pk_mul_f32 v[4:5], v[16:17], v[4:5] op_sel:[1,0] op_sel_hi:[0,0]
	v_pk_fma_f32 v[14:15], v[16:17], v[28:29], v[4:5] neg_lo:[0,0,1] neg_hi:[0,0,1]
	v_pk_fma_f32 v[4:5], v[16:17], v[28:29], v[4:5] op_sel_hi:[1,0,1]
	v_pk_add_f32 v[2:3], v[2:3], v[30:31]
	v_mov_b32_e32 v15, v5
	s_waitcnt vmcnt(2) lgkmcnt(1)
	v_pk_mul_f32 v[4:5], v[18:19], v[10:11] op_sel:[1,1] op_sel_hi:[0,1]
	v_pk_add_f32 v[2:3], v[2:3], v[14:15]
	v_pk_fma_f32 v[14:15], v[18:19], v[10:11], v[4:5] neg_lo:[0,0,1] neg_hi:[0,0,1]
	v_pk_fma_f32 v[4:5], v[18:19], v[10:11], v[4:5] op_sel_hi:[1,0,1]
	s_nop 0
	v_mov_b32_e32 v4, v13
	v_mov_b32_e32 v15, v5
	v_pk_mul_f32 v[4:5], v[20:21], v[4:5] op_sel:[1,0] op_sel_hi:[0,0]
	v_pk_fma_f32 v[10:11], v[20:21], v[12:13], v[4:5] neg_lo:[0,0,1] neg_hi:[0,0,1]
	v_pk_fma_f32 v[4:5], v[20:21], v[12:13], v[4:5] op_sel_hi:[1,0,1]
	v_pk_add_f32 v[2:3], v[2:3], v[14:15]
	v_mov_b32_e32 v11, v5
	s_waitcnt vmcnt(1) lgkmcnt(0)
	v_pk_mul_f32 v[4:5], v[22:23], v[6:7] op_sel:[1,1] op_sel_hi:[0,1]
	v_pk_add_f32 v[2:3], v[2:3], v[10:11]
	v_pk_fma_f32 v[10:11], v[22:23], v[6:7], v[4:5] neg_lo:[0,0,1] neg_hi:[0,0,1]
	v_pk_fma_f32 v[4:5], v[22:23], v[6:7], v[4:5] op_sel_hi:[1,0,1]
	s_nop 0
	v_mov_b32_e32 v4, v9
	v_mov_b32_e32 v11, v5
	v_pk_mul_f32 v[4:5], v[24:25], v[4:5] op_sel:[1,0] op_sel_hi:[0,0]
	v_pk_fma_f32 v[6:7], v[24:25], v[8:9], v[4:5] neg_lo:[0,0,1] neg_hi:[0,0,1]
	v_pk_fma_f32 v[4:5], v[24:25], v[8:9], v[4:5] op_sel_hi:[1,0,1]
	v_pk_add_f32 v[2:3], v[2:3], v[10:11]
	v_mov_b32_e32 v7, v5
	v_pk_add_f32 v[2:3], v[2:3], v[6:7]
	s_waitcnt vmcnt(0)
	v_pk_add_f32 v[2:3], v[84:85], v[2:3] neg_lo:[0,1] neg_hi:[0,1]
	scratch_store_dwordx2 off, v[2:3], off offset:272
	s_and_saveexec_b64 s[0:1], vcc
	s_cbranch_execz .LBB122_301
; %bb.300:
	scratch_load_dwordx2 v[2:3], off, off offset:264
	v_mov_b32_e32 v4, 0
	v_mov_b32_e32 v5, v4
	scratch_store_dwordx2 off, v[4:5], off offset:264
	s_waitcnt vmcnt(1)
	ds_write_b64 v1, v[2:3]
.LBB122_301:
	s_or_b64 exec, exec, s[0:1]
	s_waitcnt lgkmcnt(0)
	; wave barrier
	scratch_load_dwordx4 v[10:13], off, off offset:272
	scratch_load_dwordx4 v[26:29], off, off offset:288
	scratch_load_dwordx4 v[38:41], off, off offset:304
	scratch_load_dwordx4 v[6:9], off, off offset:320
	scratch_load_dwordx4 v[14:17], off, off offset:336
	scratch_load_dwordx4 v[22:25], off, off offset:352
	scratch_load_dwordx4 v[30:33], off, off offset:368
	scratch_load_dwordx4 v[42:45], off, off offset:384
	scratch_load_dwordx4 v[46:49], off, off offset:400
	scratch_load_dwordx4 v[34:37], off, off offset:416
	scratch_load_dwordx4 v[18:21], off, off offset:432
	scratch_load_dwordx4 v[2:5], off, off offset:448
	scratch_load_dwordx2 v[50:51], off, off offset:464
	scratch_load_dwordx2 v[56:57], off, off offset:264
	v_mov_b32_e32 v58, 0
	ds_read_b128 v[52:55], v58 offset:752
	ds_read_b128 v[60:63], v58 offset:768
	;; [unrolled: 1-line block ×10, first 2 shown]
	v_cmp_lt_u32_e32 vcc, 32, v0
	s_waitcnt vmcnt(13) lgkmcnt(9)
	v_mul_f32_e32 v59, v52, v11
	v_mul_f32_e32 v96, v54, v13
	v_fmac_f32_e32 v59, v53, v10
	s_waitcnt vmcnt(10) lgkmcnt(6)
	v_mul_f32_e32 v103, v68, v7
	v_mul_f32_e32 v7, v69, v7
	;; [unrolled: 1-line block ×3, first 2 shown]
	v_fmac_f32_e32 v96, v55, v12
	v_fmac_f32_e32 v103, v69, v6
	v_fma_f32 v6, v68, v6, -v7
	v_add_f32_e32 v7, 0, v59
	v_mul_f32_e32 v100, v62, v29
	v_fmac_f32_e32 v98, v61, v26
	v_add_f32_e32 v7, v7, v96
	v_mul_f32_e32 v101, v64, v39
	v_fmac_f32_e32 v100, v63, v28
	;; [unrolled: 3-line block ×3, first 2 shown]
	v_add_f32_e32 v7, v7, v100
	v_fmac_f32_e32 v102, v67, v40
	v_add_f32_e32 v7, v7, v101
	v_mul_f32_e32 v104, v70, v9
	v_add_f32_e32 v7, v7, v102
	s_waitcnt vmcnt(9) lgkmcnt(5)
	v_mul_f32_e32 v105, v72, v15
	v_fmac_f32_e32 v104, v71, v8
	v_add_f32_e32 v7, v7, v103
	v_mul_f32_e32 v106, v74, v17
	v_mul_f32_e32 v11, v53, v11
	v_fmac_f32_e32 v105, v73, v14
	v_add_f32_e32 v7, v7, v104
	s_waitcnt vmcnt(8) lgkmcnt(4)
	v_mul_f32_e32 v107, v76, v23
	v_mul_f32_e32 v13, v55, v13
	v_fmac_f32_e32 v106, v75, v16
	v_fma_f32 v10, v52, v10, -v11
	v_add_f32_e32 v7, v7, v105
	v_mul_f32_e32 v108, v78, v25
	v_mul_f32_e32 v27, v61, v27
	v_fmac_f32_e32 v107, v77, v22
	v_fma_f32 v11, v54, v12, -v13
	v_add_f32_e32 v10, 0, v10
	v_add_f32_e32 v7, v7, v106
	s_waitcnt vmcnt(7) lgkmcnt(3)
	v_mul_f32_e32 v109, v80, v31
	v_mul_f32_e32 v29, v63, v29
	v_fmac_f32_e32 v108, v79, v24
	v_fma_f32 v12, v60, v26, -v27
	v_add_f32_e32 v10, v10, v11
	v_add_f32_e32 v7, v7, v107
	v_mul_f32_e32 v110, v82, v33
	v_mul_f32_e32 v39, v65, v39
	v_fmac_f32_e32 v109, v81, v30
	v_fma_f32 v13, v62, v28, -v29
	v_add_f32_e32 v10, v10, v12
	v_add_f32_e32 v7, v7, v108
	s_waitcnt vmcnt(6) lgkmcnt(2)
	v_mul_f32_e32 v111, v84, v43
	v_mul_f32_e32 v41, v67, v41
	v_fmac_f32_e32 v110, v83, v32
	v_fma_f32 v26, v64, v38, -v39
	v_add_f32_e32 v10, v10, v13
	v_add_f32_e32 v7, v7, v109
	v_fmac_f32_e32 v111, v85, v42
	v_fma_f32 v27, v66, v40, -v41
	v_add_f32_e32 v10, v10, v26
	v_add_f32_e32 v7, v7, v110
	;; [unrolled: 1-line block ×4, first 2 shown]
	v_mul_f32_e32 v7, v71, v9
	v_add_f32_e32 v6, v10, v6
	v_fma_f32 v7, v70, v8, -v7
	v_add_f32_e32 v6, v6, v7
	v_mul_f32_e32 v7, v73, v15
	v_fma_f32 v7, v72, v14, -v7
	v_add_f32_e32 v6, v6, v7
	v_mul_f32_e32 v7, v75, v17
	;; [unrolled: 3-line block ×7, first 2 shown]
	v_fma_f32 v7, v84, v42, -v7
	v_mul_f32_e32 v97, v86, v45
	v_add_f32_e32 v26, v6, v7
	v_mul_f32_e32 v6, v87, v45
	s_waitcnt vmcnt(5)
	v_mov_b32_e32 v22, v49
	s_waitcnt lgkmcnt(1)
	v_mul_f32_e32 v99, v88, v47
	v_fmac_f32_e32 v97, v87, v44
	v_fma_f32 v96, v86, v44, -v6
	v_mul_f32_e32 v6, v89, v47
	v_pk_mul_f32 v[22:23], v[90:91], v[22:23] op_sel:[1,0] op_sel_hi:[0,0]
	v_fmac_f32_e32 v99, v89, v46
	v_fma_f32 v98, v88, v46, -v6
	v_pk_add_f32 v[16:17], v[26:27], v[96:97]
	v_pk_fma_f32 v[24:25], v[90:91], v[48:49], v[22:23] neg_lo:[0,0,1] neg_hi:[0,0,1]
	v_pk_fma_f32 v[22:23], v[90:91], v[48:49], v[22:23] op_sel_hi:[1,0,1]
	v_pk_add_f32 v[16:17], v[16:17], v[98:99]
	v_mov_b32_e32 v25, v23
	s_waitcnt vmcnt(4) lgkmcnt(0)
	v_pk_mul_f32 v[22:23], v[92:93], v[34:35] op_sel:[1,1] op_sel_hi:[0,1]
	v_pk_add_f32 v[16:17], v[16:17], v[24:25]
	v_pk_fma_f32 v[24:25], v[92:93], v[34:35], v[22:23] neg_lo:[0,0,1] neg_hi:[0,0,1]
	v_pk_fma_f32 v[22:23], v[92:93], v[34:35], v[22:23] op_sel_hi:[1,0,1]
	ds_read_b128 v[6:9], v58 offset:912
	ds_read_b128 v[10:13], v58 offset:928
	ds_read_b64 v[14:15], v58 offset:944
	v_mov_b32_e32 v22, v37
	v_mov_b32_e32 v25, v23
	v_pk_mul_f32 v[22:23], v[94:95], v[22:23] op_sel:[1,0] op_sel_hi:[0,0]
	v_pk_add_f32 v[16:17], v[16:17], v[24:25]
	v_pk_fma_f32 v[24:25], v[94:95], v[36:37], v[22:23] neg_lo:[0,0,1] neg_hi:[0,0,1]
	v_pk_fma_f32 v[22:23], v[94:95], v[36:37], v[22:23] op_sel_hi:[1,0,1]
	s_nop 0
	v_mov_b32_e32 v25, v23
	s_waitcnt vmcnt(3) lgkmcnt(2)
	v_pk_mul_f32 v[22:23], v[6:7], v[18:19] op_sel:[1,1] op_sel_hi:[0,1]
	v_pk_add_f32 v[16:17], v[16:17], v[24:25]
	v_pk_fma_f32 v[24:25], v[6:7], v[18:19], v[22:23] neg_lo:[0,0,1] neg_hi:[0,0,1]
	v_pk_fma_f32 v[6:7], v[6:7], v[18:19], v[22:23] op_sel_hi:[1,0,1]
	s_nop 0
	v_mov_b32_e32 v25, v7
	v_pk_add_f32 v[6:7], v[16:17], v[24:25]
	v_mov_b32_e32 v16, v21
	v_pk_mul_f32 v[16:17], v[8:9], v[16:17] op_sel:[1,0] op_sel_hi:[0,0]
	v_pk_fma_f32 v[18:19], v[8:9], v[20:21], v[16:17] neg_lo:[0,0,1] neg_hi:[0,0,1]
	v_pk_fma_f32 v[8:9], v[8:9], v[20:21], v[16:17] op_sel_hi:[1,0,1]
	s_nop 0
	v_mov_b32_e32 v19, v9
	s_waitcnt vmcnt(2) lgkmcnt(1)
	v_pk_mul_f32 v[8:9], v[10:11], v[2:3] op_sel:[1,1] op_sel_hi:[0,1]
	v_pk_fma_f32 v[16:17], v[10:11], v[2:3], v[8:9] neg_lo:[0,0,1] neg_hi:[0,0,1]
	v_pk_fma_f32 v[2:3], v[10:11], v[2:3], v[8:9] op_sel_hi:[1,0,1]
	v_pk_add_f32 v[6:7], v[6:7], v[18:19]
	v_mov_b32_e32 v17, v3
	v_pk_add_f32 v[2:3], v[6:7], v[16:17]
	v_mov_b32_e32 v6, v5
	v_pk_mul_f32 v[6:7], v[12:13], v[6:7] op_sel:[1,0] op_sel_hi:[0,0]
	v_pk_fma_f32 v[8:9], v[12:13], v[4:5], v[6:7] neg_lo:[0,0,1] neg_hi:[0,0,1]
	v_pk_fma_f32 v[4:5], v[12:13], v[4:5], v[6:7] op_sel_hi:[1,0,1]
	s_nop 0
	v_mov_b32_e32 v9, v5
	s_waitcnt vmcnt(1) lgkmcnt(0)
	v_pk_mul_f32 v[4:5], v[14:15], v[50:51] op_sel:[1,1] op_sel_hi:[0,1]
	v_pk_fma_f32 v[6:7], v[14:15], v[50:51], v[4:5] neg_lo:[0,0,1] neg_hi:[0,0,1]
	v_pk_fma_f32 v[4:5], v[14:15], v[50:51], v[4:5] op_sel_hi:[1,0,1]
	v_pk_add_f32 v[2:3], v[2:3], v[8:9]
	v_mov_b32_e32 v7, v5
	v_pk_add_f32 v[2:3], v[2:3], v[6:7]
	s_waitcnt vmcnt(0)
	v_pk_add_f32 v[2:3], v[56:57], v[2:3] neg_lo:[0,1] neg_hi:[0,1]
	scratch_store_dwordx2 off, v[2:3], off offset:264
	s_and_saveexec_b64 s[0:1], vcc
	s_cbranch_execz .LBB122_303
; %bb.302:
	scratch_load_dwordx2 v[2:3], off, off offset:256
	v_mov_b32_e32 v59, v58
	scratch_store_dwordx2 off, v[58:59], off offset:256
	s_waitcnt vmcnt(1)
	ds_write_b64 v1, v[2:3]
.LBB122_303:
	s_or_b64 exec, exec, s[0:1]
	s_waitcnt lgkmcnt(0)
	; wave barrier
	scratch_load_dwordx4 v[2:5], off, off offset:264
	scratch_load_dwordx4 v[18:21], off, off offset:280
	;; [unrolled: 1-line block ×9, first 2 shown]
	ds_read2_b64 v[60:63], v58 offset0:93 offset1:94
	ds_read2_b64 v[64:67], v58 offset0:95 offset1:96
	;; [unrolled: 1-line block ×8, first 2 shown]
	scratch_load_dwordx4 v[50:53], off, off offset:408
	scratch_load_dwordx4 v[34:37], off, off offset:424
	;; [unrolled: 1-line block ×4, first 2 shown]
	ds_read2_b64 v[88:91], v58 offset0:109 offset1:110
	ds_read2_b64 v[92:95], v58 offset0:111 offset1:112
	scratch_load_dwordx2 v[96:97], off, off offset:256
	v_cmp_lt_u32_e32 vcc, 31, v0
	s_waitcnt vmcnt(13) lgkmcnt(9)
	v_mul_f32_e32 v59, v60, v3
	v_mul_f32_e32 v98, v62, v5
	;; [unrolled: 1-line block ×3, first 2 shown]
	s_waitcnt vmcnt(10) lgkmcnt(6)
	v_mul_f32_e32 v105, v72, v7
	v_mul_f32_e32 v7, v73, v7
	v_fmac_f32_e32 v59, v61, v2
	v_mul_f32_e32 v100, v64, v19
	v_mul_f32_e32 v5, v63, v5
	v_fmac_f32_e32 v98, v63, v4
	v_fmac_f32_e32 v105, v73, v6
	v_fma_f32 v2, v60, v2, -v3
	v_fma_f32 v6, v72, v6, -v7
	v_add_f32_e32 v7, 0, v59
	v_mul_f32_e32 v102, v66, v21
	v_fmac_f32_e32 v100, v65, v18
	v_fma_f32 v3, v62, v4, -v5
	v_add_f32_e32 v2, 0, v2
	v_add_f32_e32 v7, v7, v98
	v_mul_f32_e32 v103, v68, v39
	v_fmac_f32_e32 v102, v67, v20
	v_add_f32_e32 v2, v2, v3
	v_add_f32_e32 v3, v7, v100
	v_mul_f32_e32 v104, v70, v41
	v_fmac_f32_e32 v103, v69, v38
	v_add_f32_e32 v3, v3, v102
	v_fmac_f32_e32 v104, v71, v40
	v_add_f32_e32 v3, v3, v103
	v_mul_f32_e32 v106, v74, v9
	v_add_f32_e32 v3, v3, v104
	s_waitcnt vmcnt(9) lgkmcnt(5)
	v_mul_f32_e32 v107, v76, v15
	v_fmac_f32_e32 v106, v75, v8
	v_add_f32_e32 v3, v3, v105
	v_mul_f32_e32 v108, v78, v17
	v_fmac_f32_e32 v107, v77, v14
	v_add_f32_e32 v3, v3, v106
	s_waitcnt vmcnt(8) lgkmcnt(4)
	v_mul_f32_e32 v109, v80, v23
	v_fmac_f32_e32 v108, v79, v16
	v_add_f32_e32 v3, v3, v107
	v_mul_f32_e32 v110, v82, v25
	v_fmac_f32_e32 v109, v81, v22
	v_add_f32_e32 v3, v3, v108
	s_waitcnt vmcnt(7) lgkmcnt(3)
	v_mul_f32_e32 v111, v84, v31
	v_mul_f32_e32 v19, v65, v19
	v_fmac_f32_e32 v110, v83, v24
	v_add_f32_e32 v3, v3, v109
	v_mul_f32_e32 v112, v86, v33
	v_mul_f32_e32 v21, v67, v21
	v_fmac_f32_e32 v111, v85, v30
	v_fma_f32 v4, v64, v18, -v19
	v_add_f32_e32 v3, v3, v110
	s_waitcnt vmcnt(6) lgkmcnt(2)
	v_mul_f32_e32 v113, v54, v43
	v_mul_f32_e32 v39, v69, v39
	v_fmac_f32_e32 v112, v87, v32
	v_fma_f32 v5, v66, v20, -v21
	v_add_f32_e32 v2, v2, v4
	v_add_f32_e32 v3, v3, v111
	v_mul_f32_e32 v114, v56, v45
	v_mul_f32_e32 v41, v71, v41
	v_fmac_f32_e32 v113, v55, v42
	v_fma_f32 v18, v68, v38, -v39
	v_add_f32_e32 v2, v2, v5
	v_add_f32_e32 v3, v3, v112
	v_fmac_f32_e32 v114, v57, v44
	v_fma_f32 v19, v70, v40, -v41
	v_add_f32_e32 v2, v2, v18
	v_add_f32_e32 v3, v3, v113
	;; [unrolled: 1-line block ×4, first 2 shown]
	v_mul_f32_e32 v3, v75, v9
	v_add_f32_e32 v2, v2, v6
	v_fma_f32 v3, v74, v8, -v3
	v_add_f32_e32 v2, v2, v3
	v_mul_f32_e32 v3, v77, v15
	v_fma_f32 v3, v76, v14, -v3
	v_add_f32_e32 v2, v2, v3
	v_mul_f32_e32 v3, v79, v17
	;; [unrolled: 3-line block ×8, first 2 shown]
	v_fma_f32 v3, v56, v44, -v3
	s_waitcnt vmcnt(5) lgkmcnt(1)
	v_mul_f32_e32 v99, v88, v47
	v_add_f32_e32 v18, v2, v3
	v_mul_f32_e32 v2, v89, v47
	s_waitcnt vmcnt(4) lgkmcnt(0)
	v_pk_mul_f32 v[20:21], v[92:93], v[50:51] op_sel:[1,1] op_sel_hi:[0,1]
	v_mul_f32_e32 v101, v90, v49
	v_fmac_f32_e32 v99, v89, v46
	v_fma_f32 v98, v88, v46, -v2
	v_mul_f32_e32 v2, v91, v49
	v_pk_fma_f32 v[22:23], v[92:93], v[50:51], v[20:21] neg_lo:[0,0,1] neg_hi:[0,0,1]
	v_pk_fma_f32 v[20:21], v[92:93], v[50:51], v[20:21] op_sel_hi:[1,0,1]
	v_fmac_f32_e32 v101, v91, v48
	v_fma_f32 v100, v90, v48, -v2
	ds_read2_b64 v[2:5], v58 offset0:113 offset1:114
	ds_read2_b64 v[6:9], v58 offset0:115 offset1:116
	;; [unrolled: 1-line block ×3, first 2 shown]
	v_pk_add_f32 v[18:19], v[18:19], v[98:99]
	v_mov_b32_e32 v20, v53
	v_pk_add_f32 v[18:19], v[18:19], v[100:101]
	v_mov_b32_e32 v23, v21
	v_pk_mul_f32 v[20:21], v[94:95], v[20:21] op_sel:[1,0] op_sel_hi:[0,0]
	v_pk_add_f32 v[18:19], v[18:19], v[22:23]
	v_pk_fma_f32 v[22:23], v[94:95], v[52:53], v[20:21] neg_lo:[0,0,1] neg_hi:[0,0,1]
	v_pk_fma_f32 v[20:21], v[94:95], v[52:53], v[20:21] op_sel_hi:[1,0,1]
	s_nop 0
	v_mov_b32_e32 v23, v21
	s_waitcnt vmcnt(3) lgkmcnt(2)
	v_pk_mul_f32 v[20:21], v[2:3], v[34:35] op_sel:[1,1] op_sel_hi:[0,1]
	v_pk_add_f32 v[18:19], v[18:19], v[22:23]
	v_pk_fma_f32 v[22:23], v[2:3], v[34:35], v[20:21] neg_lo:[0,0,1] neg_hi:[0,0,1]
	v_pk_fma_f32 v[2:3], v[2:3], v[34:35], v[20:21] op_sel_hi:[1,0,1]
	s_nop 0
	v_mov_b32_e32 v23, v3
	v_pk_add_f32 v[2:3], v[18:19], v[22:23]
	v_mov_b32_e32 v18, v37
	v_pk_mul_f32 v[18:19], v[4:5], v[18:19] op_sel:[1,0] op_sel_hi:[0,0]
	v_pk_fma_f32 v[20:21], v[4:5], v[36:37], v[18:19] neg_lo:[0,0,1] neg_hi:[0,0,1]
	v_pk_fma_f32 v[4:5], v[4:5], v[36:37], v[18:19] op_sel_hi:[1,0,1]
	s_nop 0
	v_mov_b32_e32 v21, v5
	s_waitcnt vmcnt(2) lgkmcnt(1)
	v_pk_mul_f32 v[4:5], v[6:7], v[26:27] op_sel:[1,1] op_sel_hi:[0,1]
	v_pk_fma_f32 v[18:19], v[6:7], v[26:27], v[4:5] neg_lo:[0,0,1] neg_hi:[0,0,1]
	v_pk_fma_f32 v[4:5], v[6:7], v[26:27], v[4:5] op_sel_hi:[1,0,1]
	v_pk_add_f32 v[2:3], v[2:3], v[20:21]
	v_mov_b32_e32 v4, v29
	v_mov_b32_e32 v19, v5
	v_pk_mul_f32 v[4:5], v[8:9], v[4:5] op_sel:[1,0] op_sel_hi:[0,0]
	v_pk_fma_f32 v[6:7], v[8:9], v[28:29], v[4:5] neg_lo:[0,0,1] neg_hi:[0,0,1]
	v_pk_fma_f32 v[4:5], v[8:9], v[28:29], v[4:5] op_sel_hi:[1,0,1]
	v_pk_add_f32 v[2:3], v[2:3], v[18:19]
	v_mov_b32_e32 v7, v5
	s_waitcnt vmcnt(1) lgkmcnt(0)
	v_pk_mul_f32 v[4:5], v[14:15], v[10:11] op_sel:[1,1] op_sel_hi:[0,1]
	v_pk_add_f32 v[2:3], v[2:3], v[6:7]
	v_pk_fma_f32 v[6:7], v[14:15], v[10:11], v[4:5] neg_lo:[0,0,1] neg_hi:[0,0,1]
	v_pk_fma_f32 v[4:5], v[14:15], v[10:11], v[4:5] op_sel_hi:[1,0,1]
	s_nop 0
	v_mov_b32_e32 v4, v13
	v_mov_b32_e32 v7, v5
	v_pk_mul_f32 v[4:5], v[16:17], v[4:5] op_sel:[1,0] op_sel_hi:[0,0]
	v_pk_add_f32 v[2:3], v[2:3], v[6:7]
	v_pk_fma_f32 v[6:7], v[16:17], v[12:13], v[4:5] neg_lo:[0,0,1] neg_hi:[0,0,1]
	v_pk_fma_f32 v[4:5], v[16:17], v[12:13], v[4:5] op_sel_hi:[1,0,1]
	s_nop 0
	v_mov_b32_e32 v7, v5
	v_pk_add_f32 v[2:3], v[2:3], v[6:7]
	s_waitcnt vmcnt(0)
	v_pk_add_f32 v[2:3], v[96:97], v[2:3] neg_lo:[0,1] neg_hi:[0,1]
	scratch_store_dwordx2 off, v[2:3], off offset:256
	s_and_saveexec_b64 s[0:1], vcc
	s_cbranch_execz .LBB122_305
; %bb.304:
	scratch_load_dwordx2 v[2:3], off, off offset:248
	v_mov_b32_e32 v4, 0
	v_mov_b32_e32 v5, v4
	scratch_store_dwordx2 off, v[4:5], off offset:248
	s_waitcnt vmcnt(1)
	ds_write_b64 v1, v[2:3]
.LBB122_305:
	s_or_b64 exec, exec, s[0:1]
	s_waitcnt lgkmcnt(0)
	; wave barrier
	scratch_load_dwordx4 v[18:21], off, off offset:256
	scratch_load_dwordx4 v[30:33], off, off offset:272
	;; [unrolled: 1-line block ×13, first 2 shown]
	scratch_load_dwordx2 v[54:55], off, off offset:464
	scratch_load_dwordx2 v[80:81], off, off offset:248
	v_mov_b32_e32 v82, 0
	ds_read_b128 v[56:59], v82 offset:736
	ds_read_b128 v[60:63], v82 offset:752
	;; [unrolled: 1-line block ×10, first 2 shown]
	v_cmp_lt_u32_e32 vcc, 30, v0
	s_waitcnt vmcnt(14) lgkmcnt(9)
	v_mul_f32_e32 v83, v56, v19
	v_mul_f32_e32 v100, v58, v21
	s_waitcnt vmcnt(12) lgkmcnt(7)
	v_mul_f32_e32 v105, v64, v3
	v_mul_f32_e32 v3, v65, v3
	v_fmac_f32_e32 v83, v57, v18
	v_mul_f32_e32 v102, v60, v31
	v_fmac_f32_e32 v100, v59, v20
	v_fmac_f32_e32 v105, v65, v2
	v_fma_f32 v2, v64, v2, -v3
	v_add_f32_e32 v3, 0, v83
	v_mul_f32_e32 v104, v62, v33
	v_fmac_f32_e32 v102, v61, v30
	v_add_f32_e32 v3, v3, v100
	v_fmac_f32_e32 v104, v63, v32
	v_add_f32_e32 v3, v3, v102
	v_mul_f32_e32 v106, v66, v5
	v_add_f32_e32 v3, v3, v104
	s_waitcnt vmcnt(11) lgkmcnt(6)
	v_mul_f32_e32 v107, v68, v7
	v_fmac_f32_e32 v106, v67, v4
	v_add_f32_e32 v3, v3, v105
	v_mul_f32_e32 v108, v70, v9
	v_fmac_f32_e32 v107, v69, v6
	v_add_f32_e32 v3, v3, v106
	s_waitcnt vmcnt(10) lgkmcnt(5)
	v_mul_f32_e32 v109, v72, v15
	v_fmac_f32_e32 v108, v71, v8
	v_add_f32_e32 v3, v3, v107
	v_mul_f32_e32 v110, v74, v17
	v_fmac_f32_e32 v109, v73, v14
	;; [unrolled: 7-line block ×3, first 2 shown]
	v_add_f32_e32 v3, v3, v110
	s_waitcnt vmcnt(8) lgkmcnt(3)
	v_mul_f32_e32 v113, v84, v35
	v_mul_f32_e32 v19, v57, v19
	v_fmac_f32_e32 v112, v79, v24
	v_add_f32_e32 v3, v3, v111
	v_mul_f32_e32 v114, v86, v37
	v_mul_f32_e32 v21, v59, v21
	v_fmac_f32_e32 v113, v85, v34
	v_fma_f32 v18, v56, v18, -v19
	v_add_f32_e32 v3, v3, v112
	s_waitcnt vmcnt(7) lgkmcnt(2)
	v_mul_f32_e32 v115, v88, v39
	v_mul_f32_e32 v31, v61, v31
	v_fmac_f32_e32 v114, v87, v36
	v_fma_f32 v19, v58, v20, -v21
	v_add_f32_e32 v18, 0, v18
	v_add_f32_e32 v3, v3, v113
	v_mul_f32_e32 v116, v90, v41
	v_mul_f32_e32 v33, v63, v33
	v_fmac_f32_e32 v115, v89, v38
	v_fma_f32 v20, v60, v30, -v31
	v_add_f32_e32 v18, v18, v19
	v_add_f32_e32 v3, v3, v114
	s_waitcnt vmcnt(6) lgkmcnt(1)
	v_mul_f32_e32 v117, v92, v51
	v_fmac_f32_e32 v116, v91, v40
	v_fma_f32 v21, v62, v32, -v33
	v_add_f32_e32 v18, v18, v20
	v_add_f32_e32 v3, v3, v115
	v_mul_f32_e32 v5, v67, v5
	v_fmac_f32_e32 v117, v93, v50
	v_add_f32_e32 v18, v18, v21
	v_add_f32_e32 v3, v3, v116
	;; [unrolled: 1-line block ×4, first 2 shown]
	v_fma_f32 v3, v66, v4, -v5
	v_add_f32_e32 v2, v2, v3
	v_mul_f32_e32 v3, v69, v7
	v_fma_f32 v3, v68, v6, -v3
	v_add_f32_e32 v2, v2, v3
	v_mul_f32_e32 v3, v71, v9
	v_fma_f32 v3, v70, v8, -v3
	v_add_f32_e32 v2, v2, v3
	v_mul_f32_e32 v3, v73, v15
	v_fma_f32 v3, v72, v14, -v3
	v_add_f32_e32 v2, v2, v3
	v_mul_f32_e32 v3, v75, v17
	v_fma_f32 v3, v74, v16, -v3
	v_add_f32_e32 v2, v2, v3
	v_mul_f32_e32 v3, v77, v23
	v_fma_f32 v3, v76, v22, -v3
	v_add_f32_e32 v2, v2, v3
	v_mul_f32_e32 v3, v79, v25
	v_fma_f32 v3, v78, v24, -v3
	v_add_f32_e32 v2, v2, v3
	v_mul_f32_e32 v3, v85, v35
	v_fma_f32 v3, v84, v34, -v3
	v_add_f32_e32 v2, v2, v3
	v_mul_f32_e32 v3, v87, v37
	v_fma_f32 v3, v86, v36, -v3
	v_add_f32_e32 v2, v2, v3
	v_mul_f32_e32 v3, v89, v39
	v_fma_f32 v3, v88, v38, -v3
	v_add_f32_e32 v2, v2, v3
	v_mul_f32_e32 v3, v91, v41
	v_fma_f32 v3, v90, v40, -v3
	v_add_f32_e32 v2, v2, v3
	v_mul_f32_e32 v3, v93, v51
	v_fma_f32 v3, v92, v50, -v3
	v_add_f32_e32 v18, v2, v3
	v_mul_f32_e32 v2, v95, v53
	v_mul_f32_e32 v101, v94, v53
	v_fma_f32 v100, v94, v52, -v2
	s_waitcnt vmcnt(5) lgkmcnt(0)
	v_mul_f32_e32 v2, v97, v47
	v_mov_b32_e32 v22, v49
	v_mul_f32_e32 v103, v96, v47
	v_fmac_f32_e32 v101, v95, v52
	v_fma_f32 v102, v96, v46, -v2
	ds_read_b128 v[2:5], v82 offset:896
	ds_read_b128 v[6:9], v82 offset:912
	;; [unrolled: 1-line block ×3, first 2 shown]
	ds_read_b64 v[20:21], v82 offset:944
	v_pk_mul_f32 v[22:23], v[98:99], v[22:23] op_sel:[1,0] op_sel_hi:[0,0]
	v_fmac_f32_e32 v103, v97, v46
	v_pk_add_f32 v[18:19], v[18:19], v[100:101]
	v_pk_fma_f32 v[24:25], v[98:99], v[48:49], v[22:23] neg_lo:[0,0,1] neg_hi:[0,0,1]
	v_pk_fma_f32 v[22:23], v[98:99], v[48:49], v[22:23] op_sel_hi:[1,0,1]
	v_pk_add_f32 v[18:19], v[18:19], v[102:103]
	v_mov_b32_e32 v25, v23
	s_waitcnt vmcnt(4) lgkmcnt(3)
	v_pk_mul_f32 v[22:23], v[2:3], v[42:43] op_sel:[1,1] op_sel_hi:[0,1]
	v_pk_add_f32 v[18:19], v[18:19], v[24:25]
	v_pk_fma_f32 v[24:25], v[2:3], v[42:43], v[22:23] neg_lo:[0,0,1] neg_hi:[0,0,1]
	v_pk_fma_f32 v[2:3], v[2:3], v[42:43], v[22:23] op_sel_hi:[1,0,1]
	s_nop 0
	v_mov_b32_e32 v25, v3
	v_pk_add_f32 v[2:3], v[18:19], v[24:25]
	v_mov_b32_e32 v18, v45
	v_pk_mul_f32 v[18:19], v[4:5], v[18:19] op_sel:[1,0] op_sel_hi:[0,0]
	v_pk_fma_f32 v[22:23], v[4:5], v[44:45], v[18:19] neg_lo:[0,0,1] neg_hi:[0,0,1]
	v_pk_fma_f32 v[4:5], v[4:5], v[44:45], v[18:19] op_sel_hi:[1,0,1]
	s_nop 0
	v_mov_b32_e32 v23, v5
	s_waitcnt vmcnt(3) lgkmcnt(2)
	v_pk_mul_f32 v[4:5], v[6:7], v[26:27] op_sel:[1,1] op_sel_hi:[0,1]
	v_pk_fma_f32 v[18:19], v[6:7], v[26:27], v[4:5] neg_lo:[0,0,1] neg_hi:[0,0,1]
	v_pk_fma_f32 v[4:5], v[6:7], v[26:27], v[4:5] op_sel_hi:[1,0,1]
	v_pk_add_f32 v[2:3], v[2:3], v[22:23]
	v_mov_b32_e32 v4, v29
	v_mov_b32_e32 v19, v5
	v_pk_mul_f32 v[4:5], v[8:9], v[4:5] op_sel:[1,0] op_sel_hi:[0,0]
	v_pk_fma_f32 v[6:7], v[8:9], v[28:29], v[4:5] neg_lo:[0,0,1] neg_hi:[0,0,1]
	v_pk_fma_f32 v[4:5], v[8:9], v[28:29], v[4:5] op_sel_hi:[1,0,1]
	v_pk_add_f32 v[2:3], v[2:3], v[18:19]
	v_mov_b32_e32 v7, v5
	s_waitcnt vmcnt(2) lgkmcnt(1)
	v_pk_mul_f32 v[4:5], v[14:15], v[10:11] op_sel:[1,1] op_sel_hi:[0,1]
	v_pk_add_f32 v[2:3], v[2:3], v[6:7]
	v_pk_fma_f32 v[6:7], v[14:15], v[10:11], v[4:5] neg_lo:[0,0,1] neg_hi:[0,0,1]
	v_pk_fma_f32 v[4:5], v[14:15], v[10:11], v[4:5] op_sel_hi:[1,0,1]
	s_nop 0
	v_mov_b32_e32 v4, v13
	v_mov_b32_e32 v7, v5
	v_pk_mul_f32 v[4:5], v[16:17], v[4:5] op_sel:[1,0] op_sel_hi:[0,0]
	v_pk_add_f32 v[2:3], v[2:3], v[6:7]
	v_pk_fma_f32 v[6:7], v[16:17], v[12:13], v[4:5] neg_lo:[0,0,1] neg_hi:[0,0,1]
	v_pk_fma_f32 v[4:5], v[16:17], v[12:13], v[4:5] op_sel_hi:[1,0,1]
	s_nop 0
	v_mov_b32_e32 v7, v5
	s_waitcnt vmcnt(1) lgkmcnt(0)
	v_pk_mul_f32 v[4:5], v[20:21], v[54:55] op_sel:[1,1] op_sel_hi:[0,1]
	v_pk_add_f32 v[2:3], v[2:3], v[6:7]
	v_pk_fma_f32 v[6:7], v[20:21], v[54:55], v[4:5] neg_lo:[0,0,1] neg_hi:[0,0,1]
	v_pk_fma_f32 v[4:5], v[20:21], v[54:55], v[4:5] op_sel_hi:[1,0,1]
	s_nop 0
	v_mov_b32_e32 v7, v5
	v_pk_add_f32 v[2:3], v[2:3], v[6:7]
	s_waitcnt vmcnt(0)
	v_pk_add_f32 v[2:3], v[80:81], v[2:3] neg_lo:[0,1] neg_hi:[0,1]
	scratch_store_dwordx2 off, v[2:3], off offset:248
	s_and_saveexec_b64 s[0:1], vcc
	s_cbranch_execz .LBB122_307
; %bb.306:
	scratch_load_dwordx2 v[2:3], off, off offset:240
	v_mov_b32_e32 v83, v82
	scratch_store_dwordx2 off, v[82:83], off offset:240
	s_waitcnt vmcnt(1)
	ds_write_b64 v1, v[2:3]
.LBB122_307:
	s_or_b64 exec, exec, s[0:1]
	s_waitcnt lgkmcnt(0)
	; wave barrier
	scratch_load_dwordx4 v[10:13], off, off offset:248
	scratch_load_dwordx4 v[26:29], off, off offset:264
	;; [unrolled: 1-line block ×10, first 2 shown]
	ds_read2_b64 v[84:87], v82 offset0:91 offset1:92
	ds_read2_b64 v[88:91], v82 offset0:93 offset1:94
	;; [unrolled: 1-line block ×10, first 2 shown]
	scratch_load_dwordx4 v[54:57], off, off offset:408
	scratch_load_dwordx4 v[46:49], off, off offset:424
	;; [unrolled: 1-line block ×4, first 2 shown]
	scratch_load_dwordx2 v[100:101], off, off offset:240
	v_cmp_lt_u32_e32 vcc, 29, v0
	s_waitcnt vmcnt(14) lgkmcnt(9)
	v_mul_f32_e32 v83, v84, v11
	v_mul_f32_e32 v102, v86, v13
	s_waitcnt vmcnt(12) lgkmcnt(7)
	v_mul_f32_e32 v107, v92, v3
	v_mul_f32_e32 v3, v93, v3
	v_fmac_f32_e32 v83, v85, v10
	v_mul_f32_e32 v104, v88, v27
	v_fmac_f32_e32 v102, v87, v12
	v_fmac_f32_e32 v107, v93, v2
	v_fma_f32 v2, v92, v2, -v3
	v_add_f32_e32 v3, 0, v83
	v_mul_f32_e32 v106, v90, v29
	v_fmac_f32_e32 v104, v89, v26
	v_add_f32_e32 v3, v3, v102
	v_fmac_f32_e32 v106, v91, v28
	v_add_f32_e32 v3, v3, v104
	v_mul_f32_e32 v108, v94, v5
	v_add_f32_e32 v3, v3, v106
	s_waitcnt vmcnt(11) lgkmcnt(6)
	v_mul_f32_e32 v109, v96, v7
	v_fmac_f32_e32 v108, v95, v4
	v_add_f32_e32 v3, v3, v107
	v_mul_f32_e32 v110, v98, v9
	v_fmac_f32_e32 v109, v97, v6
	v_add_f32_e32 v3, v3, v108
	s_waitcnt vmcnt(10) lgkmcnt(5)
	v_mul_f32_e32 v111, v78, v15
	v_fmac_f32_e32 v110, v99, v8
	v_add_f32_e32 v3, v3, v109
	v_mul_f32_e32 v112, v80, v17
	v_fmac_f32_e32 v111, v79, v14
	;; [unrolled: 7-line block ×4, first 2 shown]
	v_add_f32_e32 v3, v3, v114
	s_waitcnt vmcnt(7) lgkmcnt(2)
	v_mul_f32_e32 v117, v66, v39
	v_mul_f32_e32 v11, v85, v11
	v_fmac_f32_e32 v116, v73, v32
	v_add_f32_e32 v3, v3, v115
	v_mul_f32_e32 v118, v68, v41
	v_mul_f32_e32 v13, v87, v13
	v_fmac_f32_e32 v117, v67, v38
	v_fma_f32 v10, v84, v10, -v11
	v_add_f32_e32 v3, v3, v116
	s_waitcnt vmcnt(6) lgkmcnt(1)
	v_mul_f32_e32 v119, v62, v43
	v_mul_f32_e32 v27, v89, v27
	v_fmac_f32_e32 v118, v69, v40
	v_fma_f32 v11, v86, v12, -v13
	v_add_f32_e32 v10, 0, v10
	v_add_f32_e32 v3, v3, v117
	v_mul_f32_e32 v120, v64, v45
	v_mul_f32_e32 v29, v91, v29
	v_fmac_f32_e32 v119, v63, v42
	v_fma_f32 v12, v88, v26, -v27
	v_add_f32_e32 v10, v10, v11
	v_add_f32_e32 v3, v3, v118
	v_fmac_f32_e32 v120, v65, v44
	v_fma_f32 v13, v90, v28, -v29
	v_add_f32_e32 v10, v10, v12
	v_add_f32_e32 v3, v3, v119
	;; [unrolled: 1-line block ×4, first 2 shown]
	v_mul_f32_e32 v3, v95, v5
	v_add_f32_e32 v2, v10, v2
	v_fma_f32 v3, v94, v4, -v3
	v_add_f32_e32 v2, v2, v3
	v_mul_f32_e32 v3, v97, v7
	v_fma_f32 v3, v96, v6, -v3
	v_add_f32_e32 v2, v2, v3
	v_mul_f32_e32 v3, v99, v9
	;; [unrolled: 3-line block ×12, first 2 shown]
	v_fma_f32 v3, v64, v44, -v3
	v_add_f32_e32 v26, v2, v3
	s_waitcnt vmcnt(5) lgkmcnt(0)
	v_mul_f32_e32 v2, v59, v51
	v_fma_f32 v102, v58, v50, -v2
	v_mul_f32_e32 v2, v61, v53
	v_fma_f32 v104, v60, v52, -v2
	ds_read2_b64 v[2:5], v82 offset0:111 offset1:112
	ds_read2_b64 v[6:9], v82 offset0:113 offset1:114
	;; [unrolled: 1-line block ×4, first 2 shown]
	v_mul_f32_e32 v103, v58, v51
	v_mul_f32_e32 v105, v60, v53
	v_fmac_f32_e32 v103, v59, v50
	s_waitcnt vmcnt(4) lgkmcnt(3)
	v_pk_mul_f32 v[24:25], v[2:3], v[54:55] op_sel:[1,1] op_sel_hi:[0,1]
	v_fmac_f32_e32 v105, v61, v52
	v_pk_add_f32 v[22:23], v[26:27], v[102:103]
	v_pk_fma_f32 v[26:27], v[2:3], v[54:55], v[24:25] neg_lo:[0,0,1] neg_hi:[0,0,1]
	v_pk_fma_f32 v[2:3], v[2:3], v[54:55], v[24:25] op_sel_hi:[1,0,1]
	v_pk_add_f32 v[22:23], v[22:23], v[104:105]
	v_mov_b32_e32 v27, v3
	v_pk_add_f32 v[2:3], v[22:23], v[26:27]
	v_mov_b32_e32 v22, v57
	v_pk_mul_f32 v[22:23], v[4:5], v[22:23] op_sel:[1,0] op_sel_hi:[0,0]
	v_pk_fma_f32 v[24:25], v[4:5], v[56:57], v[22:23] neg_lo:[0,0,1] neg_hi:[0,0,1]
	v_pk_fma_f32 v[4:5], v[4:5], v[56:57], v[22:23] op_sel_hi:[1,0,1]
	s_nop 0
	v_mov_b32_e32 v25, v5
	s_waitcnt vmcnt(3) lgkmcnt(2)
	v_pk_mul_f32 v[4:5], v[6:7], v[46:47] op_sel:[1,1] op_sel_hi:[0,1]
	v_pk_fma_f32 v[22:23], v[6:7], v[46:47], v[4:5] neg_lo:[0,0,1] neg_hi:[0,0,1]
	v_pk_fma_f32 v[4:5], v[6:7], v[46:47], v[4:5] op_sel_hi:[1,0,1]
	v_pk_add_f32 v[2:3], v[2:3], v[24:25]
	v_mov_b32_e32 v4, v49
	v_mov_b32_e32 v23, v5
	v_pk_mul_f32 v[4:5], v[8:9], v[4:5] op_sel:[1,0] op_sel_hi:[0,0]
	v_pk_fma_f32 v[6:7], v[8:9], v[48:49], v[4:5] neg_lo:[0,0,1] neg_hi:[0,0,1]
	v_pk_fma_f32 v[4:5], v[8:9], v[48:49], v[4:5] op_sel_hi:[1,0,1]
	v_pk_add_f32 v[2:3], v[2:3], v[22:23]
	v_mov_b32_e32 v7, v5
	s_waitcnt vmcnt(2) lgkmcnt(1)
	v_pk_mul_f32 v[4:5], v[10:11], v[34:35] op_sel:[1,1] op_sel_hi:[0,1]
	v_pk_add_f32 v[2:3], v[2:3], v[6:7]
	v_pk_fma_f32 v[6:7], v[10:11], v[34:35], v[4:5] neg_lo:[0,0,1] neg_hi:[0,0,1]
	v_pk_fma_f32 v[4:5], v[10:11], v[34:35], v[4:5] op_sel_hi:[1,0,1]
	s_nop 0
	v_mov_b32_e32 v4, v37
	v_mov_b32_e32 v7, v5
	v_pk_mul_f32 v[4:5], v[12:13], v[4:5] op_sel:[1,0] op_sel_hi:[0,0]
	v_pk_add_f32 v[2:3], v[2:3], v[6:7]
	v_pk_fma_f32 v[6:7], v[12:13], v[36:37], v[4:5] neg_lo:[0,0,1] neg_hi:[0,0,1]
	v_pk_fma_f32 v[4:5], v[12:13], v[36:37], v[4:5] op_sel_hi:[1,0,1]
	s_nop 0
	v_mov_b32_e32 v7, v5
	s_waitcnt vmcnt(1) lgkmcnt(0)
	v_pk_mul_f32 v[4:5], v[14:15], v[18:19] op_sel:[1,1] op_sel_hi:[0,1]
	v_pk_add_f32 v[2:3], v[2:3], v[6:7]
	v_pk_fma_f32 v[6:7], v[14:15], v[18:19], v[4:5] neg_lo:[0,0,1] neg_hi:[0,0,1]
	v_pk_fma_f32 v[4:5], v[14:15], v[18:19], v[4:5] op_sel_hi:[1,0,1]
	s_nop 0
	v_mov_b32_e32 v4, v21
	v_mov_b32_e32 v7, v5
	v_pk_mul_f32 v[4:5], v[16:17], v[4:5] op_sel:[1,0] op_sel_hi:[0,0]
	v_pk_add_f32 v[2:3], v[2:3], v[6:7]
	v_pk_fma_f32 v[6:7], v[16:17], v[20:21], v[4:5] neg_lo:[0,0,1] neg_hi:[0,0,1]
	v_pk_fma_f32 v[4:5], v[16:17], v[20:21], v[4:5] op_sel_hi:[1,0,1]
	s_nop 0
	v_mov_b32_e32 v7, v5
	v_pk_add_f32 v[2:3], v[2:3], v[6:7]
	s_waitcnt vmcnt(0)
	v_pk_add_f32 v[2:3], v[100:101], v[2:3] neg_lo:[0,1] neg_hi:[0,1]
	scratch_store_dwordx2 off, v[2:3], off offset:240
	s_and_saveexec_b64 s[0:1], vcc
	s_cbranch_execz .LBB122_309
; %bb.308:
	scratch_load_dwordx2 v[2:3], off, off offset:232
	v_mov_b32_e32 v4, 0
	v_mov_b32_e32 v5, v4
	scratch_store_dwordx2 off, v[4:5], off offset:232
	s_waitcnt vmcnt(1)
	ds_write_b64 v1, v[2:3]
.LBB122_309:
	s_or_b64 exec, exec, s[0:1]
	s_waitcnt lgkmcnt(0)
	; wave barrier
	scratch_load_dwordx4 v[26:29], off, off offset:240
	scratch_load_dwordx4 v[2:5], off, off offset:256
	;; [unrolled: 1-line block ×14, first 2 shown]
	scratch_load_dwordx2 v[58:59], off, off offset:464
	scratch_load_dwordx2 v[100:101], off, off offset:232
	v_mov_b32_e32 v102, 0
	ds_read_b128 v[60:63], v102 offset:720
	ds_read_b128 v[64:67], v102 offset:736
	ds_read_b128 v[68:71], v102 offset:752
	ds_read_b128 v[72:75], v102 offset:768
	ds_read_b128 v[76:79], v102 offset:784
	ds_read_b128 v[80:83], v102 offset:800
	ds_read_b128 v[84:87], v102 offset:816
	ds_read_b128 v[88:91], v102 offset:832
	ds_read_b128 v[92:95], v102 offset:848
	ds_read_b128 v[96:99], v102 offset:864
	ds_read_b128 v[104:107], v102 offset:880
	ds_read_b128 v[108:111], v102 offset:896
	v_cmp_lt_u32_e32 vcc, 28, v0
	s_waitcnt vmcnt(15) lgkmcnt(11)
	v_mul_f32_e32 v103, v60, v27
	v_mul_f32_e32 v112, v62, v29
	s_waitcnt vmcnt(14) lgkmcnt(10)
	v_mul_f32_e32 v114, v64, v3
	v_mul_f32_e32 v3, v65, v3
	v_fmac_f32_e32 v103, v61, v26
	v_fmac_f32_e32 v112, v63, v28
	;; [unrolled: 1-line block ×3, first 2 shown]
	v_fma_f32 v2, v64, v2, -v3
	v_add_f32_e32 v3, 0, v103
	v_mul_f32_e32 v116, v66, v5
	v_add_f32_e32 v3, v3, v112
	s_waitcnt vmcnt(13) lgkmcnt(9)
	v_mul_f32_e32 v117, v68, v7
	v_fmac_f32_e32 v116, v67, v4
	v_add_f32_e32 v3, v3, v114
	v_mul_f32_e32 v118, v70, v9
	v_fmac_f32_e32 v117, v69, v6
	v_add_f32_e32 v3, v3, v116
	s_waitcnt vmcnt(12) lgkmcnt(8)
	v_mul_f32_e32 v119, v72, v11
	v_fmac_f32_e32 v118, v71, v8
	v_add_f32_e32 v3, v3, v117
	v_mul_f32_e32 v120, v74, v13
	v_fmac_f32_e32 v119, v73, v10
	;; [unrolled: 7-line block ×6, first 2 shown]
	v_add_f32_e32 v3, v3, v126
	s_waitcnt vmcnt(7) lgkmcnt(3)
	v_mul_f32_e32 v129, v92, v43
	v_fmac_f32_e32 v128, v91, v40
	v_add_f32_e32 v3, v3, v127
	v_mul_f32_e32 v130, v94, v45
	v_mul_f32_e32 v27, v61, v27
	v_fmac_f32_e32 v129, v93, v42
	v_add_f32_e32 v3, v3, v128
	s_waitcnt vmcnt(6) lgkmcnt(2)
	v_mul_f32_e32 v131, v96, v51
	v_mul_f32_e32 v29, v63, v29
	v_fmac_f32_e32 v130, v95, v44
	v_fma_f32 v26, v60, v26, -v27
	v_add_f32_e32 v3, v3, v129
	v_fmac_f32_e32 v131, v97, v50
	v_fma_f32 v27, v62, v28, -v29
	v_add_f32_e32 v26, 0, v26
	v_add_f32_e32 v3, v3, v130
	;; [unrolled: 1-line block ×4, first 2 shown]
	v_mul_f32_e32 v3, v67, v5
	v_add_f32_e32 v2, v26, v2
	v_fma_f32 v3, v66, v4, -v3
	v_add_f32_e32 v2, v2, v3
	v_mul_f32_e32 v3, v69, v7
	v_fma_f32 v3, v68, v6, -v3
	v_add_f32_e32 v2, v2, v3
	v_mul_f32_e32 v3, v71, v9
	;; [unrolled: 3-line block ×15, first 2 shown]
	v_fma_f32 v3, v96, v50, -v3
	v_mul_f32_e32 v113, v98, v53
	v_add_f32_e32 v26, v2, v3
	v_mul_f32_e32 v2, v99, v53
	s_waitcnt vmcnt(5)
	v_mov_b32_e32 v14, v57
	s_waitcnt lgkmcnt(1)
	v_mul_f32_e32 v115, v104, v55
	v_fmac_f32_e32 v113, v99, v52
	v_fma_f32 v112, v98, v52, -v2
	v_mul_f32_e32 v2, v105, v55
	v_pk_mul_f32 v[14:15], v[106:107], v[14:15] op_sel:[1,0] op_sel_hi:[0,0]
	v_fmac_f32_e32 v115, v105, v54
	v_fma_f32 v114, v104, v54, -v2
	v_pk_add_f32 v[12:13], v[26:27], v[112:113]
	v_pk_fma_f32 v[16:17], v[106:107], v[56:57], v[14:15] neg_lo:[0,0,1] neg_hi:[0,0,1]
	v_pk_fma_f32 v[14:15], v[106:107], v[56:57], v[14:15] op_sel_hi:[1,0,1]
	v_pk_add_f32 v[12:13], v[12:13], v[114:115]
	v_mov_b32_e32 v17, v15
	s_waitcnt vmcnt(4) lgkmcnt(0)
	v_pk_mul_f32 v[14:15], v[108:109], v[46:47] op_sel:[1,1] op_sel_hi:[0,1]
	v_pk_add_f32 v[12:13], v[12:13], v[16:17]
	v_pk_fma_f32 v[16:17], v[108:109], v[46:47], v[14:15] neg_lo:[0,0,1] neg_hi:[0,0,1]
	v_pk_fma_f32 v[14:15], v[108:109], v[46:47], v[14:15] op_sel_hi:[1,0,1]
	ds_read_b128 v[2:5], v102 offset:912
	ds_read_b128 v[6:9], v102 offset:928
	ds_read_b64 v[10:11], v102 offset:944
	v_mov_b32_e32 v14, v49
	v_mov_b32_e32 v17, v15
	v_pk_mul_f32 v[14:15], v[110:111], v[14:15] op_sel:[1,0] op_sel_hi:[0,0]
	v_pk_add_f32 v[12:13], v[12:13], v[16:17]
	v_pk_fma_f32 v[16:17], v[110:111], v[48:49], v[14:15] neg_lo:[0,0,1] neg_hi:[0,0,1]
	v_pk_fma_f32 v[14:15], v[110:111], v[48:49], v[14:15] op_sel_hi:[1,0,1]
	s_nop 0
	v_mov_b32_e32 v17, v15
	s_waitcnt vmcnt(3) lgkmcnt(2)
	v_pk_mul_f32 v[14:15], v[2:3], v[34:35] op_sel:[1,1] op_sel_hi:[0,1]
	v_pk_add_f32 v[12:13], v[12:13], v[16:17]
	v_pk_fma_f32 v[16:17], v[2:3], v[34:35], v[14:15] neg_lo:[0,0,1] neg_hi:[0,0,1]
	v_pk_fma_f32 v[2:3], v[2:3], v[34:35], v[14:15] op_sel_hi:[1,0,1]
	s_nop 0
	v_mov_b32_e32 v17, v3
	v_pk_add_f32 v[2:3], v[12:13], v[16:17]
	v_mov_b32_e32 v12, v37
	v_pk_mul_f32 v[12:13], v[4:5], v[12:13] op_sel:[1,0] op_sel_hi:[0,0]
	v_pk_fma_f32 v[14:15], v[4:5], v[36:37], v[12:13] neg_lo:[0,0,1] neg_hi:[0,0,1]
	v_pk_fma_f32 v[4:5], v[4:5], v[36:37], v[12:13] op_sel_hi:[1,0,1]
	s_nop 0
	v_mov_b32_e32 v15, v5
	s_waitcnt vmcnt(2) lgkmcnt(1)
	v_pk_mul_f32 v[4:5], v[6:7], v[18:19] op_sel:[1,1] op_sel_hi:[0,1]
	v_pk_fma_f32 v[12:13], v[6:7], v[18:19], v[4:5] neg_lo:[0,0,1] neg_hi:[0,0,1]
	v_pk_fma_f32 v[4:5], v[6:7], v[18:19], v[4:5] op_sel_hi:[1,0,1]
	v_pk_add_f32 v[2:3], v[2:3], v[14:15]
	v_mov_b32_e32 v4, v21
	v_mov_b32_e32 v13, v5
	v_pk_mul_f32 v[4:5], v[8:9], v[4:5] op_sel:[1,0] op_sel_hi:[0,0]
	v_pk_fma_f32 v[6:7], v[8:9], v[20:21], v[4:5] neg_lo:[0,0,1] neg_hi:[0,0,1]
	v_pk_fma_f32 v[4:5], v[8:9], v[20:21], v[4:5] op_sel_hi:[1,0,1]
	v_pk_add_f32 v[2:3], v[2:3], v[12:13]
	v_mov_b32_e32 v7, v5
	s_waitcnt vmcnt(1) lgkmcnt(0)
	v_pk_mul_f32 v[4:5], v[10:11], v[58:59] op_sel:[1,1] op_sel_hi:[0,1]
	v_pk_add_f32 v[2:3], v[2:3], v[6:7]
	v_pk_fma_f32 v[6:7], v[10:11], v[58:59], v[4:5] neg_lo:[0,0,1] neg_hi:[0,0,1]
	v_pk_fma_f32 v[4:5], v[10:11], v[58:59], v[4:5] op_sel_hi:[1,0,1]
	s_nop 0
	v_mov_b32_e32 v7, v5
	v_pk_add_f32 v[2:3], v[2:3], v[6:7]
	s_waitcnt vmcnt(0)
	v_pk_add_f32 v[2:3], v[100:101], v[2:3] neg_lo:[0,1] neg_hi:[0,1]
	scratch_store_dwordx2 off, v[2:3], off offset:232
	s_and_saveexec_b64 s[0:1], vcc
	s_cbranch_execz .LBB122_311
; %bb.310:
	scratch_load_dwordx2 v[2:3], off, off offset:224
	v_mov_b32_e32 v103, v102
	scratch_store_dwordx2 off, v[102:103], off offset:224
	s_waitcnt vmcnt(1)
	ds_write_b64 v1, v[2:3]
.LBB122_311:
	s_or_b64 exec, exec, s[0:1]
	s_waitcnt lgkmcnt(0)
	; wave barrier
	scratch_load_dwordx4 v[18:21], off, off offset:232
	scratch_load_dwordx4 v[2:5], off, off offset:248
	;; [unrolled: 1-line block ×11, first 2 shown]
	ds_read2_b64 v[104:107], v102 offset0:89 offset1:90
	ds_read2_b64 v[98:101], v102 offset0:91 offset1:92
	ds_read2_b64 v[94:97], v102 offset0:93 offset1:94
	ds_read2_b64 v[90:93], v102 offset0:95 offset1:96
	ds_read2_b64 v[86:89], v102 offset0:97 offset1:98
	ds_read2_b64 v[82:85], v102 offset0:99 offset1:100
	ds_read2_b64 v[74:77], v102 offset0:101 offset1:102
	ds_read2_b64 v[70:73], v102 offset0:103 offset1:104
	ds_read2_b64 v[66:69], v102 offset0:105 offset1:106
	ds_read2_b64 v[62:65], v102 offset0:107 offset1:108
	scratch_load_dwordx4 v[58:61], off, off offset:408
	scratch_load_dwordx4 v[50:53], off, off offset:424
	;; [unrolled: 1-line block ×4, first 2 shown]
	ds_read2_b64 v[78:81], v102 offset0:109 offset1:110
	ds_read2_b64 v[108:111], v102 offset0:111 offset1:112
	scratch_load_dwordx2 v[112:113], off, off offset:224
	v_cmp_lt_u32_e32 vcc, 27, v0
	s_waitcnt vmcnt(15) lgkmcnt(11)
	v_mul_f32_e32 v103, v104, v19
	v_mul_f32_e32 v114, v106, v21
	s_waitcnt vmcnt(14) lgkmcnt(10)
	v_mul_f32_e32 v116, v98, v3
	v_mul_f32_e32 v3, v99, v3
	v_fmac_f32_e32 v103, v105, v18
	v_fmac_f32_e32 v114, v107, v20
	;; [unrolled: 1-line block ×3, first 2 shown]
	v_fma_f32 v2, v98, v2, -v3
	v_add_f32_e32 v3, 0, v103
	v_mul_f32_e32 v118, v100, v5
	v_add_f32_e32 v3, v3, v114
	s_waitcnt vmcnt(13) lgkmcnt(9)
	v_mul_f32_e32 v119, v94, v7
	v_fmac_f32_e32 v118, v101, v4
	v_add_f32_e32 v3, v3, v116
	v_mul_f32_e32 v120, v96, v9
	v_fmac_f32_e32 v119, v95, v6
	v_add_f32_e32 v3, v3, v118
	s_waitcnt vmcnt(12) lgkmcnt(8)
	v_mul_f32_e32 v121, v90, v11
	v_fmac_f32_e32 v120, v97, v8
	v_add_f32_e32 v3, v3, v119
	v_mul_f32_e32 v122, v92, v13
	v_fmac_f32_e32 v121, v91, v10
	;; [unrolled: 7-line block ×7, first 2 shown]
	v_add_f32_e32 v3, v3, v130
	s_waitcnt vmcnt(6) lgkmcnt(2)
	v_mul_f32_e32 v133, v62, v47
	v_mul_f32_e32 v19, v105, v19
	v_fmac_f32_e32 v132, v69, v44
	v_add_f32_e32 v3, v3, v131
	v_mul_f32_e32 v134, v64, v49
	v_mul_f32_e32 v21, v107, v21
	v_fmac_f32_e32 v133, v63, v46
	v_fma_f32 v18, v104, v18, -v19
	v_add_f32_e32 v3, v3, v132
	v_fmac_f32_e32 v134, v65, v48
	v_fma_f32 v19, v106, v20, -v21
	v_add_f32_e32 v18, 0, v18
	v_add_f32_e32 v3, v3, v133
	;; [unrolled: 1-line block ×4, first 2 shown]
	v_mul_f32_e32 v3, v101, v5
	v_add_f32_e32 v2, v18, v2
	v_fma_f32 v3, v100, v4, -v3
	v_add_f32_e32 v2, v2, v3
	v_mul_f32_e32 v3, v95, v7
	v_fma_f32 v3, v94, v6, -v3
	v_add_f32_e32 v2, v2, v3
	v_mul_f32_e32 v3, v97, v9
	;; [unrolled: 3-line block ×16, first 2 shown]
	v_fma_f32 v3, v64, v48, -v3
	s_waitcnt vmcnt(5) lgkmcnt(1)
	v_mul_f32_e32 v115, v78, v55
	v_add_f32_e32 v18, v2, v3
	v_mul_f32_e32 v2, v79, v55
	v_fmac_f32_e32 v115, v79, v54
	v_fma_f32 v114, v78, v54, -v2
	s_waitcnt vmcnt(4) lgkmcnt(0)
	v_pk_mul_f32 v[16:17], v[108:109], v[58:59] op_sel:[1,1] op_sel_hi:[0,1]
	v_mul_f32_e32 v117, v80, v57
	v_mul_f32_e32 v2, v81, v57
	v_pk_add_f32 v[14:15], v[18:19], v[114:115]
	v_pk_fma_f32 v[18:19], v[108:109], v[58:59], v[16:17] neg_lo:[0,0,1] neg_hi:[0,0,1]
	v_pk_fma_f32 v[16:17], v[108:109], v[58:59], v[16:17] op_sel_hi:[1,0,1]
	v_fmac_f32_e32 v117, v81, v56
	v_fma_f32 v116, v80, v56, -v2
	ds_read2_b64 v[2:5], v102 offset0:113 offset1:114
	ds_read2_b64 v[6:9], v102 offset0:115 offset1:116
	;; [unrolled: 1-line block ×3, first 2 shown]
	v_mov_b32_e32 v16, v61
	v_pk_add_f32 v[14:15], v[14:15], v[116:117]
	v_mov_b32_e32 v19, v17
	v_pk_mul_f32 v[16:17], v[110:111], v[16:17] op_sel:[1,0] op_sel_hi:[0,0]
	v_pk_add_f32 v[14:15], v[14:15], v[18:19]
	v_pk_fma_f32 v[18:19], v[110:111], v[60:61], v[16:17] neg_lo:[0,0,1] neg_hi:[0,0,1]
	v_pk_fma_f32 v[16:17], v[110:111], v[60:61], v[16:17] op_sel_hi:[1,0,1]
	s_nop 0
	v_mov_b32_e32 v19, v17
	s_waitcnt vmcnt(3) lgkmcnt(2)
	v_pk_mul_f32 v[16:17], v[2:3], v[50:51] op_sel:[1,1] op_sel_hi:[0,1]
	v_pk_add_f32 v[14:15], v[14:15], v[18:19]
	v_pk_fma_f32 v[18:19], v[2:3], v[50:51], v[16:17] neg_lo:[0,0,1] neg_hi:[0,0,1]
	v_pk_fma_f32 v[2:3], v[2:3], v[50:51], v[16:17] op_sel_hi:[1,0,1]
	s_nop 0
	v_mov_b32_e32 v19, v3
	v_pk_add_f32 v[2:3], v[14:15], v[18:19]
	v_mov_b32_e32 v14, v53
	v_pk_mul_f32 v[14:15], v[4:5], v[14:15] op_sel:[1,0] op_sel_hi:[0,0]
	v_pk_fma_f32 v[16:17], v[4:5], v[52:53], v[14:15] neg_lo:[0,0,1] neg_hi:[0,0,1]
	v_pk_fma_f32 v[4:5], v[4:5], v[52:53], v[14:15] op_sel_hi:[1,0,1]
	s_nop 0
	v_mov_b32_e32 v17, v5
	s_waitcnt vmcnt(2) lgkmcnt(1)
	v_pk_mul_f32 v[4:5], v[6:7], v[38:39] op_sel:[1,1] op_sel_hi:[0,1]
	v_pk_fma_f32 v[14:15], v[6:7], v[38:39], v[4:5] neg_lo:[0,0,1] neg_hi:[0,0,1]
	v_pk_fma_f32 v[4:5], v[6:7], v[38:39], v[4:5] op_sel_hi:[1,0,1]
	v_pk_add_f32 v[2:3], v[2:3], v[16:17]
	v_mov_b32_e32 v4, v41
	v_mov_b32_e32 v15, v5
	v_pk_mul_f32 v[4:5], v[8:9], v[4:5] op_sel:[1,0] op_sel_hi:[0,0]
	v_pk_fma_f32 v[6:7], v[8:9], v[40:41], v[4:5] neg_lo:[0,0,1] neg_hi:[0,0,1]
	v_pk_fma_f32 v[4:5], v[8:9], v[40:41], v[4:5] op_sel_hi:[1,0,1]
	v_pk_add_f32 v[2:3], v[2:3], v[14:15]
	v_mov_b32_e32 v7, v5
	s_waitcnt vmcnt(1) lgkmcnt(0)
	v_pk_mul_f32 v[4:5], v[10:11], v[26:27] op_sel:[1,1] op_sel_hi:[0,1]
	v_pk_add_f32 v[2:3], v[2:3], v[6:7]
	v_pk_fma_f32 v[6:7], v[10:11], v[26:27], v[4:5] neg_lo:[0,0,1] neg_hi:[0,0,1]
	v_pk_fma_f32 v[4:5], v[10:11], v[26:27], v[4:5] op_sel_hi:[1,0,1]
	s_nop 0
	v_mov_b32_e32 v4, v29
	v_mov_b32_e32 v7, v5
	v_pk_mul_f32 v[4:5], v[12:13], v[4:5] op_sel:[1,0] op_sel_hi:[0,0]
	v_pk_add_f32 v[2:3], v[2:3], v[6:7]
	v_pk_fma_f32 v[6:7], v[12:13], v[28:29], v[4:5] neg_lo:[0,0,1] neg_hi:[0,0,1]
	v_pk_fma_f32 v[4:5], v[12:13], v[28:29], v[4:5] op_sel_hi:[1,0,1]
	s_nop 0
	v_mov_b32_e32 v7, v5
	v_pk_add_f32 v[2:3], v[2:3], v[6:7]
	s_waitcnt vmcnt(0)
	v_pk_add_f32 v[2:3], v[112:113], v[2:3] neg_lo:[0,1] neg_hi:[0,1]
	scratch_store_dwordx2 off, v[2:3], off offset:224
	s_and_saveexec_b64 s[0:1], vcc
	s_cbranch_execz .LBB122_313
; %bb.312:
	scratch_load_dwordx2 v[2:3], off, off offset:216
	v_mov_b32_e32 v4, 0
	v_mov_b32_e32 v5, v4
	scratch_store_dwordx2 off, v[4:5], off offset:216
	s_waitcnt vmcnt(1)
	ds_write_b64 v1, v[2:3]
.LBB122_313:
	s_or_b64 exec, exec, s[0:1]
	s_waitcnt lgkmcnt(0)
	; wave barrier
	scratch_load_dwordx4 v[70:73], off, off offset:224
	scratch_load_dwordx4 v[62:65], off, off offset:240
	;; [unrolled: 1-line block ×15, first 2 shown]
	scratch_load_dwordx2 v[80:81], off, off offset:464
	v_mov_b32_e32 v78, 0
	ds_read_b128 v[94:97], v78 offset:704
	ds_read_b128 v[98:101], v78 offset:720
	ds_read_b128 v[102:105], v78 offset:736
	ds_read_b128 v[106:109], v78 offset:752
	ds_read_b128 v[110:113], v78 offset:768
	ds_read_b128 v[114:117], v78 offset:784
	ds_read_b128 v[58:61], v78 offset:800
	ds_read_b128 v[54:57], v78 offset:816
	ds_read_b128 v[50:53], v78 offset:832
	ds_read_b128 v[46:49], v78 offset:848
	ds_read_b128 v[42:45], v78 offset:864
	ds_read_b128 v[38:41], v78 offset:880
	v_cmp_lt_u32_e32 vcc, 26, v0
	s_waitcnt vmcnt(15) lgkmcnt(11)
	v_mul_f32_e32 v79, v94, v71
	v_mul_f32_e32 v71, v95, v71
	;; [unrolled: 1-line block ×4, first 2 shown]
	v_fmac_f32_e32 v79, v95, v70
	v_fma_f32 v70, v94, v70, -v71
	s_waitcnt vmcnt(9) lgkmcnt(5)
	v_mul_f32_e32 v127, v58, v3
	v_mul_f32_e32 v3, v59, v3
	v_fmac_f32_e32 v127, v59, v2
	v_fma_f32 v58, v58, v2, -v3
	scratch_load_dwordx2 v[2:3], off, off offset:216
	v_mul_f32_e32 v84, v98, v63
	v_fmac_f32_e32 v82, v97, v72
	v_fma_f32 v72, v96, v72, -v73
	v_add_f32_e32 v70, 0, v70
	v_mul_f32_e32 v63, v99, v63
	v_fmac_f32_e32 v84, v99, v62
	v_add_f32_e32 v70, v70, v72
	v_fma_f32 v62, v98, v62, -v63
	v_mul_f32_e32 v63, v101, v65
	v_add_f32_e32 v62, v70, v62
	v_fma_f32 v63, v100, v64, -v63
	v_add_f32_e32 v62, v62, v63
	v_mul_f32_e32 v63, v103, v67
	v_fma_f32 v63, v102, v66, -v63
	v_add_f32_e32 v62, v62, v63
	v_mul_f32_e32 v63, v105, v69
	;; [unrolled: 3-line block ×7, first 2 shown]
	v_add_f32_e32 v71, 0, v79
	v_fma_f32 v63, v114, v90, -v63
	v_mul_f32_e32 v118, v100, v65
	v_add_f32_e32 v71, v71, v82
	v_add_f32_e32 v62, v62, v63
	v_mul_f32_e32 v63, v117, v93
	v_mul_f32_e32 v119, v102, v67
	v_fmac_f32_e32 v118, v101, v64
	v_add_f32_e32 v71, v71, v84
	v_fma_f32 v63, v116, v92, -v63
	v_mul_f32_e32 v120, v104, v69
	v_mul_f32_e32 v128, v60, v5
	v_fmac_f32_e32 v119, v103, v66
	v_add_f32_e32 v71, v71, v118
	v_add_f32_e32 v62, v62, v63
	v_mul_f32_e32 v5, v61, v5
	v_mul_f32_e32 v121, v106, v75
	v_fmac_f32_e32 v120, v105, v68
	v_fmac_f32_e32 v128, v61, v4
	v_add_f32_e32 v71, v71, v119
	v_add_f32_e32 v58, v62, v58
	v_fma_f32 v4, v60, v4, -v5
	s_waitcnt vmcnt(9) lgkmcnt(4)
	v_mul_f32_e32 v5, v55, v7
	v_mul_f32_e32 v122, v108, v77
	v_fmac_f32_e32 v121, v107, v74
	v_add_f32_e32 v71, v71, v120
	v_add_f32_e32 v4, v58, v4
	v_fma_f32 v5, v54, v6, -v5
	v_mul_f32_e32 v123, v110, v87
	v_fmac_f32_e32 v122, v109, v76
	v_add_f32_e32 v71, v71, v121
	v_add_f32_e32 v4, v4, v5
	v_mul_f32_e32 v5, v57, v9
	v_mul_f32_e32 v124, v112, v89
	v_fmac_f32_e32 v123, v111, v86
	v_add_f32_e32 v71, v71, v122
	v_fma_f32 v5, v56, v8, -v5
	v_mul_f32_e32 v125, v114, v91
	v_fmac_f32_e32 v124, v113, v88
	v_add_f32_e32 v71, v71, v123
	v_add_f32_e32 v4, v4, v5
	s_waitcnt vmcnt(8) lgkmcnt(3)
	v_mul_f32_e32 v5, v51, v11
	v_mul_f32_e32 v126, v116, v93
	v_fmac_f32_e32 v125, v115, v90
	v_add_f32_e32 v71, v71, v124
	v_fma_f32 v5, v50, v10, -v5
	v_fmac_f32_e32 v126, v117, v92
	v_add_f32_e32 v71, v71, v125
	v_add_f32_e32 v4, v4, v5
	v_mul_f32_e32 v5, v53, v13
	v_add_f32_e32 v71, v71, v126
	v_fma_f32 v5, v52, v12, -v5
	v_mul_f32_e32 v129, v54, v7
	v_add_f32_e32 v71, v71, v127
	v_add_f32_e32 v4, v4, v5
	s_waitcnt vmcnt(7) lgkmcnt(2)
	v_mul_f32_e32 v5, v47, v15
	v_mul_f32_e32 v130, v56, v9
	v_fmac_f32_e32 v129, v55, v6
	v_add_f32_e32 v71, v71, v128
	v_fma_f32 v5, v46, v14, -v5
	v_mul_f32_e32 v131, v50, v11
	v_fmac_f32_e32 v130, v57, v8
	v_add_f32_e32 v71, v71, v129
	v_add_f32_e32 v4, v4, v5
	v_mul_f32_e32 v5, v49, v17
	v_mul_f32_e32 v132, v52, v13
	v_fmac_f32_e32 v131, v51, v10
	v_add_f32_e32 v71, v71, v130
	v_fma_f32 v5, v48, v16, -v5
	v_mul_f32_e32 v133, v46, v15
	v_fmac_f32_e32 v132, v53, v12
	v_add_f32_e32 v71, v71, v131
	v_add_f32_e32 v4, v4, v5
	s_waitcnt vmcnt(6) lgkmcnt(1)
	v_mul_f32_e32 v5, v43, v27
	v_mul_f32_e32 v134, v48, v17
	v_fmac_f32_e32 v133, v47, v14
	v_add_f32_e32 v71, v71, v132
	v_fma_f32 v5, v42, v26, -v5
	v_mul_f32_e32 v135, v42, v27
	v_mul_f32_e32 v85, v44, v29
	v_fmac_f32_e32 v134, v49, v16
	v_add_f32_e32 v71, v71, v133
	v_add_f32_e32 v70, v4, v5
	v_mul_f32_e32 v4, v45, v29
	v_fmac_f32_e32 v135, v43, v26
	v_fmac_f32_e32 v85, v45, v28
	v_add_f32_e32 v71, v71, v134
	v_fma_f32 v84, v44, v28, -v4
	s_waitcnt vmcnt(5) lgkmcnt(0)
	v_mul_f32_e32 v4, v39, v31
	v_mov_b32_e32 v28, v33
	v_mul_f32_e32 v83, v38, v31
	v_add_f32_e32 v71, v71, v135
	v_fma_f32 v82, v38, v30, -v4
	ds_read_b128 v[4:7], v78 offset:896
	ds_read_b128 v[8:11], v78 offset:912
	;; [unrolled: 1-line block ×3, first 2 shown]
	ds_read_b64 v[16:17], v78 offset:944
	v_pk_mul_f32 v[28:29], v[40:41], v[28:29] op_sel:[1,0] op_sel_hi:[0,0]
	v_fmac_f32_e32 v83, v39, v30
	v_pk_add_f32 v[26:27], v[70:71], v[84:85]
	v_pk_fma_f32 v[30:31], v[40:41], v[32:33], v[28:29] neg_lo:[0,0,1] neg_hi:[0,0,1]
	v_pk_fma_f32 v[28:29], v[40:41], v[32:33], v[28:29] op_sel_hi:[1,0,1]
	v_pk_add_f32 v[26:27], v[26:27], v[82:83]
	v_mov_b32_e32 v31, v29
	s_waitcnt vmcnt(4) lgkmcnt(3)
	v_pk_mul_f32 v[28:29], v[4:5], v[34:35] op_sel:[1,1] op_sel_hi:[0,1]
	v_pk_add_f32 v[26:27], v[26:27], v[30:31]
	v_pk_fma_f32 v[30:31], v[4:5], v[34:35], v[28:29] neg_lo:[0,0,1] neg_hi:[0,0,1]
	v_pk_fma_f32 v[4:5], v[4:5], v[34:35], v[28:29] op_sel_hi:[1,0,1]
	s_nop 0
	v_mov_b32_e32 v31, v5
	v_pk_add_f32 v[4:5], v[26:27], v[30:31]
	v_mov_b32_e32 v26, v37
	v_pk_mul_f32 v[26:27], v[6:7], v[26:27] op_sel:[1,0] op_sel_hi:[0,0]
	v_pk_fma_f32 v[28:29], v[6:7], v[36:37], v[26:27] neg_lo:[0,0,1] neg_hi:[0,0,1]
	v_pk_fma_f32 v[6:7], v[6:7], v[36:37], v[26:27] op_sel_hi:[1,0,1]
	s_nop 0
	v_mov_b32_e32 v29, v7
	s_waitcnt vmcnt(3) lgkmcnt(2)
	v_pk_mul_f32 v[6:7], v[8:9], v[22:23] op_sel:[1,1] op_sel_hi:[0,1]
	v_pk_fma_f32 v[26:27], v[8:9], v[22:23], v[6:7] neg_lo:[0,0,1] neg_hi:[0,0,1]
	v_pk_fma_f32 v[6:7], v[8:9], v[22:23], v[6:7] op_sel_hi:[1,0,1]
	v_pk_add_f32 v[4:5], v[4:5], v[28:29]
	v_mov_b32_e32 v6, v25
	v_mov_b32_e32 v27, v7
	v_pk_mul_f32 v[6:7], v[10:11], v[6:7] op_sel:[1,0] op_sel_hi:[0,0]
	v_pk_fma_f32 v[8:9], v[10:11], v[24:25], v[6:7] neg_lo:[0,0,1] neg_hi:[0,0,1]
	v_pk_fma_f32 v[6:7], v[10:11], v[24:25], v[6:7] op_sel_hi:[1,0,1]
	v_pk_add_f32 v[4:5], v[4:5], v[26:27]
	v_mov_b32_e32 v9, v7
	s_waitcnt vmcnt(2) lgkmcnt(1)
	v_pk_mul_f32 v[6:7], v[12:13], v[18:19] op_sel:[1,1] op_sel_hi:[0,1]
	v_pk_add_f32 v[4:5], v[4:5], v[8:9]
	v_pk_fma_f32 v[8:9], v[12:13], v[18:19], v[6:7] neg_lo:[0,0,1] neg_hi:[0,0,1]
	v_pk_fma_f32 v[6:7], v[12:13], v[18:19], v[6:7] op_sel_hi:[1,0,1]
	s_nop 0
	v_mov_b32_e32 v6, v21
	v_mov_b32_e32 v9, v7
	v_pk_mul_f32 v[6:7], v[14:15], v[6:7] op_sel:[1,0] op_sel_hi:[0,0]
	v_pk_add_f32 v[4:5], v[4:5], v[8:9]
	v_pk_fma_f32 v[8:9], v[14:15], v[20:21], v[6:7] neg_lo:[0,0,1] neg_hi:[0,0,1]
	v_pk_fma_f32 v[6:7], v[14:15], v[20:21], v[6:7] op_sel_hi:[1,0,1]
	s_nop 0
	v_mov_b32_e32 v9, v7
	s_waitcnt vmcnt(1) lgkmcnt(0)
	v_pk_mul_f32 v[6:7], v[16:17], v[80:81] op_sel:[1,1] op_sel_hi:[0,1]
	v_pk_add_f32 v[4:5], v[4:5], v[8:9]
	v_pk_fma_f32 v[8:9], v[16:17], v[80:81], v[6:7] neg_lo:[0,0,1] neg_hi:[0,0,1]
	v_pk_fma_f32 v[6:7], v[16:17], v[80:81], v[6:7] op_sel_hi:[1,0,1]
	s_nop 0
	v_mov_b32_e32 v9, v7
	v_pk_add_f32 v[4:5], v[4:5], v[8:9]
	s_waitcnt vmcnt(0)
	v_pk_add_f32 v[2:3], v[2:3], v[4:5] neg_lo:[0,1] neg_hi:[0,1]
	scratch_store_dwordx2 off, v[2:3], off offset:216
	s_and_saveexec_b64 s[0:1], vcc
	s_cbranch_execz .LBB122_315
; %bb.314:
	scratch_load_dwordx2 v[2:3], off, off offset:208
	v_mov_b32_e32 v79, v78
	scratch_store_dwordx2 off, v[78:79], off offset:208
	s_waitcnt vmcnt(1)
	ds_write_b64 v1, v[2:3]
.LBB122_315:
	s_or_b64 exec, exec, s[0:1]
	s_waitcnt lgkmcnt(0)
	; wave barrier
	scratch_load_dwordx4 v[6:9], off, off offset:216
	scratch_load_dwordx4 v[14:17], off, off offset:232
	;; [unrolled: 1-line block ×10, first 2 shown]
	ds_read2_b64 v[2:5], v78 offset0:87 offset1:88
	scratch_load_dwordx4 v[88:91], off, off offset:376
	scratch_load_dwordx4 v[96:99], off, off offset:392
	v_cmp_lt_u32_e32 vcc, 25, v0
	s_waitcnt vmcnt(11) lgkmcnt(0)
	v_mul_f32_e32 v10, v2, v7
	v_fmac_f32_e32 v10, v3, v6
	v_mul_f32_e32 v11, v4, v9
	v_add_f32_e32 v10, 0, v10
	v_fmac_f32_e32 v11, v5, v8
	v_add_f32_e32 v18, v10, v11
	ds_read2_b64 v[10:13], v78 offset0:89 offset1:90
	v_mul_f32_e32 v3, v3, v7
	v_fma_f32 v2, v2, v6, -v3
	v_mul_f32_e32 v3, v5, v9
	v_add_f32_e32 v2, 0, v2
	s_waitcnt vmcnt(10) lgkmcnt(0)
	v_mul_f32_e32 v19, v10, v15
	v_fmac_f32_e32 v19, v11, v14
	v_add_f32_e32 v18, v18, v19
	v_mul_f32_e32 v19, v12, v17
	v_fmac_f32_e32 v19, v13, v16
	v_add_f32_e32 v26, v18, v19
	ds_read2_b64 v[18:21], v78 offset0:91 offset1:92
	v_fma_f32 v3, v4, v8, -v3
	v_add_f32_e32 v2, v2, v3
	v_mul_f32_e32 v3, v11, v15
	v_fma_f32 v3, v10, v14, -v3
	s_waitcnt vmcnt(9) lgkmcnt(0)
	v_mul_f32_e32 v27, v18, v23
	v_fmac_f32_e32 v27, v19, v22
	v_add_f32_e32 v26, v26, v27
	v_mul_f32_e32 v27, v20, v25
	v_fmac_f32_e32 v27, v21, v24
	v_add_f32_e32 v34, v26, v27
	ds_read2_b64 v[26:29], v78 offset0:93 offset1:94
	v_add_f32_e32 v2, v2, v3
	v_mul_f32_e32 v3, v13, v17
	v_fma_f32 v3, v12, v16, -v3
	v_add_f32_e32 v2, v2, v3
	s_waitcnt vmcnt(8) lgkmcnt(0)
	v_mul_f32_e32 v35, v26, v31
	v_fmac_f32_e32 v35, v27, v30
	v_add_f32_e32 v34, v34, v35
	v_mul_f32_e32 v35, v28, v33
	v_fmac_f32_e32 v35, v29, v32
	v_add_f32_e32 v42, v34, v35
	ds_read2_b64 v[34:37], v78 offset0:95 offset1:96
	v_mul_f32_e32 v3, v19, v23
	v_fma_f32 v3, v18, v22, -v3
	v_add_f32_e32 v2, v2, v3
	v_mul_f32_e32 v3, v21, v25
	s_waitcnt vmcnt(7) lgkmcnt(0)
	v_mul_f32_e32 v43, v34, v39
	v_fmac_f32_e32 v43, v35, v38
	v_add_f32_e32 v42, v42, v43
	v_mul_f32_e32 v43, v36, v41
	v_fmac_f32_e32 v43, v37, v40
	v_add_f32_e32 v50, v42, v43
	ds_read2_b64 v[42:45], v78 offset0:97 offset1:98
	v_fma_f32 v3, v20, v24, -v3
	v_add_f32_e32 v2, v2, v3
	v_mul_f32_e32 v3, v27, v31
	v_fma_f32 v3, v26, v30, -v3
	s_waitcnt vmcnt(6) lgkmcnt(0)
	v_mul_f32_e32 v51, v42, v47
	v_fmac_f32_e32 v51, v43, v46
	v_add_f32_e32 v50, v50, v51
	v_mul_f32_e32 v51, v44, v49
	v_fmac_f32_e32 v51, v45, v48
	v_add_f32_e32 v58, v50, v51
	ds_read2_b64 v[50:53], v78 offset0:99 offset1:100
	v_add_f32_e32 v2, v2, v3
	v_mul_f32_e32 v3, v29, v33
	v_fma_f32 v3, v28, v32, -v3
	v_add_f32_e32 v2, v2, v3
	s_waitcnt vmcnt(5) lgkmcnt(0)
	v_mul_f32_e32 v59, v50, v55
	v_fmac_f32_e32 v59, v51, v54
	v_add_f32_e32 v58, v58, v59
	v_mul_f32_e32 v59, v52, v57
	v_fmac_f32_e32 v59, v53, v56
	v_add_f32_e32 v66, v58, v59
	ds_read2_b64 v[58:61], v78 offset0:101 offset1:102
	v_mul_f32_e32 v3, v35, v39
	v_fma_f32 v3, v34, v38, -v3
	v_add_f32_e32 v2, v2, v3
	v_mul_f32_e32 v3, v37, v41
	;; [unrolled: 36-line block ×3, first 2 shown]
	s_waitcnt vmcnt(1) lgkmcnt(0)
	v_mul_f32_e32 v92, v84, v89
	v_fmac_f32_e32 v92, v85, v88
	v_add_f32_e32 v79, v79, v92
	v_mul_f32_e32 v92, v86, v91
	v_fmac_f32_e32 v92, v87, v90
	v_add_f32_e32 v117, v79, v92
	ds_read2_b64 v[92:95], v78 offset0:109 offset1:110
	scratch_load_dwordx4 v[100:103], off, off offset:408
	scratch_load_dwordx4 v[104:107], off, off offset:424
	;; [unrolled: 1-line block ×4, first 2 shown]
	v_fma_f32 v3, v52, v56, -v3
	v_add_f32_e32 v2, v2, v3
	v_mul_f32_e32 v3, v59, v63
	v_fma_f32 v3, v58, v62, -v3
	v_add_f32_e32 v2, v2, v3
	v_mul_f32_e32 v3, v61, v65
	;; [unrolled: 3-line block ×8, first 2 shown]
	v_fma_f32 v3, v86, v90, -v3
	v_add_f32_e32 v116, v2, v3
	s_waitcnt vmcnt(4) lgkmcnt(0)
	v_mul_f32_e32 v2, v93, v97
	v_fma_f32 v118, v92, v96, -v2
	v_mul_f32_e32 v2, v95, v99
	v_fma_f32 v120, v94, v98, -v2
	ds_read2_b64 v[2:5], v78 offset0:111 offset1:112
	ds_read2_b64 v[6:9], v78 offset0:113 offset1:114
	;; [unrolled: 1-line block ×4, first 2 shown]
	v_mul_f32_e32 v119, v92, v97
	v_fmac_f32_e32 v119, v93, v96
	v_mul_f32_e32 v121, v94, v99
	v_fmac_f32_e32 v121, v95, v98
	v_pk_add_f32 v[18:19], v[116:117], v[118:119]
	s_waitcnt vmcnt(3) lgkmcnt(3)
	v_pk_mul_f32 v[20:21], v[2:3], v[100:101] op_sel:[1,1] op_sel_hi:[0,1]
	v_pk_fma_f32 v[22:23], v[2:3], v[100:101], v[20:21] neg_lo:[0,0,1] neg_hi:[0,0,1]
	v_pk_fma_f32 v[2:3], v[2:3], v[100:101], v[20:21] op_sel_hi:[1,0,1]
	v_pk_add_f32 v[18:19], v[18:19], v[120:121]
	v_mov_b32_e32 v23, v3
	v_pk_add_f32 v[2:3], v[18:19], v[22:23]
	v_mov_b32_e32 v18, v103
	v_pk_mul_f32 v[18:19], v[4:5], v[18:19] op_sel:[1,0] op_sel_hi:[0,0]
	v_pk_fma_f32 v[20:21], v[4:5], v[102:103], v[18:19] neg_lo:[0,0,1] neg_hi:[0,0,1]
	v_pk_fma_f32 v[4:5], v[4:5], v[102:103], v[18:19] op_sel_hi:[1,0,1]
	s_nop 0
	v_mov_b32_e32 v21, v5
	s_waitcnt vmcnt(2) lgkmcnt(2)
	v_pk_mul_f32 v[4:5], v[6:7], v[104:105] op_sel:[1,1] op_sel_hi:[0,1]
	v_pk_fma_f32 v[18:19], v[6:7], v[104:105], v[4:5] neg_lo:[0,0,1] neg_hi:[0,0,1]
	v_pk_fma_f32 v[4:5], v[6:7], v[104:105], v[4:5] op_sel_hi:[1,0,1]
	v_pk_add_f32 v[2:3], v[2:3], v[20:21]
	v_mov_b32_e32 v4, v107
	v_mov_b32_e32 v19, v5
	v_pk_mul_f32 v[4:5], v[8:9], v[4:5] op_sel:[1,0] op_sel_hi:[0,0]
	v_pk_fma_f32 v[6:7], v[8:9], v[106:107], v[4:5] neg_lo:[0,0,1] neg_hi:[0,0,1]
	v_pk_fma_f32 v[4:5], v[8:9], v[106:107], v[4:5] op_sel_hi:[1,0,1]
	v_pk_add_f32 v[2:3], v[2:3], v[18:19]
	v_mov_b32_e32 v7, v5
	s_waitcnt vmcnt(1) lgkmcnt(1)
	v_pk_mul_f32 v[4:5], v[10:11], v[108:109] op_sel:[1,1] op_sel_hi:[0,1]
	v_pk_add_f32 v[2:3], v[2:3], v[6:7]
	v_pk_fma_f32 v[6:7], v[10:11], v[108:109], v[4:5] neg_lo:[0,0,1] neg_hi:[0,0,1]
	v_pk_fma_f32 v[4:5], v[10:11], v[108:109], v[4:5] op_sel_hi:[1,0,1]
	s_nop 0
	v_mov_b32_e32 v4, v111
	v_mov_b32_e32 v7, v5
	v_pk_mul_f32 v[4:5], v[12:13], v[4:5] op_sel:[1,0] op_sel_hi:[0,0]
	v_pk_add_f32 v[2:3], v[2:3], v[6:7]
	v_pk_fma_f32 v[6:7], v[12:13], v[110:111], v[4:5] neg_lo:[0,0,1] neg_hi:[0,0,1]
	v_pk_fma_f32 v[4:5], v[12:13], v[110:111], v[4:5] op_sel_hi:[1,0,1]
	s_nop 0
	v_mov_b32_e32 v7, v5
	s_waitcnt vmcnt(0) lgkmcnt(0)
	v_pk_mul_f32 v[4:5], v[14:15], v[112:113] op_sel:[1,1] op_sel_hi:[0,1]
	v_pk_add_f32 v[2:3], v[2:3], v[6:7]
	v_pk_fma_f32 v[6:7], v[14:15], v[112:113], v[4:5] neg_lo:[0,0,1] neg_hi:[0,0,1]
	v_pk_fma_f32 v[4:5], v[14:15], v[112:113], v[4:5] op_sel_hi:[1,0,1]
	s_nop 0
	v_mov_b32_e32 v4, v115
	v_mov_b32_e32 v7, v5
	v_pk_mul_f32 v[4:5], v[16:17], v[4:5] op_sel:[1,0] op_sel_hi:[0,0]
	v_pk_add_f32 v[2:3], v[2:3], v[6:7]
	v_pk_fma_f32 v[6:7], v[16:17], v[114:115], v[4:5] neg_lo:[0,0,1] neg_hi:[0,0,1]
	v_pk_fma_f32 v[4:5], v[16:17], v[114:115], v[4:5] op_sel_hi:[1,0,1]
	s_nop 0
	v_mov_b32_e32 v7, v5
	scratch_load_dwordx2 v[4:5], off, off offset:208
	v_pk_add_f32 v[2:3], v[2:3], v[6:7]
	s_waitcnt vmcnt(0)
	v_pk_add_f32 v[2:3], v[4:5], v[2:3] neg_lo:[0,1] neg_hi:[0,1]
	scratch_store_dwordx2 off, v[2:3], off offset:208
	s_and_saveexec_b64 s[0:1], vcc
	s_cbranch_execz .LBB122_317
; %bb.316:
	scratch_load_dwordx2 v[2:3], off, off offset:200
	v_mov_b32_e32 v4, 0
	v_mov_b32_e32 v5, v4
	scratch_store_dwordx2 off, v[4:5], off offset:200
	s_waitcnt vmcnt(1)
	ds_write_b64 v1, v[2:3]
.LBB122_317:
	s_or_b64 exec, exec, s[0:1]
	v_mov_b32_e32 v70, 0
	s_waitcnt lgkmcnt(0)
	; wave barrier
	ds_read_b128 v[14:17], v70 offset:688
	ds_read_b128 v[10:13], v70 offset:704
	;; [unrolled: 1-line block ×4, first 2 shown]
	scratch_load_dwordx4 v[18:21], off, off offset:208
	scratch_load_dwordx4 v[38:41], off, off offset:272
	scratch_load_dwordx4 v[72:75], off, off offset:336
	scratch_load_dwordx4 v[80:83], off, off offset:352
	scratch_load_dwordx4 v[88:91], off, off offset:368
	scratch_load_dwordx4 v[96:99], off, off offset:384
	scratch_load_dwordx4 v[104:107], off, off offset:400
	v_cmp_lt_u32_e32 vcc, 24, v0
	scratch_load_dwordx4 v[46:49], off, off offset:288
	scratch_load_dwordx4 v[54:57], off, off offset:304
	;; [unrolled: 1-line block ×3, first 2 shown]
	s_waitcnt vmcnt(9) lgkmcnt(3)
	v_mul_f32_e32 v22, v14, v19
	v_fmac_f32_e32 v22, v15, v18
	v_mul_f32_e32 v23, v16, v21
	v_add_f32_e32 v22, 0, v22
	v_fmac_f32_e32 v23, v17, v20
	v_add_f32_e32 v26, v22, v23
	scratch_load_dwordx4 v[22:25], off, off offset:224
	v_mul_f32_e32 v15, v15, v19
	v_fma_f32 v14, v14, v18, -v15
	v_mul_f32_e32 v15, v17, v21
	v_add_f32_e32 v14, 0, v14
	v_fma_f32 v15, v16, v20, -v15
	v_add_f32_e32 v14, v14, v15
	s_waitcnt vmcnt(4)
	v_mov_b32_e32 v18, v107
	s_waitcnt vmcnt(0) lgkmcnt(2)
	v_mul_f32_e32 v27, v10, v23
	v_fmac_f32_e32 v27, v11, v22
	v_add_f32_e32 v26, v26, v27
	v_mul_f32_e32 v27, v12, v25
	v_fmac_f32_e32 v27, v13, v24
	v_add_f32_e32 v30, v26, v27
	scratch_load_dwordx4 v[26:29], off, off offset:240
	v_mul_f32_e32 v11, v11, v23
	v_fma_f32 v10, v10, v22, -v11
	v_mul_f32_e32 v11, v13, v25
	v_add_f32_e32 v10, v14, v10
	v_fma_f32 v11, v12, v24, -v11
	v_add_f32_e32 v10, v10, v11
	s_waitcnt vmcnt(0) lgkmcnt(1)
	v_mul_f32_e32 v31, v6, v27
	v_fmac_f32_e32 v31, v7, v26
	v_add_f32_e32 v30, v30, v31
	v_mul_f32_e32 v31, v8, v29
	v_fmac_f32_e32 v31, v9, v28
	v_add_f32_e32 v34, v30, v31
	scratch_load_dwordx4 v[30:33], off, off offset:256
	v_mul_f32_e32 v7, v7, v27
	v_fma_f32 v6, v6, v26, -v7
	v_mul_f32_e32 v7, v9, v29
	v_add_f32_e32 v6, v10, v6
	v_fma_f32 v7, v8, v28, -v7
	v_add_f32_e32 v6, v6, v7
	s_waitcnt vmcnt(0) lgkmcnt(0)
	v_mul_f32_e32 v35, v2, v31
	v_fmac_f32_e32 v35, v3, v30
	v_add_f32_e32 v34, v34, v35
	v_mul_f32_e32 v35, v4, v33
	v_fmac_f32_e32 v35, v5, v32
	v_add_f32_e32 v42, v34, v35
	ds_read_b128 v[34:37], v70 offset:752
	v_mul_f32_e32 v3, v3, v31
	v_fma_f32 v2, v2, v30, -v3
	v_mul_f32_e32 v3, v5, v33
	v_add_f32_e32 v2, v6, v2
	s_waitcnt lgkmcnt(0)
	v_mul_f32_e32 v43, v34, v39
	v_fmac_f32_e32 v43, v35, v38
	v_add_f32_e32 v42, v42, v43
	v_mul_f32_e32 v43, v36, v41
	v_fmac_f32_e32 v43, v37, v40
	v_add_f32_e32 v50, v42, v43
	ds_read_b128 v[42:45], v70 offset:768
	v_fma_f32 v3, v4, v32, -v3
	v_add_f32_e32 v2, v2, v3
	v_mul_f32_e32 v3, v35, v39
	v_fma_f32 v3, v34, v38, -v3
	s_waitcnt lgkmcnt(0)
	v_mul_f32_e32 v51, v42, v47
	v_fmac_f32_e32 v51, v43, v46
	v_add_f32_e32 v50, v50, v51
	v_mul_f32_e32 v51, v44, v49
	v_fmac_f32_e32 v51, v45, v48
	v_add_f32_e32 v58, v50, v51
	ds_read_b128 v[50:53], v70 offset:784
	v_add_f32_e32 v2, v2, v3
	v_mul_f32_e32 v3, v37, v41
	v_fma_f32 v3, v36, v40, -v3
	v_add_f32_e32 v2, v2, v3
	s_waitcnt lgkmcnt(0)
	v_mul_f32_e32 v59, v50, v55
	v_fmac_f32_e32 v59, v51, v54
	v_add_f32_e32 v58, v58, v59
	v_mul_f32_e32 v59, v52, v57
	v_fmac_f32_e32 v59, v53, v56
	v_add_f32_e32 v66, v58, v59
	ds_read_b128 v[58:61], v70 offset:800
	v_mul_f32_e32 v3, v43, v47
	v_fma_f32 v3, v42, v46, -v3
	v_add_f32_e32 v2, v2, v3
	v_mul_f32_e32 v3, v45, v49
	s_waitcnt lgkmcnt(0)
	v_mul_f32_e32 v67, v58, v63
	v_fmac_f32_e32 v67, v59, v62
	v_add_f32_e32 v66, v66, v67
	v_mul_f32_e32 v67, v60, v65
	v_fmac_f32_e32 v67, v61, v64
	v_add_f32_e32 v71, v66, v67
	ds_read_b128 v[66:69], v70 offset:816
	v_fma_f32 v3, v44, v48, -v3
	v_add_f32_e32 v2, v2, v3
	v_mul_f32_e32 v3, v51, v55
	v_fma_f32 v3, v50, v54, -v3
	s_waitcnt lgkmcnt(0)
	v_mul_f32_e32 v76, v66, v73
	v_fmac_f32_e32 v76, v67, v72
	v_add_f32_e32 v71, v71, v76
	v_mul_f32_e32 v76, v68, v75
	v_fmac_f32_e32 v76, v69, v74
	v_add_f32_e32 v71, v71, v76
	ds_read_b128 v[76:79], v70 offset:832
	v_add_f32_e32 v2, v2, v3
	v_mul_f32_e32 v3, v53, v57
	v_fma_f32 v3, v52, v56, -v3
	v_add_f32_e32 v2, v2, v3
	s_waitcnt lgkmcnt(0)
	v_mul_f32_e32 v84, v76, v81
	v_fmac_f32_e32 v84, v77, v80
	v_add_f32_e32 v71, v71, v84
	v_mul_f32_e32 v84, v78, v83
	v_fmac_f32_e32 v84, v79, v82
	v_add_f32_e32 v71, v71, v84
	ds_read_b128 v[84:87], v70 offset:848
	v_mul_f32_e32 v3, v59, v63
	v_fma_f32 v3, v58, v62, -v3
	v_add_f32_e32 v2, v2, v3
	v_mul_f32_e32 v3, v61, v65
	s_waitcnt lgkmcnt(0)
	v_mul_f32_e32 v92, v84, v89
	v_fmac_f32_e32 v92, v85, v88
	v_add_f32_e32 v71, v71, v92
	v_mul_f32_e32 v92, v86, v91
	v_fmac_f32_e32 v92, v87, v90
	v_add_f32_e32 v71, v71, v92
	ds_read_b128 v[92:95], v70 offset:864
	v_fma_f32 v3, v60, v64, -v3
	v_add_f32_e32 v2, v2, v3
	v_mul_f32_e32 v3, v67, v73
	v_fma_f32 v3, v66, v72, -v3
	s_waitcnt lgkmcnt(0)
	v_mul_f32_e32 v100, v92, v97
	v_fmac_f32_e32 v100, v93, v96
	v_add_f32_e32 v121, v71, v100
	ds_read_b128 v[100:103], v70 offset:880
	scratch_load_dwordx4 v[108:111], off, off offset:416
	scratch_load_dwordx4 v[112:115], off, off offset:432
	;; [unrolled: 1-line block ×3, first 2 shown]
	scratch_load_dwordx2 v[126:127], off, off offset:464
	v_add_f32_e32 v2, v2, v3
	v_mul_f32_e32 v3, v69, v75
	v_fma_f32 v3, v68, v74, -v3
	v_add_f32_e32 v2, v2, v3
	v_mul_f32_e32 v3, v77, v81
	v_fma_f32 v3, v76, v80, -v3
	;; [unrolled: 3-line block ×6, first 2 shown]
	v_add_f32_e32 v120, v2, v3
	v_mul_f32_e32 v2, v95, v99
	v_mul_f32_e32 v123, v94, v99
	v_fma_f32 v122, v94, v98, -v2
	s_waitcnt lgkmcnt(0)
	v_mul_f32_e32 v2, v101, v105
	v_fmac_f32_e32 v123, v95, v98
	v_mul_f32_e32 v125, v100, v105
	v_fma_f32 v124, v100, v104, -v2
	ds_read_b128 v[2:5], v70 offset:896
	ds_read_b128 v[6:9], v70 offset:912
	;; [unrolled: 1-line block ×3, first 2 shown]
	ds_read_b64 v[14:15], v70 offset:944
	v_pk_mul_f32 v[18:19], v[102:103], v[18:19] op_sel:[1,0] op_sel_hi:[0,0]
	v_fmac_f32_e32 v125, v101, v104
	v_pk_add_f32 v[16:17], v[120:121], v[122:123]
	v_pk_fma_f32 v[20:21], v[102:103], v[106:107], v[18:19] neg_lo:[0,0,1] neg_hi:[0,0,1]
	v_pk_fma_f32 v[18:19], v[102:103], v[106:107], v[18:19] op_sel_hi:[1,0,1]
	v_pk_add_f32 v[16:17], v[16:17], v[124:125]
	v_mov_b32_e32 v21, v19
	v_pk_add_f32 v[16:17], v[16:17], v[20:21]
	s_waitcnt vmcnt(3) lgkmcnt(3)
	v_pk_mul_f32 v[18:19], v[2:3], v[108:109] op_sel:[1,1] op_sel_hi:[0,1]
	v_pk_fma_f32 v[20:21], v[2:3], v[108:109], v[18:19] neg_lo:[0,0,1] neg_hi:[0,0,1]
	v_pk_fma_f32 v[2:3], v[2:3], v[108:109], v[18:19] op_sel_hi:[1,0,1]
	s_nop 0
	v_mov_b32_e32 v21, v3
	v_pk_add_f32 v[2:3], v[16:17], v[20:21]
	v_mov_b32_e32 v16, v111
	v_pk_mul_f32 v[16:17], v[4:5], v[16:17] op_sel:[1,0] op_sel_hi:[0,0]
	v_pk_fma_f32 v[18:19], v[4:5], v[110:111], v[16:17] neg_lo:[0,0,1] neg_hi:[0,0,1]
	v_pk_fma_f32 v[4:5], v[4:5], v[110:111], v[16:17] op_sel_hi:[1,0,1]
	s_nop 0
	v_mov_b32_e32 v19, v5
	s_waitcnt vmcnt(2) lgkmcnt(2)
	v_pk_mul_f32 v[4:5], v[6:7], v[112:113] op_sel:[1,1] op_sel_hi:[0,1]
	v_pk_fma_f32 v[16:17], v[6:7], v[112:113], v[4:5] neg_lo:[0,0,1] neg_hi:[0,0,1]
	v_pk_fma_f32 v[4:5], v[6:7], v[112:113], v[4:5] op_sel_hi:[1,0,1]
	v_pk_add_f32 v[2:3], v[2:3], v[18:19]
	v_mov_b32_e32 v4, v115
	v_mov_b32_e32 v17, v5
	v_pk_mul_f32 v[4:5], v[8:9], v[4:5] op_sel:[1,0] op_sel_hi:[0,0]
	v_pk_fma_f32 v[6:7], v[8:9], v[114:115], v[4:5] neg_lo:[0,0,1] neg_hi:[0,0,1]
	v_pk_fma_f32 v[4:5], v[8:9], v[114:115], v[4:5] op_sel_hi:[1,0,1]
	v_pk_add_f32 v[2:3], v[2:3], v[16:17]
	v_mov_b32_e32 v7, v5
	s_waitcnt vmcnt(1) lgkmcnt(1)
	v_pk_mul_f32 v[4:5], v[10:11], v[116:117] op_sel:[1,1] op_sel_hi:[0,1]
	v_pk_add_f32 v[2:3], v[2:3], v[6:7]
	v_pk_fma_f32 v[6:7], v[10:11], v[116:117], v[4:5] neg_lo:[0,0,1] neg_hi:[0,0,1]
	v_pk_fma_f32 v[4:5], v[10:11], v[116:117], v[4:5] op_sel_hi:[1,0,1]
	s_nop 0
	v_mov_b32_e32 v4, v119
	v_mov_b32_e32 v7, v5
	v_pk_mul_f32 v[4:5], v[12:13], v[4:5] op_sel:[1,0] op_sel_hi:[0,0]
	v_pk_add_f32 v[2:3], v[2:3], v[6:7]
	v_pk_fma_f32 v[6:7], v[12:13], v[118:119], v[4:5] neg_lo:[0,0,1] neg_hi:[0,0,1]
	v_pk_fma_f32 v[4:5], v[12:13], v[118:119], v[4:5] op_sel_hi:[1,0,1]
	s_nop 0
	v_mov_b32_e32 v7, v5
	s_waitcnt vmcnt(0) lgkmcnt(0)
	v_pk_mul_f32 v[4:5], v[14:15], v[126:127] op_sel:[1,1] op_sel_hi:[0,1]
	v_pk_add_f32 v[2:3], v[2:3], v[6:7]
	v_pk_fma_f32 v[6:7], v[14:15], v[126:127], v[4:5] neg_lo:[0,0,1] neg_hi:[0,0,1]
	v_pk_fma_f32 v[4:5], v[14:15], v[126:127], v[4:5] op_sel_hi:[1,0,1]
	s_nop 0
	v_mov_b32_e32 v7, v5
	scratch_load_dwordx2 v[4:5], off, off offset:200
	v_pk_add_f32 v[2:3], v[2:3], v[6:7]
	s_waitcnt vmcnt(0)
	v_pk_add_f32 v[2:3], v[4:5], v[2:3] neg_lo:[0,1] neg_hi:[0,1]
	scratch_store_dwordx2 off, v[2:3], off offset:200
	s_and_saveexec_b64 s[0:1], vcc
	s_cbranch_execz .LBB122_319
; %bb.318:
	scratch_load_dwordx2 v[2:3], off, off offset:192
	v_mov_b32_e32 v71, v70
	scratch_store_dwordx2 off, v[70:71], off offset:192
	s_waitcnt vmcnt(1)
	ds_write_b64 v1, v[2:3]
.LBB122_319:
	s_or_b64 exec, exec, s[0:1]
	s_waitcnt lgkmcnt(0)
	; wave barrier
	scratch_load_dwordx4 v[6:9], off, off offset:200
	scratch_load_dwordx4 v[14:17], off, off offset:216
	;; [unrolled: 1-line block ×12, first 2 shown]
	ds_read2_b64 v[2:5], v70 offset0:85 offset1:86
	ds_read2_b64 v[38:41], v70 offset0:93 offset1:94
	;; [unrolled: 1-line block ×6, first 2 shown]
	scratch_load_dwordx4 v[126:129], off, off offset:392
	ds_read2_b64 v[122:125], v70 offset0:109 offset1:110
	v_cmp_lt_u32_e32 vcc, 23, v0
	ds_read2_b64 v[54:57], v70 offset0:95 offset1:96
	ds_read2_b64 v[66:69], v70 offset0:97 offset1:98
	;; [unrolled: 1-line block ×3, first 2 shown]
	s_waitcnt vmcnt(12) lgkmcnt(9)
	v_mul_f32_e32 v10, v2, v7
	v_fmac_f32_e32 v10, v3, v6
	v_mul_f32_e32 v11, v4, v9
	v_add_f32_e32 v10, 0, v10
	v_fmac_f32_e32 v11, v5, v8
	v_add_f32_e32 v18, v10, v11
	ds_read2_b64 v[10:13], v70 offset0:87 offset1:88
	v_mul_f32_e32 v3, v3, v7
	v_fma_f32 v2, v2, v6, -v3
	v_mul_f32_e32 v3, v5, v9
	v_add_f32_e32 v2, 0, v2
	s_waitcnt vmcnt(11) lgkmcnt(0)
	v_mul_f32_e32 v19, v10, v15
	v_fmac_f32_e32 v19, v11, v14
	v_add_f32_e32 v18, v18, v19
	v_mul_f32_e32 v19, v12, v17
	v_fmac_f32_e32 v19, v13, v16
	v_add_f32_e32 v26, v18, v19
	ds_read2_b64 v[18:21], v70 offset0:89 offset1:90
	v_fma_f32 v3, v4, v8, -v3
	v_add_f32_e32 v2, v2, v3
	v_mul_f32_e32 v3, v11, v15
	v_fma_f32 v3, v10, v14, -v3
	s_waitcnt vmcnt(10) lgkmcnt(0)
	v_mul_f32_e32 v27, v18, v23
	v_fmac_f32_e32 v27, v19, v22
	v_add_f32_e32 v26, v26, v27
	v_mul_f32_e32 v27, v20, v25
	v_fmac_f32_e32 v27, v21, v24
	v_add_f32_e32 v30, v26, v27
	ds_read2_b64 v[26:29], v70 offset0:91 offset1:92
	v_add_f32_e32 v2, v2, v3
	v_mul_f32_e32 v3, v13, v17
	v_fma_f32 v3, v12, v16, -v3
	v_add_f32_e32 v2, v2, v3
	s_waitcnt vmcnt(9) lgkmcnt(0)
	v_mul_f32_e32 v31, v26, v35
	v_fmac_f32_e32 v31, v27, v34
	v_add_f32_e32 v30, v30, v31
	v_mul_f32_e32 v31, v28, v37
	v_fmac_f32_e32 v31, v29, v36
	v_add_f32_e32 v30, v30, v31
	s_waitcnt vmcnt(8)
	v_mul_f32_e32 v31, v38, v51
	v_fmac_f32_e32 v31, v39, v50
	v_add_f32_e32 v30, v30, v31
	v_mul_f32_e32 v31, v40, v53
	v_fmac_f32_e32 v31, v41, v52
	v_add_f32_e32 v30, v30, v31
	s_waitcnt vmcnt(7)
	;; [unrolled: 7-line block ×8, first 2 shown]
	v_mul_f32_e32 v31, v114, v119
	v_fmac_f32_e32 v31, v115, v118
	v_add_f32_e32 v30, v30, v31
	v_mul_f32_e32 v31, v116, v121
	v_fmac_f32_e32 v31, v117, v120
	v_add_f32_e32 v73, v30, v31
	scratch_load_dwordx4 v[58:61], off, off offset:408
	scratch_load_dwordx4 v[46:49], off, off offset:424
	;; [unrolled: 1-line block ×4, first 2 shown]
	v_mul_f32_e32 v3, v19, v23
	v_fma_f32 v3, v18, v22, -v3
	v_add_f32_e32 v2, v2, v3
	v_mul_f32_e32 v3, v21, v25
	v_fma_f32 v3, v20, v24, -v3
	v_add_f32_e32 v2, v2, v3
	;; [unrolled: 3-line block ×20, first 2 shown]
	s_waitcnt vmcnt(4)
	v_mul_f32_e32 v2, v123, v127
	v_fma_f32 v74, v122, v126, -v2
	v_mul_f32_e32 v2, v125, v129
	v_fma_f32 v76, v124, v128, -v2
	ds_read2_b64 v[2:5], v70 offset0:111 offset1:112
	ds_read2_b64 v[6:9], v70 offset0:113 offset1:114
	;; [unrolled: 1-line block ×4, first 2 shown]
	v_mul_f32_e32 v75, v122, v127
	v_fmac_f32_e32 v75, v123, v126
	v_mul_f32_e32 v77, v124, v129
	v_fmac_f32_e32 v77, v125, v128
	v_pk_add_f32 v[18:19], v[72:73], v[74:75]
	s_waitcnt vmcnt(3) lgkmcnt(3)
	v_pk_mul_f32 v[20:21], v[2:3], v[58:59] op_sel:[1,1] op_sel_hi:[0,1]
	v_pk_fma_f32 v[22:23], v[2:3], v[58:59], v[20:21] neg_lo:[0,0,1] neg_hi:[0,0,1]
	v_pk_fma_f32 v[2:3], v[2:3], v[58:59], v[20:21] op_sel_hi:[1,0,1]
	v_pk_add_f32 v[18:19], v[18:19], v[76:77]
	v_mov_b32_e32 v23, v3
	v_pk_add_f32 v[2:3], v[18:19], v[22:23]
	v_mov_b32_e32 v18, v61
	v_pk_mul_f32 v[18:19], v[4:5], v[18:19] op_sel:[1,0] op_sel_hi:[0,0]
	v_pk_fma_f32 v[20:21], v[4:5], v[60:61], v[18:19] neg_lo:[0,0,1] neg_hi:[0,0,1]
	v_pk_fma_f32 v[4:5], v[4:5], v[60:61], v[18:19] op_sel_hi:[1,0,1]
	s_nop 0
	v_mov_b32_e32 v21, v5
	s_waitcnt vmcnt(2) lgkmcnt(2)
	v_pk_mul_f32 v[4:5], v[6:7], v[46:47] op_sel:[1,1] op_sel_hi:[0,1]
	v_pk_fma_f32 v[18:19], v[6:7], v[46:47], v[4:5] neg_lo:[0,0,1] neg_hi:[0,0,1]
	v_pk_fma_f32 v[4:5], v[6:7], v[46:47], v[4:5] op_sel_hi:[1,0,1]
	v_pk_add_f32 v[2:3], v[2:3], v[20:21]
	v_mov_b32_e32 v4, v49
	v_mov_b32_e32 v19, v5
	v_pk_mul_f32 v[4:5], v[8:9], v[4:5] op_sel:[1,0] op_sel_hi:[0,0]
	v_pk_fma_f32 v[6:7], v[8:9], v[48:49], v[4:5] neg_lo:[0,0,1] neg_hi:[0,0,1]
	v_pk_fma_f32 v[4:5], v[8:9], v[48:49], v[4:5] op_sel_hi:[1,0,1]
	v_pk_add_f32 v[2:3], v[2:3], v[18:19]
	v_mov_b32_e32 v7, v5
	s_waitcnt vmcnt(1) lgkmcnt(1)
	v_pk_mul_f32 v[4:5], v[10:11], v[42:43] op_sel:[1,1] op_sel_hi:[0,1]
	v_pk_add_f32 v[2:3], v[2:3], v[6:7]
	v_pk_fma_f32 v[6:7], v[10:11], v[42:43], v[4:5] neg_lo:[0,0,1] neg_hi:[0,0,1]
	v_pk_fma_f32 v[4:5], v[10:11], v[42:43], v[4:5] op_sel_hi:[1,0,1]
	s_nop 0
	v_mov_b32_e32 v4, v45
	v_mov_b32_e32 v7, v5
	v_pk_mul_f32 v[4:5], v[12:13], v[4:5] op_sel:[1,0] op_sel_hi:[0,0]
	v_pk_add_f32 v[2:3], v[2:3], v[6:7]
	v_pk_fma_f32 v[6:7], v[12:13], v[44:45], v[4:5] neg_lo:[0,0,1] neg_hi:[0,0,1]
	v_pk_fma_f32 v[4:5], v[12:13], v[44:45], v[4:5] op_sel_hi:[1,0,1]
	s_nop 0
	v_mov_b32_e32 v7, v5
	s_waitcnt vmcnt(0) lgkmcnt(0)
	v_pk_mul_f32 v[4:5], v[14:15], v[30:31] op_sel:[1,1] op_sel_hi:[0,1]
	v_pk_add_f32 v[2:3], v[2:3], v[6:7]
	v_pk_fma_f32 v[6:7], v[14:15], v[30:31], v[4:5] neg_lo:[0,0,1] neg_hi:[0,0,1]
	v_pk_fma_f32 v[4:5], v[14:15], v[30:31], v[4:5] op_sel_hi:[1,0,1]
	s_nop 0
	v_mov_b32_e32 v4, v33
	v_mov_b32_e32 v7, v5
	v_pk_mul_f32 v[4:5], v[16:17], v[4:5] op_sel:[1,0] op_sel_hi:[0,0]
	v_pk_add_f32 v[2:3], v[2:3], v[6:7]
	v_pk_fma_f32 v[6:7], v[16:17], v[32:33], v[4:5] neg_lo:[0,0,1] neg_hi:[0,0,1]
	v_pk_fma_f32 v[4:5], v[16:17], v[32:33], v[4:5] op_sel_hi:[1,0,1]
	s_nop 0
	v_mov_b32_e32 v7, v5
	scratch_load_dwordx2 v[4:5], off, off offset:192
	v_pk_add_f32 v[2:3], v[2:3], v[6:7]
	s_waitcnt vmcnt(0)
	v_pk_add_f32 v[2:3], v[4:5], v[2:3] neg_lo:[0,1] neg_hi:[0,1]
	scratch_store_dwordx2 off, v[2:3], off offset:192
	s_and_saveexec_b64 s[0:1], vcc
	s_cbranch_execz .LBB122_321
; %bb.320:
	scratch_load_dwordx2 v[2:3], off, off offset:184
	v_mov_b32_e32 v4, 0
	v_mov_b32_e32 v5, v4
	scratch_store_dwordx2 off, v[4:5], off offset:184
	s_waitcnt vmcnt(1)
	ds_write_b64 v1, v[2:3]
.LBB122_321:
	s_or_b64 exec, exec, s[0:1]
	v_mov_b32_e32 v70, 0
	s_waitcnt lgkmcnt(0)
	; wave barrier
	ds_read_b128 v[14:17], v70 offset:672
	ds_read_b128 v[10:13], v70 offset:688
	;; [unrolled: 1-line block ×4, first 2 shown]
	scratch_load_dwordx4 v[18:21], off, off offset:192
	scratch_load_dwordx4 v[38:41], off, off offset:256
	;; [unrolled: 1-line block ×8, first 2 shown]
	v_cmp_lt_u32_e32 vcc, 22, v0
	scratch_load_dwordx4 v[46:49], off, off offset:272
	scratch_load_dwordx4 v[54:57], off, off offset:288
	;; [unrolled: 1-line block ×3, first 2 shown]
	s_waitcnt vmcnt(10) lgkmcnt(3)
	v_mul_f32_e32 v22, v14, v19
	v_fmac_f32_e32 v22, v15, v18
	v_mul_f32_e32 v23, v16, v21
	v_add_f32_e32 v22, 0, v22
	v_fmac_f32_e32 v23, v17, v20
	v_add_f32_e32 v26, v22, v23
	scratch_load_dwordx4 v[22:25], off, off offset:208
	v_mul_f32_e32 v15, v15, v19
	v_fma_f32 v14, v14, v18, -v15
	v_mul_f32_e32 v15, v17, v21
	v_add_f32_e32 v14, 0, v14
	v_fma_f32 v15, v16, v20, -v15
	v_add_f32_e32 v14, v14, v15
	s_waitcnt vmcnt(4)
	v_mov_b32_e32 v18, v115
	s_waitcnt vmcnt(0) lgkmcnt(2)
	v_mul_f32_e32 v27, v10, v23
	v_fmac_f32_e32 v27, v11, v22
	v_add_f32_e32 v26, v26, v27
	v_mul_f32_e32 v27, v12, v25
	v_fmac_f32_e32 v27, v13, v24
	v_add_f32_e32 v30, v26, v27
	scratch_load_dwordx4 v[26:29], off, off offset:224
	v_mul_f32_e32 v11, v11, v23
	v_fma_f32 v10, v10, v22, -v11
	v_mul_f32_e32 v11, v13, v25
	v_add_f32_e32 v10, v14, v10
	v_fma_f32 v11, v12, v24, -v11
	v_add_f32_e32 v10, v10, v11
	s_waitcnt vmcnt(0) lgkmcnt(1)
	v_mul_f32_e32 v31, v6, v27
	v_fmac_f32_e32 v31, v7, v26
	v_add_f32_e32 v30, v30, v31
	v_mul_f32_e32 v31, v8, v29
	v_fmac_f32_e32 v31, v9, v28
	v_add_f32_e32 v34, v30, v31
	scratch_load_dwordx4 v[30:33], off, off offset:240
	v_mul_f32_e32 v7, v7, v27
	v_fma_f32 v6, v6, v26, -v7
	v_mul_f32_e32 v7, v9, v29
	v_add_f32_e32 v6, v10, v6
	v_fma_f32 v7, v8, v28, -v7
	v_add_f32_e32 v6, v6, v7
	s_waitcnt vmcnt(0) lgkmcnt(0)
	v_mul_f32_e32 v35, v2, v31
	v_fmac_f32_e32 v35, v3, v30
	v_add_f32_e32 v34, v34, v35
	v_mul_f32_e32 v35, v4, v33
	v_fmac_f32_e32 v35, v5, v32
	v_add_f32_e32 v42, v34, v35
	ds_read_b128 v[34:37], v70 offset:736
	v_mul_f32_e32 v3, v3, v31
	v_fma_f32 v2, v2, v30, -v3
	v_mul_f32_e32 v3, v5, v33
	v_add_f32_e32 v2, v6, v2
	s_waitcnt lgkmcnt(0)
	v_mul_f32_e32 v43, v34, v39
	v_fmac_f32_e32 v43, v35, v38
	v_add_f32_e32 v42, v42, v43
	v_mul_f32_e32 v43, v36, v41
	v_fmac_f32_e32 v43, v37, v40
	v_add_f32_e32 v50, v42, v43
	ds_read_b128 v[42:45], v70 offset:752
	v_fma_f32 v3, v4, v32, -v3
	v_add_f32_e32 v2, v2, v3
	v_mul_f32_e32 v3, v35, v39
	v_fma_f32 v3, v34, v38, -v3
	s_waitcnt lgkmcnt(0)
	v_mul_f32_e32 v51, v42, v47
	v_fmac_f32_e32 v51, v43, v46
	v_add_f32_e32 v50, v50, v51
	v_mul_f32_e32 v51, v44, v49
	v_fmac_f32_e32 v51, v45, v48
	v_add_f32_e32 v58, v50, v51
	ds_read_b128 v[50:53], v70 offset:768
	v_add_f32_e32 v2, v2, v3
	v_mul_f32_e32 v3, v37, v41
	v_fma_f32 v3, v36, v40, -v3
	v_add_f32_e32 v2, v2, v3
	s_waitcnt lgkmcnt(0)
	v_mul_f32_e32 v59, v50, v55
	v_fmac_f32_e32 v59, v51, v54
	v_add_f32_e32 v58, v58, v59
	v_mul_f32_e32 v59, v52, v57
	v_fmac_f32_e32 v59, v53, v56
	v_add_f32_e32 v66, v58, v59
	ds_read_b128 v[58:61], v70 offset:784
	v_mul_f32_e32 v3, v43, v47
	v_fma_f32 v3, v42, v46, -v3
	v_add_f32_e32 v2, v2, v3
	v_mul_f32_e32 v3, v45, v49
	s_waitcnt lgkmcnt(0)
	v_mul_f32_e32 v67, v58, v63
	v_fmac_f32_e32 v67, v59, v62
	v_add_f32_e32 v66, v66, v67
	v_mul_f32_e32 v67, v60, v65
	v_fmac_f32_e32 v67, v61, v64
	v_add_f32_e32 v71, v66, v67
	ds_read_b128 v[66:69], v70 offset:800
	v_fma_f32 v3, v44, v48, -v3
	v_add_f32_e32 v2, v2, v3
	v_mul_f32_e32 v3, v51, v55
	v_fma_f32 v3, v50, v54, -v3
	s_waitcnt lgkmcnt(0)
	v_mul_f32_e32 v76, v66, v73
	v_fmac_f32_e32 v76, v67, v72
	v_add_f32_e32 v71, v71, v76
	v_mul_f32_e32 v76, v68, v75
	v_fmac_f32_e32 v76, v69, v74
	v_add_f32_e32 v71, v71, v76
	ds_read_b128 v[76:79], v70 offset:816
	v_add_f32_e32 v2, v2, v3
	v_mul_f32_e32 v3, v53, v57
	v_fma_f32 v3, v52, v56, -v3
	v_add_f32_e32 v2, v2, v3
	s_waitcnt lgkmcnt(0)
	v_mul_f32_e32 v84, v76, v81
	v_fmac_f32_e32 v84, v77, v80
	v_add_f32_e32 v71, v71, v84
	v_mul_f32_e32 v84, v78, v83
	v_fmac_f32_e32 v84, v79, v82
	v_add_f32_e32 v71, v71, v84
	ds_read_b128 v[84:87], v70 offset:832
	v_mul_f32_e32 v3, v59, v63
	v_fma_f32 v3, v58, v62, -v3
	v_add_f32_e32 v2, v2, v3
	v_mul_f32_e32 v3, v61, v65
	s_waitcnt lgkmcnt(0)
	v_mul_f32_e32 v92, v84, v89
	v_fmac_f32_e32 v92, v85, v88
	v_add_f32_e32 v71, v71, v92
	v_mul_f32_e32 v92, v86, v91
	v_fmac_f32_e32 v92, v87, v90
	v_add_f32_e32 v71, v71, v92
	ds_read_b128 v[92:95], v70 offset:848
	v_fma_f32 v3, v60, v64, -v3
	v_add_f32_e32 v2, v2, v3
	v_mul_f32_e32 v3, v67, v73
	v_fma_f32 v3, v66, v72, -v3
	s_waitcnt lgkmcnt(0)
	v_mul_f32_e32 v100, v92, v97
	v_fmac_f32_e32 v100, v93, v96
	v_add_f32_e32 v71, v71, v100
	v_mul_f32_e32 v100, v94, v99
	v_fmac_f32_e32 v100, v95, v98
	v_add_f32_e32 v71, v71, v100
	ds_read_b128 v[100:103], v70 offset:864
	v_add_f32_e32 v2, v2, v3
	v_mul_f32_e32 v3, v69, v75
	v_fma_f32 v3, v68, v74, -v3
	v_add_f32_e32 v2, v2, v3
	s_waitcnt lgkmcnt(0)
	v_mul_f32_e32 v108, v100, v105
	v_fmac_f32_e32 v108, v101, v104
	v_add_f32_e32 v129, v71, v108
	ds_read_b128 v[108:111], v70 offset:880
	scratch_load_dwordx4 v[116:119], off, off offset:416
	scratch_load_dwordx4 v[120:123], off, off offset:432
	;; [unrolled: 1-line block ×3, first 2 shown]
	scratch_load_dwordx2 v[134:135], off, off offset:464
	v_mul_f32_e32 v3, v77, v81
	v_fma_f32 v3, v76, v80, -v3
	v_add_f32_e32 v2, v2, v3
	v_mul_f32_e32 v3, v79, v83
	v_fma_f32 v3, v78, v82, -v3
	v_add_f32_e32 v2, v2, v3
	;; [unrolled: 3-line block ×7, first 2 shown]
	v_mul_f32_e32 v2, v103, v107
	v_mul_f32_e32 v131, v102, v107
	v_fma_f32 v130, v102, v106, -v2
	s_waitcnt lgkmcnt(0)
	v_mul_f32_e32 v2, v109, v113
	v_fmac_f32_e32 v131, v103, v106
	v_mul_f32_e32 v133, v108, v113
	v_fma_f32 v132, v108, v112, -v2
	ds_read_b128 v[2:5], v70 offset:896
	ds_read_b128 v[6:9], v70 offset:912
	;; [unrolled: 1-line block ×3, first 2 shown]
	ds_read_b64 v[14:15], v70 offset:944
	v_pk_mul_f32 v[18:19], v[110:111], v[18:19] op_sel:[1,0] op_sel_hi:[0,0]
	v_fmac_f32_e32 v133, v109, v112
	v_pk_add_f32 v[16:17], v[128:129], v[130:131]
	v_pk_fma_f32 v[20:21], v[110:111], v[114:115], v[18:19] neg_lo:[0,0,1] neg_hi:[0,0,1]
	v_pk_fma_f32 v[18:19], v[110:111], v[114:115], v[18:19] op_sel_hi:[1,0,1]
	v_pk_add_f32 v[16:17], v[16:17], v[132:133]
	v_mov_b32_e32 v21, v19
	v_pk_add_f32 v[16:17], v[16:17], v[20:21]
	s_waitcnt vmcnt(3) lgkmcnt(3)
	v_pk_mul_f32 v[18:19], v[2:3], v[116:117] op_sel:[1,1] op_sel_hi:[0,1]
	v_pk_fma_f32 v[20:21], v[2:3], v[116:117], v[18:19] neg_lo:[0,0,1] neg_hi:[0,0,1]
	v_pk_fma_f32 v[2:3], v[2:3], v[116:117], v[18:19] op_sel_hi:[1,0,1]
	s_nop 0
	v_mov_b32_e32 v21, v3
	v_pk_add_f32 v[2:3], v[16:17], v[20:21]
	v_mov_b32_e32 v16, v119
	v_pk_mul_f32 v[16:17], v[4:5], v[16:17] op_sel:[1,0] op_sel_hi:[0,0]
	v_pk_fma_f32 v[18:19], v[4:5], v[118:119], v[16:17] neg_lo:[0,0,1] neg_hi:[0,0,1]
	v_pk_fma_f32 v[4:5], v[4:5], v[118:119], v[16:17] op_sel_hi:[1,0,1]
	s_nop 0
	v_mov_b32_e32 v19, v5
	s_waitcnt vmcnt(2) lgkmcnt(2)
	v_pk_mul_f32 v[4:5], v[6:7], v[120:121] op_sel:[1,1] op_sel_hi:[0,1]
	v_pk_fma_f32 v[16:17], v[6:7], v[120:121], v[4:5] neg_lo:[0,0,1] neg_hi:[0,0,1]
	v_pk_fma_f32 v[4:5], v[6:7], v[120:121], v[4:5] op_sel_hi:[1,0,1]
	v_pk_add_f32 v[2:3], v[2:3], v[18:19]
	v_mov_b32_e32 v4, v123
	v_mov_b32_e32 v17, v5
	v_pk_mul_f32 v[4:5], v[8:9], v[4:5] op_sel:[1,0] op_sel_hi:[0,0]
	v_pk_fma_f32 v[6:7], v[8:9], v[122:123], v[4:5] neg_lo:[0,0,1] neg_hi:[0,0,1]
	v_pk_fma_f32 v[4:5], v[8:9], v[122:123], v[4:5] op_sel_hi:[1,0,1]
	v_pk_add_f32 v[2:3], v[2:3], v[16:17]
	v_mov_b32_e32 v7, v5
	s_waitcnt vmcnt(1) lgkmcnt(1)
	v_pk_mul_f32 v[4:5], v[10:11], v[124:125] op_sel:[1,1] op_sel_hi:[0,1]
	v_pk_add_f32 v[2:3], v[2:3], v[6:7]
	v_pk_fma_f32 v[6:7], v[10:11], v[124:125], v[4:5] neg_lo:[0,0,1] neg_hi:[0,0,1]
	v_pk_fma_f32 v[4:5], v[10:11], v[124:125], v[4:5] op_sel_hi:[1,0,1]
	s_nop 0
	v_mov_b32_e32 v4, v127
	v_mov_b32_e32 v7, v5
	v_pk_mul_f32 v[4:5], v[12:13], v[4:5] op_sel:[1,0] op_sel_hi:[0,0]
	v_pk_add_f32 v[2:3], v[2:3], v[6:7]
	v_pk_fma_f32 v[6:7], v[12:13], v[126:127], v[4:5] neg_lo:[0,0,1] neg_hi:[0,0,1]
	v_pk_fma_f32 v[4:5], v[12:13], v[126:127], v[4:5] op_sel_hi:[1,0,1]
	s_nop 0
	v_mov_b32_e32 v7, v5
	s_waitcnt vmcnt(0) lgkmcnt(0)
	v_pk_mul_f32 v[4:5], v[14:15], v[134:135] op_sel:[1,1] op_sel_hi:[0,1]
	v_pk_add_f32 v[2:3], v[2:3], v[6:7]
	v_pk_fma_f32 v[6:7], v[14:15], v[134:135], v[4:5] neg_lo:[0,0,1] neg_hi:[0,0,1]
	v_pk_fma_f32 v[4:5], v[14:15], v[134:135], v[4:5] op_sel_hi:[1,0,1]
	s_nop 0
	v_mov_b32_e32 v7, v5
	scratch_load_dwordx2 v[4:5], off, off offset:184
	v_pk_add_f32 v[2:3], v[2:3], v[6:7]
	s_waitcnt vmcnt(0)
	v_pk_add_f32 v[2:3], v[4:5], v[2:3] neg_lo:[0,1] neg_hi:[0,1]
	scratch_store_dwordx2 off, v[2:3], off offset:184
	s_and_saveexec_b64 s[0:1], vcc
	s_cbranch_execz .LBB122_323
; %bb.322:
	scratch_load_dwordx2 v[2:3], off, off offset:176
	v_mov_b32_e32 v71, v70
	scratch_store_dwordx2 off, v[70:71], off offset:176
	s_waitcnt vmcnt(1)
	ds_write_b64 v1, v[2:3]
.LBB122_323:
	s_or_b64 exec, exec, s[0:1]
	s_waitcnt lgkmcnt(0)
	; wave barrier
	scratch_load_dwordx4 v[6:9], off, off offset:184
	scratch_load_dwordx4 v[14:17], off, off offset:200
	;; [unrolled: 1-line block ×10, first 2 shown]
	ds_read2_b64 v[2:5], v70 offset0:83 offset1:84
	scratch_load_dwordx4 v[88:91], off, off offset:344
	scratch_load_dwordx4 v[96:99], off, off offset:360
	;; [unrolled: 1-line block ×4, first 2 shown]
	v_cmp_lt_u32_e32 vcc, 21, v0
	s_waitcnt vmcnt(13) lgkmcnt(0)
	v_mul_f32_e32 v10, v2, v7
	v_fmac_f32_e32 v10, v3, v6
	v_mul_f32_e32 v11, v4, v9
	v_add_f32_e32 v10, 0, v10
	v_fmac_f32_e32 v11, v5, v8
	v_add_f32_e32 v18, v10, v11
	ds_read2_b64 v[10:13], v70 offset0:85 offset1:86
	v_mul_f32_e32 v3, v3, v7
	v_fma_f32 v2, v2, v6, -v3
	v_mul_f32_e32 v3, v5, v9
	v_add_f32_e32 v2, 0, v2
	s_waitcnt vmcnt(12) lgkmcnt(0)
	v_mul_f32_e32 v19, v10, v15
	v_fmac_f32_e32 v19, v11, v14
	v_add_f32_e32 v18, v18, v19
	v_mul_f32_e32 v19, v12, v17
	v_fmac_f32_e32 v19, v13, v16
	v_add_f32_e32 v26, v18, v19
	ds_read2_b64 v[18:21], v70 offset0:87 offset1:88
	v_fma_f32 v3, v4, v8, -v3
	v_add_f32_e32 v2, v2, v3
	v_mul_f32_e32 v3, v11, v15
	v_fma_f32 v3, v10, v14, -v3
	s_waitcnt vmcnt(11) lgkmcnt(0)
	v_mul_f32_e32 v27, v18, v23
	v_fmac_f32_e32 v27, v19, v22
	v_add_f32_e32 v26, v26, v27
	v_mul_f32_e32 v27, v20, v25
	v_fmac_f32_e32 v27, v21, v24
	v_add_f32_e32 v34, v26, v27
	ds_read2_b64 v[26:29], v70 offset0:89 offset1:90
	v_add_f32_e32 v2, v2, v3
	v_mul_f32_e32 v3, v13, v17
	v_fma_f32 v3, v12, v16, -v3
	v_add_f32_e32 v2, v2, v3
	s_waitcnt vmcnt(10) lgkmcnt(0)
	v_mul_f32_e32 v35, v26, v31
	v_fmac_f32_e32 v35, v27, v30
	v_add_f32_e32 v34, v34, v35
	v_mul_f32_e32 v35, v28, v33
	v_fmac_f32_e32 v35, v29, v32
	v_add_f32_e32 v42, v34, v35
	ds_read2_b64 v[34:37], v70 offset0:91 offset1:92
	v_mul_f32_e32 v3, v19, v23
	v_fma_f32 v3, v18, v22, -v3
	v_add_f32_e32 v2, v2, v3
	v_mul_f32_e32 v3, v21, v25
	s_waitcnt vmcnt(9) lgkmcnt(0)
	v_mul_f32_e32 v43, v34, v39
	v_fmac_f32_e32 v43, v35, v38
	v_add_f32_e32 v42, v42, v43
	v_mul_f32_e32 v43, v36, v41
	v_fmac_f32_e32 v43, v37, v40
	v_add_f32_e32 v50, v42, v43
	ds_read2_b64 v[42:45], v70 offset0:93 offset1:94
	v_fma_f32 v3, v20, v24, -v3
	v_add_f32_e32 v2, v2, v3
	v_mul_f32_e32 v3, v27, v31
	v_fma_f32 v3, v26, v30, -v3
	s_waitcnt vmcnt(8) lgkmcnt(0)
	v_mul_f32_e32 v51, v42, v47
	v_fmac_f32_e32 v51, v43, v46
	v_add_f32_e32 v50, v50, v51
	v_mul_f32_e32 v51, v44, v49
	v_fmac_f32_e32 v51, v45, v48
	v_add_f32_e32 v58, v50, v51
	ds_read2_b64 v[50:53], v70 offset0:95 offset1:96
	v_add_f32_e32 v2, v2, v3
	v_mul_f32_e32 v3, v29, v33
	v_fma_f32 v3, v28, v32, -v3
	v_add_f32_e32 v2, v2, v3
	s_waitcnt vmcnt(7) lgkmcnt(0)
	v_mul_f32_e32 v59, v50, v55
	v_fmac_f32_e32 v59, v51, v54
	v_add_f32_e32 v58, v58, v59
	v_mul_f32_e32 v59, v52, v57
	v_fmac_f32_e32 v59, v53, v56
	v_add_f32_e32 v66, v58, v59
	ds_read2_b64 v[58:61], v70 offset0:97 offset1:98
	v_mul_f32_e32 v3, v35, v39
	v_fma_f32 v3, v34, v38, -v3
	v_add_f32_e32 v2, v2, v3
	v_mul_f32_e32 v3, v37, v41
	;; [unrolled: 36-line block ×3, first 2 shown]
	s_waitcnt vmcnt(3) lgkmcnt(0)
	v_mul_f32_e32 v92, v84, v89
	v_fmac_f32_e32 v92, v85, v88
	v_add_f32_e32 v71, v71, v92
	v_mul_f32_e32 v92, v86, v91
	v_fmac_f32_e32 v92, v87, v90
	v_add_f32_e32 v71, v71, v92
	ds_read2_b64 v[92:95], v70 offset0:105 offset1:106
	v_fma_f32 v3, v52, v56, -v3
	v_add_f32_e32 v2, v2, v3
	v_mul_f32_e32 v3, v59, v63
	v_fma_f32 v3, v58, v62, -v3
	s_waitcnt vmcnt(2) lgkmcnt(0)
	v_mul_f32_e32 v100, v92, v97
	v_fmac_f32_e32 v100, v93, v96
	v_add_f32_e32 v71, v71, v100
	v_mul_f32_e32 v100, v94, v99
	v_fmac_f32_e32 v100, v95, v98
	v_add_f32_e32 v71, v71, v100
	ds_read2_b64 v[100:103], v70 offset0:107 offset1:108
	v_add_f32_e32 v2, v2, v3
	v_mul_f32_e32 v3, v61, v65
	v_fma_f32 v3, v60, v64, -v3
	v_add_f32_e32 v2, v2, v3
	s_waitcnt vmcnt(1) lgkmcnt(0)
	v_mul_f32_e32 v108, v100, v105
	v_fmac_f32_e32 v108, v101, v104
	v_add_f32_e32 v71, v71, v108
	v_mul_f32_e32 v108, v102, v107
	v_fmac_f32_e32 v108, v103, v106
	v_add_f32_e32 v133, v71, v108
	ds_read2_b64 v[108:111], v70 offset0:109 offset1:110
	scratch_load_dwordx4 v[116:119], off, off offset:408
	scratch_load_dwordx4 v[120:123], off, off offset:424
	;; [unrolled: 1-line block ×4, first 2 shown]
	v_mul_f32_e32 v3, v67, v73
	v_fma_f32 v3, v66, v72, -v3
	v_add_f32_e32 v2, v2, v3
	v_mul_f32_e32 v3, v69, v75
	v_fma_f32 v3, v68, v74, -v3
	v_add_f32_e32 v2, v2, v3
	v_mul_f32_e32 v3, v77, v81
	v_fma_f32 v3, v76, v80, -v3
	v_add_f32_e32 v2, v2, v3
	v_mul_f32_e32 v3, v79, v83
	v_fma_f32 v3, v78, v82, -v3
	v_add_f32_e32 v2, v2, v3
	v_mul_f32_e32 v3, v85, v89
	v_fma_f32 v3, v84, v88, -v3
	v_add_f32_e32 v2, v2, v3
	v_mul_f32_e32 v3, v87, v91
	v_fma_f32 v3, v86, v90, -v3
	v_add_f32_e32 v2, v2, v3
	v_mul_f32_e32 v3, v93, v97
	v_fma_f32 v3, v92, v96, -v3
	v_add_f32_e32 v2, v2, v3
	v_mul_f32_e32 v3, v95, v99
	v_fma_f32 v3, v94, v98, -v3
	v_add_f32_e32 v2, v2, v3
	v_mul_f32_e32 v3, v101, v105
	v_fma_f32 v3, v100, v104, -v3
	v_add_f32_e32 v2, v2, v3
	v_mul_f32_e32 v3, v103, v107
	v_fma_f32 v3, v102, v106, -v3
	v_add_f32_e32 v132, v2, v3
	s_waitcnt vmcnt(4) lgkmcnt(0)
	v_mul_f32_e32 v2, v109, v113
	v_fma_f32 v134, v108, v112, -v2
	v_mul_f32_e32 v2, v111, v115
	v_fma_f32 v136, v110, v114, -v2
	ds_read2_b64 v[2:5], v70 offset0:111 offset1:112
	ds_read2_b64 v[6:9], v70 offset0:113 offset1:114
	ds_read2_b64 v[10:13], v70 offset0:115 offset1:116
	ds_read2_b64 v[14:17], v70 offset0:117 offset1:118
	v_mul_f32_e32 v135, v108, v113
	v_fmac_f32_e32 v135, v109, v112
	v_mul_f32_e32 v137, v110, v115
	v_fmac_f32_e32 v137, v111, v114
	v_pk_add_f32 v[18:19], v[132:133], v[134:135]
	s_waitcnt vmcnt(3) lgkmcnt(3)
	v_pk_mul_f32 v[20:21], v[2:3], v[116:117] op_sel:[1,1] op_sel_hi:[0,1]
	v_pk_fma_f32 v[22:23], v[2:3], v[116:117], v[20:21] neg_lo:[0,0,1] neg_hi:[0,0,1]
	v_pk_fma_f32 v[2:3], v[2:3], v[116:117], v[20:21] op_sel_hi:[1,0,1]
	v_pk_add_f32 v[18:19], v[18:19], v[136:137]
	v_mov_b32_e32 v23, v3
	v_pk_add_f32 v[2:3], v[18:19], v[22:23]
	v_mov_b32_e32 v18, v119
	v_pk_mul_f32 v[18:19], v[4:5], v[18:19] op_sel:[1,0] op_sel_hi:[0,0]
	v_pk_fma_f32 v[20:21], v[4:5], v[118:119], v[18:19] neg_lo:[0,0,1] neg_hi:[0,0,1]
	v_pk_fma_f32 v[4:5], v[4:5], v[118:119], v[18:19] op_sel_hi:[1,0,1]
	s_nop 0
	v_mov_b32_e32 v21, v5
	s_waitcnt vmcnt(2) lgkmcnt(2)
	v_pk_mul_f32 v[4:5], v[6:7], v[120:121] op_sel:[1,1] op_sel_hi:[0,1]
	v_pk_fma_f32 v[18:19], v[6:7], v[120:121], v[4:5] neg_lo:[0,0,1] neg_hi:[0,0,1]
	v_pk_fma_f32 v[4:5], v[6:7], v[120:121], v[4:5] op_sel_hi:[1,0,1]
	v_pk_add_f32 v[2:3], v[2:3], v[20:21]
	v_mov_b32_e32 v4, v123
	v_mov_b32_e32 v19, v5
	v_pk_mul_f32 v[4:5], v[8:9], v[4:5] op_sel:[1,0] op_sel_hi:[0,0]
	v_pk_fma_f32 v[6:7], v[8:9], v[122:123], v[4:5] neg_lo:[0,0,1] neg_hi:[0,0,1]
	v_pk_fma_f32 v[4:5], v[8:9], v[122:123], v[4:5] op_sel_hi:[1,0,1]
	v_pk_add_f32 v[2:3], v[2:3], v[18:19]
	v_mov_b32_e32 v7, v5
	s_waitcnt vmcnt(1) lgkmcnt(1)
	v_pk_mul_f32 v[4:5], v[10:11], v[124:125] op_sel:[1,1] op_sel_hi:[0,1]
	v_pk_add_f32 v[2:3], v[2:3], v[6:7]
	v_pk_fma_f32 v[6:7], v[10:11], v[124:125], v[4:5] neg_lo:[0,0,1] neg_hi:[0,0,1]
	v_pk_fma_f32 v[4:5], v[10:11], v[124:125], v[4:5] op_sel_hi:[1,0,1]
	s_nop 0
	v_mov_b32_e32 v4, v127
	v_mov_b32_e32 v7, v5
	v_pk_mul_f32 v[4:5], v[12:13], v[4:5] op_sel:[1,0] op_sel_hi:[0,0]
	v_pk_add_f32 v[2:3], v[2:3], v[6:7]
	v_pk_fma_f32 v[6:7], v[12:13], v[126:127], v[4:5] neg_lo:[0,0,1] neg_hi:[0,0,1]
	v_pk_fma_f32 v[4:5], v[12:13], v[126:127], v[4:5] op_sel_hi:[1,0,1]
	s_nop 0
	v_mov_b32_e32 v7, v5
	s_waitcnt vmcnt(0) lgkmcnt(0)
	v_pk_mul_f32 v[4:5], v[14:15], v[128:129] op_sel:[1,1] op_sel_hi:[0,1]
	v_pk_add_f32 v[2:3], v[2:3], v[6:7]
	v_pk_fma_f32 v[6:7], v[14:15], v[128:129], v[4:5] neg_lo:[0,0,1] neg_hi:[0,0,1]
	v_pk_fma_f32 v[4:5], v[14:15], v[128:129], v[4:5] op_sel_hi:[1,0,1]
	s_nop 0
	v_mov_b32_e32 v4, v131
	v_mov_b32_e32 v7, v5
	v_pk_mul_f32 v[4:5], v[16:17], v[4:5] op_sel:[1,0] op_sel_hi:[0,0]
	v_pk_add_f32 v[2:3], v[2:3], v[6:7]
	v_pk_fma_f32 v[6:7], v[16:17], v[130:131], v[4:5] neg_lo:[0,0,1] neg_hi:[0,0,1]
	v_pk_fma_f32 v[4:5], v[16:17], v[130:131], v[4:5] op_sel_hi:[1,0,1]
	s_nop 0
	v_mov_b32_e32 v7, v5
	scratch_load_dwordx2 v[4:5], off, off offset:176
	v_pk_add_f32 v[2:3], v[2:3], v[6:7]
	s_waitcnt vmcnt(0)
	v_pk_add_f32 v[2:3], v[4:5], v[2:3] neg_lo:[0,1] neg_hi:[0,1]
	scratch_store_dwordx2 off, v[2:3], off offset:176
	s_and_saveexec_b64 s[0:1], vcc
	s_cbranch_execz .LBB122_325
; %bb.324:
	scratch_load_dwordx2 v[2:3], off, off offset:168
	v_mov_b32_e32 v4, 0
	v_mov_b32_e32 v5, v4
	scratch_store_dwordx2 off, v[4:5], off offset:168
	s_waitcnt vmcnt(1)
	ds_write_b64 v1, v[2:3]
.LBB122_325:
	s_or_b64 exec, exec, s[0:1]
	v_mov_b32_e32 v86, 0
	s_waitcnt lgkmcnt(0)
	; wave barrier
	ds_read_b128 v[14:17], v86 offset:656
	ds_read_b128 v[10:13], v86 offset:672
	;; [unrolled: 1-line block ×4, first 2 shown]
	scratch_load_dwordx4 v[18:21], off, off offset:176
	scratch_load_dwordx4 v[38:41], off, off offset:240
	scratch_load_dwordx4 v[70:73], off, off offset:304
	scratch_load_dwordx4 v[78:81], off, off offset:320
	scratch_load_dwordx4 v[88:91], off, off offset:336
	scratch_load_dwordx4 v[96:99], off, off offset:352
	scratch_load_dwordx4 v[104:107], off, off offset:368
	scratch_load_dwordx4 v[112:115], off, off offset:384
	scratch_load_dwordx4 v[120:123], off, off offset:400
	v_cmp_lt_u32_e32 vcc, 20, v0
	scratch_load_dwordx4 v[46:49], off, off offset:256
	scratch_load_dwordx4 v[54:57], off, off offset:272
	;; [unrolled: 1-line block ×3, first 2 shown]
	s_waitcnt vmcnt(11) lgkmcnt(3)
	v_mul_f32_e32 v22, v14, v19
	v_fmac_f32_e32 v22, v15, v18
	v_mul_f32_e32 v23, v16, v21
	v_add_f32_e32 v22, 0, v22
	v_fmac_f32_e32 v23, v17, v20
	v_add_f32_e32 v26, v22, v23
	scratch_load_dwordx4 v[22:25], off, off offset:192
	v_mul_f32_e32 v15, v15, v19
	v_fma_f32 v14, v14, v18, -v15
	v_mul_f32_e32 v15, v17, v21
	v_add_f32_e32 v14, 0, v14
	v_fma_f32 v15, v16, v20, -v15
	v_add_f32_e32 v14, v14, v15
	s_waitcnt vmcnt(4)
	v_mov_b32_e32 v18, v123
	s_waitcnt vmcnt(0) lgkmcnt(2)
	v_mul_f32_e32 v27, v10, v23
	v_fmac_f32_e32 v27, v11, v22
	v_add_f32_e32 v26, v26, v27
	v_mul_f32_e32 v27, v12, v25
	v_fmac_f32_e32 v27, v13, v24
	v_add_f32_e32 v30, v26, v27
	scratch_load_dwordx4 v[26:29], off, off offset:208
	v_mul_f32_e32 v11, v11, v23
	v_fma_f32 v10, v10, v22, -v11
	v_mul_f32_e32 v11, v13, v25
	v_add_f32_e32 v10, v14, v10
	v_fma_f32 v11, v12, v24, -v11
	v_add_f32_e32 v10, v10, v11
	s_waitcnt vmcnt(0) lgkmcnt(1)
	v_mul_f32_e32 v31, v6, v27
	v_fmac_f32_e32 v31, v7, v26
	v_add_f32_e32 v30, v30, v31
	v_mul_f32_e32 v31, v8, v29
	v_fmac_f32_e32 v31, v9, v28
	v_add_f32_e32 v34, v30, v31
	scratch_load_dwordx4 v[30:33], off, off offset:224
	v_mul_f32_e32 v7, v7, v27
	v_fma_f32 v6, v6, v26, -v7
	v_mul_f32_e32 v7, v9, v29
	v_add_f32_e32 v6, v10, v6
	v_fma_f32 v7, v8, v28, -v7
	v_add_f32_e32 v6, v6, v7
	s_waitcnt vmcnt(0) lgkmcnt(0)
	v_mul_f32_e32 v35, v2, v31
	v_fmac_f32_e32 v35, v3, v30
	v_add_f32_e32 v34, v34, v35
	v_mul_f32_e32 v35, v4, v33
	v_fmac_f32_e32 v35, v5, v32
	v_add_f32_e32 v42, v34, v35
	ds_read_b128 v[34:37], v86 offset:720
	v_mul_f32_e32 v3, v3, v31
	v_fma_f32 v2, v2, v30, -v3
	v_mul_f32_e32 v3, v5, v33
	v_add_f32_e32 v2, v6, v2
	s_waitcnt lgkmcnt(0)
	v_mul_f32_e32 v43, v34, v39
	v_fmac_f32_e32 v43, v35, v38
	v_add_f32_e32 v42, v42, v43
	v_mul_f32_e32 v43, v36, v41
	v_fmac_f32_e32 v43, v37, v40
	v_add_f32_e32 v50, v42, v43
	ds_read_b128 v[42:45], v86 offset:736
	v_fma_f32 v3, v4, v32, -v3
	v_add_f32_e32 v2, v2, v3
	v_mul_f32_e32 v3, v35, v39
	v_fma_f32 v3, v34, v38, -v3
	s_waitcnt lgkmcnt(0)
	v_mul_f32_e32 v51, v42, v47
	v_fmac_f32_e32 v51, v43, v46
	v_add_f32_e32 v50, v50, v51
	v_mul_f32_e32 v51, v44, v49
	v_fmac_f32_e32 v51, v45, v48
	v_add_f32_e32 v58, v50, v51
	ds_read_b128 v[50:53], v86 offset:752
	v_add_f32_e32 v2, v2, v3
	v_mul_f32_e32 v3, v37, v41
	v_fma_f32 v3, v36, v40, -v3
	v_add_f32_e32 v2, v2, v3
	s_waitcnt lgkmcnt(0)
	v_mul_f32_e32 v59, v50, v55
	v_fmac_f32_e32 v59, v51, v54
	v_add_f32_e32 v58, v58, v59
	v_mul_f32_e32 v59, v52, v57
	v_fmac_f32_e32 v59, v53, v56
	v_add_f32_e32 v66, v58, v59
	ds_read_b128 v[58:61], v86 offset:768
	v_mul_f32_e32 v3, v43, v47
	v_fma_f32 v3, v42, v46, -v3
	v_add_f32_e32 v2, v2, v3
	v_mul_f32_e32 v3, v45, v49
	s_waitcnt lgkmcnt(0)
	v_mul_f32_e32 v67, v58, v63
	v_fmac_f32_e32 v67, v59, v62
	v_add_f32_e32 v66, v66, v67
	v_mul_f32_e32 v67, v60, v65
	v_fmac_f32_e32 v67, v61, v64
	v_add_f32_e32 v74, v66, v67
	ds_read_b128 v[66:69], v86 offset:784
	v_fma_f32 v3, v44, v48, -v3
	v_add_f32_e32 v2, v2, v3
	v_mul_f32_e32 v3, v51, v55
	v_fma_f32 v3, v50, v54, -v3
	s_waitcnt lgkmcnt(0)
	v_mul_f32_e32 v75, v66, v71
	v_fmac_f32_e32 v75, v67, v70
	v_add_f32_e32 v74, v74, v75
	v_mul_f32_e32 v75, v68, v73
	v_fmac_f32_e32 v75, v69, v72
	v_add_f32_e32 v82, v74, v75
	ds_read_b128 v[74:77], v86 offset:800
	v_add_f32_e32 v2, v2, v3
	v_mul_f32_e32 v3, v53, v57
	v_fma_f32 v3, v52, v56, -v3
	v_add_f32_e32 v2, v2, v3
	s_waitcnt lgkmcnt(0)
	v_mul_f32_e32 v83, v74, v79
	v_fmac_f32_e32 v83, v75, v78
	v_add_f32_e32 v82, v82, v83
	v_mul_f32_e32 v83, v76, v81
	v_fmac_f32_e32 v83, v77, v80
	v_add_f32_e32 v87, v82, v83
	ds_read_b128 v[82:85], v86 offset:816
	v_mul_f32_e32 v3, v59, v63
	v_fma_f32 v3, v58, v62, -v3
	v_add_f32_e32 v2, v2, v3
	v_mul_f32_e32 v3, v61, v65
	;; [unrolled: 36-line block ×3, first 2 shown]
	s_waitcnt lgkmcnt(0)
	v_mul_f32_e32 v116, v108, v113
	v_fmac_f32_e32 v116, v109, v112
	v_add_f32_e32 v137, v87, v116
	ds_read_b128 v[116:119], v86 offset:880
	scratch_load_dwordx4 v[124:127], off, off offset:416
	scratch_load_dwordx4 v[128:131], off, off offset:432
	;; [unrolled: 1-line block ×3, first 2 shown]
	scratch_load_dwordx2 v[142:143], off, off offset:464
	v_fma_f32 v3, v76, v80, -v3
	v_add_f32_e32 v2, v2, v3
	v_mul_f32_e32 v3, v83, v89
	v_fma_f32 v3, v82, v88, -v3
	v_add_f32_e32 v2, v2, v3
	v_mul_f32_e32 v3, v85, v91
	;; [unrolled: 3-line block ×8, first 2 shown]
	v_mul_f32_e32 v139, v110, v115
	v_fma_f32 v138, v110, v114, -v2
	s_waitcnt lgkmcnt(0)
	v_mul_f32_e32 v2, v117, v121
	v_fmac_f32_e32 v139, v111, v114
	v_mul_f32_e32 v141, v116, v121
	v_fma_f32 v140, v116, v120, -v2
	ds_read_b128 v[2:5], v86 offset:896
	ds_read_b128 v[6:9], v86 offset:912
	;; [unrolled: 1-line block ×3, first 2 shown]
	ds_read_b64 v[14:15], v86 offset:944
	v_pk_mul_f32 v[18:19], v[118:119], v[18:19] op_sel:[1,0] op_sel_hi:[0,0]
	v_fmac_f32_e32 v141, v117, v120
	v_pk_add_f32 v[16:17], v[136:137], v[138:139]
	v_pk_fma_f32 v[20:21], v[118:119], v[122:123], v[18:19] neg_lo:[0,0,1] neg_hi:[0,0,1]
	v_pk_fma_f32 v[18:19], v[118:119], v[122:123], v[18:19] op_sel_hi:[1,0,1]
	v_pk_add_f32 v[16:17], v[16:17], v[140:141]
	v_mov_b32_e32 v21, v19
	v_pk_add_f32 v[16:17], v[16:17], v[20:21]
	s_waitcnt vmcnt(3) lgkmcnt(3)
	v_pk_mul_f32 v[18:19], v[2:3], v[124:125] op_sel:[1,1] op_sel_hi:[0,1]
	v_pk_fma_f32 v[20:21], v[2:3], v[124:125], v[18:19] neg_lo:[0,0,1] neg_hi:[0,0,1]
	v_pk_fma_f32 v[2:3], v[2:3], v[124:125], v[18:19] op_sel_hi:[1,0,1]
	s_nop 0
	v_mov_b32_e32 v21, v3
	v_pk_add_f32 v[2:3], v[16:17], v[20:21]
	v_mov_b32_e32 v16, v127
	v_pk_mul_f32 v[16:17], v[4:5], v[16:17] op_sel:[1,0] op_sel_hi:[0,0]
	v_pk_fma_f32 v[18:19], v[4:5], v[126:127], v[16:17] neg_lo:[0,0,1] neg_hi:[0,0,1]
	v_pk_fma_f32 v[4:5], v[4:5], v[126:127], v[16:17] op_sel_hi:[1,0,1]
	s_nop 0
	v_mov_b32_e32 v19, v5
	s_waitcnt vmcnt(2) lgkmcnt(2)
	v_pk_mul_f32 v[4:5], v[6:7], v[128:129] op_sel:[1,1] op_sel_hi:[0,1]
	v_pk_fma_f32 v[16:17], v[6:7], v[128:129], v[4:5] neg_lo:[0,0,1] neg_hi:[0,0,1]
	v_pk_fma_f32 v[4:5], v[6:7], v[128:129], v[4:5] op_sel_hi:[1,0,1]
	v_pk_add_f32 v[2:3], v[2:3], v[18:19]
	v_mov_b32_e32 v4, v131
	v_mov_b32_e32 v17, v5
	v_pk_mul_f32 v[4:5], v[8:9], v[4:5] op_sel:[1,0] op_sel_hi:[0,0]
	v_pk_fma_f32 v[6:7], v[8:9], v[130:131], v[4:5] neg_lo:[0,0,1] neg_hi:[0,0,1]
	v_pk_fma_f32 v[4:5], v[8:9], v[130:131], v[4:5] op_sel_hi:[1,0,1]
	v_pk_add_f32 v[2:3], v[2:3], v[16:17]
	v_mov_b32_e32 v7, v5
	s_waitcnt vmcnt(1) lgkmcnt(1)
	v_pk_mul_f32 v[4:5], v[10:11], v[132:133] op_sel:[1,1] op_sel_hi:[0,1]
	v_pk_add_f32 v[2:3], v[2:3], v[6:7]
	v_pk_fma_f32 v[6:7], v[10:11], v[132:133], v[4:5] neg_lo:[0,0,1] neg_hi:[0,0,1]
	v_pk_fma_f32 v[4:5], v[10:11], v[132:133], v[4:5] op_sel_hi:[1,0,1]
	s_nop 0
	v_mov_b32_e32 v4, v135
	v_mov_b32_e32 v7, v5
	v_pk_mul_f32 v[4:5], v[12:13], v[4:5] op_sel:[1,0] op_sel_hi:[0,0]
	v_pk_add_f32 v[2:3], v[2:3], v[6:7]
	v_pk_fma_f32 v[6:7], v[12:13], v[134:135], v[4:5] neg_lo:[0,0,1] neg_hi:[0,0,1]
	v_pk_fma_f32 v[4:5], v[12:13], v[134:135], v[4:5] op_sel_hi:[1,0,1]
	s_nop 0
	v_mov_b32_e32 v7, v5
	s_waitcnt vmcnt(0) lgkmcnt(0)
	v_pk_mul_f32 v[4:5], v[14:15], v[142:143] op_sel:[1,1] op_sel_hi:[0,1]
	v_pk_add_f32 v[2:3], v[2:3], v[6:7]
	v_pk_fma_f32 v[6:7], v[14:15], v[142:143], v[4:5] neg_lo:[0,0,1] neg_hi:[0,0,1]
	v_pk_fma_f32 v[4:5], v[14:15], v[142:143], v[4:5] op_sel_hi:[1,0,1]
	s_nop 0
	v_mov_b32_e32 v7, v5
	scratch_load_dwordx2 v[4:5], off, off offset:168
	v_pk_add_f32 v[2:3], v[2:3], v[6:7]
	s_waitcnt vmcnt(0)
	v_pk_add_f32 v[2:3], v[4:5], v[2:3] neg_lo:[0,1] neg_hi:[0,1]
	scratch_store_dwordx2 off, v[2:3], off offset:168
	s_and_saveexec_b64 s[0:1], vcc
	s_cbranch_execz .LBB122_327
; %bb.326:
	scratch_load_dwordx2 v[2:3], off, off offset:160
	v_mov_b32_e32 v87, v86
	scratch_store_dwordx2 off, v[86:87], off offset:160
	s_waitcnt vmcnt(1)
	ds_write_b64 v1, v[2:3]
.LBB122_327:
	s_or_b64 exec, exec, s[0:1]
	s_waitcnt lgkmcnt(0)
	; wave barrier
	scratch_load_dwordx4 v[6:9], off, off offset:168
	scratch_load_dwordx4 v[14:17], off, off offset:184
	;; [unrolled: 1-line block ×10, first 2 shown]
	ds_read2_b64 v[2:5], v86 offset0:81 offset1:82
	scratch_load_dwordx4 v[88:91], off, off offset:328
	scratch_load_dwordx4 v[96:99], off, off offset:344
	;; [unrolled: 1-line block ×5, first 2 shown]
	v_cmp_lt_u32_e32 vcc, 19, v0
	s_waitcnt vmcnt(14) lgkmcnt(0)
	v_mul_f32_e32 v10, v2, v7
	v_fmac_f32_e32 v10, v3, v6
	v_mul_f32_e32 v11, v4, v9
	v_add_f32_e32 v10, 0, v10
	v_fmac_f32_e32 v11, v5, v8
	v_add_f32_e32 v18, v10, v11
	ds_read2_b64 v[10:13], v86 offset0:83 offset1:84
	v_mul_f32_e32 v3, v3, v7
	v_fma_f32 v2, v2, v6, -v3
	v_mul_f32_e32 v3, v5, v9
	v_add_f32_e32 v2, 0, v2
	s_waitcnt vmcnt(13) lgkmcnt(0)
	v_mul_f32_e32 v19, v10, v15
	v_fmac_f32_e32 v19, v11, v14
	v_add_f32_e32 v18, v18, v19
	v_mul_f32_e32 v19, v12, v17
	v_fmac_f32_e32 v19, v13, v16
	v_add_f32_e32 v26, v18, v19
	ds_read2_b64 v[18:21], v86 offset0:85 offset1:86
	v_fma_f32 v3, v4, v8, -v3
	v_add_f32_e32 v2, v2, v3
	v_mul_f32_e32 v3, v11, v15
	v_fma_f32 v3, v10, v14, -v3
	s_waitcnt vmcnt(12) lgkmcnt(0)
	v_mul_f32_e32 v27, v18, v23
	v_fmac_f32_e32 v27, v19, v22
	v_add_f32_e32 v26, v26, v27
	v_mul_f32_e32 v27, v20, v25
	v_fmac_f32_e32 v27, v21, v24
	v_add_f32_e32 v34, v26, v27
	ds_read2_b64 v[26:29], v86 offset0:87 offset1:88
	v_add_f32_e32 v2, v2, v3
	v_mul_f32_e32 v3, v13, v17
	v_fma_f32 v3, v12, v16, -v3
	v_add_f32_e32 v2, v2, v3
	s_waitcnt vmcnt(11) lgkmcnt(0)
	v_mul_f32_e32 v35, v26, v31
	v_fmac_f32_e32 v35, v27, v30
	v_add_f32_e32 v34, v34, v35
	v_mul_f32_e32 v35, v28, v33
	v_fmac_f32_e32 v35, v29, v32
	v_add_f32_e32 v42, v34, v35
	ds_read2_b64 v[34:37], v86 offset0:89 offset1:90
	v_mul_f32_e32 v3, v19, v23
	v_fma_f32 v3, v18, v22, -v3
	v_add_f32_e32 v2, v2, v3
	v_mul_f32_e32 v3, v21, v25
	s_waitcnt vmcnt(10) lgkmcnt(0)
	v_mul_f32_e32 v43, v34, v39
	v_fmac_f32_e32 v43, v35, v38
	v_add_f32_e32 v42, v42, v43
	v_mul_f32_e32 v43, v36, v41
	v_fmac_f32_e32 v43, v37, v40
	v_add_f32_e32 v50, v42, v43
	ds_read2_b64 v[42:45], v86 offset0:91 offset1:92
	v_fma_f32 v3, v20, v24, -v3
	v_add_f32_e32 v2, v2, v3
	v_mul_f32_e32 v3, v27, v31
	v_fma_f32 v3, v26, v30, -v3
	s_waitcnt vmcnt(9) lgkmcnt(0)
	v_mul_f32_e32 v51, v42, v47
	v_fmac_f32_e32 v51, v43, v46
	v_add_f32_e32 v50, v50, v51
	v_mul_f32_e32 v51, v44, v49
	v_fmac_f32_e32 v51, v45, v48
	v_add_f32_e32 v58, v50, v51
	ds_read2_b64 v[50:53], v86 offset0:93 offset1:94
	v_add_f32_e32 v2, v2, v3
	v_mul_f32_e32 v3, v29, v33
	v_fma_f32 v3, v28, v32, -v3
	v_add_f32_e32 v2, v2, v3
	s_waitcnt vmcnt(8) lgkmcnt(0)
	v_mul_f32_e32 v59, v50, v55
	v_fmac_f32_e32 v59, v51, v54
	v_add_f32_e32 v58, v58, v59
	v_mul_f32_e32 v59, v52, v57
	v_fmac_f32_e32 v59, v53, v56
	v_add_f32_e32 v66, v58, v59
	ds_read2_b64 v[58:61], v86 offset0:95 offset1:96
	v_mul_f32_e32 v3, v35, v39
	v_fma_f32 v3, v34, v38, -v3
	v_add_f32_e32 v2, v2, v3
	v_mul_f32_e32 v3, v37, v41
	;; [unrolled: 36-line block ×4, first 2 shown]
	s_waitcnt vmcnt(1) lgkmcnt(0)
	v_mul_f32_e32 v116, v108, v113
	v_fmac_f32_e32 v116, v109, v112
	v_add_f32_e32 v87, v87, v116
	v_mul_f32_e32 v116, v110, v115
	v_fmac_f32_e32 v116, v111, v114
	v_add_f32_e32 v141, v87, v116
	ds_read2_b64 v[116:119], v86 offset0:109 offset1:110
	scratch_load_dwordx4 v[124:127], off, off offset:408
	scratch_load_dwordx4 v[128:131], off, off offset:424
	;; [unrolled: 1-line block ×4, first 2 shown]
	v_fma_f32 v3, v68, v72, -v3
	v_add_f32_e32 v2, v2, v3
	v_mul_f32_e32 v3, v75, v79
	v_fma_f32 v3, v74, v78, -v3
	v_add_f32_e32 v2, v2, v3
	v_mul_f32_e32 v3, v77, v81
	;; [unrolled: 3-line block ×10, first 2 shown]
	v_fma_f32 v3, v110, v114, -v3
	v_add_f32_e32 v140, v2, v3
	s_waitcnt vmcnt(4) lgkmcnt(0)
	v_mul_f32_e32 v2, v117, v121
	v_fma_f32 v142, v116, v120, -v2
	v_mul_f32_e32 v2, v119, v123
	v_fma_f32 v144, v118, v122, -v2
	ds_read2_b64 v[2:5], v86 offset0:111 offset1:112
	ds_read2_b64 v[6:9], v86 offset0:113 offset1:114
	;; [unrolled: 1-line block ×4, first 2 shown]
	v_mul_f32_e32 v143, v116, v121
	v_fmac_f32_e32 v143, v117, v120
	v_mul_f32_e32 v145, v118, v123
	v_fmac_f32_e32 v145, v119, v122
	v_pk_add_f32 v[18:19], v[140:141], v[142:143]
	s_waitcnt vmcnt(3) lgkmcnt(3)
	v_pk_mul_f32 v[20:21], v[2:3], v[124:125] op_sel:[1,1] op_sel_hi:[0,1]
	v_pk_fma_f32 v[22:23], v[2:3], v[124:125], v[20:21] neg_lo:[0,0,1] neg_hi:[0,0,1]
	v_pk_fma_f32 v[2:3], v[2:3], v[124:125], v[20:21] op_sel_hi:[1,0,1]
	v_pk_add_f32 v[18:19], v[18:19], v[144:145]
	v_mov_b32_e32 v23, v3
	v_pk_add_f32 v[2:3], v[18:19], v[22:23]
	v_mov_b32_e32 v18, v127
	v_pk_mul_f32 v[18:19], v[4:5], v[18:19] op_sel:[1,0] op_sel_hi:[0,0]
	v_pk_fma_f32 v[20:21], v[4:5], v[126:127], v[18:19] neg_lo:[0,0,1] neg_hi:[0,0,1]
	v_pk_fma_f32 v[4:5], v[4:5], v[126:127], v[18:19] op_sel_hi:[1,0,1]
	s_nop 0
	v_mov_b32_e32 v21, v5
	s_waitcnt vmcnt(2) lgkmcnt(2)
	v_pk_mul_f32 v[4:5], v[6:7], v[128:129] op_sel:[1,1] op_sel_hi:[0,1]
	v_pk_fma_f32 v[18:19], v[6:7], v[128:129], v[4:5] neg_lo:[0,0,1] neg_hi:[0,0,1]
	v_pk_fma_f32 v[4:5], v[6:7], v[128:129], v[4:5] op_sel_hi:[1,0,1]
	v_pk_add_f32 v[2:3], v[2:3], v[20:21]
	v_mov_b32_e32 v4, v131
	v_mov_b32_e32 v19, v5
	v_pk_mul_f32 v[4:5], v[8:9], v[4:5] op_sel:[1,0] op_sel_hi:[0,0]
	v_pk_fma_f32 v[6:7], v[8:9], v[130:131], v[4:5] neg_lo:[0,0,1] neg_hi:[0,0,1]
	v_pk_fma_f32 v[4:5], v[8:9], v[130:131], v[4:5] op_sel_hi:[1,0,1]
	v_pk_add_f32 v[2:3], v[2:3], v[18:19]
	v_mov_b32_e32 v7, v5
	s_waitcnt vmcnt(1) lgkmcnt(1)
	v_pk_mul_f32 v[4:5], v[10:11], v[132:133] op_sel:[1,1] op_sel_hi:[0,1]
	v_pk_add_f32 v[2:3], v[2:3], v[6:7]
	v_pk_fma_f32 v[6:7], v[10:11], v[132:133], v[4:5] neg_lo:[0,0,1] neg_hi:[0,0,1]
	v_pk_fma_f32 v[4:5], v[10:11], v[132:133], v[4:5] op_sel_hi:[1,0,1]
	s_nop 0
	v_mov_b32_e32 v4, v135
	v_mov_b32_e32 v7, v5
	v_pk_mul_f32 v[4:5], v[12:13], v[4:5] op_sel:[1,0] op_sel_hi:[0,0]
	v_pk_add_f32 v[2:3], v[2:3], v[6:7]
	v_pk_fma_f32 v[6:7], v[12:13], v[134:135], v[4:5] neg_lo:[0,0,1] neg_hi:[0,0,1]
	v_pk_fma_f32 v[4:5], v[12:13], v[134:135], v[4:5] op_sel_hi:[1,0,1]
	s_nop 0
	v_mov_b32_e32 v7, v5
	s_waitcnt vmcnt(0) lgkmcnt(0)
	v_pk_mul_f32 v[4:5], v[14:15], v[136:137] op_sel:[1,1] op_sel_hi:[0,1]
	v_pk_add_f32 v[2:3], v[2:3], v[6:7]
	v_pk_fma_f32 v[6:7], v[14:15], v[136:137], v[4:5] neg_lo:[0,0,1] neg_hi:[0,0,1]
	v_pk_fma_f32 v[4:5], v[14:15], v[136:137], v[4:5] op_sel_hi:[1,0,1]
	s_nop 0
	v_mov_b32_e32 v4, v139
	v_mov_b32_e32 v7, v5
	v_pk_mul_f32 v[4:5], v[16:17], v[4:5] op_sel:[1,0] op_sel_hi:[0,0]
	v_pk_add_f32 v[2:3], v[2:3], v[6:7]
	v_pk_fma_f32 v[6:7], v[16:17], v[138:139], v[4:5] neg_lo:[0,0,1] neg_hi:[0,0,1]
	v_pk_fma_f32 v[4:5], v[16:17], v[138:139], v[4:5] op_sel_hi:[1,0,1]
	s_nop 0
	v_mov_b32_e32 v7, v5
	scratch_load_dwordx2 v[4:5], off, off offset:160
	v_pk_add_f32 v[2:3], v[2:3], v[6:7]
	s_waitcnt vmcnt(0)
	v_pk_add_f32 v[2:3], v[4:5], v[2:3] neg_lo:[0,1] neg_hi:[0,1]
	scratch_store_dwordx2 off, v[2:3], off offset:160
	s_and_saveexec_b64 s[0:1], vcc
	s_cbranch_execz .LBB122_329
; %bb.328:
	scratch_load_dwordx2 v[2:3], off, off offset:152
	v_mov_b32_e32 v4, 0
	v_mov_b32_e32 v5, v4
	scratch_store_dwordx2 off, v[4:5], off offset:152
	s_waitcnt vmcnt(1)
	ds_write_b64 v1, v[2:3]
.LBB122_329:
	s_or_b64 exec, exec, s[0:1]
	v_mov_b32_e32 v94, 0
	s_waitcnt lgkmcnt(0)
	; wave barrier
	ds_read_b128 v[14:17], v94 offset:640
	ds_read_b128 v[10:13], v94 offset:656
	;; [unrolled: 1-line block ×4, first 2 shown]
	scratch_load_dwordx4 v[18:21], off, off offset:160
	scratch_load_dwordx4 v[38:41], off, off offset:224
	;; [unrolled: 1-line block ×10, first 2 shown]
	v_cmp_lt_u32_e32 vcc, 18, v0
	scratch_load_dwordx4 v[46:49], off, off offset:240
	scratch_load_dwordx4 v[54:57], off, off offset:256
	;; [unrolled: 1-line block ×3, first 2 shown]
	s_waitcnt vmcnt(12) lgkmcnt(3)
	v_mul_f32_e32 v22, v14, v19
	v_fmac_f32_e32 v22, v15, v18
	v_mul_f32_e32 v23, v16, v21
	v_add_f32_e32 v22, 0, v22
	v_fmac_f32_e32 v23, v17, v20
	v_add_f32_e32 v26, v22, v23
	scratch_load_dwordx4 v[22:25], off, off offset:176
	v_mul_f32_e32 v15, v15, v19
	v_fma_f32 v14, v14, v18, -v15
	v_mul_f32_e32 v15, v17, v21
	v_add_f32_e32 v14, 0, v14
	v_fma_f32 v15, v16, v20, -v15
	v_add_f32_e32 v14, v14, v15
	s_waitcnt vmcnt(4)
	v_mov_b32_e32 v18, v131
	s_waitcnt vmcnt(0) lgkmcnt(2)
	v_mul_f32_e32 v27, v10, v23
	v_fmac_f32_e32 v27, v11, v22
	v_add_f32_e32 v26, v26, v27
	v_mul_f32_e32 v27, v12, v25
	v_fmac_f32_e32 v27, v13, v24
	v_add_f32_e32 v30, v26, v27
	scratch_load_dwordx4 v[26:29], off, off offset:192
	v_mul_f32_e32 v11, v11, v23
	v_fma_f32 v10, v10, v22, -v11
	v_mul_f32_e32 v11, v13, v25
	v_add_f32_e32 v10, v14, v10
	v_fma_f32 v11, v12, v24, -v11
	v_add_f32_e32 v10, v10, v11
	s_waitcnt vmcnt(0) lgkmcnt(1)
	v_mul_f32_e32 v31, v6, v27
	v_fmac_f32_e32 v31, v7, v26
	v_add_f32_e32 v30, v30, v31
	v_mul_f32_e32 v31, v8, v29
	v_fmac_f32_e32 v31, v9, v28
	v_add_f32_e32 v34, v30, v31
	scratch_load_dwordx4 v[30:33], off, off offset:208
	v_mul_f32_e32 v7, v7, v27
	v_fma_f32 v6, v6, v26, -v7
	v_mul_f32_e32 v7, v9, v29
	v_add_f32_e32 v6, v10, v6
	v_fma_f32 v7, v8, v28, -v7
	v_add_f32_e32 v6, v6, v7
	s_waitcnt vmcnt(0) lgkmcnt(0)
	v_mul_f32_e32 v35, v2, v31
	v_fmac_f32_e32 v35, v3, v30
	v_add_f32_e32 v34, v34, v35
	v_mul_f32_e32 v35, v4, v33
	v_fmac_f32_e32 v35, v5, v32
	v_add_f32_e32 v42, v34, v35
	ds_read_b128 v[34:37], v94 offset:704
	v_mul_f32_e32 v3, v3, v31
	v_fma_f32 v2, v2, v30, -v3
	v_mul_f32_e32 v3, v5, v33
	v_add_f32_e32 v2, v6, v2
	s_waitcnt lgkmcnt(0)
	v_mul_f32_e32 v43, v34, v39
	v_fmac_f32_e32 v43, v35, v38
	v_add_f32_e32 v42, v42, v43
	v_mul_f32_e32 v43, v36, v41
	v_fmac_f32_e32 v43, v37, v40
	v_add_f32_e32 v50, v42, v43
	ds_read_b128 v[42:45], v94 offset:720
	v_fma_f32 v3, v4, v32, -v3
	v_add_f32_e32 v2, v2, v3
	v_mul_f32_e32 v3, v35, v39
	v_fma_f32 v3, v34, v38, -v3
	s_waitcnt lgkmcnt(0)
	v_mul_f32_e32 v51, v42, v47
	v_fmac_f32_e32 v51, v43, v46
	v_add_f32_e32 v50, v50, v51
	v_mul_f32_e32 v51, v44, v49
	v_fmac_f32_e32 v51, v45, v48
	v_add_f32_e32 v58, v50, v51
	ds_read_b128 v[50:53], v94 offset:736
	v_add_f32_e32 v2, v2, v3
	v_mul_f32_e32 v3, v37, v41
	v_fma_f32 v3, v36, v40, -v3
	v_add_f32_e32 v2, v2, v3
	s_waitcnt lgkmcnt(0)
	v_mul_f32_e32 v59, v50, v55
	v_fmac_f32_e32 v59, v51, v54
	v_add_f32_e32 v58, v58, v59
	v_mul_f32_e32 v59, v52, v57
	v_fmac_f32_e32 v59, v53, v56
	v_add_f32_e32 v66, v58, v59
	ds_read_b128 v[58:61], v94 offset:752
	v_mul_f32_e32 v3, v43, v47
	v_fma_f32 v3, v42, v46, -v3
	v_add_f32_e32 v2, v2, v3
	v_mul_f32_e32 v3, v45, v49
	s_waitcnt lgkmcnt(0)
	v_mul_f32_e32 v67, v58, v63
	v_fmac_f32_e32 v67, v59, v62
	v_add_f32_e32 v66, v66, v67
	v_mul_f32_e32 v67, v60, v65
	v_fmac_f32_e32 v67, v61, v64
	v_add_f32_e32 v74, v66, v67
	ds_read_b128 v[66:69], v94 offset:768
	v_fma_f32 v3, v44, v48, -v3
	v_add_f32_e32 v2, v2, v3
	v_mul_f32_e32 v3, v51, v55
	v_fma_f32 v3, v50, v54, -v3
	s_waitcnt lgkmcnt(0)
	v_mul_f32_e32 v75, v66, v71
	v_fmac_f32_e32 v75, v67, v70
	v_add_f32_e32 v74, v74, v75
	v_mul_f32_e32 v75, v68, v73
	v_fmac_f32_e32 v75, v69, v72
	v_add_f32_e32 v82, v74, v75
	ds_read_b128 v[74:77], v94 offset:784
	v_add_f32_e32 v2, v2, v3
	v_mul_f32_e32 v3, v53, v57
	v_fma_f32 v3, v52, v56, -v3
	v_add_f32_e32 v2, v2, v3
	s_waitcnt lgkmcnt(0)
	v_mul_f32_e32 v83, v74, v79
	v_fmac_f32_e32 v83, v75, v78
	v_add_f32_e32 v82, v82, v83
	v_mul_f32_e32 v83, v76, v81
	v_fmac_f32_e32 v83, v77, v80
	v_add_f32_e32 v90, v82, v83
	ds_read_b128 v[82:85], v94 offset:800
	v_mul_f32_e32 v3, v59, v63
	v_fma_f32 v3, v58, v62, -v3
	v_add_f32_e32 v2, v2, v3
	v_mul_f32_e32 v3, v61, v65
	;; [unrolled: 36-line block ×3, first 2 shown]
	s_waitcnt lgkmcnt(0)
	v_mul_f32_e32 v116, v108, v113
	v_fmac_f32_e32 v116, v109, v112
	v_add_f32_e32 v95, v95, v116
	v_mul_f32_e32 v116, v110, v115
	v_fmac_f32_e32 v116, v111, v114
	v_add_f32_e32 v95, v95, v116
	ds_read_b128 v[116:119], v94 offset:864
	v_fma_f32 v3, v76, v80, -v3
	v_add_f32_e32 v2, v2, v3
	v_mul_f32_e32 v3, v83, v87
	v_fma_f32 v3, v82, v86, -v3
	s_waitcnt lgkmcnt(0)
	v_mul_f32_e32 v124, v116, v121
	v_fmac_f32_e32 v124, v117, v120
	v_add_f32_e32 v145, v95, v124
	ds_read_b128 v[124:127], v94 offset:880
	scratch_load_dwordx4 v[132:135], off, off offset:416
	scratch_load_dwordx4 v[136:139], off, off offset:432
	;; [unrolled: 1-line block ×3, first 2 shown]
	scratch_load_dwordx2 v[164:165], off, off offset:464
	v_add_f32_e32 v2, v2, v3
	v_mul_f32_e32 v3, v85, v89
	v_fma_f32 v3, v84, v88, -v3
	v_add_f32_e32 v2, v2, v3
	v_mul_f32_e32 v3, v91, v97
	v_fma_f32 v3, v90, v96, -v3
	;; [unrolled: 3-line block ×8, first 2 shown]
	v_add_f32_e32 v144, v2, v3
	v_mul_f32_e32 v2, v119, v123
	v_mul_f32_e32 v147, v118, v123
	v_fma_f32 v146, v118, v122, -v2
	s_waitcnt lgkmcnt(0)
	v_mul_f32_e32 v2, v125, v129
	v_fmac_f32_e32 v147, v119, v122
	v_mul_f32_e32 v149, v124, v129
	v_fma_f32 v148, v124, v128, -v2
	ds_read_b128 v[2:5], v94 offset:896
	ds_read_b128 v[6:9], v94 offset:912
	;; [unrolled: 1-line block ×3, first 2 shown]
	ds_read_b64 v[14:15], v94 offset:944
	v_pk_mul_f32 v[18:19], v[126:127], v[18:19] op_sel:[1,0] op_sel_hi:[0,0]
	v_fmac_f32_e32 v149, v125, v128
	v_pk_add_f32 v[16:17], v[144:145], v[146:147]
	v_pk_fma_f32 v[20:21], v[126:127], v[130:131], v[18:19] neg_lo:[0,0,1] neg_hi:[0,0,1]
	v_pk_fma_f32 v[18:19], v[126:127], v[130:131], v[18:19] op_sel_hi:[1,0,1]
	v_pk_add_f32 v[16:17], v[16:17], v[148:149]
	v_mov_b32_e32 v21, v19
	v_pk_add_f32 v[16:17], v[16:17], v[20:21]
	s_waitcnt vmcnt(3) lgkmcnt(3)
	v_pk_mul_f32 v[18:19], v[2:3], v[132:133] op_sel:[1,1] op_sel_hi:[0,1]
	v_pk_fma_f32 v[20:21], v[2:3], v[132:133], v[18:19] neg_lo:[0,0,1] neg_hi:[0,0,1]
	v_pk_fma_f32 v[2:3], v[2:3], v[132:133], v[18:19] op_sel_hi:[1,0,1]
	s_nop 0
	v_mov_b32_e32 v21, v3
	v_pk_add_f32 v[2:3], v[16:17], v[20:21]
	v_mov_b32_e32 v16, v135
	v_pk_mul_f32 v[16:17], v[4:5], v[16:17] op_sel:[1,0] op_sel_hi:[0,0]
	v_pk_fma_f32 v[18:19], v[4:5], v[134:135], v[16:17] neg_lo:[0,0,1] neg_hi:[0,0,1]
	v_pk_fma_f32 v[4:5], v[4:5], v[134:135], v[16:17] op_sel_hi:[1,0,1]
	s_nop 0
	v_mov_b32_e32 v19, v5
	s_waitcnt vmcnt(2) lgkmcnt(2)
	v_pk_mul_f32 v[4:5], v[6:7], v[136:137] op_sel:[1,1] op_sel_hi:[0,1]
	v_pk_fma_f32 v[16:17], v[6:7], v[136:137], v[4:5] neg_lo:[0,0,1] neg_hi:[0,0,1]
	v_pk_fma_f32 v[4:5], v[6:7], v[136:137], v[4:5] op_sel_hi:[1,0,1]
	v_pk_add_f32 v[2:3], v[2:3], v[18:19]
	v_mov_b32_e32 v4, v139
	v_mov_b32_e32 v17, v5
	v_pk_mul_f32 v[4:5], v[8:9], v[4:5] op_sel:[1,0] op_sel_hi:[0,0]
	v_pk_fma_f32 v[6:7], v[8:9], v[138:139], v[4:5] neg_lo:[0,0,1] neg_hi:[0,0,1]
	v_pk_fma_f32 v[4:5], v[8:9], v[138:139], v[4:5] op_sel_hi:[1,0,1]
	v_pk_add_f32 v[2:3], v[2:3], v[16:17]
	v_mov_b32_e32 v7, v5
	s_waitcnt vmcnt(1) lgkmcnt(1)
	v_pk_mul_f32 v[4:5], v[10:11], v[140:141] op_sel:[1,1] op_sel_hi:[0,1]
	v_pk_add_f32 v[2:3], v[2:3], v[6:7]
	v_pk_fma_f32 v[6:7], v[10:11], v[140:141], v[4:5] neg_lo:[0,0,1] neg_hi:[0,0,1]
	v_pk_fma_f32 v[4:5], v[10:11], v[140:141], v[4:5] op_sel_hi:[1,0,1]
	s_nop 0
	v_mov_b32_e32 v4, v143
	v_mov_b32_e32 v7, v5
	v_pk_mul_f32 v[4:5], v[12:13], v[4:5] op_sel:[1,0] op_sel_hi:[0,0]
	v_pk_add_f32 v[2:3], v[2:3], v[6:7]
	v_pk_fma_f32 v[6:7], v[12:13], v[142:143], v[4:5] neg_lo:[0,0,1] neg_hi:[0,0,1]
	v_pk_fma_f32 v[4:5], v[12:13], v[142:143], v[4:5] op_sel_hi:[1,0,1]
	s_nop 0
	v_mov_b32_e32 v7, v5
	s_waitcnt vmcnt(0) lgkmcnt(0)
	v_pk_mul_f32 v[4:5], v[14:15], v[164:165] op_sel:[1,1] op_sel_hi:[0,1]
	v_pk_add_f32 v[2:3], v[2:3], v[6:7]
	v_pk_fma_f32 v[6:7], v[14:15], v[164:165], v[4:5] neg_lo:[0,0,1] neg_hi:[0,0,1]
	v_pk_fma_f32 v[4:5], v[14:15], v[164:165], v[4:5] op_sel_hi:[1,0,1]
	s_nop 0
	v_mov_b32_e32 v7, v5
	scratch_load_dwordx2 v[4:5], off, off offset:152
	v_pk_add_f32 v[2:3], v[2:3], v[6:7]
	s_waitcnt vmcnt(0)
	v_pk_add_f32 v[2:3], v[4:5], v[2:3] neg_lo:[0,1] neg_hi:[0,1]
	scratch_store_dwordx2 off, v[2:3], off offset:152
	s_and_saveexec_b64 s[0:1], vcc
	s_cbranch_execz .LBB122_331
; %bb.330:
	scratch_load_dwordx2 v[2:3], off, off offset:144
	v_mov_b32_e32 v95, v94
	scratch_store_dwordx2 off, v[94:95], off offset:144
	s_waitcnt vmcnt(1)
	ds_write_b64 v1, v[2:3]
.LBB122_331:
	s_or_b64 exec, exec, s[0:1]
	s_waitcnt lgkmcnt(0)
	; wave barrier
	scratch_load_dwordx4 v[6:9], off, off offset:152
	scratch_load_dwordx4 v[14:17], off, off offset:168
	;; [unrolled: 1-line block ×10, first 2 shown]
	ds_read2_b64 v[2:5], v94 offset0:79 offset1:80
	scratch_load_dwordx4 v[86:89], off, off offset:312
	scratch_load_dwordx4 v[96:99], off, off offset:328
	;; [unrolled: 1-line block ×6, first 2 shown]
	v_cmp_lt_u32_e32 vcc, 17, v0
	s_waitcnt vmcnt(15) lgkmcnt(0)
	v_mul_f32_e32 v10, v2, v7
	v_fmac_f32_e32 v10, v3, v6
	v_mul_f32_e32 v11, v4, v9
	v_add_f32_e32 v10, 0, v10
	v_fmac_f32_e32 v11, v5, v8
	v_add_f32_e32 v18, v10, v11
	ds_read2_b64 v[10:13], v94 offset0:81 offset1:82
	v_mul_f32_e32 v3, v3, v7
	v_fma_f32 v2, v2, v6, -v3
	v_mul_f32_e32 v3, v5, v9
	v_add_f32_e32 v2, 0, v2
	s_waitcnt vmcnt(14) lgkmcnt(0)
	v_mul_f32_e32 v19, v10, v15
	v_fmac_f32_e32 v19, v11, v14
	v_add_f32_e32 v18, v18, v19
	v_mul_f32_e32 v19, v12, v17
	v_fmac_f32_e32 v19, v13, v16
	v_add_f32_e32 v26, v18, v19
	ds_read2_b64 v[18:21], v94 offset0:83 offset1:84
	v_fma_f32 v3, v4, v8, -v3
	v_add_f32_e32 v2, v2, v3
	v_mul_f32_e32 v3, v11, v15
	v_fma_f32 v3, v10, v14, -v3
	s_waitcnt vmcnt(13) lgkmcnt(0)
	v_mul_f32_e32 v27, v18, v23
	v_fmac_f32_e32 v27, v19, v22
	v_add_f32_e32 v26, v26, v27
	v_mul_f32_e32 v27, v20, v25
	v_fmac_f32_e32 v27, v21, v24
	v_add_f32_e32 v34, v26, v27
	ds_read2_b64 v[26:29], v94 offset0:85 offset1:86
	v_add_f32_e32 v2, v2, v3
	v_mul_f32_e32 v3, v13, v17
	v_fma_f32 v3, v12, v16, -v3
	v_add_f32_e32 v2, v2, v3
	s_waitcnt vmcnt(12) lgkmcnt(0)
	v_mul_f32_e32 v35, v26, v31
	v_fmac_f32_e32 v35, v27, v30
	v_add_f32_e32 v34, v34, v35
	v_mul_f32_e32 v35, v28, v33
	v_fmac_f32_e32 v35, v29, v32
	v_add_f32_e32 v42, v34, v35
	ds_read2_b64 v[34:37], v94 offset0:87 offset1:88
	v_mul_f32_e32 v3, v19, v23
	v_fma_f32 v3, v18, v22, -v3
	v_add_f32_e32 v2, v2, v3
	v_mul_f32_e32 v3, v21, v25
	s_waitcnt vmcnt(11) lgkmcnt(0)
	v_mul_f32_e32 v43, v34, v39
	v_fmac_f32_e32 v43, v35, v38
	v_add_f32_e32 v42, v42, v43
	v_mul_f32_e32 v43, v36, v41
	v_fmac_f32_e32 v43, v37, v40
	v_add_f32_e32 v50, v42, v43
	ds_read2_b64 v[42:45], v94 offset0:89 offset1:90
	v_fma_f32 v3, v20, v24, -v3
	v_add_f32_e32 v2, v2, v3
	v_mul_f32_e32 v3, v27, v31
	v_fma_f32 v3, v26, v30, -v3
	s_waitcnt vmcnt(10) lgkmcnt(0)
	v_mul_f32_e32 v51, v42, v47
	v_fmac_f32_e32 v51, v43, v46
	v_add_f32_e32 v50, v50, v51
	v_mul_f32_e32 v51, v44, v49
	v_fmac_f32_e32 v51, v45, v48
	v_add_f32_e32 v58, v50, v51
	ds_read2_b64 v[50:53], v94 offset0:91 offset1:92
	v_add_f32_e32 v2, v2, v3
	v_mul_f32_e32 v3, v29, v33
	v_fma_f32 v3, v28, v32, -v3
	v_add_f32_e32 v2, v2, v3
	s_waitcnt vmcnt(9) lgkmcnt(0)
	v_mul_f32_e32 v59, v50, v55
	v_fmac_f32_e32 v59, v51, v54
	v_add_f32_e32 v58, v58, v59
	v_mul_f32_e32 v59, v52, v57
	v_fmac_f32_e32 v59, v53, v56
	v_add_f32_e32 v66, v58, v59
	ds_read2_b64 v[58:61], v94 offset0:93 offset1:94
	v_mul_f32_e32 v3, v35, v39
	v_fma_f32 v3, v34, v38, -v3
	v_add_f32_e32 v2, v2, v3
	v_mul_f32_e32 v3, v37, v41
	;; [unrolled: 36-line block ×4, first 2 shown]
	s_waitcnt vmcnt(2) lgkmcnt(0)
	v_mul_f32_e32 v116, v108, v113
	v_fmac_f32_e32 v116, v109, v112
	v_add_f32_e32 v95, v95, v116
	v_mul_f32_e32 v116, v110, v115
	v_fmac_f32_e32 v116, v111, v114
	v_add_f32_e32 v95, v95, v116
	ds_read2_b64 v[116:119], v94 offset0:107 offset1:108
	v_fma_f32 v3, v68, v72, -v3
	v_add_f32_e32 v2, v2, v3
	v_mul_f32_e32 v3, v75, v79
	v_fma_f32 v3, v74, v78, -v3
	s_waitcnt vmcnt(1) lgkmcnt(0)
	v_mul_f32_e32 v124, v116, v121
	v_fmac_f32_e32 v124, v117, v120
	v_add_f32_e32 v95, v95, v124
	v_mul_f32_e32 v124, v118, v123
	v_fmac_f32_e32 v124, v119, v122
	v_add_f32_e32 v149, v95, v124
	ds_read2_b64 v[124:127], v94 offset0:109 offset1:110
	scratch_load_dwordx4 v[132:135], off, off offset:408
	scratch_load_dwordx4 v[136:139], off, off offset:424
	;; [unrolled: 1-line block ×4, first 2 shown]
	v_add_f32_e32 v2, v2, v3
	v_mul_f32_e32 v3, v77, v81
	v_fma_f32 v3, v76, v80, -v3
	v_add_f32_e32 v2, v2, v3
	v_mul_f32_e32 v3, v83, v87
	v_fma_f32 v3, v82, v86, -v3
	;; [unrolled: 3-line block ×11, first 2 shown]
	v_add_f32_e32 v148, v2, v3
	s_waitcnt vmcnt(4) lgkmcnt(0)
	v_mul_f32_e32 v2, v125, v129
	v_fma_f32 v164, v124, v128, -v2
	v_mul_f32_e32 v2, v127, v131
	v_fma_f32 v166, v126, v130, -v2
	ds_read2_b64 v[2:5], v94 offset0:111 offset1:112
	ds_read2_b64 v[6:9], v94 offset0:113 offset1:114
	;; [unrolled: 1-line block ×4, first 2 shown]
	v_mul_f32_e32 v165, v124, v129
	v_fmac_f32_e32 v165, v125, v128
	v_mul_f32_e32 v167, v126, v131
	v_fmac_f32_e32 v167, v127, v130
	v_pk_add_f32 v[18:19], v[148:149], v[164:165]
	s_waitcnt vmcnt(3) lgkmcnt(3)
	v_pk_mul_f32 v[20:21], v[2:3], v[132:133] op_sel:[1,1] op_sel_hi:[0,1]
	v_pk_fma_f32 v[22:23], v[2:3], v[132:133], v[20:21] neg_lo:[0,0,1] neg_hi:[0,0,1]
	v_pk_fma_f32 v[2:3], v[2:3], v[132:133], v[20:21] op_sel_hi:[1,0,1]
	v_pk_add_f32 v[18:19], v[18:19], v[166:167]
	v_mov_b32_e32 v23, v3
	v_pk_add_f32 v[2:3], v[18:19], v[22:23]
	v_mov_b32_e32 v18, v135
	v_pk_mul_f32 v[18:19], v[4:5], v[18:19] op_sel:[1,0] op_sel_hi:[0,0]
	v_pk_fma_f32 v[20:21], v[4:5], v[134:135], v[18:19] neg_lo:[0,0,1] neg_hi:[0,0,1]
	v_pk_fma_f32 v[4:5], v[4:5], v[134:135], v[18:19] op_sel_hi:[1,0,1]
	s_nop 0
	v_mov_b32_e32 v21, v5
	s_waitcnt vmcnt(2) lgkmcnt(2)
	v_pk_mul_f32 v[4:5], v[6:7], v[136:137] op_sel:[1,1] op_sel_hi:[0,1]
	v_pk_fma_f32 v[18:19], v[6:7], v[136:137], v[4:5] neg_lo:[0,0,1] neg_hi:[0,0,1]
	v_pk_fma_f32 v[4:5], v[6:7], v[136:137], v[4:5] op_sel_hi:[1,0,1]
	v_pk_add_f32 v[2:3], v[2:3], v[20:21]
	v_mov_b32_e32 v4, v139
	v_mov_b32_e32 v19, v5
	v_pk_mul_f32 v[4:5], v[8:9], v[4:5] op_sel:[1,0] op_sel_hi:[0,0]
	v_pk_fma_f32 v[6:7], v[8:9], v[138:139], v[4:5] neg_lo:[0,0,1] neg_hi:[0,0,1]
	v_pk_fma_f32 v[4:5], v[8:9], v[138:139], v[4:5] op_sel_hi:[1,0,1]
	v_pk_add_f32 v[2:3], v[2:3], v[18:19]
	v_mov_b32_e32 v7, v5
	s_waitcnt vmcnt(1) lgkmcnt(1)
	v_pk_mul_f32 v[4:5], v[10:11], v[140:141] op_sel:[1,1] op_sel_hi:[0,1]
	v_pk_add_f32 v[2:3], v[2:3], v[6:7]
	v_pk_fma_f32 v[6:7], v[10:11], v[140:141], v[4:5] neg_lo:[0,0,1] neg_hi:[0,0,1]
	v_pk_fma_f32 v[4:5], v[10:11], v[140:141], v[4:5] op_sel_hi:[1,0,1]
	s_nop 0
	v_mov_b32_e32 v4, v143
	v_mov_b32_e32 v7, v5
	v_pk_mul_f32 v[4:5], v[12:13], v[4:5] op_sel:[1,0] op_sel_hi:[0,0]
	v_pk_add_f32 v[2:3], v[2:3], v[6:7]
	v_pk_fma_f32 v[6:7], v[12:13], v[142:143], v[4:5] neg_lo:[0,0,1] neg_hi:[0,0,1]
	v_pk_fma_f32 v[4:5], v[12:13], v[142:143], v[4:5] op_sel_hi:[1,0,1]
	s_nop 0
	v_mov_b32_e32 v7, v5
	s_waitcnt vmcnt(0) lgkmcnt(0)
	v_pk_mul_f32 v[4:5], v[14:15], v[144:145] op_sel:[1,1] op_sel_hi:[0,1]
	v_pk_add_f32 v[2:3], v[2:3], v[6:7]
	v_pk_fma_f32 v[6:7], v[14:15], v[144:145], v[4:5] neg_lo:[0,0,1] neg_hi:[0,0,1]
	v_pk_fma_f32 v[4:5], v[14:15], v[144:145], v[4:5] op_sel_hi:[1,0,1]
	s_nop 0
	v_mov_b32_e32 v4, v147
	v_mov_b32_e32 v7, v5
	v_pk_mul_f32 v[4:5], v[16:17], v[4:5] op_sel:[1,0] op_sel_hi:[0,0]
	v_pk_add_f32 v[2:3], v[2:3], v[6:7]
	v_pk_fma_f32 v[6:7], v[16:17], v[146:147], v[4:5] neg_lo:[0,0,1] neg_hi:[0,0,1]
	v_pk_fma_f32 v[4:5], v[16:17], v[146:147], v[4:5] op_sel_hi:[1,0,1]
	s_nop 0
	v_mov_b32_e32 v7, v5
	scratch_load_dwordx2 v[4:5], off, off offset:144
	v_pk_add_f32 v[2:3], v[2:3], v[6:7]
	s_waitcnt vmcnt(0)
	v_pk_add_f32 v[2:3], v[4:5], v[2:3] neg_lo:[0,1] neg_hi:[0,1]
	scratch_store_dwordx2 off, v[2:3], off offset:144
	s_and_saveexec_b64 s[0:1], vcc
	s_cbranch_execz .LBB122_333
; %bb.332:
	scratch_load_dwordx2 v[2:3], off, off offset:136
	v_mov_b32_e32 v4, 0
	v_mov_b32_e32 v5, v4
	scratch_store_dwordx2 off, v[4:5], off offset:136
	s_waitcnt vmcnt(1)
	ds_write_b64 v1, v[2:3]
.LBB122_333:
	s_or_b64 exec, exec, s[0:1]
	v_mov_b32_e32 v102, 0
	s_waitcnt lgkmcnt(0)
	; wave barrier
	ds_read_b128 v[14:17], v102 offset:624
	ds_read_b128 v[10:13], v102 offset:640
	;; [unrolled: 1-line block ×4, first 2 shown]
	scratch_load_dwordx4 v[18:21], off, off offset:144
	scratch_load_dwordx4 v[38:41], off, off offset:208
	;; [unrolled: 1-line block ×11, first 2 shown]
	v_cmp_lt_u32_e32 vcc, 16, v0
	scratch_load_dwordx4 v[46:49], off, off offset:224
	scratch_load_dwordx4 v[54:57], off, off offset:240
	;; [unrolled: 1-line block ×3, first 2 shown]
	s_waitcnt vmcnt(13) lgkmcnt(3)
	v_mul_f32_e32 v22, v14, v19
	v_fmac_f32_e32 v22, v15, v18
	v_mul_f32_e32 v23, v16, v21
	v_add_f32_e32 v22, 0, v22
	v_fmac_f32_e32 v23, v17, v20
	v_add_f32_e32 v26, v22, v23
	scratch_load_dwordx4 v[22:25], off, off offset:160
	v_mul_f32_e32 v15, v15, v19
	v_fma_f32 v14, v14, v18, -v15
	v_mul_f32_e32 v15, v17, v21
	v_add_f32_e32 v14, 0, v14
	v_fma_f32 v15, v16, v20, -v15
	v_add_f32_e32 v14, v14, v15
	s_waitcnt vmcnt(4)
	v_mov_b32_e32 v18, v139
	s_waitcnt vmcnt(0) lgkmcnt(2)
	v_mul_f32_e32 v27, v10, v23
	v_fmac_f32_e32 v27, v11, v22
	v_add_f32_e32 v26, v26, v27
	v_mul_f32_e32 v27, v12, v25
	v_fmac_f32_e32 v27, v13, v24
	v_add_f32_e32 v30, v26, v27
	scratch_load_dwordx4 v[26:29], off, off offset:176
	v_mul_f32_e32 v11, v11, v23
	v_fma_f32 v10, v10, v22, -v11
	v_mul_f32_e32 v11, v13, v25
	v_add_f32_e32 v10, v14, v10
	v_fma_f32 v11, v12, v24, -v11
	v_add_f32_e32 v10, v10, v11
	s_waitcnt vmcnt(0) lgkmcnt(1)
	v_mul_f32_e32 v31, v6, v27
	v_fmac_f32_e32 v31, v7, v26
	v_add_f32_e32 v30, v30, v31
	v_mul_f32_e32 v31, v8, v29
	v_fmac_f32_e32 v31, v9, v28
	v_add_f32_e32 v34, v30, v31
	scratch_load_dwordx4 v[30:33], off, off offset:192
	v_mul_f32_e32 v7, v7, v27
	v_fma_f32 v6, v6, v26, -v7
	v_mul_f32_e32 v7, v9, v29
	v_add_f32_e32 v6, v10, v6
	v_fma_f32 v7, v8, v28, -v7
	v_add_f32_e32 v6, v6, v7
	s_waitcnt vmcnt(0) lgkmcnt(0)
	v_mul_f32_e32 v35, v2, v31
	v_fmac_f32_e32 v35, v3, v30
	v_add_f32_e32 v34, v34, v35
	v_mul_f32_e32 v35, v4, v33
	v_fmac_f32_e32 v35, v5, v32
	v_add_f32_e32 v42, v34, v35
	ds_read_b128 v[34:37], v102 offset:688
	v_mul_f32_e32 v3, v3, v31
	v_fma_f32 v2, v2, v30, -v3
	v_mul_f32_e32 v3, v5, v33
	v_add_f32_e32 v2, v6, v2
	s_waitcnt lgkmcnt(0)
	v_mul_f32_e32 v43, v34, v39
	v_fmac_f32_e32 v43, v35, v38
	v_add_f32_e32 v42, v42, v43
	v_mul_f32_e32 v43, v36, v41
	v_fmac_f32_e32 v43, v37, v40
	v_add_f32_e32 v50, v42, v43
	ds_read_b128 v[42:45], v102 offset:704
	v_fma_f32 v3, v4, v32, -v3
	v_add_f32_e32 v2, v2, v3
	v_mul_f32_e32 v3, v35, v39
	v_fma_f32 v3, v34, v38, -v3
	s_waitcnt lgkmcnt(0)
	v_mul_f32_e32 v51, v42, v47
	v_fmac_f32_e32 v51, v43, v46
	v_add_f32_e32 v50, v50, v51
	v_mul_f32_e32 v51, v44, v49
	v_fmac_f32_e32 v51, v45, v48
	v_add_f32_e32 v58, v50, v51
	ds_read_b128 v[50:53], v102 offset:720
	v_add_f32_e32 v2, v2, v3
	v_mul_f32_e32 v3, v37, v41
	v_fma_f32 v3, v36, v40, -v3
	v_add_f32_e32 v2, v2, v3
	s_waitcnt lgkmcnt(0)
	v_mul_f32_e32 v59, v50, v55
	v_fmac_f32_e32 v59, v51, v54
	v_add_f32_e32 v58, v58, v59
	v_mul_f32_e32 v59, v52, v57
	v_fmac_f32_e32 v59, v53, v56
	v_add_f32_e32 v66, v58, v59
	ds_read_b128 v[58:61], v102 offset:736
	v_mul_f32_e32 v3, v43, v47
	v_fma_f32 v3, v42, v46, -v3
	v_add_f32_e32 v2, v2, v3
	v_mul_f32_e32 v3, v45, v49
	s_waitcnt lgkmcnt(0)
	v_mul_f32_e32 v67, v58, v63
	v_fmac_f32_e32 v67, v59, v62
	v_add_f32_e32 v66, v66, v67
	v_mul_f32_e32 v67, v60, v65
	v_fmac_f32_e32 v67, v61, v64
	v_add_f32_e32 v74, v66, v67
	ds_read_b128 v[66:69], v102 offset:752
	v_fma_f32 v3, v44, v48, -v3
	v_add_f32_e32 v2, v2, v3
	v_mul_f32_e32 v3, v51, v55
	v_fma_f32 v3, v50, v54, -v3
	s_waitcnt lgkmcnt(0)
	v_mul_f32_e32 v75, v66, v71
	v_fmac_f32_e32 v75, v67, v70
	v_add_f32_e32 v74, v74, v75
	v_mul_f32_e32 v75, v68, v73
	v_fmac_f32_e32 v75, v69, v72
	v_add_f32_e32 v82, v74, v75
	ds_read_b128 v[74:77], v102 offset:768
	v_add_f32_e32 v2, v2, v3
	v_mul_f32_e32 v3, v53, v57
	v_fma_f32 v3, v52, v56, -v3
	v_add_f32_e32 v2, v2, v3
	s_waitcnt lgkmcnt(0)
	v_mul_f32_e32 v83, v74, v79
	v_fmac_f32_e32 v83, v75, v78
	v_add_f32_e32 v82, v82, v83
	v_mul_f32_e32 v83, v76, v81
	v_fmac_f32_e32 v83, v77, v80
	v_add_f32_e32 v90, v82, v83
	ds_read_b128 v[82:85], v102 offset:784
	v_mul_f32_e32 v3, v59, v63
	v_fma_f32 v3, v58, v62, -v3
	v_add_f32_e32 v2, v2, v3
	v_mul_f32_e32 v3, v61, v65
	s_waitcnt lgkmcnt(0)
	v_mul_f32_e32 v91, v82, v87
	v_fmac_f32_e32 v91, v83, v86
	v_add_f32_e32 v90, v90, v91
	v_mul_f32_e32 v91, v84, v89
	v_fmac_f32_e32 v91, v85, v88
	v_add_f32_e32 v98, v90, v91
	ds_read_b128 v[90:93], v102 offset:800
	v_fma_f32 v3, v60, v64, -v3
	v_add_f32_e32 v2, v2, v3
	v_mul_f32_e32 v3, v67, v71
	v_fma_f32 v3, v66, v70, -v3
	s_waitcnt lgkmcnt(0)
	v_mul_f32_e32 v99, v90, v95
	v_fmac_f32_e32 v99, v91, v94
	v_add_f32_e32 v98, v98, v99
	v_mul_f32_e32 v99, v92, v97
	v_fmac_f32_e32 v99, v93, v96
	v_add_f32_e32 v103, v98, v99
	ds_read_b128 v[98:101], v102 offset:816
	v_add_f32_e32 v2, v2, v3
	v_mul_f32_e32 v3, v69, v73
	v_fma_f32 v3, v68, v72, -v3
	v_add_f32_e32 v2, v2, v3
	s_waitcnt lgkmcnt(0)
	v_mul_f32_e32 v108, v98, v105
	v_fmac_f32_e32 v108, v99, v104
	v_add_f32_e32 v103, v103, v108
	v_mul_f32_e32 v108, v100, v107
	v_fmac_f32_e32 v108, v101, v106
	v_add_f32_e32 v103, v103, v108
	ds_read_b128 v[108:111], v102 offset:832
	v_mul_f32_e32 v3, v75, v79
	v_fma_f32 v3, v74, v78, -v3
	v_add_f32_e32 v2, v2, v3
	v_mul_f32_e32 v3, v77, v81
	s_waitcnt lgkmcnt(0)
	v_mul_f32_e32 v116, v108, v113
	v_fmac_f32_e32 v116, v109, v112
	v_add_f32_e32 v103, v103, v116
	v_mul_f32_e32 v116, v110, v115
	v_fmac_f32_e32 v116, v111, v114
	v_add_f32_e32 v103, v103, v116
	ds_read_b128 v[116:119], v102 offset:848
	v_fma_f32 v3, v76, v80, -v3
	v_add_f32_e32 v2, v2, v3
	v_mul_f32_e32 v3, v83, v87
	v_fma_f32 v3, v82, v86, -v3
	s_waitcnt lgkmcnt(0)
	v_mul_f32_e32 v124, v116, v121
	v_fmac_f32_e32 v124, v117, v120
	v_add_f32_e32 v103, v103, v124
	v_mul_f32_e32 v124, v118, v123
	v_fmac_f32_e32 v124, v119, v122
	v_add_f32_e32 v103, v103, v124
	ds_read_b128 v[124:127], v102 offset:864
	v_add_f32_e32 v2, v2, v3
	v_mul_f32_e32 v3, v85, v89
	v_fma_f32 v3, v84, v88, -v3
	v_add_f32_e32 v2, v2, v3
	s_waitcnt lgkmcnt(0)
	v_mul_f32_e32 v132, v124, v129
	v_fmac_f32_e32 v132, v125, v128
	v_add_f32_e32 v149, v103, v132
	ds_read_b128 v[132:135], v102 offset:880
	scratch_load_dwordx4 v[140:143], off, off offset:416
	scratch_load_dwordx4 v[144:147], off, off offset:432
	;; [unrolled: 1-line block ×3, first 2 shown]
	scratch_load_dwordx2 v[172:173], off, off offset:464
	v_mul_f32_e32 v3, v91, v95
	v_fma_f32 v3, v90, v94, -v3
	v_add_f32_e32 v2, v2, v3
	v_mul_f32_e32 v3, v93, v97
	v_fma_f32 v3, v92, v96, -v3
	v_add_f32_e32 v2, v2, v3
	;; [unrolled: 3-line block ×9, first 2 shown]
	v_mul_f32_e32 v2, v127, v131
	v_mul_f32_e32 v169, v126, v131
	v_fma_f32 v168, v126, v130, -v2
	s_waitcnt lgkmcnt(0)
	v_mul_f32_e32 v2, v133, v137
	v_fmac_f32_e32 v169, v127, v130
	v_mul_f32_e32 v171, v132, v137
	v_fma_f32 v170, v132, v136, -v2
	ds_read_b128 v[2:5], v102 offset:896
	ds_read_b128 v[6:9], v102 offset:912
	;; [unrolled: 1-line block ×3, first 2 shown]
	ds_read_b64 v[14:15], v102 offset:944
	v_pk_mul_f32 v[18:19], v[134:135], v[18:19] op_sel:[1,0] op_sel_hi:[0,0]
	v_fmac_f32_e32 v171, v133, v136
	v_pk_add_f32 v[16:17], v[148:149], v[168:169]
	v_pk_fma_f32 v[20:21], v[134:135], v[138:139], v[18:19] neg_lo:[0,0,1] neg_hi:[0,0,1]
	v_pk_fma_f32 v[18:19], v[134:135], v[138:139], v[18:19] op_sel_hi:[1,0,1]
	v_pk_add_f32 v[16:17], v[16:17], v[170:171]
	v_mov_b32_e32 v21, v19
	v_pk_add_f32 v[16:17], v[16:17], v[20:21]
	s_waitcnt vmcnt(3) lgkmcnt(3)
	v_pk_mul_f32 v[18:19], v[2:3], v[140:141] op_sel:[1,1] op_sel_hi:[0,1]
	v_pk_fma_f32 v[20:21], v[2:3], v[140:141], v[18:19] neg_lo:[0,0,1] neg_hi:[0,0,1]
	v_pk_fma_f32 v[2:3], v[2:3], v[140:141], v[18:19] op_sel_hi:[1,0,1]
	s_nop 0
	v_mov_b32_e32 v21, v3
	v_pk_add_f32 v[2:3], v[16:17], v[20:21]
	v_mov_b32_e32 v16, v143
	v_pk_mul_f32 v[16:17], v[4:5], v[16:17] op_sel:[1,0] op_sel_hi:[0,0]
	v_pk_fma_f32 v[18:19], v[4:5], v[142:143], v[16:17] neg_lo:[0,0,1] neg_hi:[0,0,1]
	v_pk_fma_f32 v[4:5], v[4:5], v[142:143], v[16:17] op_sel_hi:[1,0,1]
	s_nop 0
	v_mov_b32_e32 v19, v5
	s_waitcnt vmcnt(2) lgkmcnt(2)
	v_pk_mul_f32 v[4:5], v[6:7], v[144:145] op_sel:[1,1] op_sel_hi:[0,1]
	v_pk_fma_f32 v[16:17], v[6:7], v[144:145], v[4:5] neg_lo:[0,0,1] neg_hi:[0,0,1]
	v_pk_fma_f32 v[4:5], v[6:7], v[144:145], v[4:5] op_sel_hi:[1,0,1]
	v_pk_add_f32 v[2:3], v[2:3], v[18:19]
	v_mov_b32_e32 v4, v147
	v_mov_b32_e32 v17, v5
	v_pk_mul_f32 v[4:5], v[8:9], v[4:5] op_sel:[1,0] op_sel_hi:[0,0]
	v_pk_fma_f32 v[6:7], v[8:9], v[146:147], v[4:5] neg_lo:[0,0,1] neg_hi:[0,0,1]
	v_pk_fma_f32 v[4:5], v[8:9], v[146:147], v[4:5] op_sel_hi:[1,0,1]
	v_pk_add_f32 v[2:3], v[2:3], v[16:17]
	v_mov_b32_e32 v7, v5
	s_waitcnt vmcnt(1) lgkmcnt(1)
	v_pk_mul_f32 v[4:5], v[10:11], v[164:165] op_sel:[1,1] op_sel_hi:[0,1]
	v_pk_add_f32 v[2:3], v[2:3], v[6:7]
	v_pk_fma_f32 v[6:7], v[10:11], v[164:165], v[4:5] neg_lo:[0,0,1] neg_hi:[0,0,1]
	v_pk_fma_f32 v[4:5], v[10:11], v[164:165], v[4:5] op_sel_hi:[1,0,1]
	s_nop 0
	v_mov_b32_e32 v4, v167
	v_mov_b32_e32 v7, v5
	v_pk_mul_f32 v[4:5], v[12:13], v[4:5] op_sel:[1,0] op_sel_hi:[0,0]
	v_pk_add_f32 v[2:3], v[2:3], v[6:7]
	v_pk_fma_f32 v[6:7], v[12:13], v[166:167], v[4:5] neg_lo:[0,0,1] neg_hi:[0,0,1]
	v_pk_fma_f32 v[4:5], v[12:13], v[166:167], v[4:5] op_sel_hi:[1,0,1]
	s_nop 0
	v_mov_b32_e32 v7, v5
	s_waitcnt vmcnt(0) lgkmcnt(0)
	v_pk_mul_f32 v[4:5], v[14:15], v[172:173] op_sel:[1,1] op_sel_hi:[0,1]
	v_pk_add_f32 v[2:3], v[2:3], v[6:7]
	v_pk_fma_f32 v[6:7], v[14:15], v[172:173], v[4:5] neg_lo:[0,0,1] neg_hi:[0,0,1]
	v_pk_fma_f32 v[4:5], v[14:15], v[172:173], v[4:5] op_sel_hi:[1,0,1]
	s_nop 0
	v_mov_b32_e32 v7, v5
	scratch_load_dwordx2 v[4:5], off, off offset:136
	v_pk_add_f32 v[2:3], v[2:3], v[6:7]
	s_waitcnt vmcnt(0)
	v_pk_add_f32 v[2:3], v[4:5], v[2:3] neg_lo:[0,1] neg_hi:[0,1]
	scratch_store_dwordx2 off, v[2:3], off offset:136
	s_and_saveexec_b64 s[0:1], vcc
	s_cbranch_execz .LBB122_335
; %bb.334:
	scratch_load_dwordx2 v[2:3], off, off offset:128
	v_mov_b32_e32 v103, v102
	scratch_store_dwordx2 off, v[102:103], off offset:128
	s_waitcnt vmcnt(1)
	ds_write_b64 v1, v[2:3]
.LBB122_335:
	s_or_b64 exec, exec, s[0:1]
	s_waitcnt lgkmcnt(0)
	; wave barrier
	scratch_load_dwordx4 v[6:9], off, off offset:136
	scratch_load_dwordx4 v[14:17], off, off offset:152
	;; [unrolled: 1-line block ×10, first 2 shown]
	ds_read2_b64 v[2:5], v102 offset0:77 offset1:78
	scratch_load_dwordx4 v[86:89], off, off offset:296
	scratch_load_dwordx4 v[94:97], off, off offset:312
	;; [unrolled: 1-line block ×7, first 2 shown]
	v_cmp_lt_u32_e32 vcc, 15, v0
	s_waitcnt vmcnt(16) lgkmcnt(0)
	v_mul_f32_e32 v10, v2, v7
	v_fmac_f32_e32 v10, v3, v6
	v_mul_f32_e32 v11, v4, v9
	v_add_f32_e32 v10, 0, v10
	v_fmac_f32_e32 v11, v5, v8
	v_add_f32_e32 v18, v10, v11
	ds_read2_b64 v[10:13], v102 offset0:79 offset1:80
	v_mul_f32_e32 v3, v3, v7
	v_fma_f32 v2, v2, v6, -v3
	v_mul_f32_e32 v3, v5, v9
	v_add_f32_e32 v2, 0, v2
	s_waitcnt vmcnt(15) lgkmcnt(0)
	v_mul_f32_e32 v19, v10, v15
	v_fmac_f32_e32 v19, v11, v14
	v_add_f32_e32 v18, v18, v19
	v_mul_f32_e32 v19, v12, v17
	v_fmac_f32_e32 v19, v13, v16
	v_add_f32_e32 v26, v18, v19
	ds_read2_b64 v[18:21], v102 offset0:81 offset1:82
	v_fma_f32 v3, v4, v8, -v3
	v_add_f32_e32 v2, v2, v3
	v_mul_f32_e32 v3, v11, v15
	v_fma_f32 v3, v10, v14, -v3
	s_waitcnt vmcnt(14) lgkmcnt(0)
	v_mul_f32_e32 v27, v18, v23
	v_fmac_f32_e32 v27, v19, v22
	v_add_f32_e32 v26, v26, v27
	v_mul_f32_e32 v27, v20, v25
	v_fmac_f32_e32 v27, v21, v24
	v_add_f32_e32 v34, v26, v27
	ds_read2_b64 v[26:29], v102 offset0:83 offset1:84
	v_add_f32_e32 v2, v2, v3
	v_mul_f32_e32 v3, v13, v17
	v_fma_f32 v3, v12, v16, -v3
	v_add_f32_e32 v2, v2, v3
	s_waitcnt vmcnt(13) lgkmcnt(0)
	v_mul_f32_e32 v35, v26, v31
	v_fmac_f32_e32 v35, v27, v30
	v_add_f32_e32 v34, v34, v35
	v_mul_f32_e32 v35, v28, v33
	v_fmac_f32_e32 v35, v29, v32
	v_add_f32_e32 v42, v34, v35
	ds_read2_b64 v[34:37], v102 offset0:85 offset1:86
	v_mul_f32_e32 v3, v19, v23
	v_fma_f32 v3, v18, v22, -v3
	v_add_f32_e32 v2, v2, v3
	v_mul_f32_e32 v3, v21, v25
	s_waitcnt vmcnt(12) lgkmcnt(0)
	v_mul_f32_e32 v43, v34, v39
	v_fmac_f32_e32 v43, v35, v38
	v_add_f32_e32 v42, v42, v43
	v_mul_f32_e32 v43, v36, v41
	v_fmac_f32_e32 v43, v37, v40
	v_add_f32_e32 v50, v42, v43
	ds_read2_b64 v[42:45], v102 offset0:87 offset1:88
	v_fma_f32 v3, v20, v24, -v3
	v_add_f32_e32 v2, v2, v3
	v_mul_f32_e32 v3, v27, v31
	v_fma_f32 v3, v26, v30, -v3
	s_waitcnt vmcnt(11) lgkmcnt(0)
	v_mul_f32_e32 v51, v42, v47
	v_fmac_f32_e32 v51, v43, v46
	v_add_f32_e32 v50, v50, v51
	v_mul_f32_e32 v51, v44, v49
	v_fmac_f32_e32 v51, v45, v48
	v_add_f32_e32 v58, v50, v51
	ds_read2_b64 v[50:53], v102 offset0:89 offset1:90
	v_add_f32_e32 v2, v2, v3
	v_mul_f32_e32 v3, v29, v33
	v_fma_f32 v3, v28, v32, -v3
	v_add_f32_e32 v2, v2, v3
	s_waitcnt vmcnt(10) lgkmcnt(0)
	v_mul_f32_e32 v59, v50, v55
	v_fmac_f32_e32 v59, v51, v54
	v_add_f32_e32 v58, v58, v59
	v_mul_f32_e32 v59, v52, v57
	v_fmac_f32_e32 v59, v53, v56
	v_add_f32_e32 v66, v58, v59
	ds_read2_b64 v[58:61], v102 offset0:91 offset1:92
	v_mul_f32_e32 v3, v35, v39
	v_fma_f32 v3, v34, v38, -v3
	v_add_f32_e32 v2, v2, v3
	v_mul_f32_e32 v3, v37, v41
	;; [unrolled: 36-line block ×4, first 2 shown]
	s_waitcnt vmcnt(3) lgkmcnt(0)
	v_mul_f32_e32 v116, v108, v113
	v_fmac_f32_e32 v116, v109, v112
	v_add_f32_e32 v103, v103, v116
	v_mul_f32_e32 v116, v110, v115
	v_fmac_f32_e32 v116, v111, v114
	v_add_f32_e32 v103, v103, v116
	ds_read2_b64 v[116:119], v102 offset0:105 offset1:106
	v_fma_f32 v3, v68, v72, -v3
	v_add_f32_e32 v2, v2, v3
	v_mul_f32_e32 v3, v75, v79
	v_fma_f32 v3, v74, v78, -v3
	s_waitcnt vmcnt(2) lgkmcnt(0)
	v_mul_f32_e32 v124, v116, v121
	v_fmac_f32_e32 v124, v117, v120
	v_add_f32_e32 v103, v103, v124
	v_mul_f32_e32 v124, v118, v123
	v_fmac_f32_e32 v124, v119, v122
	v_add_f32_e32 v103, v103, v124
	ds_read2_b64 v[124:127], v102 offset0:107 offset1:108
	v_add_f32_e32 v2, v2, v3
	v_mul_f32_e32 v3, v77, v81
	v_fma_f32 v3, v76, v80, -v3
	v_add_f32_e32 v2, v2, v3
	s_waitcnt vmcnt(1) lgkmcnt(0)
	v_mul_f32_e32 v132, v124, v129
	v_fmac_f32_e32 v132, v125, v128
	v_add_f32_e32 v103, v103, v132
	v_mul_f32_e32 v132, v126, v131
	v_fmac_f32_e32 v132, v127, v130
	v_add_f32_e32 v149, v103, v132
	ds_read2_b64 v[132:135], v102 offset0:109 offset1:110
	scratch_load_dwordx4 v[140:143], off, off offset:408
	scratch_load_dwordx4 v[144:147], off, off offset:424
	scratch_load_dwordx4 v[164:167], off, off offset:440
	scratch_load_dwordx4 v[168:171], off, off offset:456
	v_mul_f32_e32 v3, v83, v87
	v_fma_f32 v3, v82, v86, -v3
	v_add_f32_e32 v2, v2, v3
	v_mul_f32_e32 v3, v85, v89
	v_fma_f32 v3, v84, v88, -v3
	v_add_f32_e32 v2, v2, v3
	v_mul_f32_e32 v3, v91, v95
	v_fma_f32 v3, v90, v94, -v3
	v_add_f32_e32 v2, v2, v3
	v_mul_f32_e32 v3, v93, v97
	v_fma_f32 v3, v92, v96, -v3
	v_add_f32_e32 v2, v2, v3
	v_mul_f32_e32 v3, v99, v105
	v_fma_f32 v3, v98, v104, -v3
	v_add_f32_e32 v2, v2, v3
	v_mul_f32_e32 v3, v101, v107
	v_fma_f32 v3, v100, v106, -v3
	v_add_f32_e32 v2, v2, v3
	v_mul_f32_e32 v3, v109, v113
	v_fma_f32 v3, v108, v112, -v3
	v_add_f32_e32 v2, v2, v3
	v_mul_f32_e32 v3, v111, v115
	v_fma_f32 v3, v110, v114, -v3
	v_add_f32_e32 v2, v2, v3
	v_mul_f32_e32 v3, v117, v121
	v_fma_f32 v3, v116, v120, -v3
	v_add_f32_e32 v2, v2, v3
	v_mul_f32_e32 v3, v119, v123
	v_fma_f32 v3, v118, v122, -v3
	v_add_f32_e32 v2, v2, v3
	v_mul_f32_e32 v3, v125, v129
	v_fma_f32 v3, v124, v128, -v3
	v_add_f32_e32 v2, v2, v3
	v_mul_f32_e32 v3, v127, v131
	v_fma_f32 v3, v126, v130, -v3
	v_add_f32_e32 v148, v2, v3
	s_waitcnt vmcnt(4) lgkmcnt(0)
	v_mul_f32_e32 v2, v133, v137
	v_fma_f32 v172, v132, v136, -v2
	v_mul_f32_e32 v2, v135, v139
	v_fma_f32 v174, v134, v138, -v2
	ds_read2_b64 v[2:5], v102 offset0:111 offset1:112
	ds_read2_b64 v[6:9], v102 offset0:113 offset1:114
	;; [unrolled: 1-line block ×4, first 2 shown]
	v_mul_f32_e32 v173, v132, v137
	v_fmac_f32_e32 v173, v133, v136
	v_mul_f32_e32 v175, v134, v139
	v_fmac_f32_e32 v175, v135, v138
	v_pk_add_f32 v[18:19], v[148:149], v[172:173]
	s_waitcnt vmcnt(3) lgkmcnt(3)
	v_pk_mul_f32 v[20:21], v[2:3], v[140:141] op_sel:[1,1] op_sel_hi:[0,1]
	v_pk_fma_f32 v[22:23], v[2:3], v[140:141], v[20:21] neg_lo:[0,0,1] neg_hi:[0,0,1]
	v_pk_fma_f32 v[2:3], v[2:3], v[140:141], v[20:21] op_sel_hi:[1,0,1]
	v_pk_add_f32 v[18:19], v[18:19], v[174:175]
	v_mov_b32_e32 v23, v3
	v_pk_add_f32 v[2:3], v[18:19], v[22:23]
	v_mov_b32_e32 v18, v143
	v_pk_mul_f32 v[18:19], v[4:5], v[18:19] op_sel:[1,0] op_sel_hi:[0,0]
	v_pk_fma_f32 v[20:21], v[4:5], v[142:143], v[18:19] neg_lo:[0,0,1] neg_hi:[0,0,1]
	v_pk_fma_f32 v[4:5], v[4:5], v[142:143], v[18:19] op_sel_hi:[1,0,1]
	s_nop 0
	v_mov_b32_e32 v21, v5
	s_waitcnt vmcnt(2) lgkmcnt(2)
	v_pk_mul_f32 v[4:5], v[6:7], v[144:145] op_sel:[1,1] op_sel_hi:[0,1]
	v_pk_fma_f32 v[18:19], v[6:7], v[144:145], v[4:5] neg_lo:[0,0,1] neg_hi:[0,0,1]
	v_pk_fma_f32 v[4:5], v[6:7], v[144:145], v[4:5] op_sel_hi:[1,0,1]
	v_pk_add_f32 v[2:3], v[2:3], v[20:21]
	v_mov_b32_e32 v4, v147
	v_mov_b32_e32 v19, v5
	v_pk_mul_f32 v[4:5], v[8:9], v[4:5] op_sel:[1,0] op_sel_hi:[0,0]
	v_pk_fma_f32 v[6:7], v[8:9], v[146:147], v[4:5] neg_lo:[0,0,1] neg_hi:[0,0,1]
	v_pk_fma_f32 v[4:5], v[8:9], v[146:147], v[4:5] op_sel_hi:[1,0,1]
	v_pk_add_f32 v[2:3], v[2:3], v[18:19]
	v_mov_b32_e32 v7, v5
	s_waitcnt vmcnt(1) lgkmcnt(1)
	v_pk_mul_f32 v[4:5], v[10:11], v[164:165] op_sel:[1,1] op_sel_hi:[0,1]
	v_pk_add_f32 v[2:3], v[2:3], v[6:7]
	v_pk_fma_f32 v[6:7], v[10:11], v[164:165], v[4:5] neg_lo:[0,0,1] neg_hi:[0,0,1]
	v_pk_fma_f32 v[4:5], v[10:11], v[164:165], v[4:5] op_sel_hi:[1,0,1]
	s_nop 0
	v_mov_b32_e32 v4, v167
	v_mov_b32_e32 v7, v5
	v_pk_mul_f32 v[4:5], v[12:13], v[4:5] op_sel:[1,0] op_sel_hi:[0,0]
	v_pk_add_f32 v[2:3], v[2:3], v[6:7]
	v_pk_fma_f32 v[6:7], v[12:13], v[166:167], v[4:5] neg_lo:[0,0,1] neg_hi:[0,0,1]
	v_pk_fma_f32 v[4:5], v[12:13], v[166:167], v[4:5] op_sel_hi:[1,0,1]
	s_nop 0
	v_mov_b32_e32 v7, v5
	s_waitcnt vmcnt(0) lgkmcnt(0)
	v_pk_mul_f32 v[4:5], v[14:15], v[168:169] op_sel:[1,1] op_sel_hi:[0,1]
	v_pk_add_f32 v[2:3], v[2:3], v[6:7]
	v_pk_fma_f32 v[6:7], v[14:15], v[168:169], v[4:5] neg_lo:[0,0,1] neg_hi:[0,0,1]
	v_pk_fma_f32 v[4:5], v[14:15], v[168:169], v[4:5] op_sel_hi:[1,0,1]
	s_nop 0
	v_mov_b32_e32 v4, v171
	v_mov_b32_e32 v7, v5
	v_pk_mul_f32 v[4:5], v[16:17], v[4:5] op_sel:[1,0] op_sel_hi:[0,0]
	v_pk_add_f32 v[2:3], v[2:3], v[6:7]
	v_pk_fma_f32 v[6:7], v[16:17], v[170:171], v[4:5] neg_lo:[0,0,1] neg_hi:[0,0,1]
	v_pk_fma_f32 v[4:5], v[16:17], v[170:171], v[4:5] op_sel_hi:[1,0,1]
	s_nop 0
	v_mov_b32_e32 v7, v5
	scratch_load_dwordx2 v[4:5], off, off offset:128
	v_pk_add_f32 v[2:3], v[2:3], v[6:7]
	s_waitcnt vmcnt(0)
	v_pk_add_f32 v[2:3], v[4:5], v[2:3] neg_lo:[0,1] neg_hi:[0,1]
	scratch_store_dwordx2 off, v[2:3], off offset:128
	s_and_saveexec_b64 s[0:1], vcc
	s_cbranch_execz .LBB122_337
; %bb.336:
	scratch_load_dwordx2 v[2:3], off, off offset:120
	v_mov_b32_e32 v4, 0
	v_mov_b32_e32 v5, v4
	scratch_store_dwordx2 off, v[4:5], off offset:120
	s_waitcnt vmcnt(1)
	ds_write_b64 v1, v[2:3]
.LBB122_337:
	s_or_b64 exec, exec, s[0:1]
	v_mov_b32_e32 v102, 0
	s_waitcnt lgkmcnt(0)
	; wave barrier
	ds_read_b128 v[14:17], v102 offset:608
	ds_read_b128 v[10:13], v102 offset:624
	;; [unrolled: 1-line block ×4, first 2 shown]
	scratch_load_dwordx4 v[18:21], off, off offset:128
	scratch_load_dwordx4 v[38:41], off, off offset:192
	;; [unrolled: 1-line block ×12, first 2 shown]
	v_cmp_lt_u32_e32 vcc, 14, v0
	scratch_load_dwordx4 v[46:49], off, off offset:208
	scratch_load_dwordx4 v[54:57], off, off offset:224
	;; [unrolled: 1-line block ×3, first 2 shown]
	s_waitcnt vmcnt(14) lgkmcnt(3)
	v_mul_f32_e32 v22, v14, v19
	v_fmac_f32_e32 v22, v15, v18
	v_mul_f32_e32 v23, v16, v21
	v_add_f32_e32 v22, 0, v22
	v_fmac_f32_e32 v23, v17, v20
	v_add_f32_e32 v26, v22, v23
	scratch_load_dwordx4 v[22:25], off, off offset:144
	v_mul_f32_e32 v15, v15, v19
	v_fma_f32 v14, v14, v18, -v15
	v_mul_f32_e32 v15, v17, v21
	v_add_f32_e32 v14, 0, v14
	v_fma_f32 v15, v16, v20, -v15
	v_add_f32_e32 v14, v14, v15
	s_waitcnt vmcnt(4)
	v_mov_b32_e32 v18, v147
	s_waitcnt vmcnt(0) lgkmcnt(2)
	v_mul_f32_e32 v27, v10, v23
	v_fmac_f32_e32 v27, v11, v22
	v_add_f32_e32 v26, v26, v27
	v_mul_f32_e32 v27, v12, v25
	v_fmac_f32_e32 v27, v13, v24
	v_add_f32_e32 v30, v26, v27
	scratch_load_dwordx4 v[26:29], off, off offset:160
	v_mul_f32_e32 v11, v11, v23
	v_fma_f32 v10, v10, v22, -v11
	v_mul_f32_e32 v11, v13, v25
	v_add_f32_e32 v10, v14, v10
	v_fma_f32 v11, v12, v24, -v11
	v_add_f32_e32 v10, v10, v11
	s_waitcnt vmcnt(0) lgkmcnt(1)
	v_mul_f32_e32 v31, v6, v27
	v_fmac_f32_e32 v31, v7, v26
	v_add_f32_e32 v30, v30, v31
	v_mul_f32_e32 v31, v8, v29
	v_fmac_f32_e32 v31, v9, v28
	v_add_f32_e32 v34, v30, v31
	scratch_load_dwordx4 v[30:33], off, off offset:176
	v_mul_f32_e32 v7, v7, v27
	v_fma_f32 v6, v6, v26, -v7
	v_mul_f32_e32 v7, v9, v29
	v_add_f32_e32 v6, v10, v6
	v_fma_f32 v7, v8, v28, -v7
	v_add_f32_e32 v6, v6, v7
	s_waitcnt vmcnt(0) lgkmcnt(0)
	v_mul_f32_e32 v35, v2, v31
	v_fmac_f32_e32 v35, v3, v30
	v_add_f32_e32 v34, v34, v35
	v_mul_f32_e32 v35, v4, v33
	v_fmac_f32_e32 v35, v5, v32
	v_add_f32_e32 v42, v34, v35
	ds_read_b128 v[34:37], v102 offset:672
	v_mul_f32_e32 v3, v3, v31
	v_fma_f32 v2, v2, v30, -v3
	v_mul_f32_e32 v3, v5, v33
	v_add_f32_e32 v2, v6, v2
	s_waitcnt lgkmcnt(0)
	v_mul_f32_e32 v43, v34, v39
	v_fmac_f32_e32 v43, v35, v38
	v_add_f32_e32 v42, v42, v43
	v_mul_f32_e32 v43, v36, v41
	v_fmac_f32_e32 v43, v37, v40
	v_add_f32_e32 v50, v42, v43
	ds_read_b128 v[42:45], v102 offset:688
	v_fma_f32 v3, v4, v32, -v3
	v_add_f32_e32 v2, v2, v3
	v_mul_f32_e32 v3, v35, v39
	v_fma_f32 v3, v34, v38, -v3
	s_waitcnt lgkmcnt(0)
	v_mul_f32_e32 v51, v42, v47
	v_fmac_f32_e32 v51, v43, v46
	v_add_f32_e32 v50, v50, v51
	v_mul_f32_e32 v51, v44, v49
	v_fmac_f32_e32 v51, v45, v48
	v_add_f32_e32 v58, v50, v51
	ds_read_b128 v[50:53], v102 offset:704
	v_add_f32_e32 v2, v2, v3
	v_mul_f32_e32 v3, v37, v41
	v_fma_f32 v3, v36, v40, -v3
	v_add_f32_e32 v2, v2, v3
	s_waitcnt lgkmcnt(0)
	v_mul_f32_e32 v59, v50, v55
	v_fmac_f32_e32 v59, v51, v54
	v_add_f32_e32 v58, v58, v59
	v_mul_f32_e32 v59, v52, v57
	v_fmac_f32_e32 v59, v53, v56
	v_add_f32_e32 v66, v58, v59
	ds_read_b128 v[58:61], v102 offset:720
	v_mul_f32_e32 v3, v43, v47
	v_fma_f32 v3, v42, v46, -v3
	v_add_f32_e32 v2, v2, v3
	v_mul_f32_e32 v3, v45, v49
	s_waitcnt lgkmcnt(0)
	v_mul_f32_e32 v67, v58, v63
	v_fmac_f32_e32 v67, v59, v62
	v_add_f32_e32 v66, v66, v67
	v_mul_f32_e32 v67, v60, v65
	v_fmac_f32_e32 v67, v61, v64
	v_add_f32_e32 v74, v66, v67
	ds_read_b128 v[66:69], v102 offset:736
	v_fma_f32 v3, v44, v48, -v3
	v_add_f32_e32 v2, v2, v3
	v_mul_f32_e32 v3, v51, v55
	v_fma_f32 v3, v50, v54, -v3
	s_waitcnt lgkmcnt(0)
	v_mul_f32_e32 v75, v66, v71
	v_fmac_f32_e32 v75, v67, v70
	v_add_f32_e32 v74, v74, v75
	v_mul_f32_e32 v75, v68, v73
	v_fmac_f32_e32 v75, v69, v72
	v_add_f32_e32 v82, v74, v75
	ds_read_b128 v[74:77], v102 offset:752
	v_add_f32_e32 v2, v2, v3
	v_mul_f32_e32 v3, v53, v57
	v_fma_f32 v3, v52, v56, -v3
	v_add_f32_e32 v2, v2, v3
	s_waitcnt lgkmcnt(0)
	v_mul_f32_e32 v83, v74, v79
	v_fmac_f32_e32 v83, v75, v78
	v_add_f32_e32 v82, v82, v83
	v_mul_f32_e32 v83, v76, v81
	v_fmac_f32_e32 v83, v77, v80
	v_add_f32_e32 v90, v82, v83
	ds_read_b128 v[82:85], v102 offset:768
	v_mul_f32_e32 v3, v59, v63
	v_fma_f32 v3, v58, v62, -v3
	v_add_f32_e32 v2, v2, v3
	v_mul_f32_e32 v3, v61, v65
	s_waitcnt lgkmcnt(0)
	v_mul_f32_e32 v91, v82, v87
	v_fmac_f32_e32 v91, v83, v86
	v_add_f32_e32 v90, v90, v91
	v_mul_f32_e32 v91, v84, v89
	v_fmac_f32_e32 v91, v85, v88
	v_add_f32_e32 v98, v90, v91
	ds_read_b128 v[90:93], v102 offset:784
	v_fma_f32 v3, v60, v64, -v3
	v_add_f32_e32 v2, v2, v3
	v_mul_f32_e32 v3, v67, v71
	v_fma_f32 v3, v66, v70, -v3
	s_waitcnt lgkmcnt(0)
	v_mul_f32_e32 v99, v90, v95
	v_fmac_f32_e32 v99, v91, v94
	v_add_f32_e32 v98, v98, v99
	v_mul_f32_e32 v99, v92, v97
	v_fmac_f32_e32 v99, v93, v96
	v_add_f32_e32 v103, v98, v99
	ds_read_b128 v[98:101], v102 offset:800
	v_add_f32_e32 v2, v2, v3
	v_mul_f32_e32 v3, v69, v73
	v_fma_f32 v3, v68, v72, -v3
	v_add_f32_e32 v2, v2, v3
	s_waitcnt lgkmcnt(0)
	v_mul_f32_e32 v108, v98, v105
	v_fmac_f32_e32 v108, v99, v104
	v_add_f32_e32 v103, v103, v108
	v_mul_f32_e32 v108, v100, v107
	v_fmac_f32_e32 v108, v101, v106
	v_add_f32_e32 v103, v103, v108
	ds_read_b128 v[108:111], v102 offset:816
	v_mul_f32_e32 v3, v75, v79
	v_fma_f32 v3, v74, v78, -v3
	v_add_f32_e32 v2, v2, v3
	v_mul_f32_e32 v3, v77, v81
	s_waitcnt lgkmcnt(0)
	v_mul_f32_e32 v116, v108, v113
	v_fmac_f32_e32 v116, v109, v112
	v_add_f32_e32 v103, v103, v116
	v_mul_f32_e32 v116, v110, v115
	v_fmac_f32_e32 v116, v111, v114
	v_add_f32_e32 v103, v103, v116
	ds_read_b128 v[116:119], v102 offset:832
	v_fma_f32 v3, v76, v80, -v3
	v_add_f32_e32 v2, v2, v3
	v_mul_f32_e32 v3, v83, v87
	v_fma_f32 v3, v82, v86, -v3
	s_waitcnt lgkmcnt(0)
	v_mul_f32_e32 v124, v116, v121
	v_fmac_f32_e32 v124, v117, v120
	v_add_f32_e32 v103, v103, v124
	v_mul_f32_e32 v124, v118, v123
	v_fmac_f32_e32 v124, v119, v122
	v_add_f32_e32 v103, v103, v124
	ds_read_b128 v[124:127], v102 offset:848
	v_add_f32_e32 v2, v2, v3
	v_mul_f32_e32 v3, v85, v89
	v_fma_f32 v3, v84, v88, -v3
	v_add_f32_e32 v2, v2, v3
	s_waitcnt lgkmcnt(0)
	v_mul_f32_e32 v132, v124, v129
	v_fmac_f32_e32 v132, v125, v128
	v_add_f32_e32 v103, v103, v132
	v_mul_f32_e32 v132, v126, v131
	v_fmac_f32_e32 v132, v127, v130
	v_add_f32_e32 v103, v103, v132
	ds_read_b128 v[132:135], v102 offset:864
	v_mul_f32_e32 v3, v91, v95
	v_fma_f32 v3, v90, v94, -v3
	v_add_f32_e32 v2, v2, v3
	v_mul_f32_e32 v3, v93, v97
	s_waitcnt lgkmcnt(0)
	v_mul_f32_e32 v140, v132, v137
	v_fmac_f32_e32 v140, v133, v136
	v_add_f32_e32 v149, v103, v140
	ds_read_b128 v[140:143], v102 offset:880
	scratch_load_dwordx4 v[164:167], off, off offset:416
	scratch_load_dwordx4 v[168:171], off, off offset:432
	;; [unrolled: 1-line block ×3, first 2 shown]
	scratch_load_dwordx2 v[180:181], off, off offset:464
	v_fma_f32 v3, v92, v96, -v3
	v_add_f32_e32 v2, v2, v3
	v_mul_f32_e32 v3, v99, v105
	v_fma_f32 v3, v98, v104, -v3
	v_add_f32_e32 v2, v2, v3
	v_mul_f32_e32 v3, v101, v107
	;; [unrolled: 3-line block ×10, first 2 shown]
	v_mul_f32_e32 v177, v134, v139
	v_fma_f32 v176, v134, v138, -v2
	s_waitcnt lgkmcnt(0)
	v_mul_f32_e32 v2, v141, v145
	v_fmac_f32_e32 v177, v135, v138
	v_mul_f32_e32 v179, v140, v145
	v_fma_f32 v178, v140, v144, -v2
	ds_read_b128 v[2:5], v102 offset:896
	ds_read_b128 v[6:9], v102 offset:912
	;; [unrolled: 1-line block ×3, first 2 shown]
	ds_read_b64 v[14:15], v102 offset:944
	v_pk_mul_f32 v[18:19], v[142:143], v[18:19] op_sel:[1,0] op_sel_hi:[0,0]
	v_fmac_f32_e32 v179, v141, v144
	v_pk_add_f32 v[16:17], v[148:149], v[176:177]
	v_pk_fma_f32 v[20:21], v[142:143], v[146:147], v[18:19] neg_lo:[0,0,1] neg_hi:[0,0,1]
	v_pk_fma_f32 v[18:19], v[142:143], v[146:147], v[18:19] op_sel_hi:[1,0,1]
	v_pk_add_f32 v[16:17], v[16:17], v[178:179]
	v_mov_b32_e32 v21, v19
	v_pk_add_f32 v[16:17], v[16:17], v[20:21]
	s_waitcnt vmcnt(3) lgkmcnt(3)
	v_pk_mul_f32 v[18:19], v[2:3], v[164:165] op_sel:[1,1] op_sel_hi:[0,1]
	v_pk_fma_f32 v[20:21], v[2:3], v[164:165], v[18:19] neg_lo:[0,0,1] neg_hi:[0,0,1]
	v_pk_fma_f32 v[2:3], v[2:3], v[164:165], v[18:19] op_sel_hi:[1,0,1]
	s_nop 0
	v_mov_b32_e32 v21, v3
	v_pk_add_f32 v[2:3], v[16:17], v[20:21]
	v_mov_b32_e32 v16, v167
	v_pk_mul_f32 v[16:17], v[4:5], v[16:17] op_sel:[1,0] op_sel_hi:[0,0]
	v_pk_fma_f32 v[18:19], v[4:5], v[166:167], v[16:17] neg_lo:[0,0,1] neg_hi:[0,0,1]
	v_pk_fma_f32 v[4:5], v[4:5], v[166:167], v[16:17] op_sel_hi:[1,0,1]
	s_nop 0
	v_mov_b32_e32 v19, v5
	s_waitcnt vmcnt(2) lgkmcnt(2)
	v_pk_mul_f32 v[4:5], v[6:7], v[168:169] op_sel:[1,1] op_sel_hi:[0,1]
	v_pk_fma_f32 v[16:17], v[6:7], v[168:169], v[4:5] neg_lo:[0,0,1] neg_hi:[0,0,1]
	v_pk_fma_f32 v[4:5], v[6:7], v[168:169], v[4:5] op_sel_hi:[1,0,1]
	v_pk_add_f32 v[2:3], v[2:3], v[18:19]
	v_mov_b32_e32 v4, v171
	v_mov_b32_e32 v17, v5
	v_pk_mul_f32 v[4:5], v[8:9], v[4:5] op_sel:[1,0] op_sel_hi:[0,0]
	v_pk_fma_f32 v[6:7], v[8:9], v[170:171], v[4:5] neg_lo:[0,0,1] neg_hi:[0,0,1]
	v_pk_fma_f32 v[4:5], v[8:9], v[170:171], v[4:5] op_sel_hi:[1,0,1]
	v_pk_add_f32 v[2:3], v[2:3], v[16:17]
	v_mov_b32_e32 v7, v5
	s_waitcnt vmcnt(1) lgkmcnt(1)
	v_pk_mul_f32 v[4:5], v[10:11], v[172:173] op_sel:[1,1] op_sel_hi:[0,1]
	v_pk_add_f32 v[2:3], v[2:3], v[6:7]
	v_pk_fma_f32 v[6:7], v[10:11], v[172:173], v[4:5] neg_lo:[0,0,1] neg_hi:[0,0,1]
	v_pk_fma_f32 v[4:5], v[10:11], v[172:173], v[4:5] op_sel_hi:[1,0,1]
	s_nop 0
	v_mov_b32_e32 v4, v175
	v_mov_b32_e32 v7, v5
	v_pk_mul_f32 v[4:5], v[12:13], v[4:5] op_sel:[1,0] op_sel_hi:[0,0]
	v_pk_add_f32 v[2:3], v[2:3], v[6:7]
	v_pk_fma_f32 v[6:7], v[12:13], v[174:175], v[4:5] neg_lo:[0,0,1] neg_hi:[0,0,1]
	v_pk_fma_f32 v[4:5], v[12:13], v[174:175], v[4:5] op_sel_hi:[1,0,1]
	s_nop 0
	v_mov_b32_e32 v7, v5
	s_waitcnt vmcnt(0) lgkmcnt(0)
	v_pk_mul_f32 v[4:5], v[14:15], v[180:181] op_sel:[1,1] op_sel_hi:[0,1]
	v_pk_add_f32 v[2:3], v[2:3], v[6:7]
	v_pk_fma_f32 v[6:7], v[14:15], v[180:181], v[4:5] neg_lo:[0,0,1] neg_hi:[0,0,1]
	v_pk_fma_f32 v[4:5], v[14:15], v[180:181], v[4:5] op_sel_hi:[1,0,1]
	s_nop 0
	v_mov_b32_e32 v7, v5
	scratch_load_dwordx2 v[4:5], off, off offset:120
	v_pk_add_f32 v[2:3], v[2:3], v[6:7]
	s_waitcnt vmcnt(0)
	v_pk_add_f32 v[2:3], v[4:5], v[2:3] neg_lo:[0,1] neg_hi:[0,1]
	scratch_store_dwordx2 off, v[2:3], off offset:120
	s_and_saveexec_b64 s[0:1], vcc
	s_cbranch_execz .LBB122_339
; %bb.338:
	scratch_load_dwordx2 v[2:3], off, off offset:112
	v_mov_b32_e32 v103, v102
	scratch_store_dwordx2 off, v[102:103], off offset:112
	s_waitcnt vmcnt(1)
	ds_write_b64 v1, v[2:3]
.LBB122_339:
	s_or_b64 exec, exec, s[0:1]
	s_waitcnt lgkmcnt(0)
	; wave barrier
	scratch_load_dwordx4 v[6:9], off, off offset:120
	scratch_load_dwordx4 v[14:17], off, off offset:136
	;; [unrolled: 1-line block ×10, first 2 shown]
	ds_read2_b64 v[2:5], v102 offset0:75 offset1:76
	scratch_load_dwordx4 v[86:89], off, off offset:280
	scratch_load_dwordx4 v[94:97], off, off offset:296
	;; [unrolled: 1-line block ×8, first 2 shown]
	v_cmp_lt_u32_e32 vcc, 13, v0
	s_waitcnt vmcnt(17) lgkmcnt(0)
	v_mul_f32_e32 v10, v2, v7
	v_fmac_f32_e32 v10, v3, v6
	v_mul_f32_e32 v11, v4, v9
	v_add_f32_e32 v10, 0, v10
	v_fmac_f32_e32 v11, v5, v8
	v_add_f32_e32 v18, v10, v11
	ds_read2_b64 v[10:13], v102 offset0:77 offset1:78
	v_mul_f32_e32 v3, v3, v7
	v_fma_f32 v2, v2, v6, -v3
	v_mul_f32_e32 v3, v5, v9
	v_add_f32_e32 v2, 0, v2
	s_waitcnt vmcnt(16) lgkmcnt(0)
	v_mul_f32_e32 v19, v10, v15
	v_fmac_f32_e32 v19, v11, v14
	v_add_f32_e32 v18, v18, v19
	v_mul_f32_e32 v19, v12, v17
	v_fmac_f32_e32 v19, v13, v16
	v_add_f32_e32 v26, v18, v19
	ds_read2_b64 v[18:21], v102 offset0:79 offset1:80
	v_fma_f32 v3, v4, v8, -v3
	v_add_f32_e32 v2, v2, v3
	v_mul_f32_e32 v3, v11, v15
	v_fma_f32 v3, v10, v14, -v3
	s_waitcnt vmcnt(15) lgkmcnt(0)
	v_mul_f32_e32 v27, v18, v23
	v_fmac_f32_e32 v27, v19, v22
	v_add_f32_e32 v26, v26, v27
	v_mul_f32_e32 v27, v20, v25
	v_fmac_f32_e32 v27, v21, v24
	v_add_f32_e32 v34, v26, v27
	ds_read2_b64 v[26:29], v102 offset0:81 offset1:82
	v_add_f32_e32 v2, v2, v3
	v_mul_f32_e32 v3, v13, v17
	v_fma_f32 v3, v12, v16, -v3
	v_add_f32_e32 v2, v2, v3
	s_waitcnt vmcnt(14) lgkmcnt(0)
	v_mul_f32_e32 v35, v26, v31
	v_fmac_f32_e32 v35, v27, v30
	v_add_f32_e32 v34, v34, v35
	v_mul_f32_e32 v35, v28, v33
	v_fmac_f32_e32 v35, v29, v32
	v_add_f32_e32 v42, v34, v35
	ds_read2_b64 v[34:37], v102 offset0:83 offset1:84
	v_mul_f32_e32 v3, v19, v23
	v_fma_f32 v3, v18, v22, -v3
	v_add_f32_e32 v2, v2, v3
	v_mul_f32_e32 v3, v21, v25
	s_waitcnt vmcnt(13) lgkmcnt(0)
	v_mul_f32_e32 v43, v34, v39
	v_fmac_f32_e32 v43, v35, v38
	v_add_f32_e32 v42, v42, v43
	v_mul_f32_e32 v43, v36, v41
	v_fmac_f32_e32 v43, v37, v40
	v_add_f32_e32 v50, v42, v43
	ds_read2_b64 v[42:45], v102 offset0:85 offset1:86
	v_fma_f32 v3, v20, v24, -v3
	v_add_f32_e32 v2, v2, v3
	v_mul_f32_e32 v3, v27, v31
	v_fma_f32 v3, v26, v30, -v3
	s_waitcnt vmcnt(12) lgkmcnt(0)
	v_mul_f32_e32 v51, v42, v47
	v_fmac_f32_e32 v51, v43, v46
	v_add_f32_e32 v50, v50, v51
	v_mul_f32_e32 v51, v44, v49
	v_fmac_f32_e32 v51, v45, v48
	v_add_f32_e32 v58, v50, v51
	ds_read2_b64 v[50:53], v102 offset0:87 offset1:88
	v_add_f32_e32 v2, v2, v3
	v_mul_f32_e32 v3, v29, v33
	v_fma_f32 v3, v28, v32, -v3
	v_add_f32_e32 v2, v2, v3
	s_waitcnt vmcnt(11) lgkmcnt(0)
	v_mul_f32_e32 v59, v50, v55
	v_fmac_f32_e32 v59, v51, v54
	v_add_f32_e32 v58, v58, v59
	v_mul_f32_e32 v59, v52, v57
	v_fmac_f32_e32 v59, v53, v56
	v_add_f32_e32 v66, v58, v59
	ds_read2_b64 v[58:61], v102 offset0:89 offset1:90
	v_mul_f32_e32 v3, v35, v39
	v_fma_f32 v3, v34, v38, -v3
	v_add_f32_e32 v2, v2, v3
	v_mul_f32_e32 v3, v37, v41
	s_waitcnt vmcnt(10) lgkmcnt(0)
	v_mul_f32_e32 v67, v58, v63
	v_fmac_f32_e32 v67, v59, v62
	v_add_f32_e32 v66, v66, v67
	v_mul_f32_e32 v67, v60, v65
	v_fmac_f32_e32 v67, v61, v64
	v_add_f32_e32 v74, v66, v67
	ds_read2_b64 v[66:69], v102 offset0:91 offset1:92
	v_fma_f32 v3, v36, v40, -v3
	v_add_f32_e32 v2, v2, v3
	v_mul_f32_e32 v3, v43, v47
	v_fma_f32 v3, v42, v46, -v3
	s_waitcnt vmcnt(9) lgkmcnt(0)
	v_mul_f32_e32 v75, v66, v71
	v_fmac_f32_e32 v75, v67, v70
	v_add_f32_e32 v74, v74, v75
	v_mul_f32_e32 v75, v68, v73
	v_fmac_f32_e32 v75, v69, v72
	v_add_f32_e32 v82, v74, v75
	ds_read2_b64 v[74:77], v102 offset0:93 offset1:94
	v_add_f32_e32 v2, v2, v3
	v_mul_f32_e32 v3, v45, v49
	v_fma_f32 v3, v44, v48, -v3
	v_add_f32_e32 v2, v2, v3
	s_waitcnt vmcnt(8) lgkmcnt(0)
	v_mul_f32_e32 v83, v74, v79
	v_fmac_f32_e32 v83, v75, v78
	v_add_f32_e32 v82, v82, v83
	v_mul_f32_e32 v83, v76, v81
	v_fmac_f32_e32 v83, v77, v80
	v_add_f32_e32 v90, v82, v83
	ds_read2_b64 v[82:85], v102 offset0:95 offset1:96
	v_mul_f32_e32 v3, v51, v55
	v_fma_f32 v3, v50, v54, -v3
	v_add_f32_e32 v2, v2, v3
	v_mul_f32_e32 v3, v53, v57
	s_waitcnt vmcnt(7) lgkmcnt(0)
	v_mul_f32_e32 v91, v82, v87
	v_fmac_f32_e32 v91, v83, v86
	v_add_f32_e32 v90, v90, v91
	v_mul_f32_e32 v91, v84, v89
	v_fmac_f32_e32 v91, v85, v88
	v_add_f32_e32 v98, v90, v91
	ds_read2_b64 v[90:93], v102 offset0:97 offset1:98
	v_fma_f32 v3, v52, v56, -v3
	v_add_f32_e32 v2, v2, v3
	v_mul_f32_e32 v3, v59, v63
	v_fma_f32 v3, v58, v62, -v3
	s_waitcnt vmcnt(6) lgkmcnt(0)
	v_mul_f32_e32 v99, v90, v95
	v_fmac_f32_e32 v99, v91, v94
	v_add_f32_e32 v98, v98, v99
	v_mul_f32_e32 v99, v92, v97
	v_fmac_f32_e32 v99, v93, v96
	v_add_f32_e32 v103, v98, v99
	ds_read2_b64 v[98:101], v102 offset0:99 offset1:100
	v_add_f32_e32 v2, v2, v3
	v_mul_f32_e32 v3, v61, v65
	v_fma_f32 v3, v60, v64, -v3
	v_add_f32_e32 v2, v2, v3
	s_waitcnt vmcnt(5) lgkmcnt(0)
	v_mul_f32_e32 v108, v98, v105
	v_fmac_f32_e32 v108, v99, v104
	v_add_f32_e32 v103, v103, v108
	v_mul_f32_e32 v108, v100, v107
	v_fmac_f32_e32 v108, v101, v106
	v_add_f32_e32 v103, v103, v108
	ds_read2_b64 v[108:111], v102 offset0:101 offset1:102
	v_mul_f32_e32 v3, v67, v71
	v_fma_f32 v3, v66, v70, -v3
	v_add_f32_e32 v2, v2, v3
	v_mul_f32_e32 v3, v69, v73
	s_waitcnt vmcnt(4) lgkmcnt(0)
	v_mul_f32_e32 v116, v108, v113
	v_fmac_f32_e32 v116, v109, v112
	v_add_f32_e32 v103, v103, v116
	v_mul_f32_e32 v116, v110, v115
	v_fmac_f32_e32 v116, v111, v114
	v_add_f32_e32 v103, v103, v116
	ds_read2_b64 v[116:119], v102 offset0:103 offset1:104
	v_fma_f32 v3, v68, v72, -v3
	v_add_f32_e32 v2, v2, v3
	v_mul_f32_e32 v3, v75, v79
	v_fma_f32 v3, v74, v78, -v3
	s_waitcnt vmcnt(3) lgkmcnt(0)
	v_mul_f32_e32 v124, v116, v121
	v_fmac_f32_e32 v124, v117, v120
	v_add_f32_e32 v103, v103, v124
	v_mul_f32_e32 v124, v118, v123
	v_fmac_f32_e32 v124, v119, v122
	v_add_f32_e32 v103, v103, v124
	ds_read2_b64 v[124:127], v102 offset0:105 offset1:106
	v_add_f32_e32 v2, v2, v3
	v_mul_f32_e32 v3, v77, v81
	v_fma_f32 v3, v76, v80, -v3
	v_add_f32_e32 v2, v2, v3
	s_waitcnt vmcnt(2) lgkmcnt(0)
	v_mul_f32_e32 v132, v124, v129
	v_fmac_f32_e32 v132, v125, v128
	v_add_f32_e32 v103, v103, v132
	v_mul_f32_e32 v132, v126, v131
	v_fmac_f32_e32 v132, v127, v130
	v_add_f32_e32 v103, v103, v132
	ds_read2_b64 v[132:135], v102 offset0:107 offset1:108
	v_mul_f32_e32 v3, v83, v87
	v_fma_f32 v3, v82, v86, -v3
	v_add_f32_e32 v2, v2, v3
	v_mul_f32_e32 v3, v85, v89
	s_waitcnt vmcnt(1) lgkmcnt(0)
	v_mul_f32_e32 v140, v132, v137
	v_fmac_f32_e32 v140, v133, v136
	v_add_f32_e32 v103, v103, v140
	v_mul_f32_e32 v140, v134, v139
	v_fmac_f32_e32 v140, v135, v138
	v_add_f32_e32 v149, v103, v140
	ds_read2_b64 v[140:143], v102 offset0:109 offset1:110
	scratch_load_dwordx4 v[164:167], off, off offset:408
	scratch_load_dwordx4 v[168:171], off, off offset:424
	;; [unrolled: 1-line block ×4, first 2 shown]
	v_fma_f32 v3, v84, v88, -v3
	v_add_f32_e32 v2, v2, v3
	v_mul_f32_e32 v3, v91, v95
	v_fma_f32 v3, v90, v94, -v3
	v_add_f32_e32 v2, v2, v3
	v_mul_f32_e32 v3, v93, v97
	;; [unrolled: 3-line block ×12, first 2 shown]
	v_fma_f32 v3, v134, v138, -v3
	v_add_f32_e32 v148, v2, v3
	s_waitcnt vmcnt(4) lgkmcnt(0)
	v_mul_f32_e32 v2, v141, v145
	v_fma_f32 v180, v140, v144, -v2
	v_mul_f32_e32 v2, v143, v147
	v_fma_f32 v182, v142, v146, -v2
	ds_read2_b64 v[2:5], v102 offset0:111 offset1:112
	ds_read2_b64 v[6:9], v102 offset0:113 offset1:114
	;; [unrolled: 1-line block ×4, first 2 shown]
	v_mul_f32_e32 v181, v140, v145
	v_fmac_f32_e32 v181, v141, v144
	v_mul_f32_e32 v183, v142, v147
	v_fmac_f32_e32 v183, v143, v146
	v_pk_add_f32 v[18:19], v[148:149], v[180:181]
	s_waitcnt vmcnt(3) lgkmcnt(3)
	v_pk_mul_f32 v[20:21], v[2:3], v[164:165] op_sel:[1,1] op_sel_hi:[0,1]
	v_pk_fma_f32 v[22:23], v[2:3], v[164:165], v[20:21] neg_lo:[0,0,1] neg_hi:[0,0,1]
	v_pk_fma_f32 v[2:3], v[2:3], v[164:165], v[20:21] op_sel_hi:[1,0,1]
	v_pk_add_f32 v[18:19], v[18:19], v[182:183]
	v_mov_b32_e32 v23, v3
	v_pk_add_f32 v[2:3], v[18:19], v[22:23]
	v_mov_b32_e32 v18, v167
	v_pk_mul_f32 v[18:19], v[4:5], v[18:19] op_sel:[1,0] op_sel_hi:[0,0]
	v_pk_fma_f32 v[20:21], v[4:5], v[166:167], v[18:19] neg_lo:[0,0,1] neg_hi:[0,0,1]
	v_pk_fma_f32 v[4:5], v[4:5], v[166:167], v[18:19] op_sel_hi:[1,0,1]
	s_nop 0
	v_mov_b32_e32 v21, v5
	s_waitcnt vmcnt(2) lgkmcnt(2)
	v_pk_mul_f32 v[4:5], v[6:7], v[168:169] op_sel:[1,1] op_sel_hi:[0,1]
	v_pk_fma_f32 v[18:19], v[6:7], v[168:169], v[4:5] neg_lo:[0,0,1] neg_hi:[0,0,1]
	v_pk_fma_f32 v[4:5], v[6:7], v[168:169], v[4:5] op_sel_hi:[1,0,1]
	v_pk_add_f32 v[2:3], v[2:3], v[20:21]
	v_mov_b32_e32 v4, v171
	v_mov_b32_e32 v19, v5
	v_pk_mul_f32 v[4:5], v[8:9], v[4:5] op_sel:[1,0] op_sel_hi:[0,0]
	v_pk_fma_f32 v[6:7], v[8:9], v[170:171], v[4:5] neg_lo:[0,0,1] neg_hi:[0,0,1]
	v_pk_fma_f32 v[4:5], v[8:9], v[170:171], v[4:5] op_sel_hi:[1,0,1]
	v_pk_add_f32 v[2:3], v[2:3], v[18:19]
	v_mov_b32_e32 v7, v5
	s_waitcnt vmcnt(1) lgkmcnt(1)
	v_pk_mul_f32 v[4:5], v[10:11], v[172:173] op_sel:[1,1] op_sel_hi:[0,1]
	v_pk_add_f32 v[2:3], v[2:3], v[6:7]
	v_pk_fma_f32 v[6:7], v[10:11], v[172:173], v[4:5] neg_lo:[0,0,1] neg_hi:[0,0,1]
	v_pk_fma_f32 v[4:5], v[10:11], v[172:173], v[4:5] op_sel_hi:[1,0,1]
	s_nop 0
	v_mov_b32_e32 v4, v175
	v_mov_b32_e32 v7, v5
	v_pk_mul_f32 v[4:5], v[12:13], v[4:5] op_sel:[1,0] op_sel_hi:[0,0]
	v_pk_add_f32 v[2:3], v[2:3], v[6:7]
	v_pk_fma_f32 v[6:7], v[12:13], v[174:175], v[4:5] neg_lo:[0,0,1] neg_hi:[0,0,1]
	v_pk_fma_f32 v[4:5], v[12:13], v[174:175], v[4:5] op_sel_hi:[1,0,1]
	s_nop 0
	v_mov_b32_e32 v7, v5
	s_waitcnt vmcnt(0) lgkmcnt(0)
	v_pk_mul_f32 v[4:5], v[14:15], v[176:177] op_sel:[1,1] op_sel_hi:[0,1]
	v_pk_add_f32 v[2:3], v[2:3], v[6:7]
	v_pk_fma_f32 v[6:7], v[14:15], v[176:177], v[4:5] neg_lo:[0,0,1] neg_hi:[0,0,1]
	v_pk_fma_f32 v[4:5], v[14:15], v[176:177], v[4:5] op_sel_hi:[1,0,1]
	s_nop 0
	v_mov_b32_e32 v4, v179
	v_mov_b32_e32 v7, v5
	v_pk_mul_f32 v[4:5], v[16:17], v[4:5] op_sel:[1,0] op_sel_hi:[0,0]
	v_pk_add_f32 v[2:3], v[2:3], v[6:7]
	v_pk_fma_f32 v[6:7], v[16:17], v[178:179], v[4:5] neg_lo:[0,0,1] neg_hi:[0,0,1]
	v_pk_fma_f32 v[4:5], v[16:17], v[178:179], v[4:5] op_sel_hi:[1,0,1]
	s_nop 0
	v_mov_b32_e32 v7, v5
	scratch_load_dwordx2 v[4:5], off, off offset:112
	v_pk_add_f32 v[2:3], v[2:3], v[6:7]
	s_waitcnt vmcnt(0)
	v_pk_add_f32 v[2:3], v[4:5], v[2:3] neg_lo:[0,1] neg_hi:[0,1]
	scratch_store_dwordx2 off, v[2:3], off offset:112
	s_and_saveexec_b64 s[0:1], vcc
	s_cbranch_execz .LBB122_341
; %bb.340:
	scratch_load_dwordx2 v[2:3], off, off offset:104
	v_mov_b32_e32 v4, 0
	v_mov_b32_e32 v5, v4
	scratch_store_dwordx2 off, v[4:5], off offset:104
	s_waitcnt vmcnt(1)
	ds_write_b64 v1, v[2:3]
.LBB122_341:
	s_or_b64 exec, exec, s[0:1]
	v_mov_b32_e32 v110, 0
	s_waitcnt lgkmcnt(0)
	; wave barrier
	ds_read_b128 v[14:17], v110 offset:592
	ds_read_b128 v[10:13], v110 offset:608
	;; [unrolled: 1-line block ×4, first 2 shown]
	scratch_load_dwordx4 v[18:21], off, off offset:112
	scratch_load_dwordx4 v[38:41], off, off offset:176
	;; [unrolled: 1-line block ×13, first 2 shown]
	v_cmp_lt_u32_e32 vcc, 12, v0
	scratch_load_dwordx4 v[46:49], off, off offset:192
	scratch_load_dwordx4 v[54:57], off, off offset:208
	scratch_load_dwordx4 v[62:65], off, off offset:224
	ds_read_b128 v[164:167], v110 offset:880
	s_waitcnt vmcnt(15) lgkmcnt(4)
	v_mul_f32_e32 v22, v14, v19
	v_fmac_f32_e32 v22, v15, v18
	v_mul_f32_e32 v23, v16, v21
	v_add_f32_e32 v22, 0, v22
	v_fmac_f32_e32 v23, v17, v20
	v_add_f32_e32 v26, v22, v23
	scratch_load_dwordx4 v[22:25], off, off offset:128
	v_mul_f32_e32 v15, v15, v19
	v_fma_f32 v14, v14, v18, -v15
	v_mul_f32_e32 v15, v17, v21
	v_add_f32_e32 v14, 0, v14
	v_fma_f32 v15, v16, v20, -v15
	v_add_f32_e32 v14, v14, v15
	s_waitcnt vmcnt(4)
	v_mov_b32_e32 v18, v171
	s_waitcnt lgkmcnt(0)
	v_mul_f32_e32 v187, v164, v169
	v_pk_mul_f32 v[18:19], v[166:167], v[18:19] op_sel:[1,0] op_sel_hi:[0,0]
	v_fmac_f32_e32 v187, v165, v168
	v_pk_fma_f32 v[20:21], v[166:167], v[170:171], v[18:19] neg_lo:[0,0,1] neg_hi:[0,0,1]
	v_pk_fma_f32 v[18:19], v[166:167], v[170:171], v[18:19] op_sel_hi:[1,0,1]
	s_waitcnt vmcnt(0)
	v_mul_f32_e32 v27, v10, v23
	v_fmac_f32_e32 v27, v11, v22
	v_add_f32_e32 v26, v26, v27
	v_mul_f32_e32 v27, v12, v25
	v_fmac_f32_e32 v27, v13, v24
	v_add_f32_e32 v30, v26, v27
	scratch_load_dwordx4 v[26:29], off, off offset:144
	v_mul_f32_e32 v11, v11, v23
	v_fma_f32 v10, v10, v22, -v11
	v_mul_f32_e32 v11, v13, v25
	v_add_f32_e32 v10, v14, v10
	v_fma_f32 v11, v12, v24, -v11
	v_add_f32_e32 v10, v10, v11
	v_mov_b32_e32 v21, v19
	s_waitcnt vmcnt(0)
	v_mul_f32_e32 v31, v6, v27
	v_fmac_f32_e32 v31, v7, v26
	v_add_f32_e32 v30, v30, v31
	v_mul_f32_e32 v31, v8, v29
	v_fmac_f32_e32 v31, v9, v28
	v_add_f32_e32 v34, v30, v31
	scratch_load_dwordx4 v[30:33], off, off offset:160
	v_mul_f32_e32 v7, v7, v27
	v_fma_f32 v6, v6, v26, -v7
	v_mul_f32_e32 v7, v9, v29
	v_add_f32_e32 v6, v10, v6
	v_fma_f32 v7, v8, v28, -v7
	v_add_f32_e32 v6, v6, v7
	s_waitcnt vmcnt(0)
	v_mul_f32_e32 v35, v2, v31
	v_fmac_f32_e32 v35, v3, v30
	v_add_f32_e32 v34, v34, v35
	v_mul_f32_e32 v35, v4, v33
	v_fmac_f32_e32 v35, v5, v32
	v_add_f32_e32 v42, v34, v35
	ds_read_b128 v[34:37], v110 offset:656
	v_mul_f32_e32 v3, v3, v31
	v_fma_f32 v2, v2, v30, -v3
	v_mul_f32_e32 v3, v5, v33
	v_add_f32_e32 v2, v6, v2
	s_waitcnt lgkmcnt(0)
	v_mul_f32_e32 v43, v34, v39
	v_fmac_f32_e32 v43, v35, v38
	v_add_f32_e32 v42, v42, v43
	v_mul_f32_e32 v43, v36, v41
	v_fmac_f32_e32 v43, v37, v40
	v_add_f32_e32 v50, v42, v43
	ds_read_b128 v[42:45], v110 offset:672
	v_fma_f32 v3, v4, v32, -v3
	v_add_f32_e32 v2, v2, v3
	v_mul_f32_e32 v3, v35, v39
	v_fma_f32 v3, v34, v38, -v3
	s_waitcnt lgkmcnt(0)
	v_mul_f32_e32 v51, v42, v47
	v_fmac_f32_e32 v51, v43, v46
	v_add_f32_e32 v50, v50, v51
	v_mul_f32_e32 v51, v44, v49
	v_fmac_f32_e32 v51, v45, v48
	v_add_f32_e32 v58, v50, v51
	ds_read_b128 v[50:53], v110 offset:688
	v_add_f32_e32 v2, v2, v3
	v_mul_f32_e32 v3, v37, v41
	v_fma_f32 v3, v36, v40, -v3
	v_add_f32_e32 v2, v2, v3
	s_waitcnt lgkmcnt(0)
	v_mul_f32_e32 v59, v50, v55
	v_fmac_f32_e32 v59, v51, v54
	v_add_f32_e32 v58, v58, v59
	v_mul_f32_e32 v59, v52, v57
	v_fmac_f32_e32 v59, v53, v56
	v_add_f32_e32 v66, v58, v59
	ds_read_b128 v[58:61], v110 offset:704
	v_mul_f32_e32 v3, v43, v47
	v_fma_f32 v3, v42, v46, -v3
	v_add_f32_e32 v2, v2, v3
	v_mul_f32_e32 v3, v45, v49
	s_waitcnt lgkmcnt(0)
	v_mul_f32_e32 v67, v58, v63
	v_fmac_f32_e32 v67, v59, v62
	v_add_f32_e32 v66, v66, v67
	v_mul_f32_e32 v67, v60, v65
	v_fmac_f32_e32 v67, v61, v64
	v_add_f32_e32 v74, v66, v67
	ds_read_b128 v[66:69], v110 offset:720
	v_fma_f32 v3, v44, v48, -v3
	v_add_f32_e32 v2, v2, v3
	v_mul_f32_e32 v3, v51, v55
	v_fma_f32 v3, v50, v54, -v3
	s_waitcnt lgkmcnt(0)
	v_mul_f32_e32 v75, v66, v71
	v_fmac_f32_e32 v75, v67, v70
	v_add_f32_e32 v74, v74, v75
	v_mul_f32_e32 v75, v68, v73
	v_fmac_f32_e32 v75, v69, v72
	v_add_f32_e32 v82, v74, v75
	ds_read_b128 v[74:77], v110 offset:736
	v_add_f32_e32 v2, v2, v3
	v_mul_f32_e32 v3, v53, v57
	v_fma_f32 v3, v52, v56, -v3
	v_add_f32_e32 v2, v2, v3
	s_waitcnt lgkmcnt(0)
	v_mul_f32_e32 v83, v74, v79
	v_fmac_f32_e32 v83, v75, v78
	v_add_f32_e32 v82, v82, v83
	v_mul_f32_e32 v83, v76, v81
	v_fmac_f32_e32 v83, v77, v80
	v_add_f32_e32 v90, v82, v83
	ds_read_b128 v[82:85], v110 offset:752
	v_mul_f32_e32 v3, v59, v63
	v_fma_f32 v3, v58, v62, -v3
	v_add_f32_e32 v2, v2, v3
	v_mul_f32_e32 v3, v61, v65
	;; [unrolled: 36-line block ×4, first 2 shown]
	s_waitcnt lgkmcnt(0)
	v_mul_f32_e32 v140, v132, v137
	v_fmac_f32_e32 v140, v133, v136
	v_add_f32_e32 v111, v111, v140
	v_mul_f32_e32 v140, v134, v139
	v_fmac_f32_e32 v140, v135, v138
	v_add_f32_e32 v111, v111, v140
	ds_read_b128 v[140:143], v110 offset:864
	scratch_load_dwordx4 v[172:175], off, off offset:416
	scratch_load_dwordx4 v[176:179], off, off offset:432
	;; [unrolled: 1-line block ×3, first 2 shown]
	scratch_load_dwordx2 v[188:189], off, off offset:464
	v_fma_f32 v3, v92, v96, -v3
	v_add_f32_e32 v2, v2, v3
	v_mul_f32_e32 v3, v99, v103
	v_fma_f32 v3, v98, v102, -v3
	v_add_f32_e32 v2, v2, v3
	v_mul_f32_e32 v3, v101, v105
	;; [unrolled: 3-line block ×10, first 2 shown]
	v_fma_f32 v3, v134, v138, -v3
	s_waitcnt lgkmcnt(0)
	v_mul_f32_e32 v148, v140, v145
	v_add_f32_e32 v2, v2, v3
	v_mul_f32_e32 v3, v141, v145
	v_fmac_f32_e32 v148, v141, v144
	v_fma_f32 v3, v140, v144, -v3
	v_add_f32_e32 v149, v111, v148
	v_add_f32_e32 v148, v2, v3
	v_mul_f32_e32 v2, v143, v147
	v_mul_f32_e32 v185, v142, v147
	v_fma_f32 v184, v142, v146, -v2
	v_mul_f32_e32 v2, v165, v169
	v_fmac_f32_e32 v185, v143, v146
	v_fma_f32 v186, v164, v168, -v2
	ds_read_b128 v[2:5], v110 offset:896
	ds_read_b128 v[6:9], v110 offset:912
	;; [unrolled: 1-line block ×3, first 2 shown]
	ds_read_b64 v[14:15], v110 offset:944
	v_pk_add_f32 v[16:17], v[148:149], v[184:185]
	s_waitcnt vmcnt(3) lgkmcnt(3)
	v_pk_mul_f32 v[18:19], v[2:3], v[172:173] op_sel:[1,1] op_sel_hi:[0,1]
	v_pk_add_f32 v[16:17], v[16:17], v[186:187]
	s_nop 0
	v_pk_add_f32 v[16:17], v[16:17], v[20:21]
	v_pk_fma_f32 v[20:21], v[2:3], v[172:173], v[18:19] neg_lo:[0,0,1] neg_hi:[0,0,1]
	v_pk_fma_f32 v[2:3], v[2:3], v[172:173], v[18:19] op_sel_hi:[1,0,1]
	s_nop 0
	v_mov_b32_e32 v21, v3
	v_pk_add_f32 v[2:3], v[16:17], v[20:21]
	v_mov_b32_e32 v16, v175
	v_pk_mul_f32 v[16:17], v[4:5], v[16:17] op_sel:[1,0] op_sel_hi:[0,0]
	v_pk_fma_f32 v[18:19], v[4:5], v[174:175], v[16:17] neg_lo:[0,0,1] neg_hi:[0,0,1]
	v_pk_fma_f32 v[4:5], v[4:5], v[174:175], v[16:17] op_sel_hi:[1,0,1]
	s_nop 0
	v_mov_b32_e32 v19, v5
	s_waitcnt vmcnt(2) lgkmcnt(2)
	v_pk_mul_f32 v[4:5], v[6:7], v[176:177] op_sel:[1,1] op_sel_hi:[0,1]
	v_pk_fma_f32 v[16:17], v[6:7], v[176:177], v[4:5] neg_lo:[0,0,1] neg_hi:[0,0,1]
	v_pk_fma_f32 v[4:5], v[6:7], v[176:177], v[4:5] op_sel_hi:[1,0,1]
	v_pk_add_f32 v[2:3], v[2:3], v[18:19]
	v_mov_b32_e32 v4, v179
	v_mov_b32_e32 v17, v5
	v_pk_mul_f32 v[4:5], v[8:9], v[4:5] op_sel:[1,0] op_sel_hi:[0,0]
	v_pk_fma_f32 v[6:7], v[8:9], v[178:179], v[4:5] neg_lo:[0,0,1] neg_hi:[0,0,1]
	v_pk_fma_f32 v[4:5], v[8:9], v[178:179], v[4:5] op_sel_hi:[1,0,1]
	v_pk_add_f32 v[2:3], v[2:3], v[16:17]
	v_mov_b32_e32 v7, v5
	s_waitcnt vmcnt(1) lgkmcnt(1)
	v_pk_mul_f32 v[4:5], v[10:11], v[180:181] op_sel:[1,1] op_sel_hi:[0,1]
	v_pk_add_f32 v[2:3], v[2:3], v[6:7]
	v_pk_fma_f32 v[6:7], v[10:11], v[180:181], v[4:5] neg_lo:[0,0,1] neg_hi:[0,0,1]
	v_pk_fma_f32 v[4:5], v[10:11], v[180:181], v[4:5] op_sel_hi:[1,0,1]
	s_nop 0
	v_mov_b32_e32 v4, v183
	v_mov_b32_e32 v7, v5
	v_pk_mul_f32 v[4:5], v[12:13], v[4:5] op_sel:[1,0] op_sel_hi:[0,0]
	v_pk_add_f32 v[2:3], v[2:3], v[6:7]
	v_pk_fma_f32 v[6:7], v[12:13], v[182:183], v[4:5] neg_lo:[0,0,1] neg_hi:[0,0,1]
	v_pk_fma_f32 v[4:5], v[12:13], v[182:183], v[4:5] op_sel_hi:[1,0,1]
	s_nop 0
	v_mov_b32_e32 v7, v5
	s_waitcnt vmcnt(0) lgkmcnt(0)
	v_pk_mul_f32 v[4:5], v[14:15], v[188:189] op_sel:[1,1] op_sel_hi:[0,1]
	v_pk_add_f32 v[2:3], v[2:3], v[6:7]
	v_pk_fma_f32 v[6:7], v[14:15], v[188:189], v[4:5] neg_lo:[0,0,1] neg_hi:[0,0,1]
	v_pk_fma_f32 v[4:5], v[14:15], v[188:189], v[4:5] op_sel_hi:[1,0,1]
	s_nop 0
	v_mov_b32_e32 v7, v5
	scratch_load_dwordx2 v[4:5], off, off offset:104
	v_pk_add_f32 v[2:3], v[2:3], v[6:7]
	s_waitcnt vmcnt(0)
	v_pk_add_f32 v[2:3], v[4:5], v[2:3] neg_lo:[0,1] neg_hi:[0,1]
	scratch_store_dwordx2 off, v[2:3], off offset:104
	s_and_saveexec_b64 s[0:1], vcc
	s_cbranch_execz .LBB122_343
; %bb.342:
	scratch_load_dwordx2 v[2:3], off, off offset:96
	v_mov_b32_e32 v111, v110
	scratch_store_dwordx2 off, v[110:111], off offset:96
	s_waitcnt vmcnt(1)
	ds_write_b64 v1, v[2:3]
.LBB122_343:
	s_or_b64 exec, exec, s[0:1]
	s_waitcnt lgkmcnt(0)
	; wave barrier
	scratch_load_dwordx4 v[6:9], off, off offset:104
	scratch_load_dwordx4 v[14:17], off, off offset:120
	;; [unrolled: 1-line block ×10, first 2 shown]
	ds_read2_b64 v[2:5], v110 offset0:73 offset1:74
	ds_read2_b64 v[164:167], v110 offset0:109 offset1:110
	scratch_load_dwordx4 v[86:89], off, off offset:264
	scratch_load_dwordx4 v[94:97], off, off offset:280
	;; [unrolled: 1-line block ×9, first 2 shown]
	v_cmp_lt_u32_e32 vcc, 11, v0
	s_waitcnt vmcnt(18) lgkmcnt(1)
	v_mul_f32_e32 v10, v2, v7
	v_fmac_f32_e32 v10, v3, v6
	v_mul_f32_e32 v11, v4, v9
	v_add_f32_e32 v10, 0, v10
	v_fmac_f32_e32 v11, v5, v8
	v_add_f32_e32 v18, v10, v11
	ds_read2_b64 v[10:13], v110 offset0:75 offset1:76
	v_mul_f32_e32 v3, v3, v7
	v_fma_f32 v2, v2, v6, -v3
	v_mul_f32_e32 v3, v5, v9
	v_add_f32_e32 v2, 0, v2
	s_waitcnt vmcnt(17) lgkmcnt(0)
	v_mul_f32_e32 v19, v10, v15
	v_fmac_f32_e32 v19, v11, v14
	v_add_f32_e32 v18, v18, v19
	v_mul_f32_e32 v19, v12, v17
	v_fmac_f32_e32 v19, v13, v16
	v_add_f32_e32 v26, v18, v19
	ds_read2_b64 v[18:21], v110 offset0:77 offset1:78
	v_fma_f32 v3, v4, v8, -v3
	v_add_f32_e32 v2, v2, v3
	v_mul_f32_e32 v3, v11, v15
	v_fma_f32 v3, v10, v14, -v3
	s_waitcnt vmcnt(16) lgkmcnt(0)
	v_mul_f32_e32 v27, v18, v23
	v_fmac_f32_e32 v27, v19, v22
	v_add_f32_e32 v26, v26, v27
	v_mul_f32_e32 v27, v20, v25
	v_fmac_f32_e32 v27, v21, v24
	v_add_f32_e32 v34, v26, v27
	ds_read2_b64 v[26:29], v110 offset0:79 offset1:80
	v_add_f32_e32 v2, v2, v3
	v_mul_f32_e32 v3, v13, v17
	v_fma_f32 v3, v12, v16, -v3
	v_add_f32_e32 v2, v2, v3
	s_waitcnt vmcnt(15) lgkmcnt(0)
	v_mul_f32_e32 v35, v26, v31
	v_fmac_f32_e32 v35, v27, v30
	v_add_f32_e32 v34, v34, v35
	v_mul_f32_e32 v35, v28, v33
	v_fmac_f32_e32 v35, v29, v32
	v_add_f32_e32 v42, v34, v35
	ds_read2_b64 v[34:37], v110 offset0:81 offset1:82
	v_mul_f32_e32 v3, v19, v23
	v_fma_f32 v3, v18, v22, -v3
	v_add_f32_e32 v2, v2, v3
	v_mul_f32_e32 v3, v21, v25
	s_waitcnt vmcnt(14) lgkmcnt(0)
	v_mul_f32_e32 v43, v34, v39
	v_fmac_f32_e32 v43, v35, v38
	v_add_f32_e32 v42, v42, v43
	v_mul_f32_e32 v43, v36, v41
	v_fmac_f32_e32 v43, v37, v40
	v_add_f32_e32 v50, v42, v43
	ds_read2_b64 v[42:45], v110 offset0:83 offset1:84
	v_fma_f32 v3, v20, v24, -v3
	v_add_f32_e32 v2, v2, v3
	v_mul_f32_e32 v3, v27, v31
	v_fma_f32 v3, v26, v30, -v3
	s_waitcnt vmcnt(13) lgkmcnt(0)
	v_mul_f32_e32 v51, v42, v47
	v_fmac_f32_e32 v51, v43, v46
	v_add_f32_e32 v50, v50, v51
	v_mul_f32_e32 v51, v44, v49
	v_fmac_f32_e32 v51, v45, v48
	v_add_f32_e32 v58, v50, v51
	ds_read2_b64 v[50:53], v110 offset0:85 offset1:86
	v_add_f32_e32 v2, v2, v3
	v_mul_f32_e32 v3, v29, v33
	v_fma_f32 v3, v28, v32, -v3
	v_add_f32_e32 v2, v2, v3
	s_waitcnt vmcnt(12) lgkmcnt(0)
	v_mul_f32_e32 v59, v50, v55
	v_fmac_f32_e32 v59, v51, v54
	v_add_f32_e32 v58, v58, v59
	v_mul_f32_e32 v59, v52, v57
	v_fmac_f32_e32 v59, v53, v56
	v_add_f32_e32 v66, v58, v59
	ds_read2_b64 v[58:61], v110 offset0:87 offset1:88
	v_mul_f32_e32 v3, v35, v39
	v_fma_f32 v3, v34, v38, -v3
	v_add_f32_e32 v2, v2, v3
	v_mul_f32_e32 v3, v37, v41
	;; [unrolled: 36-line block ×5, first 2 shown]
	s_waitcnt vmcnt(2) lgkmcnt(0)
	v_mul_f32_e32 v140, v132, v137
	v_fmac_f32_e32 v140, v133, v136
	v_add_f32_e32 v111, v111, v140
	v_mul_f32_e32 v140, v134, v139
	v_fmac_f32_e32 v140, v135, v138
	v_add_f32_e32 v111, v111, v140
	ds_read2_b64 v[140:143], v110 offset0:107 offset1:108
	scratch_load_dwordx4 v[172:175], off, off offset:408
	scratch_load_dwordx4 v[176:179], off, off offset:424
	;; [unrolled: 1-line block ×4, first 2 shown]
	v_fma_f32 v3, v84, v88, -v3
	v_add_f32_e32 v2, v2, v3
	v_mul_f32_e32 v3, v91, v95
	v_fma_f32 v3, v90, v94, -v3
	v_add_f32_e32 v2, v2, v3
	v_mul_f32_e32 v3, v93, v97
	;; [unrolled: 3-line block ×12, first 2 shown]
	v_fma_f32 v3, v134, v138, -v3
	s_waitcnt vmcnt(5) lgkmcnt(0)
	v_mul_f32_e32 v148, v140, v145
	v_add_f32_e32 v2, v2, v3
	v_mul_f32_e32 v3, v141, v145
	v_fmac_f32_e32 v148, v141, v144
	v_fma_f32 v3, v140, v144, -v3
	v_add_f32_e32 v111, v111, v148
	v_mul_f32_e32 v148, v142, v147
	v_add_f32_e32 v2, v2, v3
	v_mul_f32_e32 v3, v143, v147
	v_fmac_f32_e32 v148, v143, v146
	v_fma_f32 v3, v142, v146, -v3
	v_add_f32_e32 v149, v111, v148
	v_add_f32_e32 v148, v2, v3
	s_waitcnt vmcnt(4)
	v_mul_f32_e32 v2, v165, v169
	v_fma_f32 v188, v164, v168, -v2
	v_mul_f32_e32 v2, v167, v171
	v_fma_f32 v190, v166, v170, -v2
	ds_read2_b64 v[2:5], v110 offset0:111 offset1:112
	ds_read2_b64 v[6:9], v110 offset0:113 offset1:114
	;; [unrolled: 1-line block ×4, first 2 shown]
	v_mul_f32_e32 v189, v164, v169
	v_fmac_f32_e32 v189, v165, v168
	v_mul_f32_e32 v191, v166, v171
	v_fmac_f32_e32 v191, v167, v170
	v_pk_add_f32 v[18:19], v[148:149], v[188:189]
	s_waitcnt vmcnt(3) lgkmcnt(3)
	v_pk_mul_f32 v[20:21], v[2:3], v[172:173] op_sel:[1,1] op_sel_hi:[0,1]
	v_pk_fma_f32 v[22:23], v[2:3], v[172:173], v[20:21] neg_lo:[0,0,1] neg_hi:[0,0,1]
	v_pk_fma_f32 v[2:3], v[2:3], v[172:173], v[20:21] op_sel_hi:[1,0,1]
	v_pk_add_f32 v[18:19], v[18:19], v[190:191]
	v_mov_b32_e32 v23, v3
	v_pk_add_f32 v[2:3], v[18:19], v[22:23]
	v_mov_b32_e32 v18, v175
	v_pk_mul_f32 v[18:19], v[4:5], v[18:19] op_sel:[1,0] op_sel_hi:[0,0]
	v_pk_fma_f32 v[20:21], v[4:5], v[174:175], v[18:19] neg_lo:[0,0,1] neg_hi:[0,0,1]
	v_pk_fma_f32 v[4:5], v[4:5], v[174:175], v[18:19] op_sel_hi:[1,0,1]
	s_nop 0
	v_mov_b32_e32 v21, v5
	s_waitcnt vmcnt(2) lgkmcnt(2)
	v_pk_mul_f32 v[4:5], v[6:7], v[176:177] op_sel:[1,1] op_sel_hi:[0,1]
	v_pk_fma_f32 v[18:19], v[6:7], v[176:177], v[4:5] neg_lo:[0,0,1] neg_hi:[0,0,1]
	v_pk_fma_f32 v[4:5], v[6:7], v[176:177], v[4:5] op_sel_hi:[1,0,1]
	v_pk_add_f32 v[2:3], v[2:3], v[20:21]
	v_mov_b32_e32 v4, v179
	v_mov_b32_e32 v19, v5
	v_pk_mul_f32 v[4:5], v[8:9], v[4:5] op_sel:[1,0] op_sel_hi:[0,0]
	v_pk_fma_f32 v[6:7], v[8:9], v[178:179], v[4:5] neg_lo:[0,0,1] neg_hi:[0,0,1]
	v_pk_fma_f32 v[4:5], v[8:9], v[178:179], v[4:5] op_sel_hi:[1,0,1]
	v_pk_add_f32 v[2:3], v[2:3], v[18:19]
	v_mov_b32_e32 v7, v5
	s_waitcnt vmcnt(1) lgkmcnt(1)
	v_pk_mul_f32 v[4:5], v[10:11], v[180:181] op_sel:[1,1] op_sel_hi:[0,1]
	v_pk_add_f32 v[2:3], v[2:3], v[6:7]
	v_pk_fma_f32 v[6:7], v[10:11], v[180:181], v[4:5] neg_lo:[0,0,1] neg_hi:[0,0,1]
	v_pk_fma_f32 v[4:5], v[10:11], v[180:181], v[4:5] op_sel_hi:[1,0,1]
	s_nop 0
	v_mov_b32_e32 v4, v183
	v_mov_b32_e32 v7, v5
	v_pk_mul_f32 v[4:5], v[12:13], v[4:5] op_sel:[1,0] op_sel_hi:[0,0]
	v_pk_add_f32 v[2:3], v[2:3], v[6:7]
	v_pk_fma_f32 v[6:7], v[12:13], v[182:183], v[4:5] neg_lo:[0,0,1] neg_hi:[0,0,1]
	v_pk_fma_f32 v[4:5], v[12:13], v[182:183], v[4:5] op_sel_hi:[1,0,1]
	s_nop 0
	v_mov_b32_e32 v7, v5
	s_waitcnt vmcnt(0) lgkmcnt(0)
	v_pk_mul_f32 v[4:5], v[14:15], v[184:185] op_sel:[1,1] op_sel_hi:[0,1]
	v_pk_add_f32 v[2:3], v[2:3], v[6:7]
	v_pk_fma_f32 v[6:7], v[14:15], v[184:185], v[4:5] neg_lo:[0,0,1] neg_hi:[0,0,1]
	v_pk_fma_f32 v[4:5], v[14:15], v[184:185], v[4:5] op_sel_hi:[1,0,1]
	s_nop 0
	v_mov_b32_e32 v4, v187
	v_mov_b32_e32 v7, v5
	v_pk_mul_f32 v[4:5], v[16:17], v[4:5] op_sel:[1,0] op_sel_hi:[0,0]
	v_pk_add_f32 v[2:3], v[2:3], v[6:7]
	v_pk_fma_f32 v[6:7], v[16:17], v[186:187], v[4:5] neg_lo:[0,0,1] neg_hi:[0,0,1]
	v_pk_fma_f32 v[4:5], v[16:17], v[186:187], v[4:5] op_sel_hi:[1,0,1]
	s_nop 0
	v_mov_b32_e32 v7, v5
	scratch_load_dwordx2 v[4:5], off, off offset:96
	v_pk_add_f32 v[2:3], v[2:3], v[6:7]
	s_waitcnt vmcnt(0)
	v_pk_add_f32 v[2:3], v[4:5], v[2:3] neg_lo:[0,1] neg_hi:[0,1]
	scratch_store_dwordx2 off, v[2:3], off offset:96
	s_and_saveexec_b64 s[0:1], vcc
	s_cbranch_execz .LBB122_345
; %bb.344:
	scratch_load_dwordx2 v[2:3], off, off offset:88
	v_mov_b32_e32 v4, 0
	v_mov_b32_e32 v5, v4
	scratch_store_dwordx2 off, v[4:5], off offset:88
	s_waitcnt vmcnt(1)
	ds_write_b64 v1, v[2:3]
.LBB122_345:
	s_or_b64 exec, exec, s[0:1]
	v_mov_b32_e32 v118, 0
	s_waitcnt lgkmcnt(0)
	; wave barrier
	ds_read_b128 v[14:17], v118 offset:576
	ds_read_b128 v[10:13], v118 offset:592
	;; [unrolled: 1-line block ×4, first 2 shown]
	scratch_load_dwordx4 v[18:21], off, off offset:96
	scratch_load_dwordx4 v[38:41], off, off offset:160
	scratch_load_dwordx4 v[70:73], off, off offset:224
	scratch_load_dwordx4 v[78:81], off, off offset:240
	scratch_load_dwordx4 v[86:89], off, off offset:256
	scratch_load_dwordx4 v[94:97], off, off offset:272
	scratch_load_dwordx4 v[102:105], off, off offset:288
	scratch_load_dwordx4 v[110:113], off, off offset:304
	scratch_load_dwordx4 v[120:123], off, off offset:320
	scratch_load_dwordx4 v[128:131], off, off offset:336
	scratch_load_dwordx4 v[136:139], off, off offset:352
	scratch_load_dwordx4 v[144:147], off, off offset:368
	scratch_load_dwordx4 v[168:171], off, off offset:384
	scratch_load_dwordx4 v[176:179], off, off offset:400
	v_cmp_lt_u32_e32 vcc, 10, v0
	scratch_load_dwordx4 v[46:49], off, off offset:176
	scratch_load_dwordx4 v[54:57], off, off offset:192
	;; [unrolled: 1-line block ×3, first 2 shown]
	ds_read_b128 v[164:167], v118 offset:864
	ds_read_b128 v[172:175], v118 offset:880
	s_waitcnt vmcnt(16) lgkmcnt(5)
	v_mul_f32_e32 v22, v14, v19
	v_fmac_f32_e32 v22, v15, v18
	v_mul_f32_e32 v23, v16, v21
	v_add_f32_e32 v22, 0, v22
	v_fmac_f32_e32 v23, v17, v20
	v_add_f32_e32 v26, v22, v23
	scratch_load_dwordx4 v[22:25], off, off offset:112
	v_mul_f32_e32 v15, v15, v19
	v_fma_f32 v14, v14, v18, -v15
	v_mul_f32_e32 v15, v17, v21
	v_add_f32_e32 v14, 0, v14
	v_fma_f32 v15, v16, v20, -v15
	v_add_f32_e32 v14, v14, v15
	s_waitcnt vmcnt(5) lgkmcnt(1)
	v_mul_f32_e32 v193, v166, v171
	s_waitcnt vmcnt(4)
	v_mov_b32_e32 v18, v179
	v_fmac_f32_e32 v193, v167, v170
	s_waitcnt lgkmcnt(0)
	v_mul_f32_e32 v195, v172, v177
	v_pk_mul_f32 v[18:19], v[174:175], v[18:19] op_sel:[1,0] op_sel_hi:[0,0]
	v_fmac_f32_e32 v195, v173, v176
	v_pk_fma_f32 v[20:21], v[174:175], v[178:179], v[18:19] neg_lo:[0,0,1] neg_hi:[0,0,1]
	v_pk_fma_f32 v[18:19], v[174:175], v[178:179], v[18:19] op_sel_hi:[1,0,1]
	s_waitcnt vmcnt(0)
	v_mul_f32_e32 v27, v10, v23
	v_fmac_f32_e32 v27, v11, v22
	v_add_f32_e32 v26, v26, v27
	v_mul_f32_e32 v27, v12, v25
	v_fmac_f32_e32 v27, v13, v24
	v_add_f32_e32 v30, v26, v27
	scratch_load_dwordx4 v[26:29], off, off offset:128
	v_mul_f32_e32 v11, v11, v23
	v_fma_f32 v10, v10, v22, -v11
	v_mul_f32_e32 v11, v13, v25
	v_add_f32_e32 v10, v14, v10
	v_fma_f32 v11, v12, v24, -v11
	v_add_f32_e32 v10, v10, v11
	v_mov_b32_e32 v21, v19
	s_waitcnt vmcnt(0)
	v_mul_f32_e32 v31, v6, v27
	v_fmac_f32_e32 v31, v7, v26
	v_add_f32_e32 v30, v30, v31
	v_mul_f32_e32 v31, v8, v29
	v_fmac_f32_e32 v31, v9, v28
	v_add_f32_e32 v34, v30, v31
	scratch_load_dwordx4 v[30:33], off, off offset:144
	v_mul_f32_e32 v7, v7, v27
	v_fma_f32 v6, v6, v26, -v7
	v_mul_f32_e32 v7, v9, v29
	v_add_f32_e32 v6, v10, v6
	v_fma_f32 v7, v8, v28, -v7
	v_add_f32_e32 v6, v6, v7
	s_waitcnt vmcnt(0)
	v_mul_f32_e32 v35, v2, v31
	v_fmac_f32_e32 v35, v3, v30
	v_add_f32_e32 v34, v34, v35
	v_mul_f32_e32 v35, v4, v33
	v_fmac_f32_e32 v35, v5, v32
	v_add_f32_e32 v42, v34, v35
	ds_read_b128 v[34:37], v118 offset:640
	v_mul_f32_e32 v3, v3, v31
	v_fma_f32 v2, v2, v30, -v3
	v_mul_f32_e32 v3, v5, v33
	v_add_f32_e32 v2, v6, v2
	s_waitcnt lgkmcnt(0)
	v_mul_f32_e32 v43, v34, v39
	v_fmac_f32_e32 v43, v35, v38
	v_add_f32_e32 v42, v42, v43
	v_mul_f32_e32 v43, v36, v41
	v_fmac_f32_e32 v43, v37, v40
	v_add_f32_e32 v50, v42, v43
	ds_read_b128 v[42:45], v118 offset:656
	v_fma_f32 v3, v4, v32, -v3
	v_add_f32_e32 v2, v2, v3
	v_mul_f32_e32 v3, v35, v39
	v_fma_f32 v3, v34, v38, -v3
	s_waitcnt lgkmcnt(0)
	v_mul_f32_e32 v51, v42, v47
	v_fmac_f32_e32 v51, v43, v46
	v_add_f32_e32 v50, v50, v51
	v_mul_f32_e32 v51, v44, v49
	v_fmac_f32_e32 v51, v45, v48
	v_add_f32_e32 v58, v50, v51
	ds_read_b128 v[50:53], v118 offset:672
	v_add_f32_e32 v2, v2, v3
	v_mul_f32_e32 v3, v37, v41
	v_fma_f32 v3, v36, v40, -v3
	v_add_f32_e32 v2, v2, v3
	s_waitcnt lgkmcnt(0)
	v_mul_f32_e32 v59, v50, v55
	v_fmac_f32_e32 v59, v51, v54
	v_add_f32_e32 v58, v58, v59
	v_mul_f32_e32 v59, v52, v57
	v_fmac_f32_e32 v59, v53, v56
	v_add_f32_e32 v66, v58, v59
	ds_read_b128 v[58:61], v118 offset:688
	v_mul_f32_e32 v3, v43, v47
	v_fma_f32 v3, v42, v46, -v3
	v_add_f32_e32 v2, v2, v3
	v_mul_f32_e32 v3, v45, v49
	s_waitcnt lgkmcnt(0)
	v_mul_f32_e32 v67, v58, v63
	v_fmac_f32_e32 v67, v59, v62
	v_add_f32_e32 v66, v66, v67
	v_mul_f32_e32 v67, v60, v65
	v_fmac_f32_e32 v67, v61, v64
	v_add_f32_e32 v74, v66, v67
	ds_read_b128 v[66:69], v118 offset:704
	v_fma_f32 v3, v44, v48, -v3
	v_add_f32_e32 v2, v2, v3
	v_mul_f32_e32 v3, v51, v55
	v_fma_f32 v3, v50, v54, -v3
	s_waitcnt lgkmcnt(0)
	v_mul_f32_e32 v75, v66, v71
	v_fmac_f32_e32 v75, v67, v70
	v_add_f32_e32 v74, v74, v75
	v_mul_f32_e32 v75, v68, v73
	v_fmac_f32_e32 v75, v69, v72
	v_add_f32_e32 v82, v74, v75
	ds_read_b128 v[74:77], v118 offset:720
	v_add_f32_e32 v2, v2, v3
	v_mul_f32_e32 v3, v53, v57
	v_fma_f32 v3, v52, v56, -v3
	v_add_f32_e32 v2, v2, v3
	s_waitcnt lgkmcnt(0)
	v_mul_f32_e32 v83, v74, v79
	v_fmac_f32_e32 v83, v75, v78
	v_add_f32_e32 v82, v82, v83
	v_mul_f32_e32 v83, v76, v81
	v_fmac_f32_e32 v83, v77, v80
	v_add_f32_e32 v90, v82, v83
	ds_read_b128 v[82:85], v118 offset:736
	v_mul_f32_e32 v3, v59, v63
	v_fma_f32 v3, v58, v62, -v3
	v_add_f32_e32 v2, v2, v3
	v_mul_f32_e32 v3, v61, v65
	;; [unrolled: 36-line block ×4, first 2 shown]
	s_waitcnt lgkmcnt(0)
	v_mul_f32_e32 v140, v132, v137
	v_fmac_f32_e32 v140, v133, v136
	v_add_f32_e32 v119, v119, v140
	v_mul_f32_e32 v140, v134, v139
	v_fmac_f32_e32 v140, v135, v138
	v_add_f32_e32 v119, v119, v140
	ds_read_b128 v[140:143], v118 offset:848
	scratch_load_dwordx4 v[180:183], off, off offset:416
	scratch_load_dwordx4 v[184:187], off, off offset:432
	;; [unrolled: 1-line block ×3, first 2 shown]
	scratch_load_dwordx2 v[196:197], off, off offset:464
	v_fma_f32 v3, v92, v96, -v3
	v_add_f32_e32 v2, v2, v3
	v_mul_f32_e32 v3, v99, v103
	v_fma_f32 v3, v98, v102, -v3
	v_add_f32_e32 v2, v2, v3
	v_mul_f32_e32 v3, v101, v105
	;; [unrolled: 3-line block ×10, first 2 shown]
	v_fma_f32 v3, v134, v138, -v3
	s_waitcnt lgkmcnt(0)
	v_mul_f32_e32 v148, v140, v145
	v_add_f32_e32 v2, v2, v3
	v_mul_f32_e32 v3, v141, v145
	v_fmac_f32_e32 v148, v141, v144
	v_fma_f32 v3, v140, v144, -v3
	v_add_f32_e32 v119, v119, v148
	v_mul_f32_e32 v148, v142, v147
	v_add_f32_e32 v2, v2, v3
	v_mul_f32_e32 v3, v143, v147
	v_fmac_f32_e32 v148, v143, v146
	v_fma_f32 v3, v142, v146, -v3
	v_add_f32_e32 v119, v119, v148
	;; [unrolled: 6-line block ×3, first 2 shown]
	v_add_f32_e32 v148, v2, v3
	v_mul_f32_e32 v2, v167, v171
	v_fma_f32 v192, v166, v170, -v2
	v_mul_f32_e32 v2, v173, v177
	v_fma_f32 v194, v172, v176, -v2
	ds_read_b128 v[2:5], v118 offset:896
	ds_read_b128 v[6:9], v118 offset:912
	;; [unrolled: 1-line block ×3, first 2 shown]
	ds_read_b64 v[14:15], v118 offset:944
	v_pk_add_f32 v[16:17], v[148:149], v[192:193]
	s_waitcnt vmcnt(3) lgkmcnt(3)
	v_pk_mul_f32 v[18:19], v[2:3], v[180:181] op_sel:[1,1] op_sel_hi:[0,1]
	v_pk_add_f32 v[16:17], v[16:17], v[194:195]
	s_nop 0
	v_pk_add_f32 v[16:17], v[16:17], v[20:21]
	v_pk_fma_f32 v[20:21], v[2:3], v[180:181], v[18:19] neg_lo:[0,0,1] neg_hi:[0,0,1]
	v_pk_fma_f32 v[2:3], v[2:3], v[180:181], v[18:19] op_sel_hi:[1,0,1]
	s_nop 0
	v_mov_b32_e32 v21, v3
	v_pk_add_f32 v[2:3], v[16:17], v[20:21]
	v_mov_b32_e32 v16, v183
	v_pk_mul_f32 v[16:17], v[4:5], v[16:17] op_sel:[1,0] op_sel_hi:[0,0]
	v_pk_fma_f32 v[18:19], v[4:5], v[182:183], v[16:17] neg_lo:[0,0,1] neg_hi:[0,0,1]
	v_pk_fma_f32 v[4:5], v[4:5], v[182:183], v[16:17] op_sel_hi:[1,0,1]
	s_nop 0
	v_mov_b32_e32 v19, v5
	s_waitcnt vmcnt(2) lgkmcnt(2)
	v_pk_mul_f32 v[4:5], v[6:7], v[184:185] op_sel:[1,1] op_sel_hi:[0,1]
	v_pk_fma_f32 v[16:17], v[6:7], v[184:185], v[4:5] neg_lo:[0,0,1] neg_hi:[0,0,1]
	v_pk_fma_f32 v[4:5], v[6:7], v[184:185], v[4:5] op_sel_hi:[1,0,1]
	v_pk_add_f32 v[2:3], v[2:3], v[18:19]
	v_mov_b32_e32 v4, v187
	v_mov_b32_e32 v17, v5
	v_pk_mul_f32 v[4:5], v[8:9], v[4:5] op_sel:[1,0] op_sel_hi:[0,0]
	v_pk_fma_f32 v[6:7], v[8:9], v[186:187], v[4:5] neg_lo:[0,0,1] neg_hi:[0,0,1]
	v_pk_fma_f32 v[4:5], v[8:9], v[186:187], v[4:5] op_sel_hi:[1,0,1]
	v_pk_add_f32 v[2:3], v[2:3], v[16:17]
	v_mov_b32_e32 v7, v5
	s_waitcnt vmcnt(1) lgkmcnt(1)
	v_pk_mul_f32 v[4:5], v[10:11], v[188:189] op_sel:[1,1] op_sel_hi:[0,1]
	v_pk_add_f32 v[2:3], v[2:3], v[6:7]
	v_pk_fma_f32 v[6:7], v[10:11], v[188:189], v[4:5] neg_lo:[0,0,1] neg_hi:[0,0,1]
	v_pk_fma_f32 v[4:5], v[10:11], v[188:189], v[4:5] op_sel_hi:[1,0,1]
	s_nop 0
	v_mov_b32_e32 v4, v191
	v_mov_b32_e32 v7, v5
	v_pk_mul_f32 v[4:5], v[12:13], v[4:5] op_sel:[1,0] op_sel_hi:[0,0]
	v_pk_add_f32 v[2:3], v[2:3], v[6:7]
	v_pk_fma_f32 v[6:7], v[12:13], v[190:191], v[4:5] neg_lo:[0,0,1] neg_hi:[0,0,1]
	v_pk_fma_f32 v[4:5], v[12:13], v[190:191], v[4:5] op_sel_hi:[1,0,1]
	s_nop 0
	v_mov_b32_e32 v7, v5
	s_waitcnt vmcnt(0) lgkmcnt(0)
	v_pk_mul_f32 v[4:5], v[14:15], v[196:197] op_sel:[1,1] op_sel_hi:[0,1]
	v_pk_add_f32 v[2:3], v[2:3], v[6:7]
	v_pk_fma_f32 v[6:7], v[14:15], v[196:197], v[4:5] neg_lo:[0,0,1] neg_hi:[0,0,1]
	v_pk_fma_f32 v[4:5], v[14:15], v[196:197], v[4:5] op_sel_hi:[1,0,1]
	s_nop 0
	v_mov_b32_e32 v7, v5
	scratch_load_dwordx2 v[4:5], off, off offset:88
	v_pk_add_f32 v[2:3], v[2:3], v[6:7]
	s_waitcnt vmcnt(0)
	v_pk_add_f32 v[2:3], v[4:5], v[2:3] neg_lo:[0,1] neg_hi:[0,1]
	scratch_store_dwordx2 off, v[2:3], off offset:88
	s_and_saveexec_b64 s[0:1], vcc
	s_cbranch_execz .LBB122_347
; %bb.346:
	scratch_load_dwordx2 v[2:3], off, off offset:80
	v_mov_b32_e32 v119, v118
	scratch_store_dwordx2 off, v[118:119], off offset:80
	s_waitcnt vmcnt(1)
	ds_write_b64 v1, v[2:3]
.LBB122_347:
	s_or_b64 exec, exec, s[0:1]
	s_waitcnt lgkmcnt(0)
	; wave barrier
	scratch_load_dwordx4 v[6:9], off, off offset:88
	scratch_load_dwordx4 v[14:17], off, off offset:104
	;; [unrolled: 1-line block ×10, first 2 shown]
	ds_read2_b64 v[2:5], v118 offset0:71 offset1:72
	ds_read2_b64 v[164:167], v118 offset0:107 offset1:108
	scratch_load_dwordx4 v[86:89], off, off offset:248
	scratch_load_dwordx4 v[94:97], off, off offset:264
	;; [unrolled: 1-line block ×10, first 2 shown]
	v_cmp_lt_u32_e32 vcc, 9, v0
	ds_read2_b64 v[172:175], v118 offset0:109 offset1:110
	s_waitcnt vmcnt(19) lgkmcnt(2)
	v_mul_f32_e32 v10, v2, v7
	v_fmac_f32_e32 v10, v3, v6
	v_mul_f32_e32 v11, v4, v9
	v_add_f32_e32 v10, 0, v10
	v_fmac_f32_e32 v11, v5, v8
	v_add_f32_e32 v18, v10, v11
	ds_read2_b64 v[10:13], v118 offset0:73 offset1:74
	v_mul_f32_e32 v3, v3, v7
	v_fma_f32 v2, v2, v6, -v3
	v_mul_f32_e32 v3, v5, v9
	v_add_f32_e32 v2, 0, v2
	s_waitcnt vmcnt(18) lgkmcnt(0)
	v_mul_f32_e32 v19, v10, v15
	v_fmac_f32_e32 v19, v11, v14
	v_add_f32_e32 v18, v18, v19
	v_mul_f32_e32 v19, v12, v17
	v_fmac_f32_e32 v19, v13, v16
	v_add_f32_e32 v26, v18, v19
	ds_read2_b64 v[18:21], v118 offset0:75 offset1:76
	v_fma_f32 v3, v4, v8, -v3
	v_add_f32_e32 v2, v2, v3
	v_mul_f32_e32 v3, v11, v15
	v_fma_f32 v3, v10, v14, -v3
	s_waitcnt vmcnt(17) lgkmcnt(0)
	v_mul_f32_e32 v27, v18, v23
	v_fmac_f32_e32 v27, v19, v22
	v_add_f32_e32 v26, v26, v27
	v_mul_f32_e32 v27, v20, v25
	v_fmac_f32_e32 v27, v21, v24
	v_add_f32_e32 v34, v26, v27
	ds_read2_b64 v[26:29], v118 offset0:77 offset1:78
	v_add_f32_e32 v2, v2, v3
	v_mul_f32_e32 v3, v13, v17
	v_fma_f32 v3, v12, v16, -v3
	v_add_f32_e32 v2, v2, v3
	s_waitcnt vmcnt(16) lgkmcnt(0)
	v_mul_f32_e32 v35, v26, v31
	v_fmac_f32_e32 v35, v27, v30
	v_add_f32_e32 v34, v34, v35
	v_mul_f32_e32 v35, v28, v33
	v_fmac_f32_e32 v35, v29, v32
	v_add_f32_e32 v42, v34, v35
	ds_read2_b64 v[34:37], v118 offset0:79 offset1:80
	v_mul_f32_e32 v3, v19, v23
	v_fma_f32 v3, v18, v22, -v3
	v_add_f32_e32 v2, v2, v3
	v_mul_f32_e32 v3, v21, v25
	s_waitcnt vmcnt(15) lgkmcnt(0)
	v_mul_f32_e32 v43, v34, v39
	v_fmac_f32_e32 v43, v35, v38
	v_add_f32_e32 v42, v42, v43
	v_mul_f32_e32 v43, v36, v41
	v_fmac_f32_e32 v43, v37, v40
	v_add_f32_e32 v50, v42, v43
	ds_read2_b64 v[42:45], v118 offset0:81 offset1:82
	v_fma_f32 v3, v20, v24, -v3
	v_add_f32_e32 v2, v2, v3
	v_mul_f32_e32 v3, v27, v31
	v_fma_f32 v3, v26, v30, -v3
	s_waitcnt vmcnt(14) lgkmcnt(0)
	v_mul_f32_e32 v51, v42, v47
	v_fmac_f32_e32 v51, v43, v46
	v_add_f32_e32 v50, v50, v51
	v_mul_f32_e32 v51, v44, v49
	v_fmac_f32_e32 v51, v45, v48
	v_add_f32_e32 v58, v50, v51
	ds_read2_b64 v[50:53], v118 offset0:83 offset1:84
	v_add_f32_e32 v2, v2, v3
	v_mul_f32_e32 v3, v29, v33
	v_fma_f32 v3, v28, v32, -v3
	v_add_f32_e32 v2, v2, v3
	s_waitcnt vmcnt(13) lgkmcnt(0)
	v_mul_f32_e32 v59, v50, v55
	v_fmac_f32_e32 v59, v51, v54
	v_add_f32_e32 v58, v58, v59
	v_mul_f32_e32 v59, v52, v57
	v_fmac_f32_e32 v59, v53, v56
	v_add_f32_e32 v66, v58, v59
	ds_read2_b64 v[58:61], v118 offset0:85 offset1:86
	v_mul_f32_e32 v3, v35, v39
	v_fma_f32 v3, v34, v38, -v3
	v_add_f32_e32 v2, v2, v3
	v_mul_f32_e32 v3, v37, v41
	;; [unrolled: 36-line block ×5, first 2 shown]
	s_waitcnt vmcnt(3) lgkmcnt(0)
	v_mul_f32_e32 v140, v132, v137
	v_fmac_f32_e32 v140, v133, v136
	v_add_f32_e32 v119, v119, v140
	v_mul_f32_e32 v140, v134, v139
	v_fmac_f32_e32 v140, v135, v138
	v_add_f32_e32 v119, v119, v140
	ds_read2_b64 v[140:143], v118 offset0:105 offset1:106
	scratch_load_dwordx4 v[180:183], off, off offset:408
	scratch_load_dwordx4 v[184:187], off, off offset:424
	;; [unrolled: 1-line block ×4, first 2 shown]
	v_fma_f32 v3, v84, v88, -v3
	v_add_f32_e32 v2, v2, v3
	v_mul_f32_e32 v3, v91, v95
	v_fma_f32 v3, v90, v94, -v3
	v_add_f32_e32 v2, v2, v3
	v_mul_f32_e32 v3, v93, v97
	;; [unrolled: 3-line block ×12, first 2 shown]
	v_fma_f32 v3, v134, v138, -v3
	s_waitcnt vmcnt(6) lgkmcnt(0)
	v_mul_f32_e32 v148, v140, v145
	v_add_f32_e32 v2, v2, v3
	v_mul_f32_e32 v3, v141, v145
	v_fmac_f32_e32 v148, v141, v144
	v_fma_f32 v3, v140, v144, -v3
	v_add_f32_e32 v119, v119, v148
	v_mul_f32_e32 v148, v142, v147
	v_add_f32_e32 v2, v2, v3
	v_mul_f32_e32 v3, v143, v147
	v_fmac_f32_e32 v148, v143, v146
	v_fma_f32 v3, v142, v146, -v3
	v_add_f32_e32 v119, v119, v148
	s_waitcnt vmcnt(5)
	v_mul_f32_e32 v148, v164, v169
	v_add_f32_e32 v2, v2, v3
	v_mul_f32_e32 v3, v165, v169
	v_fmac_f32_e32 v148, v165, v168
	v_fma_f32 v3, v164, v168, -v3
	v_add_f32_e32 v119, v119, v148
	v_mul_f32_e32 v148, v166, v171
	v_add_f32_e32 v2, v2, v3
	v_mul_f32_e32 v3, v167, v171
	v_fmac_f32_e32 v148, v167, v170
	v_fma_f32 v3, v166, v170, -v3
	v_add_f32_e32 v149, v119, v148
	v_add_f32_e32 v148, v2, v3
	s_waitcnt vmcnt(4)
	v_mul_f32_e32 v2, v173, v177
	v_fma_f32 v196, v172, v176, -v2
	v_mul_f32_e32 v2, v175, v179
	v_fma_f32 v198, v174, v178, -v2
	ds_read2_b64 v[2:5], v118 offset0:111 offset1:112
	ds_read2_b64 v[6:9], v118 offset0:113 offset1:114
	ds_read2_b64 v[10:13], v118 offset0:115 offset1:116
	ds_read2_b64 v[14:17], v118 offset0:117 offset1:118
	v_mul_f32_e32 v197, v172, v177
	v_fmac_f32_e32 v197, v173, v176
	v_mul_f32_e32 v199, v174, v179
	v_fmac_f32_e32 v199, v175, v178
	v_pk_add_f32 v[18:19], v[148:149], v[196:197]
	s_waitcnt vmcnt(3) lgkmcnt(3)
	v_pk_mul_f32 v[20:21], v[2:3], v[180:181] op_sel:[1,1] op_sel_hi:[0,1]
	v_pk_fma_f32 v[22:23], v[2:3], v[180:181], v[20:21] neg_lo:[0,0,1] neg_hi:[0,0,1]
	v_pk_fma_f32 v[2:3], v[2:3], v[180:181], v[20:21] op_sel_hi:[1,0,1]
	v_pk_add_f32 v[18:19], v[18:19], v[198:199]
	v_mov_b32_e32 v23, v3
	v_pk_add_f32 v[2:3], v[18:19], v[22:23]
	v_mov_b32_e32 v18, v183
	v_pk_mul_f32 v[18:19], v[4:5], v[18:19] op_sel:[1,0] op_sel_hi:[0,0]
	v_pk_fma_f32 v[20:21], v[4:5], v[182:183], v[18:19] neg_lo:[0,0,1] neg_hi:[0,0,1]
	v_pk_fma_f32 v[4:5], v[4:5], v[182:183], v[18:19] op_sel_hi:[1,0,1]
	s_nop 0
	v_mov_b32_e32 v21, v5
	s_waitcnt vmcnt(2) lgkmcnt(2)
	v_pk_mul_f32 v[4:5], v[6:7], v[184:185] op_sel:[1,1] op_sel_hi:[0,1]
	v_pk_fma_f32 v[18:19], v[6:7], v[184:185], v[4:5] neg_lo:[0,0,1] neg_hi:[0,0,1]
	v_pk_fma_f32 v[4:5], v[6:7], v[184:185], v[4:5] op_sel_hi:[1,0,1]
	v_pk_add_f32 v[2:3], v[2:3], v[20:21]
	v_mov_b32_e32 v4, v187
	v_mov_b32_e32 v19, v5
	v_pk_mul_f32 v[4:5], v[8:9], v[4:5] op_sel:[1,0] op_sel_hi:[0,0]
	v_pk_fma_f32 v[6:7], v[8:9], v[186:187], v[4:5] neg_lo:[0,0,1] neg_hi:[0,0,1]
	v_pk_fma_f32 v[4:5], v[8:9], v[186:187], v[4:5] op_sel_hi:[1,0,1]
	v_pk_add_f32 v[2:3], v[2:3], v[18:19]
	v_mov_b32_e32 v7, v5
	s_waitcnt vmcnt(1) lgkmcnt(1)
	v_pk_mul_f32 v[4:5], v[10:11], v[188:189] op_sel:[1,1] op_sel_hi:[0,1]
	v_pk_add_f32 v[2:3], v[2:3], v[6:7]
	v_pk_fma_f32 v[6:7], v[10:11], v[188:189], v[4:5] neg_lo:[0,0,1] neg_hi:[0,0,1]
	v_pk_fma_f32 v[4:5], v[10:11], v[188:189], v[4:5] op_sel_hi:[1,0,1]
	s_nop 0
	v_mov_b32_e32 v4, v191
	v_mov_b32_e32 v7, v5
	v_pk_mul_f32 v[4:5], v[12:13], v[4:5] op_sel:[1,0] op_sel_hi:[0,0]
	v_pk_add_f32 v[2:3], v[2:3], v[6:7]
	v_pk_fma_f32 v[6:7], v[12:13], v[190:191], v[4:5] neg_lo:[0,0,1] neg_hi:[0,0,1]
	v_pk_fma_f32 v[4:5], v[12:13], v[190:191], v[4:5] op_sel_hi:[1,0,1]
	s_nop 0
	v_mov_b32_e32 v7, v5
	s_waitcnt vmcnt(0) lgkmcnt(0)
	v_pk_mul_f32 v[4:5], v[14:15], v[192:193] op_sel:[1,1] op_sel_hi:[0,1]
	v_pk_add_f32 v[2:3], v[2:3], v[6:7]
	v_pk_fma_f32 v[6:7], v[14:15], v[192:193], v[4:5] neg_lo:[0,0,1] neg_hi:[0,0,1]
	v_pk_fma_f32 v[4:5], v[14:15], v[192:193], v[4:5] op_sel_hi:[1,0,1]
	s_nop 0
	v_mov_b32_e32 v4, v195
	v_mov_b32_e32 v7, v5
	v_pk_mul_f32 v[4:5], v[16:17], v[4:5] op_sel:[1,0] op_sel_hi:[0,0]
	v_pk_add_f32 v[2:3], v[2:3], v[6:7]
	v_pk_fma_f32 v[6:7], v[16:17], v[194:195], v[4:5] neg_lo:[0,0,1] neg_hi:[0,0,1]
	v_pk_fma_f32 v[4:5], v[16:17], v[194:195], v[4:5] op_sel_hi:[1,0,1]
	s_nop 0
	v_mov_b32_e32 v7, v5
	scratch_load_dwordx2 v[4:5], off, off offset:80
	v_pk_add_f32 v[2:3], v[2:3], v[6:7]
	s_waitcnt vmcnt(0)
	v_pk_add_f32 v[2:3], v[4:5], v[2:3] neg_lo:[0,1] neg_hi:[0,1]
	scratch_store_dwordx2 off, v[2:3], off offset:80
	s_and_saveexec_b64 s[0:1], vcc
	s_cbranch_execz .LBB122_349
; %bb.348:
	scratch_load_dwordx2 v[2:3], off, off offset:72
	v_mov_b32_e32 v4, 0
	v_mov_b32_e32 v5, v4
	scratch_store_dwordx2 off, v[4:5], off offset:72
	s_waitcnt vmcnt(1)
	ds_write_b64 v1, v[2:3]
.LBB122_349:
	s_or_b64 exec, exec, s[0:1]
	v_mov_b32_e32 v134, 0
	s_waitcnt lgkmcnt(0)
	; wave barrier
	ds_read_b128 v[14:17], v134 offset:560
	ds_read_b128 v[10:13], v134 offset:576
	;; [unrolled: 1-line block ×4, first 2 shown]
	scratch_load_dwordx4 v[18:21], off, off offset:80
	scratch_load_dwordx4 v[38:41], off, off offset:144
	;; [unrolled: 1-line block ×15, first 2 shown]
	v_cmp_lt_u32_e32 vcc, 8, v0
	scratch_load_dwordx4 v[46:49], off, off offset:160
	scratch_load_dwordx4 v[54:57], off, off offset:176
	;; [unrolled: 1-line block ×3, first 2 shown]
	ds_read_b128 v[164:167], v134 offset:848
	ds_read_b128 v[172:175], v134 offset:864
	;; [unrolled: 1-line block ×3, first 2 shown]
	s_waitcnt vmcnt(17) lgkmcnt(6)
	v_mul_f32_e32 v22, v14, v19
	v_fmac_f32_e32 v22, v15, v18
	v_mul_f32_e32 v23, v16, v21
	v_add_f32_e32 v22, 0, v22
	v_fmac_f32_e32 v23, v17, v20
	v_add_f32_e32 v26, v22, v23
	scratch_load_dwordx4 v[22:25], off, off offset:96
	v_mul_f32_e32 v15, v15, v19
	v_fma_f32 v14, v14, v18, -v15
	v_mul_f32_e32 v15, v17, v21
	v_add_f32_e32 v14, 0, v14
	v_fma_f32 v15, v16, v20, -v15
	v_add_f32_e32 v14, v14, v15
	s_waitcnt vmcnt(5) lgkmcnt(1)
	v_mul_f32_e32 v201, v174, v179
	s_waitcnt vmcnt(4)
	v_mov_b32_e32 v18, v187
	v_fmac_f32_e32 v201, v175, v178
	s_waitcnt lgkmcnt(0)
	v_mul_f32_e32 v203, v180, v185
	v_pk_mul_f32 v[18:19], v[182:183], v[18:19] op_sel:[1,0] op_sel_hi:[0,0]
	v_fmac_f32_e32 v203, v181, v184
	v_pk_fma_f32 v[20:21], v[182:183], v[186:187], v[18:19] neg_lo:[0,0,1] neg_hi:[0,0,1]
	v_pk_fma_f32 v[18:19], v[182:183], v[186:187], v[18:19] op_sel_hi:[1,0,1]
	s_waitcnt vmcnt(0)
	v_mul_f32_e32 v27, v10, v23
	v_fmac_f32_e32 v27, v11, v22
	v_add_f32_e32 v26, v26, v27
	v_mul_f32_e32 v27, v12, v25
	v_fmac_f32_e32 v27, v13, v24
	v_add_f32_e32 v30, v26, v27
	scratch_load_dwordx4 v[26:29], off, off offset:112
	v_mul_f32_e32 v11, v11, v23
	v_fma_f32 v10, v10, v22, -v11
	v_mul_f32_e32 v11, v13, v25
	v_add_f32_e32 v10, v14, v10
	v_fma_f32 v11, v12, v24, -v11
	v_add_f32_e32 v10, v10, v11
	v_mov_b32_e32 v21, v19
	s_waitcnt vmcnt(0)
	v_mul_f32_e32 v31, v6, v27
	v_fmac_f32_e32 v31, v7, v26
	v_add_f32_e32 v30, v30, v31
	v_mul_f32_e32 v31, v8, v29
	v_fmac_f32_e32 v31, v9, v28
	v_add_f32_e32 v34, v30, v31
	scratch_load_dwordx4 v[30:33], off, off offset:128
	v_mul_f32_e32 v7, v7, v27
	v_fma_f32 v6, v6, v26, -v7
	v_mul_f32_e32 v7, v9, v29
	v_add_f32_e32 v6, v10, v6
	v_fma_f32 v7, v8, v28, -v7
	v_add_f32_e32 v6, v6, v7
	s_waitcnt vmcnt(0)
	v_mul_f32_e32 v35, v2, v31
	v_fmac_f32_e32 v35, v3, v30
	v_add_f32_e32 v34, v34, v35
	v_mul_f32_e32 v35, v4, v33
	v_fmac_f32_e32 v35, v5, v32
	v_add_f32_e32 v42, v34, v35
	ds_read_b128 v[34:37], v134 offset:624
	v_mul_f32_e32 v3, v3, v31
	v_fma_f32 v2, v2, v30, -v3
	v_mul_f32_e32 v3, v5, v33
	v_add_f32_e32 v2, v6, v2
	s_waitcnt lgkmcnt(0)
	v_mul_f32_e32 v43, v34, v39
	v_fmac_f32_e32 v43, v35, v38
	v_add_f32_e32 v42, v42, v43
	v_mul_f32_e32 v43, v36, v41
	v_fmac_f32_e32 v43, v37, v40
	v_add_f32_e32 v50, v42, v43
	ds_read_b128 v[42:45], v134 offset:640
	v_fma_f32 v3, v4, v32, -v3
	v_add_f32_e32 v2, v2, v3
	v_mul_f32_e32 v3, v35, v39
	v_fma_f32 v3, v34, v38, -v3
	s_waitcnt lgkmcnt(0)
	v_mul_f32_e32 v51, v42, v47
	v_fmac_f32_e32 v51, v43, v46
	v_add_f32_e32 v50, v50, v51
	v_mul_f32_e32 v51, v44, v49
	v_fmac_f32_e32 v51, v45, v48
	v_add_f32_e32 v58, v50, v51
	ds_read_b128 v[50:53], v134 offset:656
	v_add_f32_e32 v2, v2, v3
	v_mul_f32_e32 v3, v37, v41
	v_fma_f32 v3, v36, v40, -v3
	v_add_f32_e32 v2, v2, v3
	s_waitcnt lgkmcnt(0)
	v_mul_f32_e32 v59, v50, v55
	v_fmac_f32_e32 v59, v51, v54
	v_add_f32_e32 v58, v58, v59
	v_mul_f32_e32 v59, v52, v57
	v_fmac_f32_e32 v59, v53, v56
	v_add_f32_e32 v66, v58, v59
	ds_read_b128 v[58:61], v134 offset:672
	v_mul_f32_e32 v3, v43, v47
	v_fma_f32 v3, v42, v46, -v3
	v_add_f32_e32 v2, v2, v3
	v_mul_f32_e32 v3, v45, v49
	s_waitcnt lgkmcnt(0)
	v_mul_f32_e32 v67, v58, v63
	v_fmac_f32_e32 v67, v59, v62
	v_add_f32_e32 v66, v66, v67
	v_mul_f32_e32 v67, v60, v65
	v_fmac_f32_e32 v67, v61, v64
	v_add_f32_e32 v74, v66, v67
	ds_read_b128 v[66:69], v134 offset:688
	v_fma_f32 v3, v44, v48, -v3
	v_add_f32_e32 v2, v2, v3
	v_mul_f32_e32 v3, v51, v55
	v_fma_f32 v3, v50, v54, -v3
	s_waitcnt lgkmcnt(0)
	v_mul_f32_e32 v75, v66, v71
	v_fmac_f32_e32 v75, v67, v70
	v_add_f32_e32 v74, v74, v75
	v_mul_f32_e32 v75, v68, v73
	v_fmac_f32_e32 v75, v69, v72
	v_add_f32_e32 v82, v74, v75
	ds_read_b128 v[74:77], v134 offset:704
	v_add_f32_e32 v2, v2, v3
	v_mul_f32_e32 v3, v53, v57
	v_fma_f32 v3, v52, v56, -v3
	v_add_f32_e32 v2, v2, v3
	s_waitcnt lgkmcnt(0)
	v_mul_f32_e32 v83, v74, v79
	v_fmac_f32_e32 v83, v75, v78
	v_add_f32_e32 v82, v82, v83
	v_mul_f32_e32 v83, v76, v81
	v_fmac_f32_e32 v83, v77, v80
	v_add_f32_e32 v90, v82, v83
	ds_read_b128 v[82:85], v134 offset:720
	v_mul_f32_e32 v3, v59, v63
	v_fma_f32 v3, v58, v62, -v3
	v_add_f32_e32 v2, v2, v3
	v_mul_f32_e32 v3, v61, v65
	;; [unrolled: 36-line block ×4, first 2 shown]
	s_waitcnt lgkmcnt(0)
	v_mul_f32_e32 v140, v130, v137
	v_fmac_f32_e32 v140, v131, v136
	v_add_f32_e32 v135, v135, v140
	v_mul_f32_e32 v140, v132, v139
	v_fmac_f32_e32 v140, v133, v138
	v_add_f32_e32 v135, v135, v140
	ds_read_b128 v[140:143], v134 offset:832
	scratch_load_dwordx4 v[188:191], off, off offset:416
	scratch_load_dwordx4 v[192:195], off, off offset:432
	;; [unrolled: 1-line block ×3, first 2 shown]
	scratch_load_dwordx2 v[204:205], off, off offset:464
	v_fma_f32 v3, v92, v96, -v3
	v_add_f32_e32 v2, v2, v3
	v_mul_f32_e32 v3, v99, v103
	v_fma_f32 v3, v98, v102, -v3
	v_add_f32_e32 v2, v2, v3
	v_mul_f32_e32 v3, v101, v105
	;; [unrolled: 3-line block ×10, first 2 shown]
	v_fma_f32 v3, v132, v138, -v3
	s_waitcnt lgkmcnt(0)
	v_mul_f32_e32 v148, v140, v145
	v_add_f32_e32 v2, v2, v3
	v_mul_f32_e32 v3, v141, v145
	v_fmac_f32_e32 v148, v141, v144
	v_fma_f32 v3, v140, v144, -v3
	v_add_f32_e32 v135, v135, v148
	v_mul_f32_e32 v148, v142, v147
	v_add_f32_e32 v2, v2, v3
	v_mul_f32_e32 v3, v143, v147
	v_fmac_f32_e32 v148, v143, v146
	v_fma_f32 v3, v142, v146, -v3
	v_add_f32_e32 v135, v135, v148
	;; [unrolled: 6-line block ×5, first 2 shown]
	v_add_f32_e32 v148, v2, v3
	v_mul_f32_e32 v2, v175, v179
	v_fma_f32 v200, v174, v178, -v2
	v_mul_f32_e32 v2, v181, v185
	v_fma_f32 v202, v180, v184, -v2
	ds_read_b128 v[2:5], v134 offset:896
	ds_read_b128 v[6:9], v134 offset:912
	ds_read_b128 v[10:13], v134 offset:928
	ds_read_b64 v[14:15], v134 offset:944
	v_pk_add_f32 v[16:17], v[148:149], v[200:201]
	s_waitcnt vmcnt(3) lgkmcnt(3)
	v_pk_mul_f32 v[18:19], v[2:3], v[188:189] op_sel:[1,1] op_sel_hi:[0,1]
	v_pk_add_f32 v[16:17], v[16:17], v[202:203]
	s_nop 0
	v_pk_add_f32 v[16:17], v[16:17], v[20:21]
	v_pk_fma_f32 v[20:21], v[2:3], v[188:189], v[18:19] neg_lo:[0,0,1] neg_hi:[0,0,1]
	v_pk_fma_f32 v[2:3], v[2:3], v[188:189], v[18:19] op_sel_hi:[1,0,1]
	s_nop 0
	v_mov_b32_e32 v21, v3
	v_pk_add_f32 v[2:3], v[16:17], v[20:21]
	v_mov_b32_e32 v16, v191
	v_pk_mul_f32 v[16:17], v[4:5], v[16:17] op_sel:[1,0] op_sel_hi:[0,0]
	v_pk_fma_f32 v[18:19], v[4:5], v[190:191], v[16:17] neg_lo:[0,0,1] neg_hi:[0,0,1]
	v_pk_fma_f32 v[4:5], v[4:5], v[190:191], v[16:17] op_sel_hi:[1,0,1]
	s_nop 0
	v_mov_b32_e32 v19, v5
	s_waitcnt vmcnt(2) lgkmcnt(2)
	v_pk_mul_f32 v[4:5], v[6:7], v[192:193] op_sel:[1,1] op_sel_hi:[0,1]
	v_pk_fma_f32 v[16:17], v[6:7], v[192:193], v[4:5] neg_lo:[0,0,1] neg_hi:[0,0,1]
	v_pk_fma_f32 v[4:5], v[6:7], v[192:193], v[4:5] op_sel_hi:[1,0,1]
	v_pk_add_f32 v[2:3], v[2:3], v[18:19]
	v_mov_b32_e32 v4, v195
	v_mov_b32_e32 v17, v5
	v_pk_mul_f32 v[4:5], v[8:9], v[4:5] op_sel:[1,0] op_sel_hi:[0,0]
	v_pk_fma_f32 v[6:7], v[8:9], v[194:195], v[4:5] neg_lo:[0,0,1] neg_hi:[0,0,1]
	v_pk_fma_f32 v[4:5], v[8:9], v[194:195], v[4:5] op_sel_hi:[1,0,1]
	v_pk_add_f32 v[2:3], v[2:3], v[16:17]
	v_mov_b32_e32 v7, v5
	s_waitcnt vmcnt(1) lgkmcnt(1)
	v_pk_mul_f32 v[4:5], v[10:11], v[196:197] op_sel:[1,1] op_sel_hi:[0,1]
	v_pk_add_f32 v[2:3], v[2:3], v[6:7]
	v_pk_fma_f32 v[6:7], v[10:11], v[196:197], v[4:5] neg_lo:[0,0,1] neg_hi:[0,0,1]
	v_pk_fma_f32 v[4:5], v[10:11], v[196:197], v[4:5] op_sel_hi:[1,0,1]
	s_nop 0
	v_mov_b32_e32 v4, v199
	v_mov_b32_e32 v7, v5
	v_pk_mul_f32 v[4:5], v[12:13], v[4:5] op_sel:[1,0] op_sel_hi:[0,0]
	v_pk_add_f32 v[2:3], v[2:3], v[6:7]
	v_pk_fma_f32 v[6:7], v[12:13], v[198:199], v[4:5] neg_lo:[0,0,1] neg_hi:[0,0,1]
	v_pk_fma_f32 v[4:5], v[12:13], v[198:199], v[4:5] op_sel_hi:[1,0,1]
	s_nop 0
	v_mov_b32_e32 v7, v5
	s_waitcnt vmcnt(0) lgkmcnt(0)
	v_pk_mul_f32 v[4:5], v[14:15], v[204:205] op_sel:[1,1] op_sel_hi:[0,1]
	v_pk_add_f32 v[2:3], v[2:3], v[6:7]
	v_pk_fma_f32 v[6:7], v[14:15], v[204:205], v[4:5] neg_lo:[0,0,1] neg_hi:[0,0,1]
	v_pk_fma_f32 v[4:5], v[14:15], v[204:205], v[4:5] op_sel_hi:[1,0,1]
	s_nop 0
	v_mov_b32_e32 v7, v5
	scratch_load_dwordx2 v[4:5], off, off offset:72
	v_pk_add_f32 v[2:3], v[2:3], v[6:7]
	s_waitcnt vmcnt(0)
	v_pk_add_f32 v[2:3], v[4:5], v[2:3] neg_lo:[0,1] neg_hi:[0,1]
	scratch_store_dwordx2 off, v[2:3], off offset:72
	s_and_saveexec_b64 s[0:1], vcc
	s_cbranch_execz .LBB122_351
; %bb.350:
	scratch_load_dwordx2 v[2:3], off, off offset:64
	v_mov_b32_e32 v135, v134
	scratch_store_dwordx2 off, v[134:135], off offset:64
	s_waitcnt vmcnt(1)
	ds_write_b64 v1, v[2:3]
.LBB122_351:
	s_or_b64 exec, exec, s[0:1]
	s_waitcnt lgkmcnt(0)
	; wave barrier
	scratch_load_dwordx4 v[6:9], off, off offset:72
	scratch_load_dwordx4 v[14:17], off, off offset:88
	scratch_load_dwordx4 v[22:25], off, off offset:104
	scratch_load_dwordx4 v[30:33], off, off offset:120
	scratch_load_dwordx4 v[38:41], off, off offset:136
	scratch_load_dwordx4 v[46:49], off, off offset:152
	scratch_load_dwordx4 v[54:57], off, off offset:168
	scratch_load_dwordx4 v[62:65], off, off offset:184
	scratch_load_dwordx4 v[70:73], off, off offset:200
	scratch_load_dwordx4 v[78:81], off, off offset:216
	ds_read2_b64 v[2:5], v134 offset0:69 offset1:70
	ds_read2_b64 v[164:167], v134 offset0:105 offset1:106
	scratch_load_dwordx4 v[86:89], off, off offset:232
	scratch_load_dwordx4 v[94:97], off, off offset:248
	;; [unrolled: 1-line block ×11, first 2 shown]
	v_cmp_lt_u32_e32 vcc, 7, v0
	ds_read2_b64 v[172:175], v134 offset0:107 offset1:108
	ds_read2_b64 v[180:183], v134 offset0:109 offset1:110
	s_waitcnt vmcnt(20) lgkmcnt(3)
	v_mul_f32_e32 v10, v2, v7
	v_fmac_f32_e32 v10, v3, v6
	v_mul_f32_e32 v11, v4, v9
	v_add_f32_e32 v10, 0, v10
	v_fmac_f32_e32 v11, v5, v8
	v_add_f32_e32 v18, v10, v11
	ds_read2_b64 v[10:13], v134 offset0:71 offset1:72
	v_mul_f32_e32 v3, v3, v7
	v_fma_f32 v2, v2, v6, -v3
	v_mul_f32_e32 v3, v5, v9
	v_add_f32_e32 v2, 0, v2
	s_waitcnt vmcnt(19) lgkmcnt(0)
	v_mul_f32_e32 v19, v10, v15
	v_fmac_f32_e32 v19, v11, v14
	v_add_f32_e32 v18, v18, v19
	v_mul_f32_e32 v19, v12, v17
	v_fmac_f32_e32 v19, v13, v16
	v_add_f32_e32 v26, v18, v19
	ds_read2_b64 v[18:21], v134 offset0:73 offset1:74
	v_fma_f32 v3, v4, v8, -v3
	v_add_f32_e32 v2, v2, v3
	v_mul_f32_e32 v3, v11, v15
	v_fma_f32 v3, v10, v14, -v3
	s_waitcnt vmcnt(18) lgkmcnt(0)
	v_mul_f32_e32 v27, v18, v23
	v_fmac_f32_e32 v27, v19, v22
	v_add_f32_e32 v26, v26, v27
	v_mul_f32_e32 v27, v20, v25
	v_fmac_f32_e32 v27, v21, v24
	v_add_f32_e32 v34, v26, v27
	ds_read2_b64 v[26:29], v134 offset0:75 offset1:76
	v_add_f32_e32 v2, v2, v3
	v_mul_f32_e32 v3, v13, v17
	v_fma_f32 v3, v12, v16, -v3
	v_add_f32_e32 v2, v2, v3
	s_waitcnt vmcnt(17) lgkmcnt(0)
	v_mul_f32_e32 v35, v26, v31
	v_fmac_f32_e32 v35, v27, v30
	v_add_f32_e32 v34, v34, v35
	v_mul_f32_e32 v35, v28, v33
	v_fmac_f32_e32 v35, v29, v32
	v_add_f32_e32 v42, v34, v35
	ds_read2_b64 v[34:37], v134 offset0:77 offset1:78
	v_mul_f32_e32 v3, v19, v23
	v_fma_f32 v3, v18, v22, -v3
	v_add_f32_e32 v2, v2, v3
	v_mul_f32_e32 v3, v21, v25
	s_waitcnt vmcnt(16) lgkmcnt(0)
	v_mul_f32_e32 v43, v34, v39
	v_fmac_f32_e32 v43, v35, v38
	v_add_f32_e32 v42, v42, v43
	v_mul_f32_e32 v43, v36, v41
	v_fmac_f32_e32 v43, v37, v40
	v_add_f32_e32 v50, v42, v43
	ds_read2_b64 v[42:45], v134 offset0:79 offset1:80
	v_fma_f32 v3, v20, v24, -v3
	v_add_f32_e32 v2, v2, v3
	v_mul_f32_e32 v3, v27, v31
	v_fma_f32 v3, v26, v30, -v3
	s_waitcnt vmcnt(15) lgkmcnt(0)
	v_mul_f32_e32 v51, v42, v47
	v_fmac_f32_e32 v51, v43, v46
	v_add_f32_e32 v50, v50, v51
	v_mul_f32_e32 v51, v44, v49
	v_fmac_f32_e32 v51, v45, v48
	v_add_f32_e32 v58, v50, v51
	ds_read2_b64 v[50:53], v134 offset0:81 offset1:82
	v_add_f32_e32 v2, v2, v3
	v_mul_f32_e32 v3, v29, v33
	v_fma_f32 v3, v28, v32, -v3
	v_add_f32_e32 v2, v2, v3
	s_waitcnt vmcnt(14) lgkmcnt(0)
	v_mul_f32_e32 v59, v50, v55
	v_fmac_f32_e32 v59, v51, v54
	v_add_f32_e32 v58, v58, v59
	v_mul_f32_e32 v59, v52, v57
	v_fmac_f32_e32 v59, v53, v56
	v_add_f32_e32 v66, v58, v59
	ds_read2_b64 v[58:61], v134 offset0:83 offset1:84
	v_mul_f32_e32 v3, v35, v39
	v_fma_f32 v3, v34, v38, -v3
	v_add_f32_e32 v2, v2, v3
	v_mul_f32_e32 v3, v37, v41
	;; [unrolled: 36-line block ×5, first 2 shown]
	s_waitcnt vmcnt(4) lgkmcnt(0)
	v_mul_f32_e32 v140, v130, v137
	v_fmac_f32_e32 v140, v131, v136
	v_add_f32_e32 v135, v135, v140
	v_mul_f32_e32 v140, v132, v139
	v_fmac_f32_e32 v140, v133, v138
	v_add_f32_e32 v135, v135, v140
	ds_read2_b64 v[140:143], v134 offset0:103 offset1:104
	scratch_load_dwordx4 v[188:191], off, off offset:408
	scratch_load_dwordx4 v[192:195], off, off offset:424
	;; [unrolled: 1-line block ×4, first 2 shown]
	v_fma_f32 v3, v84, v88, -v3
	v_add_f32_e32 v2, v2, v3
	v_mul_f32_e32 v3, v91, v95
	v_fma_f32 v3, v90, v94, -v3
	v_add_f32_e32 v2, v2, v3
	v_mul_f32_e32 v3, v93, v97
	;; [unrolled: 3-line block ×12, first 2 shown]
	v_fma_f32 v3, v132, v138, -v3
	s_waitcnt vmcnt(7) lgkmcnt(0)
	v_mul_f32_e32 v148, v140, v145
	v_add_f32_e32 v2, v2, v3
	v_mul_f32_e32 v3, v141, v145
	v_fmac_f32_e32 v148, v141, v144
	v_fma_f32 v3, v140, v144, -v3
	v_add_f32_e32 v135, v135, v148
	v_mul_f32_e32 v148, v142, v147
	v_add_f32_e32 v2, v2, v3
	v_mul_f32_e32 v3, v143, v147
	v_fmac_f32_e32 v148, v143, v146
	v_fma_f32 v3, v142, v146, -v3
	v_add_f32_e32 v135, v135, v148
	s_waitcnt vmcnt(6)
	v_mul_f32_e32 v148, v164, v169
	v_add_f32_e32 v2, v2, v3
	v_mul_f32_e32 v3, v165, v169
	v_fmac_f32_e32 v148, v165, v168
	v_fma_f32 v3, v164, v168, -v3
	v_add_f32_e32 v135, v135, v148
	v_mul_f32_e32 v148, v166, v171
	v_add_f32_e32 v2, v2, v3
	v_mul_f32_e32 v3, v167, v171
	v_fmac_f32_e32 v148, v167, v170
	v_fma_f32 v3, v166, v170, -v3
	v_add_f32_e32 v135, v135, v148
	s_waitcnt vmcnt(5)
	v_mul_f32_e32 v148, v172, v177
	v_add_f32_e32 v2, v2, v3
	v_mul_f32_e32 v3, v173, v177
	v_fmac_f32_e32 v148, v173, v176
	v_fma_f32 v3, v172, v176, -v3
	v_add_f32_e32 v135, v135, v148
	v_mul_f32_e32 v148, v174, v179
	v_add_f32_e32 v2, v2, v3
	v_mul_f32_e32 v3, v175, v179
	v_fmac_f32_e32 v148, v175, v178
	v_fma_f32 v3, v174, v178, -v3
	v_add_f32_e32 v149, v135, v148
	v_add_f32_e32 v148, v2, v3
	s_waitcnt vmcnt(4)
	v_mul_f32_e32 v2, v181, v185
	v_fma_f32 v204, v180, v184, -v2
	v_mul_f32_e32 v2, v183, v187
	v_fma_f32 v206, v182, v186, -v2
	ds_read2_b64 v[2:5], v134 offset0:111 offset1:112
	ds_read2_b64 v[6:9], v134 offset0:113 offset1:114
	;; [unrolled: 1-line block ×4, first 2 shown]
	v_mul_f32_e32 v205, v180, v185
	v_fmac_f32_e32 v205, v181, v184
	v_mul_f32_e32 v207, v182, v187
	s_waitcnt vmcnt(3) lgkmcnt(3)
	v_pk_mul_f32 v[20:21], v[2:3], v[188:189] op_sel:[1,1] op_sel_hi:[0,1]
	v_fmac_f32_e32 v207, v183, v186
	v_pk_add_f32 v[18:19], v[148:149], v[204:205]
	v_pk_fma_f32 v[22:23], v[2:3], v[188:189], v[20:21] neg_lo:[0,0,1] neg_hi:[0,0,1]
	v_pk_fma_f32 v[2:3], v[2:3], v[188:189], v[20:21] op_sel_hi:[1,0,1]
	v_pk_add_f32 v[18:19], v[18:19], v[206:207]
	v_mov_b32_e32 v23, v3
	v_pk_add_f32 v[2:3], v[18:19], v[22:23]
	v_mov_b32_e32 v18, v191
	v_pk_mul_f32 v[18:19], v[4:5], v[18:19] op_sel:[1,0] op_sel_hi:[0,0]
	v_pk_fma_f32 v[20:21], v[4:5], v[190:191], v[18:19] neg_lo:[0,0,1] neg_hi:[0,0,1]
	v_pk_fma_f32 v[4:5], v[4:5], v[190:191], v[18:19] op_sel_hi:[1,0,1]
	s_nop 0
	v_mov_b32_e32 v21, v5
	s_waitcnt vmcnt(2) lgkmcnt(2)
	v_pk_mul_f32 v[4:5], v[6:7], v[192:193] op_sel:[1,1] op_sel_hi:[0,1]
	v_pk_fma_f32 v[18:19], v[6:7], v[192:193], v[4:5] neg_lo:[0,0,1] neg_hi:[0,0,1]
	v_pk_fma_f32 v[4:5], v[6:7], v[192:193], v[4:5] op_sel_hi:[1,0,1]
	v_pk_add_f32 v[2:3], v[2:3], v[20:21]
	v_mov_b32_e32 v4, v195
	v_mov_b32_e32 v19, v5
	v_pk_mul_f32 v[4:5], v[8:9], v[4:5] op_sel:[1,0] op_sel_hi:[0,0]
	v_pk_fma_f32 v[6:7], v[8:9], v[194:195], v[4:5] neg_lo:[0,0,1] neg_hi:[0,0,1]
	v_pk_fma_f32 v[4:5], v[8:9], v[194:195], v[4:5] op_sel_hi:[1,0,1]
	v_pk_add_f32 v[2:3], v[2:3], v[18:19]
	v_mov_b32_e32 v7, v5
	s_waitcnt vmcnt(1) lgkmcnt(1)
	v_pk_mul_f32 v[4:5], v[10:11], v[196:197] op_sel:[1,1] op_sel_hi:[0,1]
	v_pk_add_f32 v[2:3], v[2:3], v[6:7]
	v_pk_fma_f32 v[6:7], v[10:11], v[196:197], v[4:5] neg_lo:[0,0,1] neg_hi:[0,0,1]
	v_pk_fma_f32 v[4:5], v[10:11], v[196:197], v[4:5] op_sel_hi:[1,0,1]
	s_nop 0
	v_mov_b32_e32 v4, v199
	v_mov_b32_e32 v7, v5
	v_pk_mul_f32 v[4:5], v[12:13], v[4:5] op_sel:[1,0] op_sel_hi:[0,0]
	v_pk_add_f32 v[2:3], v[2:3], v[6:7]
	v_pk_fma_f32 v[6:7], v[12:13], v[198:199], v[4:5] neg_lo:[0,0,1] neg_hi:[0,0,1]
	v_pk_fma_f32 v[4:5], v[12:13], v[198:199], v[4:5] op_sel_hi:[1,0,1]
	s_nop 0
	v_mov_b32_e32 v7, v5
	s_waitcnt vmcnt(0) lgkmcnt(0)
	v_pk_mul_f32 v[4:5], v[14:15], v[200:201] op_sel:[1,1] op_sel_hi:[0,1]
	v_pk_add_f32 v[2:3], v[2:3], v[6:7]
	v_pk_fma_f32 v[6:7], v[14:15], v[200:201], v[4:5] neg_lo:[0,0,1] neg_hi:[0,0,1]
	v_pk_fma_f32 v[4:5], v[14:15], v[200:201], v[4:5] op_sel_hi:[1,0,1]
	s_nop 0
	v_mov_b32_e32 v4, v203
	v_mov_b32_e32 v7, v5
	v_pk_mul_f32 v[4:5], v[16:17], v[4:5] op_sel:[1,0] op_sel_hi:[0,0]
	v_pk_add_f32 v[2:3], v[2:3], v[6:7]
	v_pk_fma_f32 v[6:7], v[16:17], v[202:203], v[4:5] neg_lo:[0,0,1] neg_hi:[0,0,1]
	v_pk_fma_f32 v[4:5], v[16:17], v[202:203], v[4:5] op_sel_hi:[1,0,1]
	s_nop 0
	v_mov_b32_e32 v7, v5
	scratch_load_dwordx2 v[4:5], off, off offset:64
	v_pk_add_f32 v[2:3], v[2:3], v[6:7]
	s_waitcnt vmcnt(0)
	v_pk_add_f32 v[2:3], v[4:5], v[2:3] neg_lo:[0,1] neg_hi:[0,1]
	scratch_store_dwordx2 off, v[2:3], off offset:64
	s_and_saveexec_b64 s[0:1], vcc
	s_cbranch_execz .LBB122_353
; %bb.352:
	scratch_load_dwordx2 v[2:3], off, off offset:56
	v_mov_b32_e32 v4, 0
	v_mov_b32_e32 v5, v4
	scratch_store_dwordx2 off, v[4:5], off offset:56
	s_waitcnt vmcnt(1)
	ds_write_b64 v1, v[2:3]
.LBB122_353:
	s_or_b64 exec, exec, s[0:1]
	v_mov_b32_e32 v142, 0
	s_waitcnt lgkmcnt(0)
	; wave barrier
	ds_read_b128 v[14:17], v142 offset:544
	ds_read_b128 v[10:13], v142 offset:560
	;; [unrolled: 1-line block ×4, first 2 shown]
	scratch_load_dwordx4 v[18:21], off, off offset:64
	scratch_load_dwordx4 v[38:41], off, off offset:128
	;; [unrolled: 1-line block ×16, first 2 shown]
	v_cmp_lt_u32_e32 vcc, 6, v0
	scratch_load_dwordx4 v[46:49], off, off offset:144
	scratch_load_dwordx4 v[54:57], off, off offset:160
	;; [unrolled: 1-line block ×3, first 2 shown]
	ds_read_b128 v[164:167], v142 offset:832
	ds_read_b128 v[172:175], v142 offset:848
	ds_read_b128 v[180:183], v142 offset:864
	ds_read_b128 v[188:191], v142 offset:880
	s_waitcnt vmcnt(18) lgkmcnt(7)
	v_mul_f32_e32 v22, v14, v19
	v_fmac_f32_e32 v22, v15, v18
	v_mul_f32_e32 v23, v16, v21
	v_add_f32_e32 v22, 0, v22
	v_fmac_f32_e32 v23, v17, v20
	v_add_f32_e32 v26, v22, v23
	scratch_load_dwordx4 v[22:25], off, off offset:80
	v_mul_f32_e32 v15, v15, v19
	v_fma_f32 v14, v14, v18, -v15
	v_mul_f32_e32 v15, v17, v21
	v_add_f32_e32 v14, 0, v14
	v_fma_f32 v15, v16, v20, -v15
	v_add_f32_e32 v14, v14, v15
	s_waitcnt vmcnt(5) lgkmcnt(1)
	v_mul_f32_e32 v209, v182, v187
	s_waitcnt vmcnt(4)
	v_mov_b32_e32 v18, v195
	v_fmac_f32_e32 v209, v183, v186
	s_waitcnt lgkmcnt(0)
	v_mul_f32_e32 v211, v188, v193
	v_pk_mul_f32 v[18:19], v[190:191], v[18:19] op_sel:[1,0] op_sel_hi:[0,0]
	v_fmac_f32_e32 v211, v189, v192
	v_pk_fma_f32 v[20:21], v[190:191], v[194:195], v[18:19] neg_lo:[0,0,1] neg_hi:[0,0,1]
	v_pk_fma_f32 v[18:19], v[190:191], v[194:195], v[18:19] op_sel_hi:[1,0,1]
	s_waitcnt vmcnt(0)
	v_mul_f32_e32 v27, v10, v23
	v_fmac_f32_e32 v27, v11, v22
	v_add_f32_e32 v26, v26, v27
	v_mul_f32_e32 v27, v12, v25
	v_fmac_f32_e32 v27, v13, v24
	v_add_f32_e32 v30, v26, v27
	scratch_load_dwordx4 v[26:29], off, off offset:96
	v_mul_f32_e32 v11, v11, v23
	v_fma_f32 v10, v10, v22, -v11
	v_mul_f32_e32 v11, v13, v25
	v_add_f32_e32 v10, v14, v10
	v_fma_f32 v11, v12, v24, -v11
	v_add_f32_e32 v10, v10, v11
	v_mov_b32_e32 v21, v19
	s_waitcnt vmcnt(0)
	v_mul_f32_e32 v31, v6, v27
	v_fmac_f32_e32 v31, v7, v26
	v_add_f32_e32 v30, v30, v31
	v_mul_f32_e32 v31, v8, v29
	v_fmac_f32_e32 v31, v9, v28
	v_add_f32_e32 v34, v30, v31
	scratch_load_dwordx4 v[30:33], off, off offset:112
	v_mul_f32_e32 v7, v7, v27
	v_fma_f32 v6, v6, v26, -v7
	v_mul_f32_e32 v7, v9, v29
	v_add_f32_e32 v6, v10, v6
	v_fma_f32 v7, v8, v28, -v7
	v_add_f32_e32 v6, v6, v7
	s_waitcnt vmcnt(0)
	v_mul_f32_e32 v35, v2, v31
	v_fmac_f32_e32 v35, v3, v30
	v_add_f32_e32 v34, v34, v35
	v_mul_f32_e32 v35, v4, v33
	v_fmac_f32_e32 v35, v5, v32
	v_add_f32_e32 v42, v34, v35
	ds_read_b128 v[34:37], v142 offset:608
	v_mul_f32_e32 v3, v3, v31
	v_fma_f32 v2, v2, v30, -v3
	v_mul_f32_e32 v3, v5, v33
	v_add_f32_e32 v2, v6, v2
	s_waitcnt lgkmcnt(0)
	v_mul_f32_e32 v43, v34, v39
	v_fmac_f32_e32 v43, v35, v38
	v_add_f32_e32 v42, v42, v43
	v_mul_f32_e32 v43, v36, v41
	v_fmac_f32_e32 v43, v37, v40
	v_add_f32_e32 v50, v42, v43
	ds_read_b128 v[42:45], v142 offset:624
	v_fma_f32 v3, v4, v32, -v3
	v_add_f32_e32 v2, v2, v3
	v_mul_f32_e32 v3, v35, v39
	v_fma_f32 v3, v34, v38, -v3
	s_waitcnt lgkmcnt(0)
	v_mul_f32_e32 v51, v42, v47
	v_fmac_f32_e32 v51, v43, v46
	v_add_f32_e32 v50, v50, v51
	v_mul_f32_e32 v51, v44, v49
	v_fmac_f32_e32 v51, v45, v48
	v_add_f32_e32 v58, v50, v51
	ds_read_b128 v[50:53], v142 offset:640
	v_add_f32_e32 v2, v2, v3
	v_mul_f32_e32 v3, v37, v41
	v_fma_f32 v3, v36, v40, -v3
	v_add_f32_e32 v2, v2, v3
	s_waitcnt lgkmcnt(0)
	v_mul_f32_e32 v59, v50, v55
	v_fmac_f32_e32 v59, v51, v54
	v_add_f32_e32 v58, v58, v59
	v_mul_f32_e32 v59, v52, v57
	v_fmac_f32_e32 v59, v53, v56
	v_add_f32_e32 v66, v58, v59
	ds_read_b128 v[58:61], v142 offset:656
	v_mul_f32_e32 v3, v43, v47
	v_fma_f32 v3, v42, v46, -v3
	v_add_f32_e32 v2, v2, v3
	v_mul_f32_e32 v3, v45, v49
	s_waitcnt lgkmcnt(0)
	v_mul_f32_e32 v67, v58, v63
	v_fmac_f32_e32 v67, v59, v62
	v_add_f32_e32 v66, v66, v67
	v_mul_f32_e32 v67, v60, v65
	v_fmac_f32_e32 v67, v61, v64
	v_add_f32_e32 v74, v66, v67
	ds_read_b128 v[66:69], v142 offset:672
	v_fma_f32 v3, v44, v48, -v3
	v_add_f32_e32 v2, v2, v3
	v_mul_f32_e32 v3, v51, v55
	v_fma_f32 v3, v50, v54, -v3
	s_waitcnt lgkmcnt(0)
	v_mul_f32_e32 v75, v66, v71
	v_fmac_f32_e32 v75, v67, v70
	v_add_f32_e32 v74, v74, v75
	v_mul_f32_e32 v75, v68, v73
	v_fmac_f32_e32 v75, v69, v72
	v_add_f32_e32 v82, v74, v75
	ds_read_b128 v[74:77], v142 offset:688
	v_add_f32_e32 v2, v2, v3
	v_mul_f32_e32 v3, v53, v57
	v_fma_f32 v3, v52, v56, -v3
	v_add_f32_e32 v2, v2, v3
	s_waitcnt lgkmcnt(0)
	v_mul_f32_e32 v83, v74, v79
	v_fmac_f32_e32 v83, v75, v78
	v_add_f32_e32 v82, v82, v83
	v_mul_f32_e32 v83, v76, v81
	v_fmac_f32_e32 v83, v77, v80
	v_add_f32_e32 v90, v82, v83
	ds_read_b128 v[82:85], v142 offset:704
	v_mul_f32_e32 v3, v59, v63
	v_fma_f32 v3, v58, v62, -v3
	v_add_f32_e32 v2, v2, v3
	v_mul_f32_e32 v3, v61, v65
	;; [unrolled: 36-line block ×4, first 2 shown]
	s_waitcnt lgkmcnt(0)
	v_mul_f32_e32 v139, v130, v135
	v_fmac_f32_e32 v139, v131, v134
	v_add_f32_e32 v138, v138, v139
	v_mul_f32_e32 v139, v132, v137
	v_fmac_f32_e32 v139, v133, v136
	v_add_f32_e32 v143, v138, v139
	ds_read_b128 v[138:141], v142 offset:816
	scratch_load_dwordx4 v[196:199], off, off offset:416
	scratch_load_dwordx4 v[200:203], off, off offset:432
	;; [unrolled: 1-line block ×3, first 2 shown]
	scratch_load_dwordx2 v[212:213], off, off offset:464
	v_fma_f32 v3, v92, v96, -v3
	v_add_f32_e32 v2, v2, v3
	v_mul_f32_e32 v3, v99, v103
	v_fma_f32 v3, v98, v102, -v3
	v_add_f32_e32 v2, v2, v3
	v_mul_f32_e32 v3, v101, v105
	;; [unrolled: 3-line block ×10, first 2 shown]
	v_fma_f32 v3, v132, v136, -v3
	s_waitcnt lgkmcnt(0)
	v_mul_f32_e32 v148, v138, v145
	v_add_f32_e32 v2, v2, v3
	v_mul_f32_e32 v3, v139, v145
	v_fmac_f32_e32 v148, v139, v144
	v_fma_f32 v3, v138, v144, -v3
	v_add_f32_e32 v143, v143, v148
	v_mul_f32_e32 v148, v140, v147
	v_add_f32_e32 v2, v2, v3
	v_mul_f32_e32 v3, v141, v147
	v_fmac_f32_e32 v148, v141, v146
	v_fma_f32 v3, v140, v146, -v3
	v_add_f32_e32 v143, v143, v148
	;; [unrolled: 6-line block ×7, first 2 shown]
	v_add_f32_e32 v148, v2, v3
	v_mul_f32_e32 v2, v183, v187
	v_fma_f32 v208, v182, v186, -v2
	v_mul_f32_e32 v2, v189, v193
	v_fma_f32 v210, v188, v192, -v2
	ds_read_b128 v[2:5], v142 offset:896
	ds_read_b128 v[6:9], v142 offset:912
	;; [unrolled: 1-line block ×3, first 2 shown]
	ds_read_b64 v[14:15], v142 offset:944
	v_pk_add_f32 v[16:17], v[148:149], v[208:209]
	s_waitcnt vmcnt(3) lgkmcnt(3)
	v_pk_mul_f32 v[18:19], v[2:3], v[196:197] op_sel:[1,1] op_sel_hi:[0,1]
	v_pk_add_f32 v[16:17], v[16:17], v[210:211]
	s_nop 0
	v_pk_add_f32 v[16:17], v[16:17], v[20:21]
	v_pk_fma_f32 v[20:21], v[2:3], v[196:197], v[18:19] neg_lo:[0,0,1] neg_hi:[0,0,1]
	v_pk_fma_f32 v[2:3], v[2:3], v[196:197], v[18:19] op_sel_hi:[1,0,1]
	s_nop 0
	v_mov_b32_e32 v21, v3
	v_pk_add_f32 v[2:3], v[16:17], v[20:21]
	v_mov_b32_e32 v16, v199
	v_pk_mul_f32 v[16:17], v[4:5], v[16:17] op_sel:[1,0] op_sel_hi:[0,0]
	v_pk_fma_f32 v[18:19], v[4:5], v[198:199], v[16:17] neg_lo:[0,0,1] neg_hi:[0,0,1]
	v_pk_fma_f32 v[4:5], v[4:5], v[198:199], v[16:17] op_sel_hi:[1,0,1]
	s_nop 0
	v_mov_b32_e32 v19, v5
	s_waitcnt vmcnt(2) lgkmcnt(2)
	v_pk_mul_f32 v[4:5], v[6:7], v[200:201] op_sel:[1,1] op_sel_hi:[0,1]
	v_pk_fma_f32 v[16:17], v[6:7], v[200:201], v[4:5] neg_lo:[0,0,1] neg_hi:[0,0,1]
	v_pk_fma_f32 v[4:5], v[6:7], v[200:201], v[4:5] op_sel_hi:[1,0,1]
	v_pk_add_f32 v[2:3], v[2:3], v[18:19]
	v_mov_b32_e32 v4, v203
	v_mov_b32_e32 v17, v5
	v_pk_mul_f32 v[4:5], v[8:9], v[4:5] op_sel:[1,0] op_sel_hi:[0,0]
	v_pk_fma_f32 v[6:7], v[8:9], v[202:203], v[4:5] neg_lo:[0,0,1] neg_hi:[0,0,1]
	v_pk_fma_f32 v[4:5], v[8:9], v[202:203], v[4:5] op_sel_hi:[1,0,1]
	v_pk_add_f32 v[2:3], v[2:3], v[16:17]
	v_mov_b32_e32 v7, v5
	s_waitcnt vmcnt(1) lgkmcnt(1)
	v_pk_mul_f32 v[4:5], v[10:11], v[204:205] op_sel:[1,1] op_sel_hi:[0,1]
	v_pk_add_f32 v[2:3], v[2:3], v[6:7]
	v_pk_fma_f32 v[6:7], v[10:11], v[204:205], v[4:5] neg_lo:[0,0,1] neg_hi:[0,0,1]
	v_pk_fma_f32 v[4:5], v[10:11], v[204:205], v[4:5] op_sel_hi:[1,0,1]
	s_nop 0
	v_mov_b32_e32 v4, v207
	v_mov_b32_e32 v7, v5
	v_pk_mul_f32 v[4:5], v[12:13], v[4:5] op_sel:[1,0] op_sel_hi:[0,0]
	v_pk_add_f32 v[2:3], v[2:3], v[6:7]
	v_pk_fma_f32 v[6:7], v[12:13], v[206:207], v[4:5] neg_lo:[0,0,1] neg_hi:[0,0,1]
	v_pk_fma_f32 v[4:5], v[12:13], v[206:207], v[4:5] op_sel_hi:[1,0,1]
	s_nop 0
	v_mov_b32_e32 v7, v5
	s_waitcnt vmcnt(0) lgkmcnt(0)
	v_pk_mul_f32 v[4:5], v[14:15], v[212:213] op_sel:[1,1] op_sel_hi:[0,1]
	v_pk_add_f32 v[2:3], v[2:3], v[6:7]
	v_pk_fma_f32 v[6:7], v[14:15], v[212:213], v[4:5] neg_lo:[0,0,1] neg_hi:[0,0,1]
	v_pk_fma_f32 v[4:5], v[14:15], v[212:213], v[4:5] op_sel_hi:[1,0,1]
	s_nop 0
	v_mov_b32_e32 v7, v5
	scratch_load_dwordx2 v[4:5], off, off offset:56
	v_pk_add_f32 v[2:3], v[2:3], v[6:7]
	s_waitcnt vmcnt(0)
	v_pk_add_f32 v[2:3], v[4:5], v[2:3] neg_lo:[0,1] neg_hi:[0,1]
	scratch_store_dwordx2 off, v[2:3], off offset:56
	s_and_saveexec_b64 s[0:1], vcc
	s_cbranch_execz .LBB122_355
; %bb.354:
	scratch_load_dwordx2 v[2:3], off, off offset:48
	v_mov_b32_e32 v143, v142
	scratch_store_dwordx2 off, v[142:143], off offset:48
	s_waitcnt vmcnt(1)
	ds_write_b64 v1, v[2:3]
.LBB122_355:
	s_or_b64 exec, exec, s[0:1]
	s_waitcnt lgkmcnt(0)
	; wave barrier
	scratch_load_dwordx4 v[6:9], off, off offset:56
	scratch_load_dwordx4 v[14:17], off, off offset:72
	scratch_load_dwordx4 v[22:25], off, off offset:88
	scratch_load_dwordx4 v[30:33], off, off offset:104
	scratch_load_dwordx4 v[38:41], off, off offset:120
	scratch_load_dwordx4 v[46:49], off, off offset:136
	scratch_load_dwordx4 v[54:57], off, off offset:152
	scratch_load_dwordx4 v[62:65], off, off offset:168
	scratch_load_dwordx4 v[70:73], off, off offset:184
	scratch_load_dwordx4 v[78:81], off, off offset:200
	ds_read2_b64 v[2:5], v142 offset0:67 offset1:68
	ds_read2_b64 v[164:167], v142 offset0:103 offset1:104
	scratch_load_dwordx4 v[86:89], off, off offset:216
	scratch_load_dwordx4 v[94:97], off, off offset:232
	;; [unrolled: 1-line block ×12, first 2 shown]
	v_cmp_lt_u32_e32 vcc, 5, v0
	ds_read2_b64 v[172:175], v142 offset0:105 offset1:106
	ds_read2_b64 v[180:183], v142 offset0:107 offset1:108
	;; [unrolled: 1-line block ×3, first 2 shown]
	s_waitcnt vmcnt(21) lgkmcnt(4)
	v_mul_f32_e32 v10, v2, v7
	v_fmac_f32_e32 v10, v3, v6
	v_mul_f32_e32 v11, v4, v9
	v_add_f32_e32 v10, 0, v10
	v_fmac_f32_e32 v11, v5, v8
	v_add_f32_e32 v18, v10, v11
	ds_read2_b64 v[10:13], v142 offset0:69 offset1:70
	v_mul_f32_e32 v3, v3, v7
	v_fma_f32 v2, v2, v6, -v3
	v_mul_f32_e32 v3, v5, v9
	v_add_f32_e32 v2, 0, v2
	s_waitcnt vmcnt(20) lgkmcnt(0)
	v_mul_f32_e32 v19, v10, v15
	v_fmac_f32_e32 v19, v11, v14
	v_add_f32_e32 v18, v18, v19
	v_mul_f32_e32 v19, v12, v17
	v_fmac_f32_e32 v19, v13, v16
	v_add_f32_e32 v26, v18, v19
	ds_read2_b64 v[18:21], v142 offset0:71 offset1:72
	v_fma_f32 v3, v4, v8, -v3
	v_add_f32_e32 v2, v2, v3
	v_mul_f32_e32 v3, v11, v15
	v_fma_f32 v3, v10, v14, -v3
	s_waitcnt vmcnt(19) lgkmcnt(0)
	v_mul_f32_e32 v27, v18, v23
	v_fmac_f32_e32 v27, v19, v22
	v_add_f32_e32 v26, v26, v27
	v_mul_f32_e32 v27, v20, v25
	v_fmac_f32_e32 v27, v21, v24
	v_add_f32_e32 v34, v26, v27
	ds_read2_b64 v[26:29], v142 offset0:73 offset1:74
	v_add_f32_e32 v2, v2, v3
	v_mul_f32_e32 v3, v13, v17
	v_fma_f32 v3, v12, v16, -v3
	v_add_f32_e32 v2, v2, v3
	s_waitcnt vmcnt(18) lgkmcnt(0)
	v_mul_f32_e32 v35, v26, v31
	v_fmac_f32_e32 v35, v27, v30
	v_add_f32_e32 v34, v34, v35
	v_mul_f32_e32 v35, v28, v33
	v_fmac_f32_e32 v35, v29, v32
	v_add_f32_e32 v42, v34, v35
	ds_read2_b64 v[34:37], v142 offset0:75 offset1:76
	v_mul_f32_e32 v3, v19, v23
	v_fma_f32 v3, v18, v22, -v3
	v_add_f32_e32 v2, v2, v3
	v_mul_f32_e32 v3, v21, v25
	s_waitcnt vmcnt(17) lgkmcnt(0)
	v_mul_f32_e32 v43, v34, v39
	v_fmac_f32_e32 v43, v35, v38
	v_add_f32_e32 v42, v42, v43
	v_mul_f32_e32 v43, v36, v41
	v_fmac_f32_e32 v43, v37, v40
	v_add_f32_e32 v50, v42, v43
	ds_read2_b64 v[42:45], v142 offset0:77 offset1:78
	v_fma_f32 v3, v20, v24, -v3
	v_add_f32_e32 v2, v2, v3
	v_mul_f32_e32 v3, v27, v31
	v_fma_f32 v3, v26, v30, -v3
	s_waitcnt vmcnt(16) lgkmcnt(0)
	v_mul_f32_e32 v51, v42, v47
	v_fmac_f32_e32 v51, v43, v46
	v_add_f32_e32 v50, v50, v51
	v_mul_f32_e32 v51, v44, v49
	v_fmac_f32_e32 v51, v45, v48
	v_add_f32_e32 v58, v50, v51
	ds_read2_b64 v[50:53], v142 offset0:79 offset1:80
	v_add_f32_e32 v2, v2, v3
	v_mul_f32_e32 v3, v29, v33
	v_fma_f32 v3, v28, v32, -v3
	v_add_f32_e32 v2, v2, v3
	s_waitcnt vmcnt(15) lgkmcnt(0)
	v_mul_f32_e32 v59, v50, v55
	v_fmac_f32_e32 v59, v51, v54
	v_add_f32_e32 v58, v58, v59
	v_mul_f32_e32 v59, v52, v57
	v_fmac_f32_e32 v59, v53, v56
	v_add_f32_e32 v66, v58, v59
	ds_read2_b64 v[58:61], v142 offset0:81 offset1:82
	v_mul_f32_e32 v3, v35, v39
	v_fma_f32 v3, v34, v38, -v3
	v_add_f32_e32 v2, v2, v3
	v_mul_f32_e32 v3, v37, v41
	;; [unrolled: 36-line block ×5, first 2 shown]
	s_waitcnt vmcnt(5) lgkmcnt(0)
	v_mul_f32_e32 v139, v130, v135
	v_fmac_f32_e32 v139, v131, v134
	v_add_f32_e32 v138, v138, v139
	v_mul_f32_e32 v139, v132, v137
	v_fmac_f32_e32 v139, v133, v136
	v_add_f32_e32 v143, v138, v139
	ds_read2_b64 v[138:141], v142 offset0:101 offset1:102
	scratch_load_dwordx4 v[196:199], off, off offset:408
	scratch_load_dwordx4 v[200:203], off, off offset:424
	;; [unrolled: 1-line block ×4, first 2 shown]
	v_fma_f32 v3, v84, v88, -v3
	v_add_f32_e32 v2, v2, v3
	v_mul_f32_e32 v3, v91, v95
	v_fma_f32 v3, v90, v94, -v3
	v_add_f32_e32 v2, v2, v3
	v_mul_f32_e32 v3, v93, v97
	;; [unrolled: 3-line block ×12, first 2 shown]
	v_fma_f32 v3, v132, v136, -v3
	s_waitcnt vmcnt(8) lgkmcnt(0)
	v_mul_f32_e32 v148, v138, v145
	v_add_f32_e32 v2, v2, v3
	v_mul_f32_e32 v3, v139, v145
	v_fmac_f32_e32 v148, v139, v144
	v_fma_f32 v3, v138, v144, -v3
	v_add_f32_e32 v143, v143, v148
	v_mul_f32_e32 v148, v140, v147
	v_add_f32_e32 v2, v2, v3
	v_mul_f32_e32 v3, v141, v147
	v_fmac_f32_e32 v148, v141, v146
	v_fma_f32 v3, v140, v146, -v3
	v_add_f32_e32 v143, v143, v148
	s_waitcnt vmcnt(7)
	v_mul_f32_e32 v148, v164, v169
	v_add_f32_e32 v2, v2, v3
	v_mul_f32_e32 v3, v165, v169
	v_fmac_f32_e32 v148, v165, v168
	v_fma_f32 v3, v164, v168, -v3
	v_add_f32_e32 v143, v143, v148
	v_mul_f32_e32 v148, v166, v171
	v_add_f32_e32 v2, v2, v3
	v_mul_f32_e32 v3, v167, v171
	v_fmac_f32_e32 v148, v167, v170
	v_fma_f32 v3, v166, v170, -v3
	v_add_f32_e32 v143, v143, v148
	s_waitcnt vmcnt(6)
	;; [unrolled: 13-line block ×3, first 2 shown]
	v_mul_f32_e32 v148, v180, v185
	v_add_f32_e32 v2, v2, v3
	v_mul_f32_e32 v3, v181, v185
	v_fmac_f32_e32 v148, v181, v184
	v_fma_f32 v3, v180, v184, -v3
	v_add_f32_e32 v143, v143, v148
	v_mul_f32_e32 v148, v182, v187
	v_add_f32_e32 v2, v2, v3
	v_mul_f32_e32 v3, v183, v187
	v_fmac_f32_e32 v148, v183, v186
	v_fma_f32 v3, v182, v186, -v3
	v_add_f32_e32 v149, v143, v148
	v_add_f32_e32 v148, v2, v3
	s_waitcnt vmcnt(4)
	v_mul_f32_e32 v2, v189, v193
	v_fma_f32 v212, v188, v192, -v2
	v_mul_f32_e32 v2, v191, v195
	v_fma_f32 v214, v190, v194, -v2
	ds_read2_b64 v[2:5], v142 offset0:111 offset1:112
	ds_read2_b64 v[6:9], v142 offset0:113 offset1:114
	;; [unrolled: 1-line block ×4, first 2 shown]
	v_mul_f32_e32 v213, v188, v193
	v_fmac_f32_e32 v213, v189, v192
	v_mul_f32_e32 v215, v190, v195
	s_waitcnt vmcnt(3) lgkmcnt(3)
	v_pk_mul_f32 v[20:21], v[2:3], v[196:197] op_sel:[1,1] op_sel_hi:[0,1]
	v_fmac_f32_e32 v215, v191, v194
	v_pk_add_f32 v[18:19], v[148:149], v[212:213]
	v_pk_fma_f32 v[22:23], v[2:3], v[196:197], v[20:21] neg_lo:[0,0,1] neg_hi:[0,0,1]
	v_pk_fma_f32 v[2:3], v[2:3], v[196:197], v[20:21] op_sel_hi:[1,0,1]
	v_pk_add_f32 v[18:19], v[18:19], v[214:215]
	v_mov_b32_e32 v23, v3
	v_pk_add_f32 v[2:3], v[18:19], v[22:23]
	v_mov_b32_e32 v18, v199
	v_pk_mul_f32 v[18:19], v[4:5], v[18:19] op_sel:[1,0] op_sel_hi:[0,0]
	v_pk_fma_f32 v[20:21], v[4:5], v[198:199], v[18:19] neg_lo:[0,0,1] neg_hi:[0,0,1]
	v_pk_fma_f32 v[4:5], v[4:5], v[198:199], v[18:19] op_sel_hi:[1,0,1]
	s_nop 0
	v_mov_b32_e32 v21, v5
	s_waitcnt vmcnt(2) lgkmcnt(2)
	v_pk_mul_f32 v[4:5], v[6:7], v[200:201] op_sel:[1,1] op_sel_hi:[0,1]
	v_pk_fma_f32 v[18:19], v[6:7], v[200:201], v[4:5] neg_lo:[0,0,1] neg_hi:[0,0,1]
	v_pk_fma_f32 v[4:5], v[6:7], v[200:201], v[4:5] op_sel_hi:[1,0,1]
	v_pk_add_f32 v[2:3], v[2:3], v[20:21]
	v_mov_b32_e32 v4, v203
	v_mov_b32_e32 v19, v5
	v_pk_mul_f32 v[4:5], v[8:9], v[4:5] op_sel:[1,0] op_sel_hi:[0,0]
	v_pk_fma_f32 v[6:7], v[8:9], v[202:203], v[4:5] neg_lo:[0,0,1] neg_hi:[0,0,1]
	v_pk_fma_f32 v[4:5], v[8:9], v[202:203], v[4:5] op_sel_hi:[1,0,1]
	v_pk_add_f32 v[2:3], v[2:3], v[18:19]
	v_mov_b32_e32 v7, v5
	s_waitcnt vmcnt(1) lgkmcnt(1)
	v_pk_mul_f32 v[4:5], v[10:11], v[204:205] op_sel:[1,1] op_sel_hi:[0,1]
	v_pk_add_f32 v[2:3], v[2:3], v[6:7]
	v_pk_fma_f32 v[6:7], v[10:11], v[204:205], v[4:5] neg_lo:[0,0,1] neg_hi:[0,0,1]
	v_pk_fma_f32 v[4:5], v[10:11], v[204:205], v[4:5] op_sel_hi:[1,0,1]
	s_nop 0
	v_mov_b32_e32 v4, v207
	v_mov_b32_e32 v7, v5
	v_pk_mul_f32 v[4:5], v[12:13], v[4:5] op_sel:[1,0] op_sel_hi:[0,0]
	v_pk_add_f32 v[2:3], v[2:3], v[6:7]
	v_pk_fma_f32 v[6:7], v[12:13], v[206:207], v[4:5] neg_lo:[0,0,1] neg_hi:[0,0,1]
	v_pk_fma_f32 v[4:5], v[12:13], v[206:207], v[4:5] op_sel_hi:[1,0,1]
	s_nop 0
	v_mov_b32_e32 v7, v5
	s_waitcnt vmcnt(0) lgkmcnt(0)
	v_pk_mul_f32 v[4:5], v[14:15], v[208:209] op_sel:[1,1] op_sel_hi:[0,1]
	v_pk_add_f32 v[2:3], v[2:3], v[6:7]
	v_pk_fma_f32 v[6:7], v[14:15], v[208:209], v[4:5] neg_lo:[0,0,1] neg_hi:[0,0,1]
	v_pk_fma_f32 v[4:5], v[14:15], v[208:209], v[4:5] op_sel_hi:[1,0,1]
	s_nop 0
	v_mov_b32_e32 v4, v211
	v_mov_b32_e32 v7, v5
	v_pk_mul_f32 v[4:5], v[16:17], v[4:5] op_sel:[1,0] op_sel_hi:[0,0]
	v_pk_add_f32 v[2:3], v[2:3], v[6:7]
	v_pk_fma_f32 v[6:7], v[16:17], v[210:211], v[4:5] neg_lo:[0,0,1] neg_hi:[0,0,1]
	v_pk_fma_f32 v[4:5], v[16:17], v[210:211], v[4:5] op_sel_hi:[1,0,1]
	s_nop 0
	v_mov_b32_e32 v7, v5
	scratch_load_dwordx2 v[4:5], off, off offset:48
	v_pk_add_f32 v[2:3], v[2:3], v[6:7]
	s_waitcnt vmcnt(0)
	v_pk_add_f32 v[2:3], v[4:5], v[2:3] neg_lo:[0,1] neg_hi:[0,1]
	scratch_store_dwordx2 off, v[2:3], off offset:48
	s_and_saveexec_b64 s[0:1], vcc
	s_cbranch_execz .LBB122_357
; %bb.356:
	scratch_load_dwordx2 v[2:3], off, off offset:40
	v_mov_b32_e32 v4, 0
	v_mov_b32_e32 v5, v4
	scratch_store_dwordx2 off, v[4:5], off offset:40
	s_waitcnt vmcnt(1)
	ds_write_b64 v1, v[2:3]
.LBB122_357:
	s_or_b64 exec, exec, s[0:1]
	v_mov_b32_e32 v164, 0
	s_waitcnt lgkmcnt(0)
	; wave barrier
	ds_read_b128 v[14:17], v164 offset:528
	ds_read_b128 v[10:13], v164 offset:544
	;; [unrolled: 1-line block ×4, first 2 shown]
	scratch_load_dwordx4 v[18:21], off, off offset:48
	scratch_load_dwordx4 v[38:41], off, off offset:112
	;; [unrolled: 1-line block ×17, first 2 shown]
	v_cmp_lt_u32_e32 vcc, 4, v0
	scratch_load_dwordx4 v[46:49], off, off offset:128
	scratch_load_dwordx4 v[54:57], off, off offset:144
	;; [unrolled: 1-line block ×3, first 2 shown]
	s_waitcnt vmcnt(19) lgkmcnt(3)
	v_mul_f32_e32 v22, v14, v19
	v_fmac_f32_e32 v22, v15, v18
	v_mul_f32_e32 v23, v16, v21
	v_add_f32_e32 v22, 0, v22
	v_fmac_f32_e32 v23, v17, v20
	v_add_f32_e32 v26, v22, v23
	scratch_load_dwordx4 v[22:25], off, off offset:64
	v_mul_f32_e32 v15, v15, v19
	v_fma_f32 v14, v14, v18, -v15
	v_mul_f32_e32 v15, v17, v21
	v_add_f32_e32 v14, 0, v14
	v_fma_f32 v15, v16, v20, -v15
	v_add_f32_e32 v14, v14, v15
	s_waitcnt vmcnt(4)
	v_mov_b32_e32 v18, v201
	s_waitcnt vmcnt(0) lgkmcnt(2)
	v_mul_f32_e32 v27, v10, v23
	v_fmac_f32_e32 v27, v11, v22
	v_add_f32_e32 v26, v26, v27
	v_mul_f32_e32 v27, v12, v25
	v_fmac_f32_e32 v27, v13, v24
	v_add_f32_e32 v30, v26, v27
	scratch_load_dwordx4 v[26:29], off, off offset:80
	v_mul_f32_e32 v11, v11, v23
	v_fma_f32 v10, v10, v22, -v11
	v_mul_f32_e32 v11, v13, v25
	v_add_f32_e32 v10, v14, v10
	v_fma_f32 v11, v12, v24, -v11
	v_add_f32_e32 v10, v10, v11
	s_waitcnt vmcnt(0) lgkmcnt(1)
	v_mul_f32_e32 v31, v6, v27
	v_fmac_f32_e32 v31, v7, v26
	v_add_f32_e32 v30, v30, v31
	v_mul_f32_e32 v31, v8, v29
	v_fmac_f32_e32 v31, v9, v28
	v_add_f32_e32 v34, v30, v31
	scratch_load_dwordx4 v[30:33], off, off offset:96
	v_mul_f32_e32 v7, v7, v27
	v_fma_f32 v6, v6, v26, -v7
	v_mul_f32_e32 v7, v9, v29
	v_add_f32_e32 v6, v10, v6
	v_fma_f32 v7, v8, v28, -v7
	v_add_f32_e32 v6, v6, v7
	s_waitcnt vmcnt(0) lgkmcnt(0)
	v_mul_f32_e32 v35, v2, v31
	v_fmac_f32_e32 v35, v3, v30
	v_add_f32_e32 v34, v34, v35
	v_mul_f32_e32 v35, v4, v33
	v_fmac_f32_e32 v35, v5, v32
	v_add_f32_e32 v42, v34, v35
	ds_read_b128 v[34:37], v164 offset:592
	v_mul_f32_e32 v3, v3, v31
	v_fma_f32 v2, v2, v30, -v3
	v_mul_f32_e32 v3, v5, v33
	v_add_f32_e32 v2, v6, v2
	s_waitcnt lgkmcnt(0)
	v_mul_f32_e32 v43, v34, v39
	v_fmac_f32_e32 v43, v35, v38
	v_add_f32_e32 v42, v42, v43
	v_mul_f32_e32 v43, v36, v41
	v_fmac_f32_e32 v43, v37, v40
	v_add_f32_e32 v50, v42, v43
	ds_read_b128 v[42:45], v164 offset:608
	v_fma_f32 v3, v4, v32, -v3
	v_add_f32_e32 v2, v2, v3
	v_mul_f32_e32 v3, v35, v39
	v_fma_f32 v3, v34, v38, -v3
	s_waitcnt lgkmcnt(0)
	v_mul_f32_e32 v51, v42, v47
	v_fmac_f32_e32 v51, v43, v46
	v_add_f32_e32 v50, v50, v51
	v_mul_f32_e32 v51, v44, v49
	v_fmac_f32_e32 v51, v45, v48
	v_add_f32_e32 v58, v50, v51
	ds_read_b128 v[50:53], v164 offset:624
	v_add_f32_e32 v2, v2, v3
	v_mul_f32_e32 v3, v37, v41
	v_fma_f32 v3, v36, v40, -v3
	v_add_f32_e32 v2, v2, v3
	s_waitcnt lgkmcnt(0)
	v_mul_f32_e32 v59, v50, v55
	v_fmac_f32_e32 v59, v51, v54
	v_add_f32_e32 v58, v58, v59
	v_mul_f32_e32 v59, v52, v57
	v_fmac_f32_e32 v59, v53, v56
	v_add_f32_e32 v66, v58, v59
	ds_read_b128 v[58:61], v164 offset:640
	v_mul_f32_e32 v3, v43, v47
	v_fma_f32 v3, v42, v46, -v3
	v_add_f32_e32 v2, v2, v3
	v_mul_f32_e32 v3, v45, v49
	s_waitcnt lgkmcnt(0)
	v_mul_f32_e32 v67, v58, v63
	v_fmac_f32_e32 v67, v59, v62
	v_add_f32_e32 v66, v66, v67
	v_mul_f32_e32 v67, v60, v65
	v_fmac_f32_e32 v67, v61, v64
	v_add_f32_e32 v74, v66, v67
	ds_read_b128 v[66:69], v164 offset:656
	v_fma_f32 v3, v44, v48, -v3
	v_add_f32_e32 v2, v2, v3
	v_mul_f32_e32 v3, v51, v55
	v_fma_f32 v3, v50, v54, -v3
	s_waitcnt lgkmcnt(0)
	v_mul_f32_e32 v75, v66, v71
	v_fmac_f32_e32 v75, v67, v70
	v_add_f32_e32 v74, v74, v75
	v_mul_f32_e32 v75, v68, v73
	v_fmac_f32_e32 v75, v69, v72
	v_add_f32_e32 v82, v74, v75
	ds_read_b128 v[74:77], v164 offset:672
	v_add_f32_e32 v2, v2, v3
	v_mul_f32_e32 v3, v53, v57
	v_fma_f32 v3, v52, v56, -v3
	v_add_f32_e32 v2, v2, v3
	s_waitcnt lgkmcnt(0)
	v_mul_f32_e32 v83, v74, v79
	v_fmac_f32_e32 v83, v75, v78
	v_add_f32_e32 v82, v82, v83
	v_mul_f32_e32 v83, v76, v81
	v_fmac_f32_e32 v83, v77, v80
	v_add_f32_e32 v90, v82, v83
	ds_read_b128 v[82:85], v164 offset:688
	v_mul_f32_e32 v3, v59, v63
	v_fma_f32 v3, v58, v62, -v3
	v_add_f32_e32 v2, v2, v3
	v_mul_f32_e32 v3, v61, v65
	;; [unrolled: 36-line block ×5, first 2 shown]
	s_waitcnt lgkmcnt(0)
	v_mul_f32_e32 v178, v170, v175
	v_fmac_f32_e32 v178, v171, v174
	v_add_f32_e32 v165, v165, v178
	v_mul_f32_e32 v178, v172, v177
	v_fmac_f32_e32 v178, v173, v176
	v_add_f32_e32 v165, v165, v178
	ds_read_b128 v[178:181], v164 offset:848
	v_fma_f32 v3, v108, v112, -v3
	v_add_f32_e32 v2, v2, v3
	v_mul_f32_e32 v3, v115, v119
	v_fma_f32 v3, v114, v118, -v3
	s_waitcnt lgkmcnt(0)
	v_mul_f32_e32 v186, v178, v183
	v_fmac_f32_e32 v186, v179, v182
	v_add_f32_e32 v165, v165, v186
	v_mul_f32_e32 v186, v180, v185
	v_fmac_f32_e32 v186, v181, v184
	v_add_f32_e32 v165, v165, v186
	ds_read_b128 v[186:189], v164 offset:864
	v_add_f32_e32 v2, v2, v3
	v_mul_f32_e32 v3, v117, v121
	v_fma_f32 v3, v116, v120, -v3
	v_add_f32_e32 v2, v2, v3
	s_waitcnt lgkmcnt(0)
	v_mul_f32_e32 v194, v186, v191
	v_fmac_f32_e32 v194, v187, v190
	v_add_f32_e32 v215, v165, v194
	ds_read_b128 v[194:197], v164 offset:880
	scratch_load_dwordx4 v[202:205], off, off offset:416
	scratch_load_dwordx4 v[206:209], off, off offset:432
	;; [unrolled: 1-line block ×3, first 2 shown]
	scratch_load_dwordx2 v[220:221], off, off offset:464
	v_mul_f32_e32 v3, v123, v127
	v_fma_f32 v3, v122, v126, -v3
	v_add_f32_e32 v2, v2, v3
	v_mul_f32_e32 v3, v125, v129
	v_fma_f32 v3, v124, v128, -v3
	v_add_f32_e32 v2, v2, v3
	;; [unrolled: 3-line block ×13, first 2 shown]
	v_mul_f32_e32 v2, v189, v193
	v_mul_f32_e32 v217, v188, v193
	v_fma_f32 v216, v188, v192, -v2
	s_waitcnt lgkmcnt(0)
	v_mul_f32_e32 v2, v195, v199
	v_fmac_f32_e32 v217, v189, v192
	v_mul_f32_e32 v219, v194, v199
	v_fma_f32 v218, v194, v198, -v2
	ds_read_b128 v[2:5], v164 offset:896
	ds_read_b128 v[6:9], v164 offset:912
	;; [unrolled: 1-line block ×3, first 2 shown]
	ds_read_b64 v[14:15], v164 offset:944
	v_pk_mul_f32 v[18:19], v[196:197], v[18:19] op_sel:[1,0] op_sel_hi:[0,0]
	v_fmac_f32_e32 v219, v195, v198
	v_pk_add_f32 v[16:17], v[214:215], v[216:217]
	v_pk_fma_f32 v[20:21], v[196:197], v[200:201], v[18:19] neg_lo:[0,0,1] neg_hi:[0,0,1]
	v_pk_fma_f32 v[18:19], v[196:197], v[200:201], v[18:19] op_sel_hi:[1,0,1]
	v_pk_add_f32 v[16:17], v[16:17], v[218:219]
	v_mov_b32_e32 v21, v19
	v_pk_add_f32 v[16:17], v[16:17], v[20:21]
	s_waitcnt vmcnt(3) lgkmcnt(3)
	v_pk_mul_f32 v[18:19], v[2:3], v[202:203] op_sel:[1,1] op_sel_hi:[0,1]
	v_pk_fma_f32 v[20:21], v[2:3], v[202:203], v[18:19] neg_lo:[0,0,1] neg_hi:[0,0,1]
	v_pk_fma_f32 v[2:3], v[2:3], v[202:203], v[18:19] op_sel_hi:[1,0,1]
	s_nop 0
	v_mov_b32_e32 v21, v3
	v_pk_add_f32 v[2:3], v[16:17], v[20:21]
	v_mov_b32_e32 v16, v205
	v_pk_mul_f32 v[16:17], v[4:5], v[16:17] op_sel:[1,0] op_sel_hi:[0,0]
	v_pk_fma_f32 v[18:19], v[4:5], v[204:205], v[16:17] neg_lo:[0,0,1] neg_hi:[0,0,1]
	v_pk_fma_f32 v[4:5], v[4:5], v[204:205], v[16:17] op_sel_hi:[1,0,1]
	s_nop 0
	v_mov_b32_e32 v19, v5
	s_waitcnt vmcnt(2) lgkmcnt(2)
	v_pk_mul_f32 v[4:5], v[6:7], v[206:207] op_sel:[1,1] op_sel_hi:[0,1]
	v_pk_fma_f32 v[16:17], v[6:7], v[206:207], v[4:5] neg_lo:[0,0,1] neg_hi:[0,0,1]
	v_pk_fma_f32 v[4:5], v[6:7], v[206:207], v[4:5] op_sel_hi:[1,0,1]
	v_pk_add_f32 v[2:3], v[2:3], v[18:19]
	v_mov_b32_e32 v4, v209
	v_mov_b32_e32 v17, v5
	v_pk_mul_f32 v[4:5], v[8:9], v[4:5] op_sel:[1,0] op_sel_hi:[0,0]
	v_pk_fma_f32 v[6:7], v[8:9], v[208:209], v[4:5] neg_lo:[0,0,1] neg_hi:[0,0,1]
	v_pk_fma_f32 v[4:5], v[8:9], v[208:209], v[4:5] op_sel_hi:[1,0,1]
	v_pk_add_f32 v[2:3], v[2:3], v[16:17]
	v_mov_b32_e32 v7, v5
	s_waitcnt vmcnt(1) lgkmcnt(1)
	v_pk_mul_f32 v[4:5], v[10:11], v[210:211] op_sel:[1,1] op_sel_hi:[0,1]
	v_pk_add_f32 v[2:3], v[2:3], v[6:7]
	v_pk_fma_f32 v[6:7], v[10:11], v[210:211], v[4:5] neg_lo:[0,0,1] neg_hi:[0,0,1]
	v_pk_fma_f32 v[4:5], v[10:11], v[210:211], v[4:5] op_sel_hi:[1,0,1]
	s_nop 0
	v_mov_b32_e32 v4, v213
	v_mov_b32_e32 v7, v5
	v_pk_mul_f32 v[4:5], v[12:13], v[4:5] op_sel:[1,0] op_sel_hi:[0,0]
	v_pk_add_f32 v[2:3], v[2:3], v[6:7]
	v_pk_fma_f32 v[6:7], v[12:13], v[212:213], v[4:5] neg_lo:[0,0,1] neg_hi:[0,0,1]
	v_pk_fma_f32 v[4:5], v[12:13], v[212:213], v[4:5] op_sel_hi:[1,0,1]
	s_nop 0
	v_mov_b32_e32 v7, v5
	s_waitcnt vmcnt(0) lgkmcnt(0)
	v_pk_mul_f32 v[4:5], v[14:15], v[220:221] op_sel:[1,1] op_sel_hi:[0,1]
	v_pk_add_f32 v[2:3], v[2:3], v[6:7]
	v_pk_fma_f32 v[6:7], v[14:15], v[220:221], v[4:5] neg_lo:[0,0,1] neg_hi:[0,0,1]
	v_pk_fma_f32 v[4:5], v[14:15], v[220:221], v[4:5] op_sel_hi:[1,0,1]
	s_nop 0
	v_mov_b32_e32 v7, v5
	scratch_load_dwordx2 v[4:5], off, off offset:40
	v_pk_add_f32 v[2:3], v[2:3], v[6:7]
	s_waitcnt vmcnt(0)
	v_pk_add_f32 v[2:3], v[4:5], v[2:3] neg_lo:[0,1] neg_hi:[0,1]
	scratch_store_dwordx2 off, v[2:3], off offset:40
	s_and_saveexec_b64 s[0:1], vcc
	s_cbranch_execz .LBB122_359
; %bb.358:
	scratch_load_dwordx2 v[2:3], off, off offset:32
	v_mov_b32_e32 v165, v164
	scratch_store_dwordx2 off, v[164:165], off offset:32
	s_waitcnt vmcnt(1)
	ds_write_b64 v1, v[2:3]
.LBB122_359:
	s_or_b64 exec, exec, s[0:1]
	s_waitcnt lgkmcnt(0)
	; wave barrier
	scratch_load_dwordx4 v[6:9], off, off offset:40
	scratch_load_dwordx4 v[14:17], off, off offset:56
	scratch_load_dwordx4 v[22:25], off, off offset:72
	scratch_load_dwordx4 v[30:33], off, off offset:88
	scratch_load_dwordx4 v[38:41], off, off offset:104
	scratch_load_dwordx4 v[46:49], off, off offset:120
	scratch_load_dwordx4 v[54:57], off, off offset:136
	scratch_load_dwordx4 v[62:65], off, off offset:152
	scratch_load_dwordx4 v[70:73], off, off offset:168
	scratch_load_dwordx4 v[78:81], off, off offset:184
	ds_read2_b64 v[2:5], v164 offset0:65 offset1:66
	scratch_load_dwordx4 v[86:89], off, off offset:200
	scratch_load_dwordx4 v[94:97], off, off offset:216
	;; [unrolled: 1-line block ×13, first 2 shown]
	v_cmp_lt_u32_e32 vcc, 3, v0
	s_waitcnt vmcnt(22) lgkmcnt(0)
	v_mul_f32_e32 v10, v2, v7
	v_fmac_f32_e32 v10, v3, v6
	v_mul_f32_e32 v11, v4, v9
	v_add_f32_e32 v10, 0, v10
	v_fmac_f32_e32 v11, v5, v8
	v_add_f32_e32 v18, v10, v11
	ds_read2_b64 v[10:13], v164 offset0:67 offset1:68
	v_mul_f32_e32 v3, v3, v7
	v_fma_f32 v2, v2, v6, -v3
	v_mul_f32_e32 v3, v5, v9
	v_add_f32_e32 v2, 0, v2
	s_waitcnt vmcnt(21) lgkmcnt(0)
	v_mul_f32_e32 v19, v10, v15
	v_fmac_f32_e32 v19, v11, v14
	v_add_f32_e32 v18, v18, v19
	v_mul_f32_e32 v19, v12, v17
	v_fmac_f32_e32 v19, v13, v16
	v_add_f32_e32 v26, v18, v19
	ds_read2_b64 v[18:21], v164 offset0:69 offset1:70
	v_fma_f32 v3, v4, v8, -v3
	v_add_f32_e32 v2, v2, v3
	v_mul_f32_e32 v3, v11, v15
	v_fma_f32 v3, v10, v14, -v3
	s_waitcnt vmcnt(20) lgkmcnt(0)
	v_mul_f32_e32 v27, v18, v23
	v_fmac_f32_e32 v27, v19, v22
	v_add_f32_e32 v26, v26, v27
	v_mul_f32_e32 v27, v20, v25
	v_fmac_f32_e32 v27, v21, v24
	v_add_f32_e32 v34, v26, v27
	ds_read2_b64 v[26:29], v164 offset0:71 offset1:72
	v_add_f32_e32 v2, v2, v3
	v_mul_f32_e32 v3, v13, v17
	v_fma_f32 v3, v12, v16, -v3
	v_add_f32_e32 v2, v2, v3
	s_waitcnt vmcnt(19) lgkmcnt(0)
	v_mul_f32_e32 v35, v26, v31
	v_fmac_f32_e32 v35, v27, v30
	v_add_f32_e32 v34, v34, v35
	v_mul_f32_e32 v35, v28, v33
	v_fmac_f32_e32 v35, v29, v32
	v_add_f32_e32 v42, v34, v35
	ds_read2_b64 v[34:37], v164 offset0:73 offset1:74
	v_mul_f32_e32 v3, v19, v23
	v_fma_f32 v3, v18, v22, -v3
	v_add_f32_e32 v2, v2, v3
	v_mul_f32_e32 v3, v21, v25
	s_waitcnt vmcnt(18) lgkmcnt(0)
	v_mul_f32_e32 v43, v34, v39
	v_fmac_f32_e32 v43, v35, v38
	v_add_f32_e32 v42, v42, v43
	v_mul_f32_e32 v43, v36, v41
	v_fmac_f32_e32 v43, v37, v40
	v_add_f32_e32 v50, v42, v43
	ds_read2_b64 v[42:45], v164 offset0:75 offset1:76
	v_fma_f32 v3, v20, v24, -v3
	v_add_f32_e32 v2, v2, v3
	v_mul_f32_e32 v3, v27, v31
	v_fma_f32 v3, v26, v30, -v3
	s_waitcnt vmcnt(17) lgkmcnt(0)
	v_mul_f32_e32 v51, v42, v47
	v_fmac_f32_e32 v51, v43, v46
	v_add_f32_e32 v50, v50, v51
	v_mul_f32_e32 v51, v44, v49
	v_fmac_f32_e32 v51, v45, v48
	v_add_f32_e32 v58, v50, v51
	ds_read2_b64 v[50:53], v164 offset0:77 offset1:78
	v_add_f32_e32 v2, v2, v3
	v_mul_f32_e32 v3, v29, v33
	v_fma_f32 v3, v28, v32, -v3
	v_add_f32_e32 v2, v2, v3
	s_waitcnt vmcnt(16) lgkmcnt(0)
	v_mul_f32_e32 v59, v50, v55
	v_fmac_f32_e32 v59, v51, v54
	v_add_f32_e32 v58, v58, v59
	v_mul_f32_e32 v59, v52, v57
	v_fmac_f32_e32 v59, v53, v56
	v_add_f32_e32 v66, v58, v59
	ds_read2_b64 v[58:61], v164 offset0:79 offset1:80
	v_mul_f32_e32 v3, v35, v39
	v_fma_f32 v3, v34, v38, -v3
	v_add_f32_e32 v2, v2, v3
	v_mul_f32_e32 v3, v37, v41
	;; [unrolled: 36-line block ×6, first 2 shown]
	s_waitcnt vmcnt(3) lgkmcnt(0)
	v_mul_f32_e32 v178, v170, v175
	v_fmac_f32_e32 v178, v171, v174
	v_add_f32_e32 v165, v165, v178
	v_mul_f32_e32 v178, v172, v177
	v_fmac_f32_e32 v178, v173, v176
	v_add_f32_e32 v165, v165, v178
	ds_read2_b64 v[178:181], v164 offset0:105 offset1:106
	v_fma_f32 v3, v100, v104, -v3
	v_add_f32_e32 v2, v2, v3
	v_mul_f32_e32 v3, v107, v111
	v_fma_f32 v3, v106, v110, -v3
	s_waitcnt vmcnt(2) lgkmcnt(0)
	v_mul_f32_e32 v186, v178, v183
	v_fmac_f32_e32 v186, v179, v182
	v_add_f32_e32 v165, v165, v186
	v_mul_f32_e32 v186, v180, v185
	v_fmac_f32_e32 v186, v181, v184
	v_add_f32_e32 v165, v165, v186
	ds_read2_b64 v[186:189], v164 offset0:107 offset1:108
	v_add_f32_e32 v2, v2, v3
	v_mul_f32_e32 v3, v109, v113
	v_fma_f32 v3, v108, v112, -v3
	v_add_f32_e32 v2, v2, v3
	s_waitcnt vmcnt(1) lgkmcnt(0)
	v_mul_f32_e32 v194, v186, v191
	v_fmac_f32_e32 v194, v187, v190
	v_add_f32_e32 v165, v165, v194
	v_mul_f32_e32 v194, v188, v193
	v_fmac_f32_e32 v194, v189, v192
	v_add_f32_e32 v219, v165, v194
	ds_read2_b64 v[194:197], v164 offset0:109 offset1:110
	scratch_load_dwordx4 v[202:205], off, off offset:408
	scratch_load_dwordx4 v[206:209], off, off offset:424
	;; [unrolled: 1-line block ×4, first 2 shown]
	v_mul_f32_e32 v3, v115, v119
	v_fma_f32 v3, v114, v118, -v3
	v_add_f32_e32 v2, v2, v3
	v_mul_f32_e32 v3, v117, v121
	v_fma_f32 v3, v116, v120, -v3
	v_add_f32_e32 v2, v2, v3
	;; [unrolled: 3-line block ×16, first 2 shown]
	s_waitcnt vmcnt(4) lgkmcnt(0)
	v_mul_f32_e32 v2, v195, v199
	v_fma_f32 v220, v194, v198, -v2
	v_mul_f32_e32 v2, v197, v201
	v_fma_f32 v222, v196, v200, -v2
	ds_read2_b64 v[2:5], v164 offset0:111 offset1:112
	ds_read2_b64 v[6:9], v164 offset0:113 offset1:114
	;; [unrolled: 1-line block ×4, first 2 shown]
	v_mul_f32_e32 v221, v194, v199
	v_fmac_f32_e32 v221, v195, v198
	v_mul_f32_e32 v223, v196, v201
	v_fmac_f32_e32 v223, v197, v200
	v_pk_add_f32 v[18:19], v[218:219], v[220:221]
	s_waitcnt vmcnt(3) lgkmcnt(3)
	v_pk_mul_f32 v[20:21], v[2:3], v[202:203] op_sel:[1,1] op_sel_hi:[0,1]
	v_pk_fma_f32 v[22:23], v[2:3], v[202:203], v[20:21] neg_lo:[0,0,1] neg_hi:[0,0,1]
	v_pk_fma_f32 v[2:3], v[2:3], v[202:203], v[20:21] op_sel_hi:[1,0,1]
	v_pk_add_f32 v[18:19], v[18:19], v[222:223]
	v_mov_b32_e32 v23, v3
	v_pk_add_f32 v[2:3], v[18:19], v[22:23]
	v_mov_b32_e32 v18, v205
	v_pk_mul_f32 v[18:19], v[4:5], v[18:19] op_sel:[1,0] op_sel_hi:[0,0]
	v_pk_fma_f32 v[20:21], v[4:5], v[204:205], v[18:19] neg_lo:[0,0,1] neg_hi:[0,0,1]
	v_pk_fma_f32 v[4:5], v[4:5], v[204:205], v[18:19] op_sel_hi:[1,0,1]
	s_nop 0
	v_mov_b32_e32 v21, v5
	s_waitcnt vmcnt(2) lgkmcnt(2)
	v_pk_mul_f32 v[4:5], v[6:7], v[206:207] op_sel:[1,1] op_sel_hi:[0,1]
	v_pk_fma_f32 v[18:19], v[6:7], v[206:207], v[4:5] neg_lo:[0,0,1] neg_hi:[0,0,1]
	v_pk_fma_f32 v[4:5], v[6:7], v[206:207], v[4:5] op_sel_hi:[1,0,1]
	v_pk_add_f32 v[2:3], v[2:3], v[20:21]
	v_mov_b32_e32 v4, v209
	v_mov_b32_e32 v19, v5
	v_pk_mul_f32 v[4:5], v[8:9], v[4:5] op_sel:[1,0] op_sel_hi:[0,0]
	v_pk_fma_f32 v[6:7], v[8:9], v[208:209], v[4:5] neg_lo:[0,0,1] neg_hi:[0,0,1]
	v_pk_fma_f32 v[4:5], v[8:9], v[208:209], v[4:5] op_sel_hi:[1,0,1]
	v_pk_add_f32 v[2:3], v[2:3], v[18:19]
	v_mov_b32_e32 v7, v5
	s_waitcnt vmcnt(1) lgkmcnt(1)
	v_pk_mul_f32 v[4:5], v[10:11], v[210:211] op_sel:[1,1] op_sel_hi:[0,1]
	v_pk_add_f32 v[2:3], v[2:3], v[6:7]
	v_pk_fma_f32 v[6:7], v[10:11], v[210:211], v[4:5] neg_lo:[0,0,1] neg_hi:[0,0,1]
	v_pk_fma_f32 v[4:5], v[10:11], v[210:211], v[4:5] op_sel_hi:[1,0,1]
	s_nop 0
	v_mov_b32_e32 v4, v213
	v_mov_b32_e32 v7, v5
	v_pk_mul_f32 v[4:5], v[12:13], v[4:5] op_sel:[1,0] op_sel_hi:[0,0]
	v_pk_add_f32 v[2:3], v[2:3], v[6:7]
	v_pk_fma_f32 v[6:7], v[12:13], v[212:213], v[4:5] neg_lo:[0,0,1] neg_hi:[0,0,1]
	v_pk_fma_f32 v[4:5], v[12:13], v[212:213], v[4:5] op_sel_hi:[1,0,1]
	s_nop 0
	v_mov_b32_e32 v7, v5
	s_waitcnt vmcnt(0) lgkmcnt(0)
	v_pk_mul_f32 v[4:5], v[14:15], v[214:215] op_sel:[1,1] op_sel_hi:[0,1]
	v_pk_add_f32 v[2:3], v[2:3], v[6:7]
	v_pk_fma_f32 v[6:7], v[14:15], v[214:215], v[4:5] neg_lo:[0,0,1] neg_hi:[0,0,1]
	v_pk_fma_f32 v[4:5], v[14:15], v[214:215], v[4:5] op_sel_hi:[1,0,1]
	s_nop 0
	v_mov_b32_e32 v4, v217
	v_mov_b32_e32 v7, v5
	v_pk_mul_f32 v[4:5], v[16:17], v[4:5] op_sel:[1,0] op_sel_hi:[0,0]
	v_pk_add_f32 v[2:3], v[2:3], v[6:7]
	v_pk_fma_f32 v[6:7], v[16:17], v[216:217], v[4:5] neg_lo:[0,0,1] neg_hi:[0,0,1]
	v_pk_fma_f32 v[4:5], v[16:17], v[216:217], v[4:5] op_sel_hi:[1,0,1]
	s_nop 0
	v_mov_b32_e32 v7, v5
	scratch_load_dwordx2 v[4:5], off, off offset:32
	v_pk_add_f32 v[2:3], v[2:3], v[6:7]
	s_waitcnt vmcnt(0)
	v_pk_add_f32 v[2:3], v[4:5], v[2:3] neg_lo:[0,1] neg_hi:[0,1]
	scratch_store_dwordx2 off, v[2:3], off offset:32
	s_and_saveexec_b64 s[0:1], vcc
	s_cbranch_execz .LBB122_361
; %bb.360:
	scratch_load_dwordx2 v[2:3], off, off offset:24
	v_mov_b32_e32 v4, 0
	v_mov_b32_e32 v5, v4
	scratch_store_dwordx2 off, v[4:5], off offset:24
	s_waitcnt vmcnt(1)
	ds_write_b64 v1, v[2:3]
.LBB122_361:
	s_or_b64 exec, exec, s[0:1]
	v_mov_b32_e32 v164, 0
	s_waitcnt lgkmcnt(0)
	; wave barrier
	ds_read_b128 v[14:17], v164 offset:512
	ds_read_b128 v[10:13], v164 offset:528
	;; [unrolled: 1-line block ×4, first 2 shown]
	scratch_load_dwordx4 v[18:21], off, off offset:32
	scratch_load_dwordx4 v[38:41], off, off offset:96
	;; [unrolled: 1-line block ×18, first 2 shown]
	v_cmp_lt_u32_e32 vcc, 2, v0
	scratch_load_dwordx4 v[46:49], off, off offset:112
	scratch_load_dwordx4 v[54:57], off, off offset:128
	;; [unrolled: 1-line block ×3, first 2 shown]
	s_waitcnt vmcnt(20) lgkmcnt(3)
	v_mul_f32_e32 v22, v14, v19
	v_fmac_f32_e32 v22, v15, v18
	v_mul_f32_e32 v23, v16, v21
	v_add_f32_e32 v22, 0, v22
	v_fmac_f32_e32 v23, v17, v20
	v_add_f32_e32 v26, v22, v23
	scratch_load_dwordx4 v[22:25], off, off offset:48
	v_mul_f32_e32 v15, v15, v19
	v_fma_f32 v14, v14, v18, -v15
	v_mul_f32_e32 v15, v17, v21
	v_add_f32_e32 v14, 0, v14
	v_fma_f32 v15, v16, v20, -v15
	v_add_f32_e32 v14, v14, v15
	s_waitcnt vmcnt(4)
	v_mov_b32_e32 v18, v209
	s_waitcnt vmcnt(0) lgkmcnt(2)
	v_mul_f32_e32 v27, v10, v23
	v_fmac_f32_e32 v27, v11, v22
	v_add_f32_e32 v26, v26, v27
	v_mul_f32_e32 v27, v12, v25
	v_fmac_f32_e32 v27, v13, v24
	v_add_f32_e32 v30, v26, v27
	scratch_load_dwordx4 v[26:29], off, off offset:64
	v_mul_f32_e32 v11, v11, v23
	v_fma_f32 v10, v10, v22, -v11
	v_mul_f32_e32 v11, v13, v25
	v_add_f32_e32 v10, v14, v10
	v_fma_f32 v11, v12, v24, -v11
	v_add_f32_e32 v10, v10, v11
	s_waitcnt vmcnt(0) lgkmcnt(1)
	v_mul_f32_e32 v31, v6, v27
	v_fmac_f32_e32 v31, v7, v26
	v_add_f32_e32 v30, v30, v31
	v_mul_f32_e32 v31, v8, v29
	v_fmac_f32_e32 v31, v9, v28
	v_add_f32_e32 v34, v30, v31
	scratch_load_dwordx4 v[30:33], off, off offset:80
	v_mul_f32_e32 v7, v7, v27
	v_fma_f32 v6, v6, v26, -v7
	v_mul_f32_e32 v7, v9, v29
	v_add_f32_e32 v6, v10, v6
	v_fma_f32 v7, v8, v28, -v7
	v_add_f32_e32 v6, v6, v7
	s_waitcnt vmcnt(0) lgkmcnt(0)
	v_mul_f32_e32 v35, v2, v31
	v_fmac_f32_e32 v35, v3, v30
	v_add_f32_e32 v34, v34, v35
	v_mul_f32_e32 v35, v4, v33
	v_fmac_f32_e32 v35, v5, v32
	v_add_f32_e32 v42, v34, v35
	ds_read_b128 v[34:37], v164 offset:576
	v_mul_f32_e32 v3, v3, v31
	v_fma_f32 v2, v2, v30, -v3
	v_mul_f32_e32 v3, v5, v33
	v_add_f32_e32 v2, v6, v2
	s_waitcnt lgkmcnt(0)
	v_mul_f32_e32 v43, v34, v39
	v_fmac_f32_e32 v43, v35, v38
	v_add_f32_e32 v42, v42, v43
	v_mul_f32_e32 v43, v36, v41
	v_fmac_f32_e32 v43, v37, v40
	v_add_f32_e32 v50, v42, v43
	ds_read_b128 v[42:45], v164 offset:592
	v_fma_f32 v3, v4, v32, -v3
	v_add_f32_e32 v2, v2, v3
	v_mul_f32_e32 v3, v35, v39
	v_fma_f32 v3, v34, v38, -v3
	s_waitcnt lgkmcnt(0)
	v_mul_f32_e32 v51, v42, v47
	v_fmac_f32_e32 v51, v43, v46
	v_add_f32_e32 v50, v50, v51
	v_mul_f32_e32 v51, v44, v49
	v_fmac_f32_e32 v51, v45, v48
	v_add_f32_e32 v58, v50, v51
	ds_read_b128 v[50:53], v164 offset:608
	v_add_f32_e32 v2, v2, v3
	v_mul_f32_e32 v3, v37, v41
	v_fma_f32 v3, v36, v40, -v3
	v_add_f32_e32 v2, v2, v3
	s_waitcnt lgkmcnt(0)
	v_mul_f32_e32 v59, v50, v55
	v_fmac_f32_e32 v59, v51, v54
	v_add_f32_e32 v58, v58, v59
	v_mul_f32_e32 v59, v52, v57
	v_fmac_f32_e32 v59, v53, v56
	v_add_f32_e32 v66, v58, v59
	ds_read_b128 v[58:61], v164 offset:624
	v_mul_f32_e32 v3, v43, v47
	v_fma_f32 v3, v42, v46, -v3
	v_add_f32_e32 v2, v2, v3
	v_mul_f32_e32 v3, v45, v49
	s_waitcnt lgkmcnt(0)
	v_mul_f32_e32 v67, v58, v63
	v_fmac_f32_e32 v67, v59, v62
	v_add_f32_e32 v66, v66, v67
	v_mul_f32_e32 v67, v60, v65
	v_fmac_f32_e32 v67, v61, v64
	v_add_f32_e32 v74, v66, v67
	ds_read_b128 v[66:69], v164 offset:640
	v_fma_f32 v3, v44, v48, -v3
	v_add_f32_e32 v2, v2, v3
	v_mul_f32_e32 v3, v51, v55
	v_fma_f32 v3, v50, v54, -v3
	s_waitcnt lgkmcnt(0)
	v_mul_f32_e32 v75, v66, v71
	v_fmac_f32_e32 v75, v67, v70
	v_add_f32_e32 v74, v74, v75
	v_mul_f32_e32 v75, v68, v73
	v_fmac_f32_e32 v75, v69, v72
	v_add_f32_e32 v82, v74, v75
	ds_read_b128 v[74:77], v164 offset:656
	v_add_f32_e32 v2, v2, v3
	v_mul_f32_e32 v3, v53, v57
	v_fma_f32 v3, v52, v56, -v3
	v_add_f32_e32 v2, v2, v3
	s_waitcnt lgkmcnt(0)
	v_mul_f32_e32 v83, v74, v79
	v_fmac_f32_e32 v83, v75, v78
	v_add_f32_e32 v82, v82, v83
	v_mul_f32_e32 v83, v76, v81
	v_fmac_f32_e32 v83, v77, v80
	v_add_f32_e32 v90, v82, v83
	ds_read_b128 v[82:85], v164 offset:672
	v_mul_f32_e32 v3, v59, v63
	v_fma_f32 v3, v58, v62, -v3
	v_add_f32_e32 v2, v2, v3
	v_mul_f32_e32 v3, v61, v65
	;; [unrolled: 36-line block ×6, first 2 shown]
	s_waitcnt lgkmcnt(0)
	v_mul_f32_e32 v202, v194, v199
	v_fmac_f32_e32 v202, v195, v198
	v_add_f32_e32 v223, v165, v202
	ds_read_b128 v[202:205], v164 offset:880
	scratch_load_dwordx4 v[210:213], off, off offset:416
	scratch_load_dwordx4 v[214:217], off, off offset:432
	;; [unrolled: 1-line block ×3, first 2 shown]
	scratch_load_dwordx2 v[228:229], off, off offset:464
	v_fma_f32 v3, v124, v128, -v3
	v_add_f32_e32 v2, v2, v3
	v_mul_f32_e32 v3, v131, v135
	v_fma_f32 v3, v130, v134, -v3
	v_add_f32_e32 v2, v2, v3
	v_mul_f32_e32 v3, v133, v137
	;; [unrolled: 3-line block ×14, first 2 shown]
	v_mul_f32_e32 v225, v196, v201
	v_fma_f32 v224, v196, v200, -v2
	s_waitcnt lgkmcnt(0)
	v_mul_f32_e32 v2, v203, v207
	v_fmac_f32_e32 v225, v197, v200
	v_mul_f32_e32 v227, v202, v207
	v_fma_f32 v226, v202, v206, -v2
	ds_read_b128 v[2:5], v164 offset:896
	ds_read_b128 v[6:9], v164 offset:912
	;; [unrolled: 1-line block ×3, first 2 shown]
	ds_read_b64 v[14:15], v164 offset:944
	v_pk_mul_f32 v[18:19], v[204:205], v[18:19] op_sel:[1,0] op_sel_hi:[0,0]
	v_fmac_f32_e32 v227, v203, v206
	v_pk_add_f32 v[16:17], v[222:223], v[224:225]
	v_pk_fma_f32 v[20:21], v[204:205], v[208:209], v[18:19] neg_lo:[0,0,1] neg_hi:[0,0,1]
	v_pk_fma_f32 v[18:19], v[204:205], v[208:209], v[18:19] op_sel_hi:[1,0,1]
	v_pk_add_f32 v[16:17], v[16:17], v[226:227]
	v_mov_b32_e32 v21, v19
	v_pk_add_f32 v[16:17], v[16:17], v[20:21]
	s_waitcnt vmcnt(3) lgkmcnt(3)
	v_pk_mul_f32 v[18:19], v[2:3], v[210:211] op_sel:[1,1] op_sel_hi:[0,1]
	v_pk_fma_f32 v[20:21], v[2:3], v[210:211], v[18:19] neg_lo:[0,0,1] neg_hi:[0,0,1]
	v_pk_fma_f32 v[2:3], v[2:3], v[210:211], v[18:19] op_sel_hi:[1,0,1]
	s_nop 0
	v_mov_b32_e32 v21, v3
	v_pk_add_f32 v[2:3], v[16:17], v[20:21]
	v_mov_b32_e32 v16, v213
	v_pk_mul_f32 v[16:17], v[4:5], v[16:17] op_sel:[1,0] op_sel_hi:[0,0]
	v_pk_fma_f32 v[18:19], v[4:5], v[212:213], v[16:17] neg_lo:[0,0,1] neg_hi:[0,0,1]
	v_pk_fma_f32 v[4:5], v[4:5], v[212:213], v[16:17] op_sel_hi:[1,0,1]
	s_nop 0
	v_mov_b32_e32 v19, v5
	s_waitcnt vmcnt(2) lgkmcnt(2)
	v_pk_mul_f32 v[4:5], v[6:7], v[214:215] op_sel:[1,1] op_sel_hi:[0,1]
	v_pk_fma_f32 v[16:17], v[6:7], v[214:215], v[4:5] neg_lo:[0,0,1] neg_hi:[0,0,1]
	v_pk_fma_f32 v[4:5], v[6:7], v[214:215], v[4:5] op_sel_hi:[1,0,1]
	v_pk_add_f32 v[2:3], v[2:3], v[18:19]
	v_mov_b32_e32 v4, v217
	v_mov_b32_e32 v17, v5
	v_pk_mul_f32 v[4:5], v[8:9], v[4:5] op_sel:[1,0] op_sel_hi:[0,0]
	v_pk_fma_f32 v[6:7], v[8:9], v[216:217], v[4:5] neg_lo:[0,0,1] neg_hi:[0,0,1]
	v_pk_fma_f32 v[4:5], v[8:9], v[216:217], v[4:5] op_sel_hi:[1,0,1]
	v_pk_add_f32 v[2:3], v[2:3], v[16:17]
	v_mov_b32_e32 v7, v5
	s_waitcnt vmcnt(1) lgkmcnt(1)
	v_pk_mul_f32 v[4:5], v[10:11], v[218:219] op_sel:[1,1] op_sel_hi:[0,1]
	v_pk_add_f32 v[2:3], v[2:3], v[6:7]
	v_pk_fma_f32 v[6:7], v[10:11], v[218:219], v[4:5] neg_lo:[0,0,1] neg_hi:[0,0,1]
	v_pk_fma_f32 v[4:5], v[10:11], v[218:219], v[4:5] op_sel_hi:[1,0,1]
	s_nop 0
	v_mov_b32_e32 v4, v221
	v_mov_b32_e32 v7, v5
	v_pk_mul_f32 v[4:5], v[12:13], v[4:5] op_sel:[1,0] op_sel_hi:[0,0]
	v_pk_add_f32 v[2:3], v[2:3], v[6:7]
	v_pk_fma_f32 v[6:7], v[12:13], v[220:221], v[4:5] neg_lo:[0,0,1] neg_hi:[0,0,1]
	v_pk_fma_f32 v[4:5], v[12:13], v[220:221], v[4:5] op_sel_hi:[1,0,1]
	s_nop 0
	v_mov_b32_e32 v7, v5
	s_waitcnt vmcnt(0) lgkmcnt(0)
	v_pk_mul_f32 v[4:5], v[14:15], v[228:229] op_sel:[1,1] op_sel_hi:[0,1]
	v_pk_add_f32 v[2:3], v[2:3], v[6:7]
	v_pk_fma_f32 v[6:7], v[14:15], v[228:229], v[4:5] neg_lo:[0,0,1] neg_hi:[0,0,1]
	v_pk_fma_f32 v[4:5], v[14:15], v[228:229], v[4:5] op_sel_hi:[1,0,1]
	s_nop 0
	v_mov_b32_e32 v7, v5
	scratch_load_dwordx2 v[4:5], off, off offset:24
	v_pk_add_f32 v[2:3], v[2:3], v[6:7]
	s_waitcnt vmcnt(0)
	v_pk_add_f32 v[2:3], v[4:5], v[2:3] neg_lo:[0,1] neg_hi:[0,1]
	scratch_store_dwordx2 off, v[2:3], off offset:24
	s_and_saveexec_b64 s[0:1], vcc
	s_cbranch_execz .LBB122_363
; %bb.362:
	scratch_load_dwordx2 v[2:3], off, off offset:16
	v_mov_b32_e32 v165, v164
	scratch_store_dwordx2 off, v[164:165], off offset:16
	s_waitcnt vmcnt(1)
	ds_write_b64 v1, v[2:3]
.LBB122_363:
	s_or_b64 exec, exec, s[0:1]
	s_waitcnt lgkmcnt(0)
	; wave barrier
	scratch_load_dwordx4 v[6:9], off, off offset:24
	scratch_load_dwordx4 v[14:17], off, off offset:40
	;; [unrolled: 1-line block ×10, first 2 shown]
	ds_read2_b64 v[2:5], v164 offset0:63 offset1:64
	scratch_load_dwordx4 v[86:89], off, off offset:184
	scratch_load_dwordx4 v[94:97], off, off offset:200
	;; [unrolled: 1-line block ×14, first 2 shown]
	v_cmp_lt_u32_e32 vcc, 1, v0
	s_waitcnt vmcnt(23) lgkmcnt(0)
	v_mul_f32_e32 v10, v2, v7
	v_fmac_f32_e32 v10, v3, v6
	v_mul_f32_e32 v11, v4, v9
	v_add_f32_e32 v10, 0, v10
	v_fmac_f32_e32 v11, v5, v8
	v_add_f32_e32 v18, v10, v11
	ds_read2_b64 v[10:13], v164 offset0:65 offset1:66
	v_mul_f32_e32 v3, v3, v7
	v_fma_f32 v2, v2, v6, -v3
	v_mul_f32_e32 v3, v5, v9
	v_add_f32_e32 v2, 0, v2
	s_waitcnt vmcnt(22) lgkmcnt(0)
	v_mul_f32_e32 v19, v10, v15
	v_fmac_f32_e32 v19, v11, v14
	v_add_f32_e32 v18, v18, v19
	v_mul_f32_e32 v19, v12, v17
	v_fmac_f32_e32 v19, v13, v16
	v_add_f32_e32 v26, v18, v19
	ds_read2_b64 v[18:21], v164 offset0:67 offset1:68
	v_fma_f32 v3, v4, v8, -v3
	v_add_f32_e32 v2, v2, v3
	v_mul_f32_e32 v3, v11, v15
	v_fma_f32 v3, v10, v14, -v3
	s_waitcnt vmcnt(21) lgkmcnt(0)
	v_mul_f32_e32 v27, v18, v23
	v_fmac_f32_e32 v27, v19, v22
	v_add_f32_e32 v26, v26, v27
	v_mul_f32_e32 v27, v20, v25
	v_fmac_f32_e32 v27, v21, v24
	v_add_f32_e32 v34, v26, v27
	ds_read2_b64 v[26:29], v164 offset0:69 offset1:70
	v_add_f32_e32 v2, v2, v3
	v_mul_f32_e32 v3, v13, v17
	v_fma_f32 v3, v12, v16, -v3
	v_add_f32_e32 v2, v2, v3
	s_waitcnt vmcnt(20) lgkmcnt(0)
	v_mul_f32_e32 v35, v26, v31
	v_fmac_f32_e32 v35, v27, v30
	v_add_f32_e32 v34, v34, v35
	v_mul_f32_e32 v35, v28, v33
	v_fmac_f32_e32 v35, v29, v32
	v_add_f32_e32 v42, v34, v35
	ds_read2_b64 v[34:37], v164 offset0:71 offset1:72
	v_mul_f32_e32 v3, v19, v23
	v_fma_f32 v3, v18, v22, -v3
	v_add_f32_e32 v2, v2, v3
	v_mul_f32_e32 v3, v21, v25
	s_waitcnt vmcnt(19) lgkmcnt(0)
	v_mul_f32_e32 v43, v34, v39
	v_fmac_f32_e32 v43, v35, v38
	v_add_f32_e32 v42, v42, v43
	v_mul_f32_e32 v43, v36, v41
	v_fmac_f32_e32 v43, v37, v40
	v_add_f32_e32 v50, v42, v43
	ds_read2_b64 v[42:45], v164 offset0:73 offset1:74
	v_fma_f32 v3, v20, v24, -v3
	v_add_f32_e32 v2, v2, v3
	v_mul_f32_e32 v3, v27, v31
	v_fma_f32 v3, v26, v30, -v3
	s_waitcnt vmcnt(18) lgkmcnt(0)
	v_mul_f32_e32 v51, v42, v47
	v_fmac_f32_e32 v51, v43, v46
	v_add_f32_e32 v50, v50, v51
	v_mul_f32_e32 v51, v44, v49
	v_fmac_f32_e32 v51, v45, v48
	v_add_f32_e32 v58, v50, v51
	ds_read2_b64 v[50:53], v164 offset0:75 offset1:76
	v_add_f32_e32 v2, v2, v3
	v_mul_f32_e32 v3, v29, v33
	v_fma_f32 v3, v28, v32, -v3
	v_add_f32_e32 v2, v2, v3
	s_waitcnt vmcnt(17) lgkmcnt(0)
	v_mul_f32_e32 v59, v50, v55
	v_fmac_f32_e32 v59, v51, v54
	v_add_f32_e32 v58, v58, v59
	v_mul_f32_e32 v59, v52, v57
	v_fmac_f32_e32 v59, v53, v56
	v_add_f32_e32 v66, v58, v59
	ds_read2_b64 v[58:61], v164 offset0:77 offset1:78
	v_mul_f32_e32 v3, v35, v39
	v_fma_f32 v3, v34, v38, -v3
	v_add_f32_e32 v2, v2, v3
	v_mul_f32_e32 v3, v37, v41
	;; [unrolled: 36-line block ×7, first 2 shown]
	s_waitcnt vmcnt(1) lgkmcnt(0)
	v_mul_f32_e32 v202, v194, v199
	v_fmac_f32_e32 v202, v195, v198
	v_add_f32_e32 v165, v165, v202
	v_mul_f32_e32 v202, v196, v201
	v_fmac_f32_e32 v202, v197, v200
	v_add_f32_e32 v227, v165, v202
	ds_read2_b64 v[202:205], v164 offset0:109 offset1:110
	scratch_load_dwordx4 v[210:213], off, off offset:408
	scratch_load_dwordx4 v[214:217], off, off offset:424
	;; [unrolled: 1-line block ×4, first 2 shown]
	v_fma_f32 v3, v116, v120, -v3
	v_add_f32_e32 v2, v2, v3
	v_mul_f32_e32 v3, v123, v127
	v_fma_f32 v3, v122, v126, -v3
	v_add_f32_e32 v2, v2, v3
	v_mul_f32_e32 v3, v125, v129
	;; [unrolled: 3-line block ×16, first 2 shown]
	v_fma_f32 v3, v196, v200, -v3
	v_add_f32_e32 v226, v2, v3
	s_waitcnt vmcnt(4) lgkmcnt(0)
	v_mul_f32_e32 v2, v203, v207
	v_fma_f32 v228, v202, v206, -v2
	v_mul_f32_e32 v2, v205, v209
	v_fma_f32 v230, v204, v208, -v2
	ds_read2_b64 v[2:5], v164 offset0:111 offset1:112
	ds_read2_b64 v[6:9], v164 offset0:113 offset1:114
	;; [unrolled: 1-line block ×4, first 2 shown]
	v_mul_f32_e32 v229, v202, v207
	v_fmac_f32_e32 v229, v203, v206
	v_mul_f32_e32 v231, v204, v209
	v_fmac_f32_e32 v231, v205, v208
	v_pk_add_f32 v[18:19], v[226:227], v[228:229]
	s_waitcnt vmcnt(3) lgkmcnt(3)
	v_pk_mul_f32 v[20:21], v[2:3], v[210:211] op_sel:[1,1] op_sel_hi:[0,1]
	v_pk_fma_f32 v[22:23], v[2:3], v[210:211], v[20:21] neg_lo:[0,0,1] neg_hi:[0,0,1]
	v_pk_fma_f32 v[2:3], v[2:3], v[210:211], v[20:21] op_sel_hi:[1,0,1]
	v_pk_add_f32 v[18:19], v[18:19], v[230:231]
	v_mov_b32_e32 v23, v3
	v_pk_add_f32 v[2:3], v[18:19], v[22:23]
	v_mov_b32_e32 v18, v213
	v_pk_mul_f32 v[18:19], v[4:5], v[18:19] op_sel:[1,0] op_sel_hi:[0,0]
	v_pk_fma_f32 v[20:21], v[4:5], v[212:213], v[18:19] neg_lo:[0,0,1] neg_hi:[0,0,1]
	v_pk_fma_f32 v[4:5], v[4:5], v[212:213], v[18:19] op_sel_hi:[1,0,1]
	s_nop 0
	v_mov_b32_e32 v21, v5
	s_waitcnt vmcnt(2) lgkmcnt(2)
	v_pk_mul_f32 v[4:5], v[6:7], v[214:215] op_sel:[1,1] op_sel_hi:[0,1]
	v_pk_fma_f32 v[18:19], v[6:7], v[214:215], v[4:5] neg_lo:[0,0,1] neg_hi:[0,0,1]
	v_pk_fma_f32 v[4:5], v[6:7], v[214:215], v[4:5] op_sel_hi:[1,0,1]
	v_pk_add_f32 v[2:3], v[2:3], v[20:21]
	v_mov_b32_e32 v4, v217
	v_mov_b32_e32 v19, v5
	v_pk_mul_f32 v[4:5], v[8:9], v[4:5] op_sel:[1,0] op_sel_hi:[0,0]
	v_pk_fma_f32 v[6:7], v[8:9], v[216:217], v[4:5] neg_lo:[0,0,1] neg_hi:[0,0,1]
	v_pk_fma_f32 v[4:5], v[8:9], v[216:217], v[4:5] op_sel_hi:[1,0,1]
	v_pk_add_f32 v[2:3], v[2:3], v[18:19]
	v_mov_b32_e32 v7, v5
	s_waitcnt vmcnt(1) lgkmcnt(1)
	v_pk_mul_f32 v[4:5], v[10:11], v[218:219] op_sel:[1,1] op_sel_hi:[0,1]
	v_pk_add_f32 v[2:3], v[2:3], v[6:7]
	v_pk_fma_f32 v[6:7], v[10:11], v[218:219], v[4:5] neg_lo:[0,0,1] neg_hi:[0,0,1]
	v_pk_fma_f32 v[4:5], v[10:11], v[218:219], v[4:5] op_sel_hi:[1,0,1]
	s_nop 0
	v_mov_b32_e32 v4, v221
	v_mov_b32_e32 v7, v5
	v_pk_mul_f32 v[4:5], v[12:13], v[4:5] op_sel:[1,0] op_sel_hi:[0,0]
	v_pk_add_f32 v[2:3], v[2:3], v[6:7]
	v_pk_fma_f32 v[6:7], v[12:13], v[220:221], v[4:5] neg_lo:[0,0,1] neg_hi:[0,0,1]
	v_pk_fma_f32 v[4:5], v[12:13], v[220:221], v[4:5] op_sel_hi:[1,0,1]
	s_nop 0
	v_mov_b32_e32 v7, v5
	s_waitcnt vmcnt(0) lgkmcnt(0)
	v_pk_mul_f32 v[4:5], v[14:15], v[222:223] op_sel:[1,1] op_sel_hi:[0,1]
	v_pk_add_f32 v[2:3], v[2:3], v[6:7]
	v_pk_fma_f32 v[6:7], v[14:15], v[222:223], v[4:5] neg_lo:[0,0,1] neg_hi:[0,0,1]
	v_pk_fma_f32 v[4:5], v[14:15], v[222:223], v[4:5] op_sel_hi:[1,0,1]
	s_nop 0
	v_mov_b32_e32 v4, v225
	v_mov_b32_e32 v7, v5
	v_pk_mul_f32 v[4:5], v[16:17], v[4:5] op_sel:[1,0] op_sel_hi:[0,0]
	v_pk_add_f32 v[2:3], v[2:3], v[6:7]
	v_pk_fma_f32 v[6:7], v[16:17], v[224:225], v[4:5] neg_lo:[0,0,1] neg_hi:[0,0,1]
	v_pk_fma_f32 v[4:5], v[16:17], v[224:225], v[4:5] op_sel_hi:[1,0,1]
	s_nop 0
	v_mov_b32_e32 v7, v5
	scratch_load_dwordx2 v[4:5], off, off offset:16
	v_pk_add_f32 v[2:3], v[2:3], v[6:7]
	s_waitcnt vmcnt(0)
	v_pk_add_f32 v[2:3], v[4:5], v[2:3] neg_lo:[0,1] neg_hi:[0,1]
	scratch_store_dwordx2 off, v[2:3], off offset:16
	s_and_saveexec_b64 s[0:1], vcc
	s_cbranch_execz .LBB122_365
; %bb.364:
	scratch_load_dwordx2 v[2:3], off, off offset:8
	v_mov_b32_e32 v4, 0
	v_mov_b32_e32 v5, v4
	scratch_store_dwordx2 off, v[4:5], off offset:8
	s_waitcnt vmcnt(1)
	ds_write_b64 v1, v[2:3]
.LBB122_365:
	s_or_b64 exec, exec, s[0:1]
	v_mov_b32_e32 v164, 0
	s_waitcnt lgkmcnt(0)
	; wave barrier
	ds_read_b128 v[14:17], v164 offset:496
	ds_read_b128 v[10:13], v164 offset:512
	;; [unrolled: 1-line block ×4, first 2 shown]
	scratch_load_dwordx4 v[18:21], off, off offset:16
	scratch_load_dwordx4 v[38:41], off, off offset:80
	;; [unrolled: 1-line block ×19, first 2 shown]
	v_cmp_ne_u32_e32 vcc, 0, v0
	scratch_load_dwordx4 v[46:49], off, off offset:96
	scratch_load_dwordx4 v[54:57], off, off offset:112
	;; [unrolled: 1-line block ×3, first 2 shown]
	s_waitcnt vmcnt(21) lgkmcnt(3)
	v_mul_f32_e32 v22, v14, v19
	v_fmac_f32_e32 v22, v15, v18
	v_mul_f32_e32 v23, v16, v21
	v_add_f32_e32 v22, 0, v22
	v_fmac_f32_e32 v23, v17, v20
	v_add_f32_e32 v26, v22, v23
	scratch_load_dwordx4 v[22:25], off, off offset:32
	v_mul_f32_e32 v15, v15, v19
	v_fma_f32 v14, v14, v18, -v15
	v_mul_f32_e32 v15, v17, v21
	v_add_f32_e32 v14, 0, v14
	v_fma_f32 v15, v16, v20, -v15
	v_add_f32_e32 v14, v14, v15
	s_waitcnt vmcnt(4)
	v_mov_b32_e32 v18, v217
	s_waitcnt vmcnt(0) lgkmcnt(2)
	v_mul_f32_e32 v27, v10, v23
	v_fmac_f32_e32 v27, v11, v22
	v_add_f32_e32 v26, v26, v27
	v_mul_f32_e32 v27, v12, v25
	v_fmac_f32_e32 v27, v13, v24
	v_add_f32_e32 v30, v26, v27
	scratch_load_dwordx4 v[26:29], off, off offset:48
	v_mul_f32_e32 v11, v11, v23
	v_fma_f32 v10, v10, v22, -v11
	v_mul_f32_e32 v11, v13, v25
	v_add_f32_e32 v10, v14, v10
	v_fma_f32 v11, v12, v24, -v11
	v_add_f32_e32 v10, v10, v11
	s_waitcnt vmcnt(0) lgkmcnt(1)
	v_mul_f32_e32 v31, v6, v27
	v_fmac_f32_e32 v31, v7, v26
	v_add_f32_e32 v30, v30, v31
	v_mul_f32_e32 v31, v8, v29
	v_fmac_f32_e32 v31, v9, v28
	v_add_f32_e32 v34, v30, v31
	scratch_load_dwordx4 v[30:33], off, off offset:64
	v_mul_f32_e32 v7, v7, v27
	v_fma_f32 v6, v6, v26, -v7
	v_mul_f32_e32 v7, v9, v29
	v_add_f32_e32 v6, v10, v6
	v_fma_f32 v7, v8, v28, -v7
	v_add_f32_e32 v6, v6, v7
	s_waitcnt vmcnt(0) lgkmcnt(0)
	v_mul_f32_e32 v35, v2, v31
	v_fmac_f32_e32 v35, v3, v30
	v_add_f32_e32 v34, v34, v35
	v_mul_f32_e32 v35, v4, v33
	v_fmac_f32_e32 v35, v5, v32
	v_add_f32_e32 v42, v34, v35
	ds_read_b128 v[34:37], v164 offset:560
	v_mul_f32_e32 v3, v3, v31
	v_fma_f32 v2, v2, v30, -v3
	v_mul_f32_e32 v3, v5, v33
	v_add_f32_e32 v2, v6, v2
	s_waitcnt lgkmcnt(0)
	v_mul_f32_e32 v43, v34, v39
	v_fmac_f32_e32 v43, v35, v38
	v_add_f32_e32 v42, v42, v43
	v_mul_f32_e32 v43, v36, v41
	v_fmac_f32_e32 v43, v37, v40
	v_add_f32_e32 v50, v42, v43
	ds_read_b128 v[42:45], v164 offset:576
	v_fma_f32 v3, v4, v32, -v3
	v_add_f32_e32 v2, v2, v3
	v_mul_f32_e32 v3, v35, v39
	v_fma_f32 v3, v34, v38, -v3
	s_waitcnt lgkmcnt(0)
	v_mul_f32_e32 v51, v42, v47
	v_fmac_f32_e32 v51, v43, v46
	v_add_f32_e32 v50, v50, v51
	v_mul_f32_e32 v51, v44, v49
	v_fmac_f32_e32 v51, v45, v48
	v_add_f32_e32 v58, v50, v51
	ds_read_b128 v[50:53], v164 offset:592
	v_add_f32_e32 v2, v2, v3
	v_mul_f32_e32 v3, v37, v41
	v_fma_f32 v3, v36, v40, -v3
	v_add_f32_e32 v2, v2, v3
	s_waitcnt lgkmcnt(0)
	v_mul_f32_e32 v59, v50, v55
	v_fmac_f32_e32 v59, v51, v54
	v_add_f32_e32 v58, v58, v59
	v_mul_f32_e32 v59, v52, v57
	v_fmac_f32_e32 v59, v53, v56
	v_add_f32_e32 v66, v58, v59
	ds_read_b128 v[58:61], v164 offset:608
	v_mul_f32_e32 v3, v43, v47
	v_fma_f32 v3, v42, v46, -v3
	v_add_f32_e32 v2, v2, v3
	v_mul_f32_e32 v3, v45, v49
	s_waitcnt lgkmcnt(0)
	v_mul_f32_e32 v67, v58, v63
	v_fmac_f32_e32 v67, v59, v62
	v_add_f32_e32 v66, v66, v67
	v_mul_f32_e32 v67, v60, v65
	v_fmac_f32_e32 v67, v61, v64
	v_add_f32_e32 v74, v66, v67
	ds_read_b128 v[66:69], v164 offset:624
	v_fma_f32 v3, v44, v48, -v3
	v_add_f32_e32 v2, v2, v3
	v_mul_f32_e32 v3, v51, v55
	v_fma_f32 v3, v50, v54, -v3
	s_waitcnt lgkmcnt(0)
	v_mul_f32_e32 v75, v66, v71
	v_fmac_f32_e32 v75, v67, v70
	v_add_f32_e32 v74, v74, v75
	v_mul_f32_e32 v75, v68, v73
	v_fmac_f32_e32 v75, v69, v72
	v_add_f32_e32 v82, v74, v75
	ds_read_b128 v[74:77], v164 offset:640
	v_add_f32_e32 v2, v2, v3
	v_mul_f32_e32 v3, v53, v57
	v_fma_f32 v3, v52, v56, -v3
	v_add_f32_e32 v2, v2, v3
	s_waitcnt lgkmcnt(0)
	v_mul_f32_e32 v83, v74, v79
	v_fmac_f32_e32 v83, v75, v78
	v_add_f32_e32 v82, v82, v83
	v_mul_f32_e32 v83, v76, v81
	v_fmac_f32_e32 v83, v77, v80
	v_add_f32_e32 v90, v82, v83
	ds_read_b128 v[82:85], v164 offset:656
	v_mul_f32_e32 v3, v59, v63
	v_fma_f32 v3, v58, v62, -v3
	v_add_f32_e32 v2, v2, v3
	v_mul_f32_e32 v3, v61, v65
	s_waitcnt lgkmcnt(0)
	v_mul_f32_e32 v91, v82, v87
	v_fmac_f32_e32 v91, v83, v86
	v_add_f32_e32 v90, v90, v91
	v_mul_f32_e32 v91, v84, v89
	v_fmac_f32_e32 v91, v85, v88
	v_add_f32_e32 v98, v90, v91
	ds_read_b128 v[90:93], v164 offset:672
	v_fma_f32 v3, v60, v64, -v3
	v_add_f32_e32 v2, v2, v3
	v_mul_f32_e32 v3, v67, v71
	v_fma_f32 v3, v66, v70, -v3
	s_waitcnt lgkmcnt(0)
	v_mul_f32_e32 v99, v90, v95
	v_fmac_f32_e32 v99, v91, v94
	v_add_f32_e32 v98, v98, v99
	v_mul_f32_e32 v99, v92, v97
	v_fmac_f32_e32 v99, v93, v96
	v_add_f32_e32 v106, v98, v99
	ds_read_b128 v[98:101], v164 offset:688
	v_add_f32_e32 v2, v2, v3
	v_mul_f32_e32 v3, v69, v73
	v_fma_f32 v3, v68, v72, -v3
	v_add_f32_e32 v2, v2, v3
	s_waitcnt lgkmcnt(0)
	v_mul_f32_e32 v107, v98, v103
	v_fmac_f32_e32 v107, v99, v102
	v_add_f32_e32 v106, v106, v107
	v_mul_f32_e32 v107, v100, v105
	v_fmac_f32_e32 v107, v101, v104
	v_add_f32_e32 v114, v106, v107
	ds_read_b128 v[106:109], v164 offset:704
	v_mul_f32_e32 v3, v75, v79
	v_fma_f32 v3, v74, v78, -v3
	v_add_f32_e32 v2, v2, v3
	v_mul_f32_e32 v3, v77, v81
	s_waitcnt lgkmcnt(0)
	v_mul_f32_e32 v115, v106, v111
	v_fmac_f32_e32 v115, v107, v110
	v_add_f32_e32 v114, v114, v115
	v_mul_f32_e32 v115, v108, v113
	v_fmac_f32_e32 v115, v109, v112
	v_add_f32_e32 v122, v114, v115
	ds_read_b128 v[114:117], v164 offset:720
	v_fma_f32 v3, v76, v80, -v3
	v_add_f32_e32 v2, v2, v3
	v_mul_f32_e32 v3, v83, v87
	v_fma_f32 v3, v82, v86, -v3
	s_waitcnt lgkmcnt(0)
	v_mul_f32_e32 v123, v114, v119
	v_fmac_f32_e32 v123, v115, v118
	v_add_f32_e32 v122, v122, v123
	v_mul_f32_e32 v123, v116, v121
	v_fmac_f32_e32 v123, v117, v120
	v_add_f32_e32 v130, v122, v123
	ds_read_b128 v[122:125], v164 offset:736
	v_add_f32_e32 v2, v2, v3
	v_mul_f32_e32 v3, v85, v89
	v_fma_f32 v3, v84, v88, -v3
	v_add_f32_e32 v2, v2, v3
	s_waitcnt lgkmcnt(0)
	v_mul_f32_e32 v131, v122, v127
	v_fmac_f32_e32 v131, v123, v126
	v_add_f32_e32 v130, v130, v131
	v_mul_f32_e32 v131, v124, v129
	v_fmac_f32_e32 v131, v125, v128
	v_add_f32_e32 v138, v130, v131
	ds_read_b128 v[130:133], v164 offset:752
	v_mul_f32_e32 v3, v91, v95
	v_fma_f32 v3, v90, v94, -v3
	v_add_f32_e32 v2, v2, v3
	v_mul_f32_e32 v3, v93, v97
	s_waitcnt lgkmcnt(0)
	v_mul_f32_e32 v139, v130, v135
	v_fmac_f32_e32 v139, v131, v134
	v_add_f32_e32 v138, v138, v139
	v_mul_f32_e32 v139, v132, v137
	v_fmac_f32_e32 v139, v133, v136
	v_add_f32_e32 v146, v138, v139
	ds_read_b128 v[138:141], v164 offset:768
	v_fma_f32 v3, v92, v96, -v3
	v_add_f32_e32 v2, v2, v3
	v_mul_f32_e32 v3, v99, v103
	v_fma_f32 v3, v98, v102, -v3
	s_waitcnt lgkmcnt(0)
	v_mul_f32_e32 v147, v138, v143
	v_fmac_f32_e32 v147, v139, v142
	v_add_f32_e32 v146, v146, v147
	v_mul_f32_e32 v147, v140, v145
	v_fmac_f32_e32 v147, v141, v144
	v_add_f32_e32 v165, v146, v147
	ds_read_b128 v[146:149], v164 offset:784
	v_add_f32_e32 v2, v2, v3
	v_mul_f32_e32 v3, v101, v105
	v_fma_f32 v3, v100, v104, -v3
	v_add_f32_e32 v2, v2, v3
	s_waitcnt lgkmcnt(0)
	v_mul_f32_e32 v170, v146, v167
	v_fmac_f32_e32 v170, v147, v166
	v_add_f32_e32 v165, v165, v170
	v_mul_f32_e32 v170, v148, v169
	v_fmac_f32_e32 v170, v149, v168
	v_add_f32_e32 v165, v165, v170
	ds_read_b128 v[170:173], v164 offset:800
	v_mul_f32_e32 v3, v107, v111
	v_fma_f32 v3, v106, v110, -v3
	v_add_f32_e32 v2, v2, v3
	v_mul_f32_e32 v3, v109, v113
	s_waitcnt lgkmcnt(0)
	v_mul_f32_e32 v178, v170, v175
	v_fmac_f32_e32 v178, v171, v174
	v_add_f32_e32 v165, v165, v178
	v_mul_f32_e32 v178, v172, v177
	v_fmac_f32_e32 v178, v173, v176
	v_add_f32_e32 v165, v165, v178
	ds_read_b128 v[178:181], v164 offset:816
	v_fma_f32 v3, v108, v112, -v3
	v_add_f32_e32 v2, v2, v3
	v_mul_f32_e32 v3, v115, v119
	v_fma_f32 v3, v114, v118, -v3
	s_waitcnt lgkmcnt(0)
	v_mul_f32_e32 v186, v178, v183
	v_fmac_f32_e32 v186, v179, v182
	v_add_f32_e32 v165, v165, v186
	v_mul_f32_e32 v186, v180, v185
	v_fmac_f32_e32 v186, v181, v184
	v_add_f32_e32 v165, v165, v186
	ds_read_b128 v[186:189], v164 offset:832
	v_add_f32_e32 v2, v2, v3
	v_mul_f32_e32 v3, v117, v121
	v_fma_f32 v3, v116, v120, -v3
	v_add_f32_e32 v2, v2, v3
	s_waitcnt lgkmcnt(0)
	v_mul_f32_e32 v194, v186, v191
	v_fmac_f32_e32 v194, v187, v190
	v_add_f32_e32 v165, v165, v194
	v_mul_f32_e32 v194, v188, v193
	v_fmac_f32_e32 v194, v189, v192
	v_add_f32_e32 v165, v165, v194
	ds_read_b128 v[194:197], v164 offset:848
	v_mul_f32_e32 v3, v123, v127
	v_fma_f32 v3, v122, v126, -v3
	v_add_f32_e32 v2, v2, v3
	v_mul_f32_e32 v3, v125, v129
	s_waitcnt lgkmcnt(0)
	v_mul_f32_e32 v202, v194, v199
	v_fmac_f32_e32 v202, v195, v198
	v_add_f32_e32 v165, v165, v202
	v_mul_f32_e32 v202, v196, v201
	v_fmac_f32_e32 v202, v197, v200
	v_add_f32_e32 v165, v165, v202
	ds_read_b128 v[202:205], v164 offset:864
	v_fma_f32 v3, v124, v128, -v3
	v_add_f32_e32 v2, v2, v3
	v_mul_f32_e32 v3, v131, v135
	v_fma_f32 v3, v130, v134, -v3
	s_waitcnt lgkmcnt(0)
	v_mul_f32_e32 v210, v202, v207
	v_fmac_f32_e32 v210, v203, v206
	v_add_f32_e32 v231, v165, v210
	ds_read_b128 v[210:213], v164 offset:880
	scratch_load_dwordx4 v[218:221], off, off offset:416
	scratch_load_dwordx4 v[222:225], off, off offset:432
	;; [unrolled: 1-line block ×3, first 2 shown]
	scratch_load_dwordx2 v[236:237], off, off offset:464
	v_add_f32_e32 v2, v2, v3
	v_mul_f32_e32 v3, v133, v137
	v_fma_f32 v3, v132, v136, -v3
	v_add_f32_e32 v2, v2, v3
	v_mul_f32_e32 v3, v139, v143
	v_fma_f32 v3, v138, v142, -v3
	;; [unrolled: 3-line block ×14, first 2 shown]
	v_add_f32_e32 v230, v2, v3
	v_mul_f32_e32 v2, v205, v209
	v_mul_f32_e32 v233, v204, v209
	v_fma_f32 v232, v204, v208, -v2
	s_waitcnt lgkmcnt(0)
	v_mul_f32_e32 v2, v211, v215
	v_fmac_f32_e32 v233, v205, v208
	v_mul_f32_e32 v235, v210, v215
	v_fma_f32 v234, v210, v214, -v2
	ds_read_b128 v[2:5], v164 offset:896
	ds_read_b128 v[6:9], v164 offset:912
	;; [unrolled: 1-line block ×3, first 2 shown]
	ds_read_b64 v[14:15], v164 offset:944
	v_pk_mul_f32 v[18:19], v[212:213], v[18:19] op_sel:[1,0] op_sel_hi:[0,0]
	v_fmac_f32_e32 v235, v211, v214
	v_pk_add_f32 v[16:17], v[230:231], v[232:233]
	v_pk_fma_f32 v[20:21], v[212:213], v[216:217], v[18:19] neg_lo:[0,0,1] neg_hi:[0,0,1]
	v_pk_fma_f32 v[18:19], v[212:213], v[216:217], v[18:19] op_sel_hi:[1,0,1]
	v_pk_add_f32 v[16:17], v[16:17], v[234:235]
	v_mov_b32_e32 v21, v19
	v_pk_add_f32 v[16:17], v[16:17], v[20:21]
	s_waitcnt vmcnt(3) lgkmcnt(3)
	v_pk_mul_f32 v[18:19], v[2:3], v[218:219] op_sel:[1,1] op_sel_hi:[0,1]
	v_pk_fma_f32 v[20:21], v[2:3], v[218:219], v[18:19] neg_lo:[0,0,1] neg_hi:[0,0,1]
	v_pk_fma_f32 v[2:3], v[2:3], v[218:219], v[18:19] op_sel_hi:[1,0,1]
	s_nop 0
	v_mov_b32_e32 v21, v3
	v_pk_add_f32 v[2:3], v[16:17], v[20:21]
	v_mov_b32_e32 v16, v221
	v_pk_mul_f32 v[16:17], v[4:5], v[16:17] op_sel:[1,0] op_sel_hi:[0,0]
	v_pk_fma_f32 v[18:19], v[4:5], v[220:221], v[16:17] neg_lo:[0,0,1] neg_hi:[0,0,1]
	v_pk_fma_f32 v[4:5], v[4:5], v[220:221], v[16:17] op_sel_hi:[1,0,1]
	s_nop 0
	v_mov_b32_e32 v19, v5
	s_waitcnt vmcnt(2) lgkmcnt(2)
	v_pk_mul_f32 v[4:5], v[6:7], v[222:223] op_sel:[1,1] op_sel_hi:[0,1]
	v_pk_fma_f32 v[16:17], v[6:7], v[222:223], v[4:5] neg_lo:[0,0,1] neg_hi:[0,0,1]
	v_pk_fma_f32 v[4:5], v[6:7], v[222:223], v[4:5] op_sel_hi:[1,0,1]
	v_pk_add_f32 v[2:3], v[2:3], v[18:19]
	v_mov_b32_e32 v4, v225
	v_mov_b32_e32 v17, v5
	v_pk_mul_f32 v[4:5], v[8:9], v[4:5] op_sel:[1,0] op_sel_hi:[0,0]
	v_pk_fma_f32 v[6:7], v[8:9], v[224:225], v[4:5] neg_lo:[0,0,1] neg_hi:[0,0,1]
	v_pk_fma_f32 v[4:5], v[8:9], v[224:225], v[4:5] op_sel_hi:[1,0,1]
	v_pk_add_f32 v[2:3], v[2:3], v[16:17]
	v_mov_b32_e32 v7, v5
	s_waitcnt vmcnt(1) lgkmcnt(1)
	v_pk_mul_f32 v[4:5], v[10:11], v[226:227] op_sel:[1,1] op_sel_hi:[0,1]
	v_pk_add_f32 v[2:3], v[2:3], v[6:7]
	v_pk_fma_f32 v[6:7], v[10:11], v[226:227], v[4:5] neg_lo:[0,0,1] neg_hi:[0,0,1]
	v_pk_fma_f32 v[4:5], v[10:11], v[226:227], v[4:5] op_sel_hi:[1,0,1]
	s_nop 0
	v_mov_b32_e32 v4, v229
	v_mov_b32_e32 v7, v5
	v_pk_mul_f32 v[4:5], v[12:13], v[4:5] op_sel:[1,0] op_sel_hi:[0,0]
	v_pk_add_f32 v[2:3], v[2:3], v[6:7]
	v_pk_fma_f32 v[6:7], v[12:13], v[228:229], v[4:5] neg_lo:[0,0,1] neg_hi:[0,0,1]
	v_pk_fma_f32 v[4:5], v[12:13], v[228:229], v[4:5] op_sel_hi:[1,0,1]
	s_nop 0
	v_mov_b32_e32 v7, v5
	s_waitcnt vmcnt(0) lgkmcnt(0)
	v_pk_mul_f32 v[4:5], v[14:15], v[236:237] op_sel:[1,1] op_sel_hi:[0,1]
	v_pk_add_f32 v[2:3], v[2:3], v[6:7]
	v_pk_fma_f32 v[6:7], v[14:15], v[236:237], v[4:5] neg_lo:[0,0,1] neg_hi:[0,0,1]
	v_pk_fma_f32 v[4:5], v[14:15], v[236:237], v[4:5] op_sel_hi:[1,0,1]
	s_nop 0
	v_mov_b32_e32 v7, v5
	scratch_load_dwordx2 v[4:5], off, off offset:8
	v_pk_add_f32 v[2:3], v[2:3], v[6:7]
	s_waitcnt vmcnt(0)
	v_pk_add_f32 v[2:3], v[4:5], v[2:3] neg_lo:[0,1] neg_hi:[0,1]
	scratch_store_dwordx2 off, v[2:3], off offset:8
	s_and_saveexec_b64 s[0:1], vcc
	s_cbranch_execz .LBB122_367
; %bb.366:
	scratch_load_dwordx2 v[2:3], off, off
	v_mov_b32_e32 v165, v164
	scratch_store_dwordx2 off, v[164:165], off
	s_waitcnt vmcnt(1)
	ds_write_b64 v1, v[2:3]
.LBB122_367:
	s_or_b64 exec, exec, s[0:1]
	s_waitcnt lgkmcnt(0)
	; wave barrier
	scratch_load_dwordx4 v[4:7], off, off offset:8
	scratch_load_dwordx4 v[12:15], off, off offset:24
	;; [unrolled: 1-line block ×10, first 2 shown]
	ds_read2_b64 v[0:3], v164 offset0:61 offset1:62
	ds_read2_b64 v[170:173], v164 offset0:99 offset1:100
	scratch_load_dwordx4 v[84:87], off, off offset:168
	scratch_load_dwordx4 v[92:95], off, off offset:184
	;; [unrolled: 1-line block ×15, first 2 shown]
	s_and_b64 vcc, exec, s[10:11]
	ds_read2_b64 v[178:181], v164 offset0:101 offset1:102
	ds_read2_b64 v[186:189], v164 offset0:103 offset1:104
	;; [unrolled: 1-line block ×5, first 2 shown]
	s_waitcnt vmcnt(24) lgkmcnt(6)
	v_mul_f32_e32 v8, v0, v5
	v_fmac_f32_e32 v8, v1, v4
	v_mul_f32_e32 v9, v2, v7
	v_add_f32_e32 v8, 0, v8
	v_fmac_f32_e32 v9, v3, v6
	v_add_f32_e32 v16, v8, v9
	ds_read2_b64 v[8:11], v164 offset0:63 offset1:64
	v_mul_f32_e32 v1, v1, v5
	v_fma_f32 v0, v0, v4, -v1
	v_mul_f32_e32 v1, v3, v7
	v_add_f32_e32 v0, 0, v0
	s_waitcnt vmcnt(23) lgkmcnt(0)
	v_mul_f32_e32 v17, v8, v13
	v_fmac_f32_e32 v17, v9, v12
	v_add_f32_e32 v16, v16, v17
	v_mul_f32_e32 v17, v10, v15
	v_fmac_f32_e32 v17, v11, v14
	v_add_f32_e32 v24, v16, v17
	ds_read2_b64 v[16:19], v164 offset0:65 offset1:66
	v_fma_f32 v1, v2, v6, -v1
	v_add_f32_e32 v0, v0, v1
	v_mul_f32_e32 v1, v9, v13
	v_fma_f32 v1, v8, v12, -v1
	s_waitcnt vmcnt(22) lgkmcnt(0)
	v_mul_f32_e32 v25, v16, v21
	v_fmac_f32_e32 v25, v17, v20
	v_add_f32_e32 v24, v24, v25
	v_mul_f32_e32 v25, v18, v23
	v_fmac_f32_e32 v25, v19, v22
	v_add_f32_e32 v32, v24, v25
	ds_read2_b64 v[24:27], v164 offset0:67 offset1:68
	v_add_f32_e32 v0, v0, v1
	v_mul_f32_e32 v1, v11, v15
	v_fma_f32 v1, v10, v14, -v1
	v_add_f32_e32 v0, v0, v1
	s_waitcnt vmcnt(21) lgkmcnt(0)
	v_mul_f32_e32 v33, v24, v29
	v_fmac_f32_e32 v33, v25, v28
	v_add_f32_e32 v32, v32, v33
	v_mul_f32_e32 v33, v26, v31
	v_fmac_f32_e32 v33, v27, v30
	v_add_f32_e32 v40, v32, v33
	ds_read2_b64 v[32:35], v164 offset0:69 offset1:70
	v_mul_f32_e32 v1, v17, v21
	v_fma_f32 v1, v16, v20, -v1
	v_add_f32_e32 v0, v0, v1
	v_mul_f32_e32 v1, v19, v23
	s_waitcnt vmcnt(20) lgkmcnt(0)
	v_mul_f32_e32 v41, v32, v37
	v_fmac_f32_e32 v41, v33, v36
	v_add_f32_e32 v40, v40, v41
	v_mul_f32_e32 v41, v34, v39
	v_fmac_f32_e32 v41, v35, v38
	v_add_f32_e32 v48, v40, v41
	ds_read2_b64 v[40:43], v164 offset0:71 offset1:72
	v_fma_f32 v1, v18, v22, -v1
	v_add_f32_e32 v0, v0, v1
	v_mul_f32_e32 v1, v25, v29
	v_fma_f32 v1, v24, v28, -v1
	s_waitcnt vmcnt(19) lgkmcnt(0)
	v_mul_f32_e32 v49, v40, v45
	v_fmac_f32_e32 v49, v41, v44
	v_add_f32_e32 v48, v48, v49
	v_mul_f32_e32 v49, v42, v47
	v_fmac_f32_e32 v49, v43, v46
	v_add_f32_e32 v56, v48, v49
	ds_read2_b64 v[48:51], v164 offset0:73 offset1:74
	v_add_f32_e32 v0, v0, v1
	v_mul_f32_e32 v1, v27, v31
	v_fma_f32 v1, v26, v30, -v1
	v_add_f32_e32 v0, v0, v1
	s_waitcnt vmcnt(18) lgkmcnt(0)
	v_mul_f32_e32 v57, v48, v53
	v_fmac_f32_e32 v57, v49, v52
	v_add_f32_e32 v56, v56, v57
	v_mul_f32_e32 v57, v50, v55
	v_fmac_f32_e32 v57, v51, v54
	v_add_f32_e32 v64, v56, v57
	ds_read2_b64 v[56:59], v164 offset0:75 offset1:76
	v_mul_f32_e32 v1, v33, v37
	v_fma_f32 v1, v32, v36, -v1
	v_add_f32_e32 v0, v0, v1
	v_mul_f32_e32 v1, v35, v39
	;; [unrolled: 36-line block ×5, first 2 shown]
	s_waitcnt vmcnt(8) lgkmcnt(0)
	v_mul_f32_e32 v137, v128, v133
	v_fmac_f32_e32 v137, v129, v132
	v_add_f32_e32 v136, v136, v137
	v_mul_f32_e32 v137, v130, v135
	v_fmac_f32_e32 v137, v131, v134
	v_add_f32_e32 v144, v136, v137
	ds_read2_b64 v[136:139], v164 offset0:95 offset1:96
	v_fma_f32 v1, v82, v86, -v1
	v_add_f32_e32 v0, v0, v1
	v_mul_f32_e32 v1, v89, v93
	v_fma_f32 v1, v88, v92, -v1
	s_waitcnt vmcnt(7) lgkmcnt(0)
	v_mul_f32_e32 v145, v136, v141
	v_fmac_f32_e32 v145, v137, v140
	v_add_f32_e32 v144, v144, v145
	v_mul_f32_e32 v145, v138, v143
	v_fmac_f32_e32 v145, v139, v142
	v_add_f32_e32 v148, v144, v145
	ds_read2_b64 v[144:147], v164 offset0:97 offset1:98
	scratch_load_dwordx4 v[218:221], off, off offset:408
	scratch_load_dwordx4 v[222:225], off, off offset:424
	scratch_load_dwordx4 v[226:229], off, off offset:440
	scratch_load_dwordx4 v[230:233], off, off offset:456
	v_add_f32_e32 v0, v0, v1
	v_mul_f32_e32 v1, v91, v95
	v_fma_f32 v1, v90, v94, -v1
	v_add_f32_e32 v0, v0, v1
	v_mul_f32_e32 v1, v97, v101
	v_fma_f32 v1, v96, v100, -v1
	v_add_f32_e32 v0, v0, v1
	v_mul_f32_e32 v1, v99, v103
	v_fma_f32 v1, v98, v102, -v1
	v_add_f32_e32 v0, v0, v1
	v_mul_f32_e32 v1, v105, v109
	v_fma_f32 v1, v104, v108, -v1
	v_add_f32_e32 v0, v0, v1
	v_mul_f32_e32 v1, v107, v111
	v_fma_f32 v1, v106, v110, -v1
	v_add_f32_e32 v0, v0, v1
	v_mul_f32_e32 v1, v113, v117
	v_fma_f32 v1, v112, v116, -v1
	v_add_f32_e32 v0, v0, v1
	v_mul_f32_e32 v1, v115, v119
	v_fma_f32 v1, v114, v118, -v1
	v_add_f32_e32 v0, v0, v1
	v_mul_f32_e32 v1, v121, v125
	v_fma_f32 v1, v120, v124, -v1
	v_add_f32_e32 v0, v0, v1
	v_mul_f32_e32 v1, v123, v127
	v_fma_f32 v1, v122, v126, -v1
	v_add_f32_e32 v0, v0, v1
	v_mul_f32_e32 v1, v129, v133
	v_fma_f32 v1, v128, v132, -v1
	v_add_f32_e32 v0, v0, v1
	v_mul_f32_e32 v1, v131, v135
	v_fma_f32 v1, v130, v134, -v1
	v_add_f32_e32 v0, v0, v1
	v_mul_f32_e32 v1, v137, v141
	v_fma_f32 v1, v136, v140, -v1
	v_add_f32_e32 v0, v0, v1
	v_mul_f32_e32 v1, v139, v143
	v_fma_f32 v1, v138, v142, -v1
	s_waitcnt vmcnt(10) lgkmcnt(0)
	v_mul_f32_e32 v149, v144, v167
	v_add_f32_e32 v0, v0, v1
	v_mul_f32_e32 v1, v145, v167
	v_fmac_f32_e32 v149, v145, v166
	v_fma_f32 v1, v144, v166, -v1
	v_add_f32_e32 v148, v148, v149
	v_mul_f32_e32 v149, v146, v169
	v_add_f32_e32 v0, v0, v1
	v_mul_f32_e32 v1, v147, v169
	v_fmac_f32_e32 v149, v147, v168
	v_fma_f32 v1, v146, v168, -v1
	v_add_f32_e32 v148, v148, v149
	s_waitcnt vmcnt(9)
	v_mul_f32_e32 v149, v170, v175
	v_add_f32_e32 v0, v0, v1
	v_mul_f32_e32 v1, v171, v175
	v_fmac_f32_e32 v149, v171, v174
	v_fma_f32 v1, v170, v174, -v1
	v_add_f32_e32 v148, v148, v149
	v_mul_f32_e32 v149, v172, v177
	v_add_f32_e32 v0, v0, v1
	v_mul_f32_e32 v1, v173, v177
	v_fmac_f32_e32 v149, v173, v176
	v_fma_f32 v1, v172, v176, -v1
	v_add_f32_e32 v148, v148, v149
	s_waitcnt vmcnt(8)
	;; [unrolled: 13-line block ×5, first 2 shown]
	v_mul_f32_e32 v149, v202, v207
	v_add_f32_e32 v0, v0, v1
	v_mul_f32_e32 v1, v203, v207
	v_fmac_f32_e32 v149, v203, v206
	v_fma_f32 v1, v202, v206, -v1
	v_add_f32_e32 v148, v148, v149
	v_mul_f32_e32 v149, v204, v209
	v_add_f32_e32 v0, v0, v1
	v_mul_f32_e32 v1, v205, v209
	v_fmac_f32_e32 v149, v205, v208
	v_fma_f32 v1, v204, v208, -v1
	v_add_f32_e32 v149, v148, v149
	v_add_f32_e32 v148, v0, v1
	s_waitcnt vmcnt(4)
	v_mul_f32_e32 v0, v211, v215
	v_fma_f32 v234, v210, v214, -v0
	v_mul_f32_e32 v0, v213, v217
	v_fma_f32 v236, v212, v216, -v0
	ds_read2_b64 v[0:3], v164 offset0:111 offset1:112
	ds_read2_b64 v[4:7], v164 offset0:113 offset1:114
	;; [unrolled: 1-line block ×4, first 2 shown]
	v_mul_f32_e32 v235, v210, v215
	v_fmac_f32_e32 v235, v211, v214
	v_mul_f32_e32 v237, v212, v217
	s_waitcnt vmcnt(3) lgkmcnt(3)
	v_pk_mul_f32 v[18:19], v[0:1], v[218:219] op_sel:[1,1] op_sel_hi:[0,1]
	v_fmac_f32_e32 v237, v213, v216
	v_pk_add_f32 v[16:17], v[148:149], v[234:235]
	v_pk_fma_f32 v[20:21], v[0:1], v[218:219], v[18:19] neg_lo:[0,0,1] neg_hi:[0,0,1]
	v_pk_fma_f32 v[0:1], v[0:1], v[218:219], v[18:19] op_sel_hi:[1,0,1]
	v_pk_add_f32 v[16:17], v[16:17], v[236:237]
	v_mov_b32_e32 v21, v1
	v_pk_add_f32 v[0:1], v[16:17], v[20:21]
	v_mov_b32_e32 v16, v221
	v_pk_mul_f32 v[16:17], v[2:3], v[16:17] op_sel:[1,0] op_sel_hi:[0,0]
	v_pk_fma_f32 v[18:19], v[2:3], v[220:221], v[16:17] neg_lo:[0,0,1] neg_hi:[0,0,1]
	v_pk_fma_f32 v[2:3], v[2:3], v[220:221], v[16:17] op_sel_hi:[1,0,1]
	s_nop 0
	v_mov_b32_e32 v19, v3
	s_waitcnt vmcnt(2) lgkmcnt(2)
	v_pk_mul_f32 v[2:3], v[4:5], v[222:223] op_sel:[1,1] op_sel_hi:[0,1]
	v_pk_fma_f32 v[16:17], v[4:5], v[222:223], v[2:3] neg_lo:[0,0,1] neg_hi:[0,0,1]
	v_pk_fma_f32 v[2:3], v[4:5], v[222:223], v[2:3] op_sel_hi:[1,0,1]
	v_pk_add_f32 v[0:1], v[0:1], v[18:19]
	v_mov_b32_e32 v2, v225
	v_mov_b32_e32 v17, v3
	v_pk_mul_f32 v[2:3], v[6:7], v[2:3] op_sel:[1,0] op_sel_hi:[0,0]
	v_pk_fma_f32 v[4:5], v[6:7], v[224:225], v[2:3] neg_lo:[0,0,1] neg_hi:[0,0,1]
	v_pk_fma_f32 v[2:3], v[6:7], v[224:225], v[2:3] op_sel_hi:[1,0,1]
	v_pk_add_f32 v[0:1], v[0:1], v[16:17]
	v_mov_b32_e32 v5, v3
	s_waitcnt vmcnt(1) lgkmcnt(1)
	v_pk_mul_f32 v[2:3], v[8:9], v[226:227] op_sel:[1,1] op_sel_hi:[0,1]
	v_pk_add_f32 v[0:1], v[0:1], v[4:5]
	v_pk_fma_f32 v[4:5], v[8:9], v[226:227], v[2:3] neg_lo:[0,0,1] neg_hi:[0,0,1]
	v_pk_fma_f32 v[2:3], v[8:9], v[226:227], v[2:3] op_sel_hi:[1,0,1]
	s_nop 0
	v_mov_b32_e32 v2, v229
	v_mov_b32_e32 v5, v3
	v_pk_mul_f32 v[2:3], v[10:11], v[2:3] op_sel:[1,0] op_sel_hi:[0,0]
	v_pk_add_f32 v[0:1], v[0:1], v[4:5]
	v_pk_fma_f32 v[4:5], v[10:11], v[228:229], v[2:3] neg_lo:[0,0,1] neg_hi:[0,0,1]
	v_pk_fma_f32 v[2:3], v[10:11], v[228:229], v[2:3] op_sel_hi:[1,0,1]
	s_nop 0
	v_mov_b32_e32 v5, v3
	s_waitcnt vmcnt(0) lgkmcnt(0)
	v_pk_mul_f32 v[2:3], v[12:13], v[230:231] op_sel:[1,1] op_sel_hi:[0,1]
	v_pk_add_f32 v[0:1], v[0:1], v[4:5]
	v_pk_fma_f32 v[4:5], v[12:13], v[230:231], v[2:3] neg_lo:[0,0,1] neg_hi:[0,0,1]
	v_pk_fma_f32 v[2:3], v[12:13], v[230:231], v[2:3] op_sel_hi:[1,0,1]
	s_nop 0
	v_mov_b32_e32 v2, v233
	v_mov_b32_e32 v5, v3
	v_pk_mul_f32 v[2:3], v[14:15], v[2:3] op_sel:[1,0] op_sel_hi:[0,0]
	v_pk_add_f32 v[0:1], v[0:1], v[4:5]
	v_pk_fma_f32 v[4:5], v[14:15], v[232:233], v[2:3] neg_lo:[0,0,1] neg_hi:[0,0,1]
	v_pk_fma_f32 v[2:3], v[14:15], v[232:233], v[2:3] op_sel_hi:[1,0,1]
	s_nop 0
	v_mov_b32_e32 v5, v3
	scratch_load_dwordx2 v[2:3], off, off
	v_pk_add_f32 v[0:1], v[0:1], v[4:5]
	s_waitcnt vmcnt(0)
	v_pk_add_f32 v[0:1], v[2:3], v[0:1] neg_lo:[0,1] neg_hi:[0,1]
	scratch_store_dwordx2 off, v[0:1], off
	s_cbranch_vccz .LBB122_484
; %bb.368:
	v_mov_b32_e32 v0, 0
	global_load_dword v1, v0, s[8:9] offset:228
	s_waitcnt vmcnt(0)
	v_readfirstlane_b32 s0, v1
	s_add_i32 s0, s0, -1
	s_cmp_lg_u32 s0, 57
	s_cbranch_scc0 .LBB122_370
; %bb.369:
	s_lshl_b32 s0, s0, 3
	s_nop 0
	scratch_load_dwordx2 v[2:3], off, s0
	scratch_load_dwordx2 v[4:5], off, off offset:456
	s_waitcnt vmcnt(1)
	scratch_store_dwordx2 off, v[2:3], off offset:456
	s_waitcnt vmcnt(1)
	scratch_store_dwordx2 off, v[4:5], s0
.LBB122_370:
	global_load_dword v0, v0, s[8:9] offset:224
	s_waitcnt vmcnt(0)
	v_readfirstlane_b32 s0, v0
	s_add_i32 s0, s0, -1
	s_cmp_eq_u32 s0, 56
	s_cbranch_scc1 .LBB122_372
; %bb.371:
	s_lshl_b32 s0, s0, 3
	s_nop 0
	scratch_load_dwordx2 v[0:1], off, s0
	scratch_load_dwordx2 v[2:3], off, off offset:448
	s_waitcnt vmcnt(1)
	scratch_store_dwordx2 off, v[0:1], off offset:448
	s_waitcnt vmcnt(1)
	scratch_store_dwordx2 off, v[2:3], s0
.LBB122_372:
	v_mov_b32_e32 v0, 0
	global_load_dword v1, v0, s[8:9] offset:220
	s_waitcnt vmcnt(0)
	v_readfirstlane_b32 s0, v1
	s_add_i32 s0, s0, -1
	s_cmp_eq_u32 s0, 55
	s_cbranch_scc1 .LBB122_374
; %bb.373:
	s_lshl_b32 s0, s0, 3
	s_nop 0
	scratch_load_dwordx2 v[2:3], off, s0
	scratch_load_dwordx2 v[4:5], off, off offset:440
	s_waitcnt vmcnt(1)
	scratch_store_dwordx2 off, v[2:3], off offset:440
	s_waitcnt vmcnt(1)
	scratch_store_dwordx2 off, v[4:5], s0
.LBB122_374:
	global_load_dword v0, v0, s[8:9] offset:216
	s_waitcnt vmcnt(0)
	v_readfirstlane_b32 s0, v0
	s_add_i32 s0, s0, -1
	s_cmp_eq_u32 s0, 54
	s_cbranch_scc1 .LBB122_376
; %bb.375:
	s_lshl_b32 s0, s0, 3
	s_nop 0
	scratch_load_dwordx2 v[0:1], off, s0
	scratch_load_dwordx2 v[2:3], off, off offset:432
	s_waitcnt vmcnt(1)
	scratch_store_dwordx2 off, v[0:1], off offset:432
	s_waitcnt vmcnt(1)
	scratch_store_dwordx2 off, v[2:3], s0
.LBB122_376:
	v_mov_b32_e32 v0, 0
	global_load_dword v1, v0, s[8:9] offset:212
	s_waitcnt vmcnt(0)
	v_readfirstlane_b32 s0, v1
	s_add_i32 s0, s0, -1
	s_cmp_eq_u32 s0, 53
	s_cbranch_scc1 .LBB122_378
; %bb.377:
	s_lshl_b32 s0, s0, 3
	s_nop 0
	scratch_load_dwordx2 v[2:3], off, s0
	scratch_load_dwordx2 v[4:5], off, off offset:424
	s_waitcnt vmcnt(1)
	scratch_store_dwordx2 off, v[2:3], off offset:424
	s_waitcnt vmcnt(1)
	scratch_store_dwordx2 off, v[4:5], s0
.LBB122_378:
	;; [unrolled: 33-line block ×28, first 2 shown]
	global_load_dword v2, v0, s[8:9]
	s_nop 0
	scratch_load_dwordx2 v[0:1], off, off
	s_waitcnt vmcnt(1)
	v_readfirstlane_b32 s0, v2
	s_add_i32 s0, s0, -1
	s_cmp_eq_u32 s0, 0
	s_cbranch_scc1 .LBB122_484
; %bb.483:
	s_lshl_b32 s0, s0, 3
	s_nop 0
	scratch_load_dwordx2 v[2:3], off, s0
	s_waitcnt vmcnt(0)
	scratch_store_dwordx2 off, v[2:3], off
	scratch_store_dwordx2 off, v[0:1], s0
	scratch_load_dwordx2 v[0:1], off, off
.LBB122_484:
	s_waitcnt vmcnt(0)
	flat_store_dwordx2 v[150:151], v[0:1]
	scratch_load_dwordx2 v[0:1], off, off offset:8
	v_accvgpr_read_b32 v3, a1
	v_accvgpr_read_b32 v2, a0
	s_waitcnt vmcnt(0)
	flat_store_dwordx2 v[2:3], v[0:1]
	scratch_load_dwordx2 v[0:1], off, off offset:16
	v_accvgpr_read_b32 v2, a2
	v_accvgpr_read_b32 v3, a3
	;; [unrolled: 5-line block ×43, first 2 shown]
	s_waitcnt vmcnt(0)
	flat_store_dwordx2 v[2:3], v[0:1]
	scratch_load_dwordx2 v[0:1], off, off offset:352
	s_waitcnt vmcnt(0)
	flat_store_dwordx2 v[238:239], v[0:1]
	scratch_load_dwordx2 v[0:1], off, off offset:360
	s_waitcnt vmcnt(0)
	flat_store_dwordx2 v[240:241], v[0:1]
	scratch_load_dwordx2 v[0:1], off, off offset:368
	s_waitcnt vmcnt(0)
	flat_store_dwordx2 v[242:243], v[0:1]
	scratch_load_dwordx2 v[0:1], off, off offset:376
	s_waitcnt vmcnt(0)
	flat_store_dwordx2 v[244:245], v[0:1]
	scratch_load_dwordx2 v[0:1], off, off offset:384
	s_waitcnt vmcnt(0)
	flat_store_dwordx2 v[246:247], v[0:1]
	scratch_load_dwordx2 v[0:1], off, off offset:392
	s_waitcnt vmcnt(0)
	flat_store_dwordx2 v[248:249], v[0:1]
	scratch_load_dwordx2 v[0:1], off, off offset:400
	s_waitcnt vmcnt(0)
	flat_store_dwordx2 v[250:251], v[0:1]
	scratch_load_dwordx2 v[0:1], off, off offset:408
	s_waitcnt vmcnt(0)
	flat_store_dwordx2 v[252:253], v[0:1]
	scratch_load_dwordx2 v[0:1], off, off offset:416
	s_waitcnt vmcnt(0)
	flat_store_dwordx2 v[254:255], v[0:1]
	scratch_load_dwordx2 v[0:1], off, off offset:424
	s_waitcnt vmcnt(0)
	flat_store_dwordx2 v[152:153], v[0:1]
	scratch_load_dwordx2 v[0:1], off, off offset:432
	s_waitcnt vmcnt(0)
	flat_store_dwordx2 v[154:155], v[0:1]
	scratch_load_dwordx2 v[0:1], off, off offset:440
	s_waitcnt vmcnt(0)
	flat_store_dwordx2 v[156:157], v[0:1]
	scratch_load_dwordx2 v[0:1], off, off offset:448
	s_waitcnt vmcnt(0)
	flat_store_dwordx2 v[158:159], v[0:1]
	scratch_load_dwordx2 v[0:1], off, off offset:456
	s_waitcnt vmcnt(0)
	flat_store_dwordx2 v[160:161], v[0:1]
	scratch_load_dwordx2 v[0:1], off, off offset:464
	s_waitcnt vmcnt(0)
	flat_store_dwordx2 v[162:163], v[0:1]
	s_endpgm
	.section	.rodata,"a",@progbits
	.p2align	6, 0x0
	.amdhsa_kernel _ZN9rocsolver6v33100L18getri_kernel_smallILi59E19rocblas_complex_numIfEPKPS3_EEvT1_iilPiilS8_bb
		.amdhsa_group_segment_fixed_size 952
		.amdhsa_private_segment_fixed_size 480
		.amdhsa_kernarg_size 60
		.amdhsa_user_sgpr_count 2
		.amdhsa_user_sgpr_dispatch_ptr 0
		.amdhsa_user_sgpr_queue_ptr 0
		.amdhsa_user_sgpr_kernarg_segment_ptr 1
		.amdhsa_user_sgpr_dispatch_id 0
		.amdhsa_user_sgpr_kernarg_preload_length 0
		.amdhsa_user_sgpr_kernarg_preload_offset 0
		.amdhsa_user_sgpr_private_segment_size 0
		.amdhsa_uses_dynamic_stack 0
		.amdhsa_enable_private_segment 1
		.amdhsa_system_sgpr_workgroup_id_x 1
		.amdhsa_system_sgpr_workgroup_id_y 0
		.amdhsa_system_sgpr_workgroup_id_z 0
		.amdhsa_system_sgpr_workgroup_info 0
		.amdhsa_system_vgpr_workitem_id 0
		.amdhsa_next_free_vgpr 342
		.amdhsa_next_free_sgpr 17
		.amdhsa_accum_offset 256
		.amdhsa_reserve_vcc 1
		.amdhsa_float_round_mode_32 0
		.amdhsa_float_round_mode_16_64 0
		.amdhsa_float_denorm_mode_32 3
		.amdhsa_float_denorm_mode_16_64 3
		.amdhsa_dx10_clamp 1
		.amdhsa_ieee_mode 1
		.amdhsa_fp16_overflow 0
		.amdhsa_tg_split 0
		.amdhsa_exception_fp_ieee_invalid_op 0
		.amdhsa_exception_fp_denorm_src 0
		.amdhsa_exception_fp_ieee_div_zero 0
		.amdhsa_exception_fp_ieee_overflow 0
		.amdhsa_exception_fp_ieee_underflow 0
		.amdhsa_exception_fp_ieee_inexact 0
		.amdhsa_exception_int_div_zero 0
	.end_amdhsa_kernel
	.section	.text._ZN9rocsolver6v33100L18getri_kernel_smallILi59E19rocblas_complex_numIfEPKPS3_EEvT1_iilPiilS8_bb,"axG",@progbits,_ZN9rocsolver6v33100L18getri_kernel_smallILi59E19rocblas_complex_numIfEPKPS3_EEvT1_iilPiilS8_bb,comdat
.Lfunc_end122:
	.size	_ZN9rocsolver6v33100L18getri_kernel_smallILi59E19rocblas_complex_numIfEPKPS3_EEvT1_iilPiilS8_bb, .Lfunc_end122-_ZN9rocsolver6v33100L18getri_kernel_smallILi59E19rocblas_complex_numIfEPKPS3_EEvT1_iilPiilS8_bb
                                        ; -- End function
	.set _ZN9rocsolver6v33100L18getri_kernel_smallILi59E19rocblas_complex_numIfEPKPS3_EEvT1_iilPiilS8_bb.num_vgpr, 256
	.set _ZN9rocsolver6v33100L18getri_kernel_smallILi59E19rocblas_complex_numIfEPKPS3_EEvT1_iilPiilS8_bb.num_agpr, 86
	.set _ZN9rocsolver6v33100L18getri_kernel_smallILi59E19rocblas_complex_numIfEPKPS3_EEvT1_iilPiilS8_bb.numbered_sgpr, 17
	.set _ZN9rocsolver6v33100L18getri_kernel_smallILi59E19rocblas_complex_numIfEPKPS3_EEvT1_iilPiilS8_bb.num_named_barrier, 0
	.set _ZN9rocsolver6v33100L18getri_kernel_smallILi59E19rocblas_complex_numIfEPKPS3_EEvT1_iilPiilS8_bb.private_seg_size, 480
	.set _ZN9rocsolver6v33100L18getri_kernel_smallILi59E19rocblas_complex_numIfEPKPS3_EEvT1_iilPiilS8_bb.uses_vcc, 1
	.set _ZN9rocsolver6v33100L18getri_kernel_smallILi59E19rocblas_complex_numIfEPKPS3_EEvT1_iilPiilS8_bb.uses_flat_scratch, 0
	.set _ZN9rocsolver6v33100L18getri_kernel_smallILi59E19rocblas_complex_numIfEPKPS3_EEvT1_iilPiilS8_bb.has_dyn_sized_stack, 0
	.set _ZN9rocsolver6v33100L18getri_kernel_smallILi59E19rocblas_complex_numIfEPKPS3_EEvT1_iilPiilS8_bb.has_recursion, 0
	.set _ZN9rocsolver6v33100L18getri_kernel_smallILi59E19rocblas_complex_numIfEPKPS3_EEvT1_iilPiilS8_bb.has_indirect_call, 0
	.section	.AMDGPU.csdata,"",@progbits
; Kernel info:
; codeLenInByte = 98128
; TotalNumSgprs: 23
; NumVgprs: 256
; NumAgprs: 86
; TotalNumVgprs: 342
; ScratchSize: 480
; MemoryBound: 0
; FloatMode: 240
; IeeeMode: 1
; LDSByteSize: 952 bytes/workgroup (compile time only)
; SGPRBlocks: 2
; VGPRBlocks: 42
; NumSGPRsForWavesPerEU: 23
; NumVGPRsForWavesPerEU: 342
; AccumOffset: 256
; Occupancy: 1
; WaveLimiterHint : 1
; COMPUTE_PGM_RSRC2:SCRATCH_EN: 1
; COMPUTE_PGM_RSRC2:USER_SGPR: 2
; COMPUTE_PGM_RSRC2:TRAP_HANDLER: 0
; COMPUTE_PGM_RSRC2:TGID_X_EN: 1
; COMPUTE_PGM_RSRC2:TGID_Y_EN: 0
; COMPUTE_PGM_RSRC2:TGID_Z_EN: 0
; COMPUTE_PGM_RSRC2:TIDIG_COMP_CNT: 0
; COMPUTE_PGM_RSRC3_GFX90A:ACCUM_OFFSET: 63
; COMPUTE_PGM_RSRC3_GFX90A:TG_SPLIT: 0
	.section	.text._ZN9rocsolver6v33100L18getri_kernel_smallILi60E19rocblas_complex_numIfEPKPS3_EEvT1_iilPiilS8_bb,"axG",@progbits,_ZN9rocsolver6v33100L18getri_kernel_smallILi60E19rocblas_complex_numIfEPKPS3_EEvT1_iilPiilS8_bb,comdat
	.globl	_ZN9rocsolver6v33100L18getri_kernel_smallILi60E19rocblas_complex_numIfEPKPS3_EEvT1_iilPiilS8_bb ; -- Begin function _ZN9rocsolver6v33100L18getri_kernel_smallILi60E19rocblas_complex_numIfEPKPS3_EEvT1_iilPiilS8_bb
	.p2align	8
	.type	_ZN9rocsolver6v33100L18getri_kernel_smallILi60E19rocblas_complex_numIfEPKPS3_EEvT1_iilPiilS8_bb,@function
_ZN9rocsolver6v33100L18getri_kernel_smallILi60E19rocblas_complex_numIfEPKPS3_EEvT1_iilPiilS8_bb: ; @_ZN9rocsolver6v33100L18getri_kernel_smallILi60E19rocblas_complex_numIfEPKPS3_EEvT1_iilPiilS8_bb
; %bb.0:
	v_cmp_gt_u32_e32 vcc, 60, v0
	s_and_saveexec_b64 s[4:5], vcc
	s_cbranch_execz .LBB123_254
; %bb.1:
	s_load_dword s14, s[0:1], 0x38
	s_load_dwordx2 s[8:9], s[0:1], 0x0
	s_load_dwordx4 s[4:7], s[0:1], 0x28
	s_waitcnt lgkmcnt(0)
	s_bitcmp1_b32 s14, 8
	s_cselect_b64 s[10:11], -1, 0
	s_ashr_i32 s3, s2, 31
	s_lshl_b64 s[12:13], s[2:3], 3
	s_add_u32 s8, s8, s12
	s_addc_u32 s9, s9, s13
	s_load_dwordx2 s[12:13], s[8:9], 0x0
	s_bfe_u32 s8, s14, 0x10008
	s_cmp_eq_u32 s8, 0
                                        ; implicit-def: $sgpr8_sgpr9
	s_cbranch_scc1 .LBB123_3
; %bb.2:
	s_load_dword s8, s[0:1], 0x20
	s_load_dwordx2 s[14:15], s[0:1], 0x18
	s_mul_i32 s9, s4, s3
	s_mul_hi_u32 s16, s4, s2
	s_add_i32 s16, s16, s9
	s_mul_i32 s5, s5, s2
	s_add_i32 s5, s16, s5
	s_mul_i32 s4, s4, s2
	s_waitcnt lgkmcnt(0)
	s_ashr_i32 s9, s8, 31
	s_lshl_b64 s[4:5], s[4:5], 2
	s_add_u32 s14, s14, s4
	s_addc_u32 s15, s15, s5
	s_lshl_b64 s[4:5], s[8:9], 2
	s_add_u32 s8, s14, s4
	s_addc_u32 s9, s15, s5
.LBB123_3:
	s_load_dwordx2 s[4:5], s[0:1], 0x8
	s_load_dword s14, s[0:1], 0x38
	v_lshlrev_b32_e32 v2, 3, v0
	v_mov_b32_e32 v3, 0
	s_waitcnt lgkmcnt(0)
	s_ashr_i32 s1, s4, 31
	s_mov_b32 s0, s4
	s_lshl_b64 s[0:1], s[0:1], 3
	s_add_u32 s0, s12, s0
	s_addc_u32 s1, s13, s1
	v_lshl_add_u64 v[150:151], s[0:1], 0, v[2:3]
	flat_load_dwordx2 v[4:5], v[150:151]
	s_mov_b32 s12, s5
	s_ashr_i32 s13, s5, 31
	v_lshl_add_u64 v[6:7], s[12:13], 3, v[150:151]
	v_accvgpr_write_b32 a0, v6
	s_add_i32 s4, s5, s5
	v_accvgpr_write_b32 a1, v7
	s_bitcmp0_b32 s14, 0
	s_waitcnt vmcnt(0) lgkmcnt(0)
	scratch_store_dwordx2 off, v[4:5], off
	flat_load_dwordx2 v[4:5], v[6:7]
	v_add_u32_e32 v6, s4, v0
	v_ashrrev_i32_e32 v7, 31, v6
	v_lshl_add_u64 v[8:9], v[6:7], 3, s[0:1]
	v_add_u32_e32 v6, s5, v6
	v_accvgpr_write_b32 a2, v8
	v_ashrrev_i32_e32 v7, 31, v6
	v_accvgpr_write_b32 a3, v9
	s_waitcnt vmcnt(0) lgkmcnt(0)
	scratch_store_dwordx2 off, v[4:5], off offset:8
	flat_load_dwordx2 v[4:5], v[8:9]
	v_lshl_add_u64 v[8:9], v[6:7], 3, s[0:1]
	v_add_u32_e32 v6, s5, v6
	v_accvgpr_write_b32 a4, v8
	v_ashrrev_i32_e32 v7, 31, v6
	v_accvgpr_write_b32 a5, v9
	s_waitcnt vmcnt(0) lgkmcnt(0)
	scratch_store_dwordx2 off, v[4:5], off offset:16
	flat_load_dwordx2 v[4:5], v[8:9]
	;; [unrolled: 8-line block ×45, first 2 shown]
	v_lshl_add_u64 v[8:9], v[6:7], 3, s[0:1]
	v_add_u32_e32 v6, s5, v6
	v_ashrrev_i32_e32 v7, 31, v6
	v_lshl_add_u64 v[246:247], v[6:7], 3, s[0:1]
	v_add_u32_e32 v6, s5, v6
	v_ashrrev_i32_e32 v7, 31, v6
	;; [unrolled: 3-line block ×12, first 2 shown]
	v_lshl_add_u64 v[164:165], v[6:7], 3, s[0:1]
	v_accvgpr_write_b32 a93, v9
	v_accvgpr_write_b32 a92, v8
	s_mov_b64 s[4:5], -1
	s_waitcnt vmcnt(0) lgkmcnt(0)
	scratch_store_dwordx2 off, v[4:5], off offset:368
	flat_load_dwordx2 v[4:5], v[8:9]
	s_waitcnt vmcnt(0) lgkmcnt(0)
	scratch_store_dwordx2 off, v[4:5], off offset:376
	flat_load_dwordx2 v[4:5], v[246:247]
	;; [unrolled: 3-line block ×13, first 2 shown]
	s_waitcnt vmcnt(0) lgkmcnt(0)
	scratch_store_dwordx2 off, v[4:5], off offset:472
	s_cbranch_scc1 .LBB123_252
; %bb.4:
	v_cmp_eq_u32_e64 s[0:1], 0, v0
	s_and_saveexec_b64 s[4:5], s[0:1]
; %bb.5:
	v_mov_b32_e32 v1, 0
	ds_write_b32 v1, v1 offset:960
; %bb.6:
	s_or_b64 exec, exec, s[4:5]
	s_waitcnt lgkmcnt(0)
	; wave barrier
	scratch_load_dwordx2 v[4:5], v2, off
	s_waitcnt vmcnt(0)
	v_cmp_eq_f32_e32 vcc, 0, v4
	v_cmp_eq_f32_e64 s[4:5], 0, v5
	s_and_b64 s[4:5], vcc, s[4:5]
	s_and_saveexec_b64 s[12:13], s[4:5]
	s_cbranch_execz .LBB123_10
; %bb.7:
	v_mov_b32_e32 v1, 0
	ds_read_b32 v4, v1 offset:960
	v_add_u32_e32 v3, 1, v0
	s_waitcnt lgkmcnt(0)
	v_readfirstlane_b32 s4, v4
	s_cmp_eq_u32 s4, 0
	s_cselect_b64 s[14:15], -1, 0
	v_cmp_gt_i32_e32 vcc, s4, v3
	s_or_b64 s[14:15], s[14:15], vcc
	s_and_b64 exec, exec, s[14:15]
	s_cbranch_execz .LBB123_10
; %bb.8:
	s_mov_b64 s[14:15], 0
	v_mov_b32_e32 v4, s4
.LBB123_9:                              ; =>This Inner Loop Header: Depth=1
	ds_cmpst_rtn_b32 v4, v1, v4, v3 offset:960
	s_waitcnt lgkmcnt(0)
	v_cmp_ne_u32_e32 vcc, 0, v4
	v_cmp_le_i32_e64 s[4:5], v4, v3
	s_and_b64 s[4:5], vcc, s[4:5]
	s_and_b64 s[4:5], exec, s[4:5]
	s_or_b64 s[14:15], s[4:5], s[14:15]
	s_andn2_b64 exec, exec, s[14:15]
	s_cbranch_execnz .LBB123_9
.LBB123_10:
	s_or_b64 exec, exec, s[12:13]
	v_mov_b32_e32 v3, 0
	; wave barrier
	ds_read_b32 v1, v3 offset:960
	s_and_saveexec_b64 s[4:5], s[0:1]
	s_cbranch_execz .LBB123_12
; %bb.11:
	s_lshl_b64 s[12:13], s[2:3], 2
	s_add_u32 s12, s6, s12
	s_addc_u32 s13, s7, s13
	s_waitcnt lgkmcnt(0)
	global_store_dword v3, v1, s[12:13]
.LBB123_12:
	s_or_b64 exec, exec, s[4:5]
	s_waitcnt lgkmcnt(0)
	v_cmp_ne_u32_e32 vcc, 0, v1
	s_mov_b64 s[4:5], 0
	s_cbranch_vccnz .LBB123_252
; %bb.13:
	v_mov_b32_e32 v3, v2
	scratch_load_dwordx2 v[4:5], v3, off
                                        ; implicit-def: $vgpr7
                                        ; implicit-def: $vgpr8
	s_waitcnt vmcnt(0)
	v_cmp_ngt_f32_e64 s[4:5], |v4|, |v5|
	s_and_saveexec_b64 s[12:13], s[4:5]
	s_xor_b64 s[4:5], exec, s[12:13]
	s_cbranch_execz .LBB123_15
; %bb.14:
	v_div_scale_f32 v1, s[12:13], v5, v5, v4
	v_rcp_f32_e32 v6, v1
	v_div_scale_f32 v7, vcc, v4, v5, v4
	v_fma_f32 v8, -v1, v6, 1.0
	v_fmac_f32_e32 v6, v8, v6
	v_mul_f32_e32 v8, v7, v6
	v_fma_f32 v9, -v1, v8, v7
	v_fmac_f32_e32 v8, v9, v6
	v_fma_f32 v1, -v1, v8, v7
	v_div_fmas_f32 v1, v1, v6, v8
	v_div_fixup_f32 v1, v1, v5, v4
	v_fmac_f32_e32 v5, v4, v1
	v_div_scale_f32 v4, s[12:13], v5, v5, -1.0
	v_rcp_f32_e32 v6, v4
	s_nop 0
	v_fma_f32 v7, -v4, v6, 1.0
	v_fmac_f32_e32 v6, v7, v6
	v_div_scale_f32 v7, vcc, -1.0, v5, -1.0
	v_mul_f32_e32 v8, v7, v6
	v_fma_f32 v9, -v4, v8, v7
	v_fmac_f32_e32 v8, v9, v6
	v_fma_f32 v4, -v4, v8, v7
	v_div_fmas_f32 v4, v4, v6, v8
	v_div_fixup_f32 v7, v4, v5, -1.0
	v_mul_f32_e32 v8, v1, v7
	v_xor_b32_e32 v6, 0x80000000, v8
                                        ; implicit-def: $vgpr4_vgpr5
.LBB123_15:
	s_andn2_saveexec_b64 s[4:5], s[4:5]
	s_cbranch_execz .LBB123_17
; %bb.16:
	v_div_scale_f32 v1, s[12:13], v4, v4, v5
	v_rcp_f32_e32 v6, v1
	v_div_scale_f32 v7, vcc, v5, v4, v5
	v_fma_f32 v8, -v1, v6, 1.0
	v_fmac_f32_e32 v6, v8, v6
	v_mul_f32_e32 v8, v7, v6
	v_fma_f32 v9, -v1, v8, v7
	v_fmac_f32_e32 v8, v9, v6
	v_fma_f32 v1, -v1, v8, v7
	v_div_fmas_f32 v1, v1, v6, v8
	v_div_fixup_f32 v1, v1, v4, v5
	v_fmac_f32_e32 v4, v5, v1
	v_div_scale_f32 v5, s[12:13], v4, v4, 1.0
	v_rcp_f32_e32 v6, v5
	s_nop 0
	v_fma_f32 v7, -v5, v6, 1.0
	v_fmac_f32_e32 v6, v7, v6
	v_div_scale_f32 v7, vcc, 1.0, v4, 1.0
	v_mul_f32_e32 v8, v7, v6
	v_fma_f32 v9, -v5, v8, v7
	v_fmac_f32_e32 v8, v9, v6
	v_fma_f32 v5, -v5, v8, v7
	v_div_fmas_f32 v5, v5, v6, v8
	v_div_fixup_f32 v6, v5, v4, 1.0
	v_xor_b32_e32 v8, 0x80000000, v6
	v_mul_f32_e64 v7, v1, -v6
.LBB123_17:
	s_or_b64 exec, exec, s[4:5]
	scratch_store_dwordx2 v3, v[6:7], off
	scratch_load_dwordx2 v[4:5], off, off offset:8
	v_xor_b32_e32 v9, 0x80000000, v7
	v_add_u32_e32 v1, 0x1e0, v2
	s_waitcnt vmcnt(0)
	ds_write2_b64 v2, v[8:9], v[4:5] offset1:60
	s_waitcnt lgkmcnt(0)
	; wave barrier
	s_and_saveexec_b64 s[4:5], s[0:1]
	s_cbranch_execz .LBB123_19
; %bb.18:
	scratch_load_dwordx2 v[4:5], v3, off
	ds_read_b64 v[6:7], v1
	v_mov_b32_e32 v8, 0
	ds_read_b64 v[8:9], v8 offset:8
	s_waitcnt vmcnt(0) lgkmcnt(1)
	v_pk_mul_f32 v[10:11], v[6:7], v[4:5] op_sel:[1,1] op_sel_hi:[0,1]
	v_pk_fma_f32 v[12:13], v[6:7], v[4:5], v[10:11] neg_lo:[0,0,1] neg_hi:[0,0,1]
	v_pk_fma_f32 v[4:5], v[6:7], v[4:5], v[10:11] op_sel_hi:[1,0,1]
	s_nop 0
	v_mov_b32_e32 v13, v5
	v_pk_add_f32 v[4:5], v[12:13], 0 op_sel_hi:[1,0]
	s_waitcnt lgkmcnt(0)
	v_pk_mul_f32 v[6:7], v[4:5], v[8:9] op_sel:[1,1] op_sel_hi:[0,1]
	v_pk_fma_f32 v[10:11], v[4:5], v[8:9], v[6:7] neg_lo:[0,0,1] neg_hi:[0,0,1]
	v_pk_fma_f32 v[4:5], v[4:5], v[8:9], v[6:7] op_sel_hi:[1,0,1]
	s_nop 0
	v_mov_b32_e32 v11, v5
	scratch_store_dwordx2 off, v[10:11], off offset:8
.LBB123_19:
	s_or_b64 exec, exec, s[4:5]
	; wave barrier
	scratch_load_dwordx2 v[4:5], off, off offset:16
	v_cmp_gt_u32_e32 vcc, 2, v0
	s_waitcnt vmcnt(0)
	ds_write_b64 v1, v[4:5]
	s_waitcnt lgkmcnt(0)
	; wave barrier
	s_and_saveexec_b64 s[4:5], vcc
	s_cbranch_execz .LBB123_23
; %bb.20:
	scratch_load_dwordx2 v[4:5], v3, off
	ds_read_b64 v[6:7], v1
	s_waitcnt vmcnt(0) lgkmcnt(0)
	v_pk_mul_f32 v[8:9], v[6:7], v[4:5] op_sel:[1,1] op_sel_hi:[0,1]
	v_pk_fma_f32 v[10:11], v[6:7], v[4:5], v[8:9] neg_lo:[0,0,1] neg_hi:[0,0,1]
	v_pk_fma_f32 v[4:5], v[6:7], v[4:5], v[8:9] op_sel_hi:[1,0,1]
	s_nop 0
	v_mov_b32_e32 v11, v5
	v_pk_add_f32 v[4:5], v[10:11], 0 op_sel_hi:[1,0]
	s_and_saveexec_b64 s[12:13], s[0:1]
	s_cbranch_execz .LBB123_22
; %bb.21:
	scratch_load_dwordx2 v[6:7], off, off offset:8
	v_mov_b32_e32 v3, 0
	ds_read_b64 v[8:9], v3 offset:488
	s_waitcnt vmcnt(0) lgkmcnt(0)
	v_pk_mul_f32 v[10:11], v[8:9], v[6:7] op_sel:[1,1] op_sel_hi:[0,1]
	v_pk_fma_f32 v[12:13], v[8:9], v[6:7], v[10:11] neg_lo:[0,0,1] neg_hi:[0,0,1]
	v_pk_fma_f32 v[6:7], v[8:9], v[6:7], v[10:11] op_sel_hi:[1,0,1]
	s_nop 0
	v_mov_b32_e32 v13, v7
	v_pk_add_f32 v[4:5], v[4:5], v[12:13]
.LBB123_22:
	s_or_b64 exec, exec, s[12:13]
	v_mov_b32_e32 v3, 0
	ds_read_b64 v[6:7], v3 offset:16
	s_waitcnt lgkmcnt(0)
	v_pk_mul_f32 v[8:9], v[4:5], v[6:7] op_sel:[1,1] op_sel_hi:[0,1]
	v_pk_fma_f32 v[10:11], v[4:5], v[6:7], v[8:9] neg_lo:[0,0,1] neg_hi:[0,0,1]
	v_pk_fma_f32 v[4:5], v[4:5], v[6:7], v[8:9] op_sel_hi:[1,0,1]
	s_nop 0
	v_mov_b32_e32 v11, v5
	scratch_store_dwordx2 off, v[10:11], off offset:16
.LBB123_23:
	s_or_b64 exec, exec, s[4:5]
	; wave barrier
	scratch_load_dwordx2 v[4:5], off, off offset:24
	v_cmp_gt_u32_e32 vcc, 3, v0
	v_add_u32_e32 v6, -1, v0
	s_waitcnt vmcnt(0)
	ds_write_b64 v1, v[4:5]
	s_waitcnt lgkmcnt(0)
	; wave barrier
	s_and_saveexec_b64 s[0:1], vcc
	s_cbranch_execz .LBB123_27
; %bb.24:
	v_mov_b32_e32 v4, 0
	v_add_u32_e32 v3, -1, v0
	v_add_u32_e32 v7, 0x1e0, v2
	v_mov_b32_e32 v8, v2
	s_mov_b64 s[4:5], 0
	v_mov_b32_e32 v5, v4
.LBB123_25:                             ; =>This Inner Loop Header: Depth=1
	scratch_load_dwordx2 v[10:11], v8, off
	ds_read_b64 v[12:13], v7
	v_add_u32_e32 v3, 1, v3
	v_cmp_lt_u32_e32 vcc, 1, v3
	v_add_u32_e32 v7, 8, v7
	v_add_u32_e32 v8, 8, v8
	s_or_b64 s[4:5], vcc, s[4:5]
	s_waitcnt vmcnt(0) lgkmcnt(0)
	v_pk_mul_f32 v[14:15], v[12:13], v[10:11] op_sel:[1,1] op_sel_hi:[0,1]
	v_pk_fma_f32 v[16:17], v[12:13], v[10:11], v[14:15] neg_lo:[0,0,1] neg_hi:[0,0,1]
	v_pk_fma_f32 v[10:11], v[12:13], v[10:11], v[14:15] op_sel_hi:[1,0,1]
	s_nop 0
	v_mov_b32_e32 v17, v11
	v_pk_add_f32 v[4:5], v[4:5], v[16:17]
	s_andn2_b64 exec, exec, s[4:5]
	s_cbranch_execnz .LBB123_25
; %bb.26:
	s_or_b64 exec, exec, s[4:5]
	v_mov_b32_e32 v3, 0
	ds_read_b64 v[8:9], v3 offset:24
	s_waitcnt lgkmcnt(0)
	v_pk_mul_f32 v[10:11], v[4:5], v[8:9] op_sel:[1,1] op_sel_hi:[0,1]
	v_pk_fma_f32 v[12:13], v[4:5], v[8:9], v[10:11] neg_lo:[0,0,1] neg_hi:[0,0,1]
	v_pk_fma_f32 v[4:5], v[4:5], v[8:9], v[10:11] op_sel_hi:[1,0,1]
	s_nop 0
	v_mov_b32_e32 v13, v5
	scratch_store_dwordx2 off, v[12:13], off offset:24
.LBB123_27:
	s_or_b64 exec, exec, s[0:1]
	; wave barrier
	scratch_load_dwordx2 v[4:5], off, off offset:32
	v_cmp_gt_u32_e32 vcc, 4, v0
	s_waitcnt vmcnt(0)
	ds_write_b64 v1, v[4:5]
	s_waitcnt lgkmcnt(0)
	; wave barrier
	s_and_saveexec_b64 s[0:1], vcc
	s_cbranch_execz .LBB123_31
; %bb.28:
	v_mov_b32_e32 v4, 0
	v_add_u32_e32 v3, -1, v0
	v_add_u32_e32 v7, 0x1e0, v2
	v_mov_b32_e32 v8, v2
	s_mov_b64 s[4:5], 0
	v_mov_b32_e32 v5, v4
.LBB123_29:                             ; =>This Inner Loop Header: Depth=1
	scratch_load_dwordx2 v[10:11], v8, off
	ds_read_b64 v[12:13], v7
	v_add_u32_e32 v3, 1, v3
	v_cmp_lt_u32_e32 vcc, 2, v3
	v_add_u32_e32 v7, 8, v7
	v_add_u32_e32 v8, 8, v8
	s_or_b64 s[4:5], vcc, s[4:5]
	s_waitcnt vmcnt(0) lgkmcnt(0)
	v_pk_mul_f32 v[14:15], v[12:13], v[10:11] op_sel:[1,1] op_sel_hi:[0,1]
	v_pk_fma_f32 v[16:17], v[12:13], v[10:11], v[14:15] neg_lo:[0,0,1] neg_hi:[0,0,1]
	v_pk_fma_f32 v[10:11], v[12:13], v[10:11], v[14:15] op_sel_hi:[1,0,1]
	s_nop 0
	v_mov_b32_e32 v17, v11
	v_pk_add_f32 v[4:5], v[4:5], v[16:17]
	s_andn2_b64 exec, exec, s[4:5]
	s_cbranch_execnz .LBB123_29
; %bb.30:
	s_or_b64 exec, exec, s[4:5]
	v_mov_b32_e32 v3, 0
	ds_read_b64 v[8:9], v3 offset:32
	s_waitcnt lgkmcnt(0)
	v_pk_mul_f32 v[10:11], v[4:5], v[8:9] op_sel:[1,1] op_sel_hi:[0,1]
	v_pk_fma_f32 v[12:13], v[4:5], v[8:9], v[10:11] neg_lo:[0,0,1] neg_hi:[0,0,1]
	v_pk_fma_f32 v[4:5], v[4:5], v[8:9], v[10:11] op_sel_hi:[1,0,1]
	s_nop 0
	v_mov_b32_e32 v13, v5
	scratch_store_dwordx2 off, v[12:13], off offset:32
.LBB123_31:
	s_or_b64 exec, exec, s[0:1]
	; wave barrier
	scratch_load_dwordx2 v[4:5], off, off offset:40
	v_cmp_gt_u32_e32 vcc, 5, v0
	;; [unrolled: 46-line block ×19, first 2 shown]
	s_waitcnt vmcnt(0)
	ds_write_b64 v1, v[4:5]
	s_waitcnt lgkmcnt(0)
	; wave barrier
	s_and_saveexec_b64 s[0:1], vcc
	s_cbranch_execz .LBB123_103
; %bb.100:
	v_mov_b32_e32 v4, 0
	v_add_u32_e32 v3, -1, v0
	v_add_u32_e32 v7, 0x1e0, v2
	v_mov_b32_e32 v8, v2
	s_mov_b64 s[4:5], 0
	v_mov_b32_e32 v5, v4
.LBB123_101:                            ; =>This Inner Loop Header: Depth=1
	scratch_load_dwordx2 v[10:11], v8, off
	ds_read_b64 v[12:13], v7
	v_add_u32_e32 v3, 1, v3
	v_cmp_lt_u32_e32 vcc, 20, v3
	v_add_u32_e32 v7, 8, v7
	v_add_u32_e32 v8, 8, v8
	s_or_b64 s[4:5], vcc, s[4:5]
	s_waitcnt vmcnt(0) lgkmcnt(0)
	v_pk_mul_f32 v[14:15], v[12:13], v[10:11] op_sel:[1,1] op_sel_hi:[0,1]
	v_pk_fma_f32 v[16:17], v[12:13], v[10:11], v[14:15] neg_lo:[0,0,1] neg_hi:[0,0,1]
	v_pk_fma_f32 v[10:11], v[12:13], v[10:11], v[14:15] op_sel_hi:[1,0,1]
	s_nop 0
	v_mov_b32_e32 v17, v11
	v_pk_add_f32 v[4:5], v[4:5], v[16:17]
	s_andn2_b64 exec, exec, s[4:5]
	s_cbranch_execnz .LBB123_101
; %bb.102:
	s_or_b64 exec, exec, s[4:5]
	v_mov_b32_e32 v3, 0
	ds_read_b64 v[8:9], v3 offset:176
	s_waitcnt lgkmcnt(0)
	v_pk_mul_f32 v[10:11], v[4:5], v[8:9] op_sel:[1,1] op_sel_hi:[0,1]
	v_pk_fma_f32 v[12:13], v[4:5], v[8:9], v[10:11] neg_lo:[0,0,1] neg_hi:[0,0,1]
	v_pk_fma_f32 v[4:5], v[4:5], v[8:9], v[10:11] op_sel_hi:[1,0,1]
	s_nop 0
	v_mov_b32_e32 v13, v5
	scratch_store_dwordx2 off, v[12:13], off offset:176
.LBB123_103:
	s_or_b64 exec, exec, s[0:1]
	; wave barrier
	scratch_load_dwordx2 v[4:5], off, off offset:184
	v_cmp_gt_u32_e32 vcc, 23, v0
	s_waitcnt vmcnt(0)
	ds_write_b64 v1, v[4:5]
	s_waitcnt lgkmcnt(0)
	; wave barrier
	s_and_saveexec_b64 s[0:1], vcc
	s_cbranch_execz .LBB123_107
; %bb.104:
	v_mov_b32_e32 v4, 0
	v_add_u32_e32 v3, -1, v0
	v_add_u32_e32 v7, 0x1e0, v2
	v_mov_b32_e32 v8, v2
	s_mov_b64 s[4:5], 0
	v_mov_b32_e32 v5, v4
.LBB123_105:                            ; =>This Inner Loop Header: Depth=1
	scratch_load_dwordx2 v[10:11], v8, off
	ds_read_b64 v[12:13], v7
	v_add_u32_e32 v3, 1, v3
	v_cmp_lt_u32_e32 vcc, 21, v3
	v_add_u32_e32 v7, 8, v7
	v_add_u32_e32 v8, 8, v8
	s_or_b64 s[4:5], vcc, s[4:5]
	s_waitcnt vmcnt(0) lgkmcnt(0)
	v_pk_mul_f32 v[14:15], v[12:13], v[10:11] op_sel:[1,1] op_sel_hi:[0,1]
	v_pk_fma_f32 v[16:17], v[12:13], v[10:11], v[14:15] neg_lo:[0,0,1] neg_hi:[0,0,1]
	v_pk_fma_f32 v[10:11], v[12:13], v[10:11], v[14:15] op_sel_hi:[1,0,1]
	s_nop 0
	v_mov_b32_e32 v17, v11
	v_pk_add_f32 v[4:5], v[4:5], v[16:17]
	s_andn2_b64 exec, exec, s[4:5]
	s_cbranch_execnz .LBB123_105
; %bb.106:
	s_or_b64 exec, exec, s[4:5]
	v_mov_b32_e32 v3, 0
	ds_read_b64 v[8:9], v3 offset:184
	s_waitcnt lgkmcnt(0)
	v_pk_mul_f32 v[10:11], v[4:5], v[8:9] op_sel:[1,1] op_sel_hi:[0,1]
	v_pk_fma_f32 v[12:13], v[4:5], v[8:9], v[10:11] neg_lo:[0,0,1] neg_hi:[0,0,1]
	v_pk_fma_f32 v[4:5], v[4:5], v[8:9], v[10:11] op_sel_hi:[1,0,1]
	s_nop 0
	v_mov_b32_e32 v13, v5
	scratch_store_dwordx2 off, v[12:13], off offset:184
.LBB123_107:
	s_or_b64 exec, exec, s[0:1]
	; wave barrier
	scratch_load_dwordx2 v[4:5], off, off offset:192
	v_cmp_gt_u32_e32 vcc, 24, v0
	;; [unrolled: 46-line block ×36, first 2 shown]
	s_waitcnt vmcnt(0)
	ds_write_b64 v1, v[4:5]
	s_waitcnt lgkmcnt(0)
	; wave barrier
	s_and_saveexec_b64 s[0:1], vcc
	s_cbranch_execz .LBB123_247
; %bb.244:
	v_mov_b32_e32 v4, 0
	v_add_u32_e32 v3, -1, v0
	v_add_u32_e32 v7, 0x1e0, v2
	v_mov_b32_e32 v8, v2
	s_mov_b64 s[4:5], 0
	v_mov_b32_e32 v5, v4
.LBB123_245:                            ; =>This Inner Loop Header: Depth=1
	scratch_load_dwordx2 v[10:11], v8, off
	ds_read_b64 v[12:13], v7
	v_add_u32_e32 v3, 1, v3
	v_cmp_lt_u32_e32 vcc, 56, v3
	v_add_u32_e32 v7, 8, v7
	v_add_u32_e32 v8, 8, v8
	s_or_b64 s[4:5], vcc, s[4:5]
	s_waitcnt vmcnt(0) lgkmcnt(0)
	v_pk_mul_f32 v[14:15], v[12:13], v[10:11] op_sel:[1,1] op_sel_hi:[0,1]
	v_pk_fma_f32 v[16:17], v[12:13], v[10:11], v[14:15] neg_lo:[0,0,1] neg_hi:[0,0,1]
	v_pk_fma_f32 v[10:11], v[12:13], v[10:11], v[14:15] op_sel_hi:[1,0,1]
	s_nop 0
	v_mov_b32_e32 v17, v11
	v_pk_add_f32 v[4:5], v[4:5], v[16:17]
	s_andn2_b64 exec, exec, s[4:5]
	s_cbranch_execnz .LBB123_245
; %bb.246:
	s_or_b64 exec, exec, s[4:5]
	v_mov_b32_e32 v3, 0
	ds_read_b64 v[8:9], v3 offset:464
	s_waitcnt lgkmcnt(0)
	v_pk_mul_f32 v[10:11], v[4:5], v[8:9] op_sel:[1,1] op_sel_hi:[0,1]
	v_pk_fma_f32 v[12:13], v[4:5], v[8:9], v[10:11] neg_lo:[0,0,1] neg_hi:[0,0,1]
	v_pk_fma_f32 v[4:5], v[4:5], v[8:9], v[10:11] op_sel_hi:[1,0,1]
	s_nop 0
	v_mov_b32_e32 v13, v5
	scratch_store_dwordx2 off, v[12:13], off offset:464
.LBB123_247:
	s_or_b64 exec, exec, s[0:1]
	; wave barrier
	scratch_load_dwordx2 v[4:5], off, off offset:472
	v_cmp_ne_u32_e32 vcc, 59, v0
	s_waitcnt vmcnt(0)
	ds_write_b64 v1, v[4:5]
	s_waitcnt lgkmcnt(0)
	; wave barrier
	s_and_saveexec_b64 s[0:1], vcc
	s_cbranch_execz .LBB123_251
; %bb.248:
	v_add_u32_e32 v1, 0x1e0, v2
	v_mov_b32_e32 v4, v2
	v_mov_b32_e32 v2, 0
	s_mov_b64 s[4:5], 0
	v_mov_b32_e32 v3, v2
.LBB123_249:                            ; =>This Inner Loop Header: Depth=1
	scratch_load_dwordx2 v[8:9], v4, off
	ds_read_b64 v[10:11], v1
	v_add_u32_e32 v6, 1, v6
	v_cmp_lt_u32_e32 vcc, 57, v6
	v_add_u32_e32 v1, 8, v1
	v_add_u32_e32 v4, 8, v4
	s_or_b64 s[4:5], vcc, s[4:5]
	s_waitcnt vmcnt(0) lgkmcnt(0)
	v_pk_mul_f32 v[12:13], v[10:11], v[8:9] op_sel:[1,1] op_sel_hi:[0,1]
	v_pk_fma_f32 v[14:15], v[10:11], v[8:9], v[12:13] neg_lo:[0,0,1] neg_hi:[0,0,1]
	v_pk_fma_f32 v[8:9], v[10:11], v[8:9], v[12:13] op_sel_hi:[1,0,1]
	s_nop 0
	v_mov_b32_e32 v15, v9
	v_pk_add_f32 v[2:3], v[2:3], v[14:15]
	s_andn2_b64 exec, exec, s[4:5]
	s_cbranch_execnz .LBB123_249
; %bb.250:
	s_or_b64 exec, exec, s[4:5]
	v_mov_b32_e32 v1, 0
	ds_read_b64 v[4:5], v1 offset:472
	s_waitcnt lgkmcnt(0)
	v_pk_mul_f32 v[6:7], v[2:3], v[4:5] op_sel:[1,1] op_sel_hi:[0,1]
	v_pk_fma_f32 v[8:9], v[2:3], v[4:5], v[6:7] neg_lo:[0,0,1] neg_hi:[0,0,1]
	v_pk_fma_f32 v[2:3], v[2:3], v[4:5], v[6:7] op_sel_hi:[1,0,1]
	s_nop 0
	v_mov_b32_e32 v9, v3
	scratch_store_dwordx2 off, v[8:9], off offset:472
.LBB123_251:
	s_or_b64 exec, exec, s[0:1]
	s_mov_b64 s[4:5], -1
	; wave barrier
.LBB123_252:
	s_and_b64 vcc, exec, s[4:5]
	s_cbranch_vccz .LBB123_254
; %bb.253:
	s_lshl_b64 s[0:1], s[2:3], 2
	s_add_u32 s0, s6, s0
	s_addc_u32 s1, s7, s1
	v_mov_b32_e32 v1, 0
	global_load_dword v1, v1, s[0:1]
	s_waitcnt vmcnt(0)
	v_cmp_ne_u32_e32 vcc, 0, v1
	s_cbranch_vccz .LBB123_255
.LBB123_254:
	s_endpgm
.LBB123_255:
	v_mov_b32_e32 v1, 0x1e0
	v_lshl_add_u32 v1, v0, 3, v1
	v_cmp_eq_u32_e32 vcc, 59, v0
	s_and_saveexec_b64 s[0:1], vcc
	s_cbranch_execz .LBB123_257
; %bb.256:
	scratch_load_dwordx2 v[2:3], off, off offset:464
	v_mov_b32_e32 v4, 0
	v_mov_b32_e32 v5, v4
	scratch_store_dwordx2 off, v[4:5], off offset:464
	s_waitcnt vmcnt(1)
	ds_write_b64 v1, v[2:3]
.LBB123_257:
	s_or_b64 exec, exec, s[0:1]
	s_waitcnt lgkmcnt(0)
	; wave barrier
	scratch_load_dwordx2 v[4:5], off, off offset:472
	scratch_load_dwordx2 v[6:7], off, off offset:464
	v_mov_b32_e32 v2, 0
	ds_read_b64 v[8:9], v2 offset:952
	v_cmp_lt_u32_e32 vcc, 57, v0
	s_waitcnt vmcnt(1) lgkmcnt(0)
	v_pk_mul_f32 v[10:11], v[8:9], v[4:5] op_sel:[1,1] op_sel_hi:[0,1]
	v_pk_fma_f32 v[12:13], v[8:9], v[4:5], v[10:11] neg_lo:[0,0,1] neg_hi:[0,0,1]
	v_pk_fma_f32 v[4:5], v[8:9], v[4:5], v[10:11] op_sel_hi:[1,0,1]
	s_nop 0
	v_mov_b32_e32 v13, v5
	v_pk_add_f32 v[4:5], v[12:13], 0 op_sel_hi:[1,0]
	s_waitcnt vmcnt(0)
	v_pk_add_f32 v[4:5], v[6:7], v[4:5] neg_lo:[0,1] neg_hi:[0,1]
	scratch_store_dwordx2 off, v[4:5], off offset:464
	s_and_saveexec_b64 s[0:1], vcc
	s_cbranch_execz .LBB123_259
; %bb.258:
	scratch_load_dwordx2 v[4:5], off, off offset:456
	v_mov_b32_e32 v3, v2
	scratch_store_dwordx2 off, v[2:3], off offset:456
	s_waitcnt vmcnt(1)
	ds_write_b64 v1, v[4:5]
.LBB123_259:
	s_or_b64 exec, exec, s[0:1]
	s_waitcnt lgkmcnt(0)
	; wave barrier
	scratch_load_dwordx4 v[4:7], off, off offset:464
	scratch_load_dwordx2 v[12:13], off, off offset:456
	ds_read_b128 v[8:11], v2 offset:944
	v_cmp_lt_u32_e32 vcc, 56, v0
	s_waitcnt vmcnt(1) lgkmcnt(0)
	v_pk_mul_f32 v[2:3], v[8:9], v[4:5] op_sel:[1,1] op_sel_hi:[0,1]
	v_mov_b32_e32 v14, v7
	v_pk_fma_f32 v[16:17], v[8:9], v[4:5], v[2:3] neg_lo:[0,0,1] neg_hi:[0,0,1]
	v_pk_fma_f32 v[2:3], v[8:9], v[4:5], v[2:3] op_sel_hi:[1,0,1]
	v_pk_mul_f32 v[4:5], v[10:11], v[14:15] op_sel:[1,0] op_sel_hi:[0,0]
	v_mov_b32_e32 v17, v3
	v_pk_fma_f32 v[2:3], v[10:11], v[6:7], v[4:5] neg_lo:[0,0,1] neg_hi:[0,0,1]
	v_pk_fma_f32 v[4:5], v[10:11], v[6:7], v[4:5] op_sel_hi:[1,0,1]
	v_pk_add_f32 v[6:7], v[16:17], 0 op_sel_hi:[1,0]
	v_mov_b32_e32 v3, v5
	v_pk_add_f32 v[2:3], v[6:7], v[2:3]
	s_waitcnt vmcnt(0)
	v_pk_add_f32 v[2:3], v[12:13], v[2:3] neg_lo:[0,1] neg_hi:[0,1]
	scratch_store_dwordx2 off, v[2:3], off offset:456
	s_and_saveexec_b64 s[0:1], vcc
	s_cbranch_execz .LBB123_261
; %bb.260:
	scratch_load_dwordx2 v[2:3], off, off offset:448
	v_mov_b32_e32 v4, 0
	v_mov_b32_e32 v5, v4
	scratch_store_dwordx2 off, v[4:5], off offset:448
	s_waitcnt vmcnt(1)
	ds_write_b64 v1, v[2:3]
.LBB123_261:
	s_or_b64 exec, exec, s[0:1]
	s_waitcnt lgkmcnt(0)
	; wave barrier
	scratch_load_dwordx4 v[4:7], off, off offset:456
	scratch_load_dwordx2 v[12:13], off, off offset:472
	scratch_load_dwordx2 v[14:15], off, off offset:448
	v_mov_b32_e32 v2, 0
	ds_read2_b64 v[8:11], v2 offset0:117 offset1:118
	ds_read_b64 v[16:17], v2 offset:952
	v_cmp_lt_u32_e32 vcc, 55, v0
	s_waitcnt vmcnt(2) lgkmcnt(1)
	v_pk_mul_f32 v[18:19], v[8:9], v[4:5] op_sel:[1,1] op_sel_hi:[0,1]
	v_mov_b32_e32 v20, v7
	v_pk_fma_f32 v[24:25], v[8:9], v[4:5], v[18:19] neg_lo:[0,0,1] neg_hi:[0,0,1]
	v_pk_fma_f32 v[4:5], v[8:9], v[4:5], v[18:19] op_sel_hi:[1,0,1]
	v_pk_mul_f32 v[8:9], v[10:11], v[20:21] op_sel:[1,0] op_sel_hi:[0,0]
	s_waitcnt vmcnt(1) lgkmcnt(0)
	v_pk_mul_f32 v[22:23], v[16:17], v[12:13] op_sel:[1,1] op_sel_hi:[0,1]
	v_mov_b32_e32 v25, v5
	v_pk_fma_f32 v[4:5], v[10:11], v[6:7], v[8:9] neg_lo:[0,0,1] neg_hi:[0,0,1]
	v_pk_fma_f32 v[6:7], v[10:11], v[6:7], v[8:9] op_sel_hi:[1,0,1]
	v_pk_fma_f32 v[18:19], v[16:17], v[12:13], v[22:23] neg_lo:[0,0,1] neg_hi:[0,0,1]
	v_pk_fma_f32 v[12:13], v[16:17], v[12:13], v[22:23] op_sel_hi:[1,0,1]
	v_pk_add_f32 v[8:9], v[24:25], 0 op_sel_hi:[1,0]
	v_mov_b32_e32 v5, v7
	v_mov_b32_e32 v19, v13
	v_pk_add_f32 v[4:5], v[8:9], v[4:5]
	s_nop 0
	v_pk_add_f32 v[4:5], v[4:5], v[18:19]
	s_waitcnt vmcnt(0)
	v_pk_add_f32 v[4:5], v[14:15], v[4:5] neg_lo:[0,1] neg_hi:[0,1]
	scratch_store_dwordx2 off, v[4:5], off offset:448
	s_and_saveexec_b64 s[0:1], vcc
	s_cbranch_execz .LBB123_263
; %bb.262:
	scratch_load_dwordx2 v[4:5], off, off offset:440
	v_mov_b32_e32 v3, v2
	scratch_store_dwordx2 off, v[2:3], off offset:440
	s_waitcnt vmcnt(1)
	ds_write_b64 v1, v[4:5]
.LBB123_263:
	s_or_b64 exec, exec, s[0:1]
	s_waitcnt lgkmcnt(0)
	; wave barrier
	scratch_load_dwordx4 v[4:7], off, off offset:448
	scratch_load_dwordx4 v[8:11], off, off offset:464
	scratch_load_dwordx2 v[20:21], off, off offset:440
	ds_read_b128 v[12:15], v2 offset:928
	ds_read_b128 v[16:19], v2 offset:944
	v_cmp_lt_u32_e32 vcc, 54, v0
	s_waitcnt vmcnt(2) lgkmcnt(1)
	v_pk_mul_f32 v[2:3], v[12:13], v[4:5] op_sel:[1,1] op_sel_hi:[0,1]
	v_mov_b32_e32 v22, v7
	s_waitcnt vmcnt(1) lgkmcnt(0)
	v_pk_mul_f32 v[24:25], v[16:17], v[8:9] op_sel:[1,1] op_sel_hi:[0,1]
	v_mov_b32_e32 v26, v11
	v_pk_fma_f32 v[28:29], v[12:13], v[4:5], v[2:3] neg_lo:[0,0,1] neg_hi:[0,0,1]
	v_pk_fma_f32 v[2:3], v[12:13], v[4:5], v[2:3] op_sel_hi:[1,0,1]
	v_pk_mul_f32 v[4:5], v[14:15], v[22:23] op_sel:[1,0] op_sel_hi:[0,0]
	v_pk_fma_f32 v[12:13], v[16:17], v[8:9], v[24:25] neg_lo:[0,0,1] neg_hi:[0,0,1]
	v_pk_fma_f32 v[8:9], v[16:17], v[8:9], v[24:25] op_sel_hi:[1,0,1]
	v_pk_mul_f32 v[16:17], v[18:19], v[26:27] op_sel:[1,0] op_sel_hi:[0,0]
	v_mov_b32_e32 v29, v3
	v_pk_fma_f32 v[2:3], v[14:15], v[6:7], v[4:5] neg_lo:[0,0,1] neg_hi:[0,0,1]
	v_pk_fma_f32 v[4:5], v[14:15], v[6:7], v[4:5] op_sel_hi:[1,0,1]
	v_mov_b32_e32 v13, v9
	v_pk_fma_f32 v[6:7], v[18:19], v[10:11], v[16:17] neg_lo:[0,0,1] neg_hi:[0,0,1]
	v_pk_fma_f32 v[8:9], v[18:19], v[10:11], v[16:17] op_sel_hi:[1,0,1]
	v_pk_add_f32 v[10:11], v[28:29], 0 op_sel_hi:[1,0]
	v_mov_b32_e32 v3, v5
	v_pk_add_f32 v[2:3], v[10:11], v[2:3]
	v_mov_b32_e32 v7, v9
	v_pk_add_f32 v[2:3], v[2:3], v[12:13]
	s_nop 0
	v_pk_add_f32 v[2:3], v[2:3], v[6:7]
	s_waitcnt vmcnt(0)
	v_pk_add_f32 v[2:3], v[20:21], v[2:3] neg_lo:[0,1] neg_hi:[0,1]
	scratch_store_dwordx2 off, v[2:3], off offset:440
	s_and_saveexec_b64 s[0:1], vcc
	s_cbranch_execz .LBB123_265
; %bb.264:
	scratch_load_dwordx2 v[2:3], off, off offset:432
	v_mov_b32_e32 v4, 0
	v_mov_b32_e32 v5, v4
	scratch_store_dwordx2 off, v[4:5], off offset:432
	s_waitcnt vmcnt(1)
	ds_write_b64 v1, v[2:3]
.LBB123_265:
	s_or_b64 exec, exec, s[0:1]
	s_waitcnt lgkmcnt(0)
	; wave barrier
	scratch_load_dwordx4 v[4:7], off, off offset:440
	scratch_load_dwordx4 v[8:11], off, off offset:456
	scratch_load_dwordx2 v[20:21], off, off offset:472
	scratch_load_dwordx2 v[22:23], off, off offset:432
	v_mov_b32_e32 v2, 0
	ds_read2_b64 v[12:15], v2 offset0:115 offset1:116
	ds_read2_b64 v[16:19], v2 offset0:117 offset1:118
	ds_read_b64 v[24:25], v2 offset:952
	v_cmp_lt_u32_e32 vcc, 53, v0
	s_waitcnt vmcnt(3) lgkmcnt(2)
	v_pk_mul_f32 v[26:27], v[12:13], v[4:5] op_sel:[1,1] op_sel_hi:[0,1]
	v_mov_b32_e32 v28, v7
	v_pk_fma_f32 v[36:37], v[12:13], v[4:5], v[26:27] neg_lo:[0,0,1] neg_hi:[0,0,1]
	v_pk_fma_f32 v[4:5], v[12:13], v[4:5], v[26:27] op_sel_hi:[1,0,1]
	v_pk_mul_f32 v[12:13], v[14:15], v[28:29] op_sel:[1,0] op_sel_hi:[0,0]
	s_waitcnt vmcnt(2) lgkmcnt(1)
	v_pk_mul_f32 v[30:31], v[16:17], v[8:9] op_sel:[1,1] op_sel_hi:[0,1]
	v_mov_b32_e32 v32, v11
	v_mov_b32_e32 v37, v5
	v_pk_fma_f32 v[4:5], v[14:15], v[6:7], v[12:13] neg_lo:[0,0,1] neg_hi:[0,0,1]
	v_pk_fma_f32 v[6:7], v[14:15], v[6:7], v[12:13] op_sel_hi:[1,0,1]
	v_pk_fma_f32 v[26:27], v[16:17], v[8:9], v[30:31] neg_lo:[0,0,1] neg_hi:[0,0,1]
	v_pk_fma_f32 v[8:9], v[16:17], v[8:9], v[30:31] op_sel_hi:[1,0,1]
	v_pk_mul_f32 v[16:17], v[18:19], v[32:33] op_sel:[1,0] op_sel_hi:[0,0]
	v_pk_add_f32 v[12:13], v[36:37], 0 op_sel_hi:[1,0]
	v_mov_b32_e32 v5, v7
	s_waitcnt vmcnt(1) lgkmcnt(0)
	v_pk_mul_f32 v[34:35], v[24:25], v[20:21] op_sel:[1,1] op_sel_hi:[0,1]
	v_mov_b32_e32 v27, v9
	v_pk_fma_f32 v[8:9], v[18:19], v[10:11], v[16:17] neg_lo:[0,0,1] neg_hi:[0,0,1]
	v_pk_fma_f32 v[10:11], v[18:19], v[10:11], v[16:17] op_sel_hi:[1,0,1]
	v_pk_add_f32 v[4:5], v[12:13], v[4:5]
	v_pk_fma_f32 v[28:29], v[24:25], v[20:21], v[34:35] neg_lo:[0,0,1] neg_hi:[0,0,1]
	v_pk_fma_f32 v[20:21], v[24:25], v[20:21], v[34:35] op_sel_hi:[1,0,1]
	v_mov_b32_e32 v9, v11
	v_pk_add_f32 v[4:5], v[4:5], v[26:27]
	v_mov_b32_e32 v29, v21
	v_pk_add_f32 v[4:5], v[4:5], v[8:9]
	s_nop 0
	v_pk_add_f32 v[4:5], v[4:5], v[28:29]
	s_waitcnt vmcnt(0)
	v_pk_add_f32 v[4:5], v[22:23], v[4:5] neg_lo:[0,1] neg_hi:[0,1]
	scratch_store_dwordx2 off, v[4:5], off offset:432
	s_and_saveexec_b64 s[0:1], vcc
	s_cbranch_execz .LBB123_267
; %bb.266:
	scratch_load_dwordx2 v[4:5], off, off offset:424
	v_mov_b32_e32 v3, v2
	scratch_store_dwordx2 off, v[2:3], off offset:424
	s_waitcnt vmcnt(1)
	ds_write_b64 v1, v[4:5]
.LBB123_267:
	s_or_b64 exec, exec, s[0:1]
	s_waitcnt lgkmcnt(0)
	; wave barrier
	scratch_load_dwordx4 v[4:7], off, off offset:432
	scratch_load_dwordx4 v[8:11], off, off offset:448
	;; [unrolled: 1-line block ×3, first 2 shown]
	scratch_load_dwordx2 v[28:29], off, off offset:424
	ds_read_b128 v[16:19], v2 offset:912
	ds_read_b128 v[20:23], v2 offset:928
	;; [unrolled: 1-line block ×3, first 2 shown]
	v_cmp_lt_u32_e32 vcc, 52, v0
	s_waitcnt vmcnt(3) lgkmcnt(2)
	v_pk_mul_f32 v[2:3], v[16:17], v[4:5] op_sel:[1,1] op_sel_hi:[0,1]
	v_mov_b32_e32 v30, v7
	s_waitcnt vmcnt(2) lgkmcnt(1)
	v_pk_mul_f32 v[32:33], v[20:21], v[8:9] op_sel:[1,1] op_sel_hi:[0,1]
	v_mov_b32_e32 v34, v11
	;; [unrolled: 3-line block ×3, first 2 shown]
	v_pk_fma_f32 v[40:41], v[16:17], v[4:5], v[2:3] neg_lo:[0,0,1] neg_hi:[0,0,1]
	v_pk_fma_f32 v[2:3], v[16:17], v[4:5], v[2:3] op_sel_hi:[1,0,1]
	v_pk_mul_f32 v[4:5], v[18:19], v[30:31] op_sel:[1,0] op_sel_hi:[0,0]
	v_pk_fma_f32 v[16:17], v[20:21], v[8:9], v[32:33] neg_lo:[0,0,1] neg_hi:[0,0,1]
	v_pk_fma_f32 v[8:9], v[20:21], v[8:9], v[32:33] op_sel_hi:[1,0,1]
	v_pk_mul_f32 v[20:21], v[22:23], v[34:35] op_sel:[1,0] op_sel_hi:[0,0]
	v_pk_fma_f32 v[30:31], v[24:25], v[12:13], v[36:37] neg_lo:[0,0,1] neg_hi:[0,0,1]
	v_pk_fma_f32 v[12:13], v[24:25], v[12:13], v[36:37] op_sel_hi:[1,0,1]
	v_pk_mul_f32 v[24:25], v[26:27], v[38:39] op_sel:[1,0] op_sel_hi:[0,0]
	v_mov_b32_e32 v41, v3
	v_pk_fma_f32 v[2:3], v[18:19], v[6:7], v[4:5] neg_lo:[0,0,1] neg_hi:[0,0,1]
	v_pk_fma_f32 v[4:5], v[18:19], v[6:7], v[4:5] op_sel_hi:[1,0,1]
	v_mov_b32_e32 v17, v9
	v_pk_fma_f32 v[6:7], v[22:23], v[10:11], v[20:21] neg_lo:[0,0,1] neg_hi:[0,0,1]
	v_pk_fma_f32 v[8:9], v[22:23], v[10:11], v[20:21] op_sel_hi:[1,0,1]
	;; [unrolled: 3-line block ×3, first 2 shown]
	v_pk_add_f32 v[14:15], v[40:41], 0 op_sel_hi:[1,0]
	v_mov_b32_e32 v3, v5
	v_pk_add_f32 v[2:3], v[14:15], v[2:3]
	v_mov_b32_e32 v7, v9
	v_pk_add_f32 v[2:3], v[2:3], v[16:17]
	;; [unrolled: 2-line block ×3, first 2 shown]
	s_nop 0
	v_pk_add_f32 v[2:3], v[2:3], v[30:31]
	s_nop 0
	v_pk_add_f32 v[2:3], v[2:3], v[10:11]
	s_waitcnt vmcnt(0)
	v_pk_add_f32 v[2:3], v[28:29], v[2:3] neg_lo:[0,1] neg_hi:[0,1]
	scratch_store_dwordx2 off, v[2:3], off offset:424
	s_and_saveexec_b64 s[0:1], vcc
	s_cbranch_execz .LBB123_269
; %bb.268:
	scratch_load_dwordx2 v[2:3], off, off offset:416
	v_mov_b32_e32 v4, 0
	v_mov_b32_e32 v5, v4
	scratch_store_dwordx2 off, v[4:5], off offset:416
	s_waitcnt vmcnt(1)
	ds_write_b64 v1, v[2:3]
.LBB123_269:
	s_or_b64 exec, exec, s[0:1]
	s_waitcnt lgkmcnt(0)
	; wave barrier
	scratch_load_dwordx4 v[4:7], off, off offset:424
	scratch_load_dwordx4 v[8:11], off, off offset:440
	;; [unrolled: 1-line block ×3, first 2 shown]
	scratch_load_dwordx2 v[28:29], off, off offset:472
	scratch_load_dwordx2 v[30:31], off, off offset:416
	v_mov_b32_e32 v2, 0
	ds_read2_b64 v[16:19], v2 offset0:113 offset1:114
	ds_read2_b64 v[20:23], v2 offset0:115 offset1:116
	;; [unrolled: 1-line block ×3, first 2 shown]
	ds_read_b64 v[32:33], v2 offset:952
	v_cmp_lt_u32_e32 vcc, 51, v0
	s_waitcnt vmcnt(4) lgkmcnt(3)
	v_pk_mul_f32 v[34:35], v[16:17], v[4:5] op_sel:[1,1] op_sel_hi:[0,1]
	v_mov_b32_e32 v36, v7
	v_pk_fma_f32 v[48:49], v[16:17], v[4:5], v[34:35] neg_lo:[0,0,1] neg_hi:[0,0,1]
	v_pk_fma_f32 v[4:5], v[16:17], v[4:5], v[34:35] op_sel_hi:[1,0,1]
	v_pk_mul_f32 v[16:17], v[18:19], v[36:37] op_sel:[1,0] op_sel_hi:[0,0]
	s_waitcnt vmcnt(3) lgkmcnt(2)
	v_pk_mul_f32 v[38:39], v[20:21], v[8:9] op_sel:[1,1] op_sel_hi:[0,1]
	v_mov_b32_e32 v40, v11
	v_mov_b32_e32 v49, v5
	v_pk_fma_f32 v[4:5], v[18:19], v[6:7], v[16:17] neg_lo:[0,0,1] neg_hi:[0,0,1]
	v_pk_fma_f32 v[6:7], v[18:19], v[6:7], v[16:17] op_sel_hi:[1,0,1]
	v_pk_fma_f32 v[34:35], v[20:21], v[8:9], v[38:39] neg_lo:[0,0,1] neg_hi:[0,0,1]
	v_pk_fma_f32 v[8:9], v[20:21], v[8:9], v[38:39] op_sel_hi:[1,0,1]
	v_pk_mul_f32 v[20:21], v[22:23], v[40:41] op_sel:[1,0] op_sel_hi:[0,0]
	v_pk_add_f32 v[16:17], v[48:49], 0 op_sel_hi:[1,0]
	v_mov_b32_e32 v5, v7
	s_waitcnt vmcnt(2) lgkmcnt(1)
	v_pk_mul_f32 v[42:43], v[24:25], v[12:13] op_sel:[1,1] op_sel_hi:[0,1]
	v_mov_b32_e32 v44, v15
	v_mov_b32_e32 v35, v9
	v_pk_fma_f32 v[8:9], v[22:23], v[10:11], v[20:21] neg_lo:[0,0,1] neg_hi:[0,0,1]
	v_pk_fma_f32 v[10:11], v[22:23], v[10:11], v[20:21] op_sel_hi:[1,0,1]
	v_pk_add_f32 v[4:5], v[16:17], v[4:5]
	v_pk_fma_f32 v[36:37], v[24:25], v[12:13], v[42:43] neg_lo:[0,0,1] neg_hi:[0,0,1]
	v_pk_fma_f32 v[12:13], v[24:25], v[12:13], v[42:43] op_sel_hi:[1,0,1]
	v_pk_mul_f32 v[24:25], v[26:27], v[44:45] op_sel:[1,0] op_sel_hi:[0,0]
	v_mov_b32_e32 v9, v11
	v_pk_add_f32 v[4:5], v[4:5], v[34:35]
	s_waitcnt vmcnt(1) lgkmcnt(0)
	v_pk_mul_f32 v[46:47], v[32:33], v[28:29] op_sel:[1,1] op_sel_hi:[0,1]
	v_mov_b32_e32 v37, v13
	v_pk_fma_f32 v[12:13], v[26:27], v[14:15], v[24:25] neg_lo:[0,0,1] neg_hi:[0,0,1]
	v_pk_fma_f32 v[14:15], v[26:27], v[14:15], v[24:25] op_sel_hi:[1,0,1]
	v_pk_add_f32 v[4:5], v[4:5], v[8:9]
	v_pk_fma_f32 v[38:39], v[32:33], v[28:29], v[46:47] neg_lo:[0,0,1] neg_hi:[0,0,1]
	v_pk_fma_f32 v[28:29], v[32:33], v[28:29], v[46:47] op_sel_hi:[1,0,1]
	v_mov_b32_e32 v13, v15
	v_pk_add_f32 v[4:5], v[4:5], v[36:37]
	v_mov_b32_e32 v39, v29
	v_pk_add_f32 v[4:5], v[4:5], v[12:13]
	s_nop 0
	v_pk_add_f32 v[4:5], v[4:5], v[38:39]
	s_waitcnt vmcnt(0)
	v_pk_add_f32 v[4:5], v[30:31], v[4:5] neg_lo:[0,1] neg_hi:[0,1]
	scratch_store_dwordx2 off, v[4:5], off offset:416
	s_and_saveexec_b64 s[0:1], vcc
	s_cbranch_execz .LBB123_271
; %bb.270:
	scratch_load_dwordx2 v[4:5], off, off offset:408
	v_mov_b32_e32 v3, v2
	scratch_store_dwordx2 off, v[2:3], off offset:408
	s_waitcnt vmcnt(1)
	ds_write_b64 v1, v[4:5]
.LBB123_271:
	s_or_b64 exec, exec, s[0:1]
	s_waitcnt lgkmcnt(0)
	; wave barrier
	scratch_load_dwordx4 v[4:7], off, off offset:416
	scratch_load_dwordx4 v[8:11], off, off offset:432
	;; [unrolled: 1-line block ×4, first 2 shown]
	ds_read_b128 v[20:23], v2 offset:896
	ds_read_b128 v[24:27], v2 offset:912
	;; [unrolled: 1-line block ×4, first 2 shown]
	v_cmp_lt_u32_e32 vcc, 50, v0
	s_waitcnt vmcnt(3) lgkmcnt(3)
	v_pk_mul_f32 v[2:3], v[20:21], v[4:5] op_sel:[1,1] op_sel_hi:[0,1]
	v_pk_fma_f32 v[36:37], v[20:21], v[4:5], v[2:3] neg_lo:[0,0,1] neg_hi:[0,0,1]
	v_pk_fma_f32 v[2:3], v[20:21], v[4:5], v[2:3] op_sel_hi:[1,0,1]
	v_mov_b32_e32 v4, v7
	v_pk_mul_f32 v[4:5], v[22:23], v[4:5] op_sel:[1,0] op_sel_hi:[0,0]
	v_pk_fma_f32 v[20:21], v[22:23], v[6:7], v[4:5] neg_lo:[0,0,1] neg_hi:[0,0,1]
	v_pk_fma_f32 v[4:5], v[22:23], v[6:7], v[4:5] op_sel_hi:[1,0,1]
	v_mov_b32_e32 v37, v3
	v_mov_b32_e32 v21, v5
	s_waitcnt vmcnt(2) lgkmcnt(2)
	v_pk_mul_f32 v[4:5], v[24:25], v[8:9] op_sel:[1,1] op_sel_hi:[0,1]
	v_pk_fma_f32 v[6:7], v[24:25], v[8:9], v[4:5] neg_lo:[0,0,1] neg_hi:[0,0,1]
	v_pk_fma_f32 v[4:5], v[24:25], v[8:9], v[4:5] op_sel_hi:[1,0,1]
	v_pk_add_f32 v[2:3], v[36:37], 0 op_sel_hi:[1,0]
	v_mov_b32_e32 v4, v11
	v_pk_add_f32 v[2:3], v[2:3], v[20:21]
	v_mov_b32_e32 v7, v5
	v_pk_mul_f32 v[4:5], v[26:27], v[4:5] op_sel:[1,0] op_sel_hi:[0,0]
	v_pk_add_f32 v[2:3], v[2:3], v[6:7]
	v_pk_fma_f32 v[6:7], v[26:27], v[10:11], v[4:5] neg_lo:[0,0,1] neg_hi:[0,0,1]
	v_pk_fma_f32 v[4:5], v[26:27], v[10:11], v[4:5] op_sel_hi:[1,0,1]
	s_nop 0
	v_mov_b32_e32 v7, v5
	s_waitcnt vmcnt(1) lgkmcnt(1)
	v_pk_mul_f32 v[4:5], v[28:29], v[12:13] op_sel:[1,1] op_sel_hi:[0,1]
	v_pk_add_f32 v[2:3], v[2:3], v[6:7]
	v_pk_fma_f32 v[6:7], v[28:29], v[12:13], v[4:5] neg_lo:[0,0,1] neg_hi:[0,0,1]
	v_pk_fma_f32 v[4:5], v[28:29], v[12:13], v[4:5] op_sel_hi:[1,0,1]
	s_nop 0
	v_mov_b32_e32 v4, v15
	v_mov_b32_e32 v7, v5
	v_pk_mul_f32 v[4:5], v[30:31], v[4:5] op_sel:[1,0] op_sel_hi:[0,0]
	v_pk_add_f32 v[2:3], v[2:3], v[6:7]
	v_pk_fma_f32 v[6:7], v[30:31], v[14:15], v[4:5] neg_lo:[0,0,1] neg_hi:[0,0,1]
	v_pk_fma_f32 v[4:5], v[30:31], v[14:15], v[4:5] op_sel_hi:[1,0,1]
	s_nop 0
	v_mov_b32_e32 v7, v5
	s_waitcnt vmcnt(0) lgkmcnt(0)
	v_pk_mul_f32 v[4:5], v[32:33], v[16:17] op_sel:[1,1] op_sel_hi:[0,1]
	v_pk_add_f32 v[2:3], v[2:3], v[6:7]
	v_pk_fma_f32 v[6:7], v[32:33], v[16:17], v[4:5] neg_lo:[0,0,1] neg_hi:[0,0,1]
	v_pk_fma_f32 v[4:5], v[32:33], v[16:17], v[4:5] op_sel_hi:[1,0,1]
	s_nop 0
	v_mov_b32_e32 v4, v19
	v_mov_b32_e32 v7, v5
	v_pk_mul_f32 v[4:5], v[34:35], v[4:5] op_sel:[1,0] op_sel_hi:[0,0]
	v_pk_add_f32 v[2:3], v[2:3], v[6:7]
	v_pk_fma_f32 v[6:7], v[34:35], v[18:19], v[4:5] neg_lo:[0,0,1] neg_hi:[0,0,1]
	v_pk_fma_f32 v[4:5], v[34:35], v[18:19], v[4:5] op_sel_hi:[1,0,1]
	s_nop 0
	v_mov_b32_e32 v7, v5
	scratch_load_dwordx2 v[4:5], off, off offset:408
	v_pk_add_f32 v[2:3], v[2:3], v[6:7]
	s_waitcnt vmcnt(0)
	v_pk_add_f32 v[2:3], v[4:5], v[2:3] neg_lo:[0,1] neg_hi:[0,1]
	scratch_store_dwordx2 off, v[2:3], off offset:408
	s_and_saveexec_b64 s[0:1], vcc
	s_cbranch_execz .LBB123_273
; %bb.272:
	scratch_load_dwordx2 v[2:3], off, off offset:400
	v_mov_b32_e32 v4, 0
	v_mov_b32_e32 v5, v4
	scratch_store_dwordx2 off, v[4:5], off offset:400
	s_waitcnt vmcnt(1)
	ds_write_b64 v1, v[2:3]
.LBB123_273:
	s_or_b64 exec, exec, s[0:1]
	s_waitcnt lgkmcnt(0)
	; wave barrier
	scratch_load_dwordx4 v[8:11], off, off offset:408
	v_mov_b32_e32 v2, 0
	ds_read2_b64 v[4:7], v2 offset0:111 offset1:112
	scratch_load_dwordx4 v[12:15], off, off offset:424
	scratch_load_dwordx4 v[16:19], off, off offset:440
	;; [unrolled: 1-line block ×3, first 2 shown]
	scratch_load_dwordx2 v[38:39], off, off offset:472
	v_cmp_lt_u32_e32 vcc, 49, v0
	s_waitcnt vmcnt(4) lgkmcnt(0)
	v_mul_f32_e32 v37, v4, v9
	v_mul_f32_e32 v3, v5, v9
	v_fmac_f32_e32 v37, v5, v8
	v_fma_f32 v36, v4, v8, -v3
	v_pk_add_f32 v[8:9], v[36:37], 0 op_sel_hi:[1,0]
	v_mov_b32_e32 v36, v11
	v_pk_mul_f32 v[36:37], v[6:7], v[36:37] op_sel:[1,0] op_sel_hi:[0,0]
	ds_read2_b64 v[24:27], v2 offset0:113 offset1:114
	ds_read2_b64 v[28:31], v2 offset0:115 offset1:116
	;; [unrolled: 1-line block ×3, first 2 shown]
	ds_read_b64 v[4:5], v2 offset:952
	v_pk_fma_f32 v[40:41], v[6:7], v[10:11], v[36:37] neg_lo:[0,0,1] neg_hi:[0,0,1]
	v_pk_fma_f32 v[6:7], v[6:7], v[10:11], v[36:37] op_sel_hi:[1,0,1]
	s_nop 0
	v_mov_b32_e32 v41, v7
	v_pk_add_f32 v[6:7], v[8:9], v[40:41]
	s_waitcnt vmcnt(3) lgkmcnt(3)
	v_pk_mul_f32 v[8:9], v[24:25], v[12:13] op_sel:[1,1] op_sel_hi:[0,1]
	v_pk_fma_f32 v[10:11], v[24:25], v[12:13], v[8:9] neg_lo:[0,0,1] neg_hi:[0,0,1]
	v_pk_fma_f32 v[8:9], v[24:25], v[12:13], v[8:9] op_sel_hi:[1,0,1]
	s_nop 0
	v_mov_b32_e32 v8, v15
	v_mov_b32_e32 v11, v9
	v_pk_mul_f32 v[8:9], v[26:27], v[8:9] op_sel:[1,0] op_sel_hi:[0,0]
	v_pk_add_f32 v[6:7], v[6:7], v[10:11]
	v_pk_fma_f32 v[10:11], v[26:27], v[14:15], v[8:9] neg_lo:[0,0,1] neg_hi:[0,0,1]
	v_pk_fma_f32 v[8:9], v[26:27], v[14:15], v[8:9] op_sel_hi:[1,0,1]
	s_nop 0
	v_mov_b32_e32 v11, v9
	s_waitcnt vmcnt(2) lgkmcnt(2)
	v_pk_mul_f32 v[8:9], v[28:29], v[16:17] op_sel:[1,1] op_sel_hi:[0,1]
	v_pk_add_f32 v[6:7], v[6:7], v[10:11]
	v_pk_fma_f32 v[10:11], v[28:29], v[16:17], v[8:9] neg_lo:[0,0,1] neg_hi:[0,0,1]
	v_pk_fma_f32 v[8:9], v[28:29], v[16:17], v[8:9] op_sel_hi:[1,0,1]
	s_nop 0
	v_mov_b32_e32 v8, v19
	v_mov_b32_e32 v11, v9
	v_pk_mul_f32 v[8:9], v[30:31], v[8:9] op_sel:[1,0] op_sel_hi:[0,0]
	v_pk_add_f32 v[6:7], v[6:7], v[10:11]
	v_pk_fma_f32 v[10:11], v[30:31], v[18:19], v[8:9] neg_lo:[0,0,1] neg_hi:[0,0,1]
	v_pk_fma_f32 v[8:9], v[30:31], v[18:19], v[8:9] op_sel_hi:[1,0,1]
	s_nop 0
	v_mov_b32_e32 v11, v9
	s_waitcnt vmcnt(1) lgkmcnt(1)
	v_pk_mul_f32 v[8:9], v[32:33], v[20:21] op_sel:[1,1] op_sel_hi:[0,1]
	v_pk_add_f32 v[6:7], v[6:7], v[10:11]
	;; [unrolled: 14-line block ×3, first 2 shown]
	v_pk_fma_f32 v[10:11], v[4:5], v[38:39], v[8:9] neg_lo:[0,0,1] neg_hi:[0,0,1]
	v_pk_fma_f32 v[4:5], v[4:5], v[38:39], v[8:9] op_sel_hi:[1,0,1]
	s_nop 0
	v_mov_b32_e32 v11, v5
	v_pk_add_f32 v[4:5], v[6:7], v[10:11]
	scratch_load_dwordx2 v[6:7], off, off offset:400
	s_waitcnt vmcnt(0)
	v_pk_add_f32 v[4:5], v[6:7], v[4:5] neg_lo:[0,1] neg_hi:[0,1]
	scratch_store_dwordx2 off, v[4:5], off offset:400
	s_and_saveexec_b64 s[0:1], vcc
	s_cbranch_execz .LBB123_275
; %bb.274:
	scratch_load_dwordx2 v[4:5], off, off offset:392
	v_mov_b32_e32 v3, v2
	scratch_store_dwordx2 off, v[2:3], off offset:392
	s_waitcnt vmcnt(1)
	ds_write_b64 v1, v[4:5]
.LBB123_275:
	s_or_b64 exec, exec, s[0:1]
	s_waitcnt lgkmcnt(0)
	; wave barrier
	ds_read_b128 v[4:7], v2 offset:880
	ds_read_b128 v[8:11], v2 offset:896
	;; [unrolled: 1-line block ×4, first 2 shown]
	scratch_load_dwordx4 v[20:23], off, off offset:400
	scratch_load_dwordx4 v[24:27], off, off offset:416
	;; [unrolled: 1-line block ×5, first 2 shown]
	v_cmp_lt_u32_e32 vcc, 48, v0
	s_waitcnt vmcnt(4) lgkmcnt(3)
	v_mul_f32_e32 v41, v4, v21
	v_mul_f32_e32 v3, v5, v21
	v_fmac_f32_e32 v41, v5, v20
	v_mul_f32_e32 v43, v6, v23
	v_fma_f32 v40, v4, v20, -v3
	v_mul_f32_e32 v3, v7, v23
	s_waitcnt vmcnt(3) lgkmcnt(2)
	v_pk_mul_f32 v[20:21], v[8:9], v[24:25] op_sel:[1,1] op_sel_hi:[0,1]
	v_fmac_f32_e32 v43, v7, v22
	v_fma_f32 v42, v6, v22, -v3
	v_pk_fma_f32 v[22:23], v[8:9], v[24:25], v[20:21] neg_lo:[0,0,1] neg_hi:[0,0,1]
	v_pk_fma_f32 v[8:9], v[8:9], v[24:25], v[20:21] op_sel_hi:[1,0,1]
	v_pk_add_f32 v[6:7], v[40:41], 0 op_sel_hi:[1,0]
	v_mov_b32_e32 v8, v27
	v_mov_b32_e32 v23, v9
	v_pk_mul_f32 v[8:9], v[10:11], v[8:9] op_sel:[1,0] op_sel_hi:[0,0]
	v_pk_fma_f32 v[20:21], v[10:11], v[26:27], v[8:9] neg_lo:[0,0,1] neg_hi:[0,0,1]
	v_pk_fma_f32 v[8:9], v[10:11], v[26:27], v[8:9] op_sel_hi:[1,0,1]
	v_pk_add_f32 v[6:7], v[6:7], v[42:43]
	v_mov_b32_e32 v21, v9
	s_waitcnt vmcnt(2) lgkmcnt(1)
	v_pk_mul_f32 v[8:9], v[12:13], v[28:29] op_sel:[1,1] op_sel_hi:[0,1]
	v_pk_fma_f32 v[10:11], v[12:13], v[28:29], v[8:9] neg_lo:[0,0,1] neg_hi:[0,0,1]
	v_pk_fma_f32 v[8:9], v[12:13], v[28:29], v[8:9] op_sel_hi:[1,0,1]
	v_pk_add_f32 v[6:7], v[6:7], v[22:23]
	v_mov_b32_e32 v8, v31
	v_pk_add_f32 v[6:7], v[6:7], v[20:21]
	v_mov_b32_e32 v11, v9
	v_pk_mul_f32 v[8:9], v[14:15], v[8:9] op_sel:[1,0] op_sel_hi:[0,0]
	v_pk_add_f32 v[6:7], v[6:7], v[10:11]
	v_pk_fma_f32 v[10:11], v[14:15], v[30:31], v[8:9] neg_lo:[0,0,1] neg_hi:[0,0,1]
	v_pk_fma_f32 v[8:9], v[14:15], v[30:31], v[8:9] op_sel_hi:[1,0,1]
	ds_read_b128 v[2:5], v2 offset:944
	v_mov_b32_e32 v11, v9
	s_waitcnt vmcnt(1) lgkmcnt(1)
	v_pk_mul_f32 v[8:9], v[16:17], v[32:33] op_sel:[1,1] op_sel_hi:[0,1]
	v_pk_add_f32 v[6:7], v[6:7], v[10:11]
	v_pk_fma_f32 v[10:11], v[16:17], v[32:33], v[8:9] neg_lo:[0,0,1] neg_hi:[0,0,1]
	v_pk_fma_f32 v[8:9], v[16:17], v[32:33], v[8:9] op_sel_hi:[1,0,1]
	s_nop 0
	v_mov_b32_e32 v8, v35
	v_mov_b32_e32 v11, v9
	v_pk_mul_f32 v[8:9], v[18:19], v[8:9] op_sel:[1,0] op_sel_hi:[0,0]
	v_pk_add_f32 v[6:7], v[6:7], v[10:11]
	v_pk_fma_f32 v[10:11], v[18:19], v[34:35], v[8:9] neg_lo:[0,0,1] neg_hi:[0,0,1]
	v_pk_fma_f32 v[8:9], v[18:19], v[34:35], v[8:9] op_sel_hi:[1,0,1]
	s_nop 0
	v_mov_b32_e32 v11, v9
	s_waitcnt vmcnt(0) lgkmcnt(0)
	v_pk_mul_f32 v[8:9], v[2:3], v[36:37] op_sel:[1,1] op_sel_hi:[0,1]
	v_pk_add_f32 v[6:7], v[6:7], v[10:11]
	v_pk_fma_f32 v[10:11], v[2:3], v[36:37], v[8:9] neg_lo:[0,0,1] neg_hi:[0,0,1]
	v_pk_fma_f32 v[2:3], v[2:3], v[36:37], v[8:9] op_sel_hi:[1,0,1]
	s_nop 0
	v_mov_b32_e32 v11, v3
	v_pk_add_f32 v[2:3], v[6:7], v[10:11]
	v_mov_b32_e32 v6, v39
	v_pk_mul_f32 v[6:7], v[4:5], v[6:7] op_sel:[1,0] op_sel_hi:[0,0]
	v_pk_fma_f32 v[8:9], v[4:5], v[38:39], v[6:7] neg_lo:[0,0,1] neg_hi:[0,0,1]
	v_pk_fma_f32 v[4:5], v[4:5], v[38:39], v[6:7] op_sel_hi:[1,0,1]
	s_nop 0
	v_mov_b32_e32 v9, v5
	scratch_load_dwordx2 v[4:5], off, off offset:392
	v_pk_add_f32 v[2:3], v[2:3], v[8:9]
	s_waitcnt vmcnt(0)
	v_pk_add_f32 v[2:3], v[4:5], v[2:3] neg_lo:[0,1] neg_hi:[0,1]
	scratch_store_dwordx2 off, v[2:3], off offset:392
	s_and_saveexec_b64 s[0:1], vcc
	s_cbranch_execz .LBB123_277
; %bb.276:
	scratch_load_dwordx2 v[2:3], off, off offset:384
	v_mov_b32_e32 v4, 0
	v_mov_b32_e32 v5, v4
	scratch_store_dwordx2 off, v[4:5], off offset:384
	s_waitcnt vmcnt(1)
	ds_write_b64 v1, v[2:3]
.LBB123_277:
	s_or_b64 exec, exec, s[0:1]
	s_waitcnt lgkmcnt(0)
	; wave barrier
	scratch_load_dwordx4 v[8:11], off, off offset:392
	scratch_load_dwordx4 v[16:19], off, off offset:408
	v_mov_b32_e32 v2, 0
	ds_read2_b64 v[4:7], v2 offset0:109 offset1:110
	ds_read2_b64 v[12:15], v2 offset0:111 offset1:112
	scratch_load_dwordx4 v[20:23], off, off offset:424
	scratch_load_dwordx4 v[24:27], off, off offset:440
	;; [unrolled: 1-line block ×3, first 2 shown]
	scratch_load_dwordx2 v[42:43], off, off offset:472
	v_cmp_lt_u32_e32 vcc, 47, v0
	s_waitcnt vmcnt(5) lgkmcnt(1)
	v_mul_f32_e32 v3, v4, v9
	v_fmac_f32_e32 v3, v5, v8
	v_add_f32_e32 v37, 0, v3
	v_mul_f32_e32 v3, v5, v9
	v_fma_f32 v3, v4, v8, -v3
	v_mul_f32_e32 v39, v6, v11
	v_add_f32_e32 v36, 0, v3
	v_mul_f32_e32 v3, v7, v11
	v_fmac_f32_e32 v39, v7, v10
	s_waitcnt vmcnt(4) lgkmcnt(0)
	v_mul_f32_e32 v41, v12, v17
	v_fma_f32 v38, v6, v10, -v3
	v_mul_f32_e32 v3, v13, v17
	v_fmac_f32_e32 v41, v13, v16
	v_fma_f32 v40, v12, v16, -v3
	v_pk_add_f32 v[16:17], v[36:37], v[38:39]
	v_mov_b32_e32 v36, v19
	v_pk_mul_f32 v[36:37], v[14:15], v[36:37] op_sel:[1,0] op_sel_hi:[0,0]
	ds_read2_b64 v[4:7], v2 offset0:113 offset1:114
	ds_read2_b64 v[8:11], v2 offset0:115 offset1:116
	;; [unrolled: 1-line block ×3, first 2 shown]
	ds_read_b64 v[12:13], v2 offset:952
	v_pk_fma_f32 v[38:39], v[14:15], v[18:19], v[36:37] neg_lo:[0,0,1] neg_hi:[0,0,1]
	v_pk_fma_f32 v[14:15], v[14:15], v[18:19], v[36:37] op_sel_hi:[1,0,1]
	v_pk_add_f32 v[16:17], v[16:17], v[40:41]
	v_mov_b32_e32 v39, v15
	v_pk_add_f32 v[14:15], v[16:17], v[38:39]
	s_waitcnt vmcnt(3) lgkmcnt(3)
	v_pk_mul_f32 v[16:17], v[4:5], v[20:21] op_sel:[1,1] op_sel_hi:[0,1]
	v_pk_fma_f32 v[18:19], v[4:5], v[20:21], v[16:17] neg_lo:[0,0,1] neg_hi:[0,0,1]
	v_pk_fma_f32 v[4:5], v[4:5], v[20:21], v[16:17] op_sel_hi:[1,0,1]
	s_nop 0
	v_mov_b32_e32 v19, v5
	v_pk_add_f32 v[4:5], v[14:15], v[18:19]
	v_mov_b32_e32 v14, v23
	v_pk_mul_f32 v[14:15], v[6:7], v[14:15] op_sel:[1,0] op_sel_hi:[0,0]
	v_pk_fma_f32 v[16:17], v[6:7], v[22:23], v[14:15] neg_lo:[0,0,1] neg_hi:[0,0,1]
	v_pk_fma_f32 v[6:7], v[6:7], v[22:23], v[14:15] op_sel_hi:[1,0,1]
	s_nop 0
	v_mov_b32_e32 v17, v7
	s_waitcnt vmcnt(2) lgkmcnt(2)
	v_pk_mul_f32 v[6:7], v[8:9], v[24:25] op_sel:[1,1] op_sel_hi:[0,1]
	v_pk_fma_f32 v[14:15], v[8:9], v[24:25], v[6:7] neg_lo:[0,0,1] neg_hi:[0,0,1]
	v_pk_fma_f32 v[6:7], v[8:9], v[24:25], v[6:7] op_sel_hi:[1,0,1]
	v_pk_add_f32 v[4:5], v[4:5], v[16:17]
	v_mov_b32_e32 v6, v27
	v_mov_b32_e32 v15, v7
	v_pk_mul_f32 v[6:7], v[10:11], v[6:7] op_sel:[1,0] op_sel_hi:[0,0]
	v_pk_fma_f32 v[8:9], v[10:11], v[26:27], v[6:7] neg_lo:[0,0,1] neg_hi:[0,0,1]
	v_pk_fma_f32 v[6:7], v[10:11], v[26:27], v[6:7] op_sel_hi:[1,0,1]
	v_pk_add_f32 v[4:5], v[4:5], v[14:15]
	v_mov_b32_e32 v9, v7
	s_waitcnt vmcnt(1) lgkmcnt(1)
	v_pk_mul_f32 v[6:7], v[32:33], v[28:29] op_sel:[1,1] op_sel_hi:[0,1]
	v_pk_add_f32 v[4:5], v[4:5], v[8:9]
	v_pk_fma_f32 v[8:9], v[32:33], v[28:29], v[6:7] neg_lo:[0,0,1] neg_hi:[0,0,1]
	v_pk_fma_f32 v[6:7], v[32:33], v[28:29], v[6:7] op_sel_hi:[1,0,1]
	s_nop 0
	v_mov_b32_e32 v6, v31
	v_mov_b32_e32 v9, v7
	v_pk_mul_f32 v[6:7], v[34:35], v[6:7] op_sel:[1,0] op_sel_hi:[0,0]
	v_pk_add_f32 v[4:5], v[4:5], v[8:9]
	v_pk_fma_f32 v[8:9], v[34:35], v[30:31], v[6:7] neg_lo:[0,0,1] neg_hi:[0,0,1]
	v_pk_fma_f32 v[6:7], v[34:35], v[30:31], v[6:7] op_sel_hi:[1,0,1]
	s_nop 0
	v_mov_b32_e32 v9, v7
	s_waitcnt vmcnt(0) lgkmcnt(0)
	v_pk_mul_f32 v[6:7], v[12:13], v[42:43] op_sel:[1,1] op_sel_hi:[0,1]
	v_pk_add_f32 v[4:5], v[4:5], v[8:9]
	v_pk_fma_f32 v[8:9], v[12:13], v[42:43], v[6:7] neg_lo:[0,0,1] neg_hi:[0,0,1]
	v_pk_fma_f32 v[6:7], v[12:13], v[42:43], v[6:7] op_sel_hi:[1,0,1]
	s_nop 0
	v_mov_b32_e32 v9, v7
	scratch_load_dwordx2 v[6:7], off, off offset:384
	v_pk_add_f32 v[4:5], v[4:5], v[8:9]
	s_waitcnt vmcnt(0)
	v_pk_add_f32 v[4:5], v[6:7], v[4:5] neg_lo:[0,1] neg_hi:[0,1]
	scratch_store_dwordx2 off, v[4:5], off offset:384
	s_and_saveexec_b64 s[0:1], vcc
	s_cbranch_execz .LBB123_279
; %bb.278:
	scratch_load_dwordx2 v[4:5], off, off offset:376
	v_mov_b32_e32 v3, v2
	scratch_store_dwordx2 off, v[2:3], off offset:376
	s_waitcnt vmcnt(1)
	ds_write_b64 v1, v[4:5]
.LBB123_279:
	s_or_b64 exec, exec, s[0:1]
	s_waitcnt lgkmcnt(0)
	; wave barrier
	ds_read_b128 v[4:7], v2 offset:864
	ds_read_b128 v[8:11], v2 offset:880
	;; [unrolled: 1-line block ×4, first 2 shown]
	scratch_load_dwordx4 v[20:23], off, off offset:384
	v_cmp_lt_u32_e32 vcc, 46, v0
	s_waitcnt vmcnt(0) lgkmcnt(3)
	v_mul_f32_e32 v3, v4, v21
	v_fmac_f32_e32 v3, v5, v20
	v_mul_f32_e32 v24, v6, v23
	v_add_f32_e32 v3, 0, v3
	v_fmac_f32_e32 v24, v7, v22
	v_add_f32_e32 v45, v3, v24
	scratch_load_dwordx4 v[24:27], off, off offset:400
	scratch_load_dwordx4 v[28:31], off, off offset:416
	;; [unrolled: 1-line block ×5, first 2 shown]
	v_mul_f32_e32 v3, v5, v21
	v_fma_f32 v3, v4, v20, -v3
	v_mul_f32_e32 v4, v7, v23
	v_fma_f32 v4, v6, v22, -v4
	v_add_f32_e32 v3, 0, v3
	v_add_f32_e32 v44, v3, v4
	s_waitcnt vmcnt(3) lgkmcnt(1)
	v_pk_mul_f32 v[20:21], v[12:13], v[28:29] op_sel:[1,1] op_sel_hi:[0,1]
	v_pk_fma_f32 v[22:23], v[12:13], v[28:29], v[20:21] neg_lo:[0,0,1] neg_hi:[0,0,1]
	v_pk_fma_f32 v[12:13], v[12:13], v[28:29], v[20:21] op_sel_hi:[1,0,1]
	v_mul_f32_e32 v47, v8, v25
	v_mov_b32_e32 v12, v31
	v_mul_f32_e32 v3, v9, v25
	v_mov_b32_e32 v23, v13
	v_pk_mul_f32 v[12:13], v[14:15], v[12:13] op_sel:[1,0] op_sel_hi:[0,0]
	v_fmac_f32_e32 v47, v9, v24
	v_mul_f32_e32 v49, v10, v27
	v_fma_f32 v46, v8, v24, -v3
	v_mul_f32_e32 v3, v11, v27
	v_pk_fma_f32 v[20:21], v[14:15], v[30:31], v[12:13] neg_lo:[0,0,1] neg_hi:[0,0,1]
	v_pk_fma_f32 v[12:13], v[14:15], v[30:31], v[12:13] op_sel_hi:[1,0,1]
	v_fmac_f32_e32 v49, v11, v26
	v_fma_f32 v48, v10, v26, -v3
	ds_read_b128 v[4:7], v2 offset:928
	ds_read_b128 v[8:11], v2 offset:944
	v_pk_add_f32 v[2:3], v[44:45], v[46:47]
	v_mov_b32_e32 v21, v13
	s_waitcnt vmcnt(2) lgkmcnt(2)
	v_pk_mul_f32 v[12:13], v[16:17], v[32:33] op_sel:[1,1] op_sel_hi:[0,1]
	v_pk_add_f32 v[2:3], v[2:3], v[48:49]
	v_pk_fma_f32 v[14:15], v[16:17], v[32:33], v[12:13] neg_lo:[0,0,1] neg_hi:[0,0,1]
	v_pk_fma_f32 v[12:13], v[16:17], v[32:33], v[12:13] op_sel_hi:[1,0,1]
	v_pk_add_f32 v[2:3], v[2:3], v[22:23]
	v_mov_b32_e32 v12, v35
	v_pk_add_f32 v[2:3], v[2:3], v[20:21]
	v_mov_b32_e32 v15, v13
	v_pk_mul_f32 v[12:13], v[18:19], v[12:13] op_sel:[1,0] op_sel_hi:[0,0]
	v_pk_add_f32 v[2:3], v[2:3], v[14:15]
	v_pk_fma_f32 v[14:15], v[18:19], v[34:35], v[12:13] neg_lo:[0,0,1] neg_hi:[0,0,1]
	v_pk_fma_f32 v[12:13], v[18:19], v[34:35], v[12:13] op_sel_hi:[1,0,1]
	s_nop 0
	v_mov_b32_e32 v15, v13
	s_waitcnt vmcnt(1) lgkmcnt(1)
	v_pk_mul_f32 v[12:13], v[4:5], v[36:37] op_sel:[1,1] op_sel_hi:[0,1]
	v_pk_add_f32 v[2:3], v[2:3], v[14:15]
	v_pk_fma_f32 v[14:15], v[4:5], v[36:37], v[12:13] neg_lo:[0,0,1] neg_hi:[0,0,1]
	v_pk_fma_f32 v[4:5], v[4:5], v[36:37], v[12:13] op_sel_hi:[1,0,1]
	s_nop 0
	v_mov_b32_e32 v4, v39
	v_mov_b32_e32 v15, v5
	v_pk_mul_f32 v[4:5], v[6:7], v[4:5] op_sel:[1,0] op_sel_hi:[0,0]
	v_pk_fma_f32 v[12:13], v[6:7], v[38:39], v[4:5] neg_lo:[0,0,1] neg_hi:[0,0,1]
	v_pk_fma_f32 v[4:5], v[6:7], v[38:39], v[4:5] op_sel_hi:[1,0,1]
	v_pk_add_f32 v[2:3], v[2:3], v[14:15]
	v_mov_b32_e32 v13, v5
	s_waitcnt vmcnt(0) lgkmcnt(0)
	v_pk_mul_f32 v[4:5], v[8:9], v[40:41] op_sel:[1,1] op_sel_hi:[0,1]
	v_pk_fma_f32 v[6:7], v[8:9], v[40:41], v[4:5] neg_lo:[0,0,1] neg_hi:[0,0,1]
	v_pk_fma_f32 v[4:5], v[8:9], v[40:41], v[4:5] op_sel_hi:[1,0,1]
	v_pk_add_f32 v[2:3], v[2:3], v[12:13]
	v_mov_b32_e32 v4, v43
	v_mov_b32_e32 v7, v5
	v_pk_mul_f32 v[4:5], v[10:11], v[4:5] op_sel:[1,0] op_sel_hi:[0,0]
	v_pk_add_f32 v[2:3], v[2:3], v[6:7]
	v_pk_fma_f32 v[6:7], v[10:11], v[42:43], v[4:5] neg_lo:[0,0,1] neg_hi:[0,0,1]
	v_pk_fma_f32 v[4:5], v[10:11], v[42:43], v[4:5] op_sel_hi:[1,0,1]
	s_nop 0
	v_mov_b32_e32 v7, v5
	scratch_load_dwordx2 v[4:5], off, off offset:376
	v_pk_add_f32 v[2:3], v[2:3], v[6:7]
	s_waitcnt vmcnt(0)
	v_pk_add_f32 v[2:3], v[4:5], v[2:3] neg_lo:[0,1] neg_hi:[0,1]
	scratch_store_dwordx2 off, v[2:3], off offset:376
	s_and_saveexec_b64 s[0:1], vcc
	s_cbranch_execz .LBB123_281
; %bb.280:
	scratch_load_dwordx2 v[2:3], off, off offset:368
	v_mov_b32_e32 v4, 0
	v_mov_b32_e32 v5, v4
	scratch_store_dwordx2 off, v[4:5], off offset:368
	s_waitcnt vmcnt(1)
	ds_write_b64 v1, v[2:3]
.LBB123_281:
	s_or_b64 exec, exec, s[0:1]
	s_waitcnt lgkmcnt(0)
	; wave barrier
	scratch_load_dwordx4 v[8:11], off, off offset:376
	scratch_load_dwordx4 v[16:19], off, off offset:392
	v_mov_b32_e32 v2, 0
	ds_read2_b64 v[4:7], v2 offset0:107 offset1:108
	scratch_load_dwordx4 v[24:27], off, off offset:408
	v_cmp_lt_u32_e32 vcc, 45, v0
	s_waitcnt vmcnt(2) lgkmcnt(0)
	v_mul_f32_e32 v3, v4, v9
	v_fmac_f32_e32 v3, v5, v8
	v_mul_f32_e32 v12, v6, v11
	v_add_f32_e32 v3, 0, v3
	v_fmac_f32_e32 v12, v7, v10
	v_add_f32_e32 v3, v3, v12
	ds_read2_b64 v[12:15], v2 offset0:109 offset1:110
	s_waitcnt vmcnt(1) lgkmcnt(0)
	v_mul_f32_e32 v20, v12, v17
	v_fmac_f32_e32 v20, v13, v16
	v_add_f32_e32 v41, v3, v20
	ds_read2_b64 v[20:23], v2 offset0:111 offset1:112
	scratch_load_dwordx4 v[28:31], off, off offset:424
	scratch_load_dwordx4 v[32:35], off, off offset:440
	;; [unrolled: 1-line block ×3, first 2 shown]
	scratch_load_dwordx2 v[46:47], off, off offset:472
	v_mul_f32_e32 v3, v5, v9
	v_fma_f32 v3, v4, v8, -v3
	v_mul_f32_e32 v4, v7, v11
	v_add_f32_e32 v3, 0, v3
	v_fma_f32 v4, v6, v10, -v4
	v_add_f32_e32 v3, v3, v4
	v_mul_f32_e32 v4, v13, v17
	v_fma_f32 v4, v12, v16, -v4
	v_add_f32_e32 v40, v3, v4
	v_mul_f32_e32 v3, v15, v19
	v_fma_f32 v42, v14, v18, -v3
	s_waitcnt vmcnt(4) lgkmcnt(0)
	v_mul_f32_e32 v3, v21, v25
	v_mul_f32_e32 v43, v14, v19
	v_mul_f32_e32 v45, v20, v25
	v_fma_f32 v44, v20, v24, -v3
	v_mov_b32_e32 v20, v27
	v_fmac_f32_e32 v43, v15, v18
	v_fmac_f32_e32 v45, v21, v24
	ds_read2_b64 v[4:7], v2 offset0:113 offset1:114
	ds_read2_b64 v[8:11], v2 offset0:115 offset1:116
	;; [unrolled: 1-line block ×3, first 2 shown]
	ds_read_b64 v[16:17], v2 offset:952
	v_pk_mul_f32 v[20:21], v[22:23], v[20:21] op_sel:[1,0] op_sel_hi:[0,0]
	v_pk_fma_f32 v[24:25], v[22:23], v[26:27], v[20:21] neg_lo:[0,0,1] neg_hi:[0,0,1]
	v_pk_fma_f32 v[20:21], v[22:23], v[26:27], v[20:21] op_sel_hi:[1,0,1]
	v_pk_add_f32 v[18:19], v[40:41], v[42:43]
	v_mov_b32_e32 v25, v21
	v_pk_add_f32 v[18:19], v[18:19], v[44:45]
	s_waitcnt vmcnt(3) lgkmcnt(3)
	v_pk_mul_f32 v[20:21], v[4:5], v[28:29] op_sel:[1,1] op_sel_hi:[0,1]
	v_pk_fma_f32 v[22:23], v[4:5], v[28:29], v[20:21] neg_lo:[0,0,1] neg_hi:[0,0,1]
	v_pk_fma_f32 v[4:5], v[4:5], v[28:29], v[20:21] op_sel_hi:[1,0,1]
	v_pk_add_f32 v[18:19], v[18:19], v[24:25]
	v_mov_b32_e32 v23, v5
	v_pk_add_f32 v[4:5], v[18:19], v[22:23]
	v_mov_b32_e32 v18, v31
	v_pk_mul_f32 v[18:19], v[6:7], v[18:19] op_sel:[1,0] op_sel_hi:[0,0]
	v_pk_fma_f32 v[20:21], v[6:7], v[30:31], v[18:19] neg_lo:[0,0,1] neg_hi:[0,0,1]
	v_pk_fma_f32 v[6:7], v[6:7], v[30:31], v[18:19] op_sel_hi:[1,0,1]
	s_nop 0
	v_mov_b32_e32 v21, v7
	s_waitcnt vmcnt(2) lgkmcnt(2)
	v_pk_mul_f32 v[6:7], v[8:9], v[32:33] op_sel:[1,1] op_sel_hi:[0,1]
	v_pk_fma_f32 v[18:19], v[8:9], v[32:33], v[6:7] neg_lo:[0,0,1] neg_hi:[0,0,1]
	v_pk_fma_f32 v[6:7], v[8:9], v[32:33], v[6:7] op_sel_hi:[1,0,1]
	v_pk_add_f32 v[4:5], v[4:5], v[20:21]
	v_mov_b32_e32 v6, v35
	v_mov_b32_e32 v19, v7
	v_pk_mul_f32 v[6:7], v[10:11], v[6:7] op_sel:[1,0] op_sel_hi:[0,0]
	v_pk_fma_f32 v[8:9], v[10:11], v[34:35], v[6:7] neg_lo:[0,0,1] neg_hi:[0,0,1]
	v_pk_fma_f32 v[6:7], v[10:11], v[34:35], v[6:7] op_sel_hi:[1,0,1]
	v_pk_add_f32 v[4:5], v[4:5], v[18:19]
	v_mov_b32_e32 v9, v7
	s_waitcnt vmcnt(1) lgkmcnt(1)
	v_pk_mul_f32 v[6:7], v[12:13], v[36:37] op_sel:[1,1] op_sel_hi:[0,1]
	v_pk_add_f32 v[4:5], v[4:5], v[8:9]
	v_pk_fma_f32 v[8:9], v[12:13], v[36:37], v[6:7] neg_lo:[0,0,1] neg_hi:[0,0,1]
	v_pk_fma_f32 v[6:7], v[12:13], v[36:37], v[6:7] op_sel_hi:[1,0,1]
	s_nop 0
	v_mov_b32_e32 v6, v39
	v_mov_b32_e32 v9, v7
	v_pk_mul_f32 v[6:7], v[14:15], v[6:7] op_sel:[1,0] op_sel_hi:[0,0]
	v_pk_add_f32 v[4:5], v[4:5], v[8:9]
	v_pk_fma_f32 v[8:9], v[14:15], v[38:39], v[6:7] neg_lo:[0,0,1] neg_hi:[0,0,1]
	v_pk_fma_f32 v[6:7], v[14:15], v[38:39], v[6:7] op_sel_hi:[1,0,1]
	s_nop 0
	v_mov_b32_e32 v9, v7
	s_waitcnt vmcnt(0) lgkmcnt(0)
	v_pk_mul_f32 v[6:7], v[16:17], v[46:47] op_sel:[1,1] op_sel_hi:[0,1]
	v_pk_add_f32 v[4:5], v[4:5], v[8:9]
	v_pk_fma_f32 v[8:9], v[16:17], v[46:47], v[6:7] neg_lo:[0,0,1] neg_hi:[0,0,1]
	v_pk_fma_f32 v[6:7], v[16:17], v[46:47], v[6:7] op_sel_hi:[1,0,1]
	s_nop 0
	v_mov_b32_e32 v9, v7
	scratch_load_dwordx2 v[6:7], off, off offset:368
	v_pk_add_f32 v[4:5], v[4:5], v[8:9]
	s_waitcnt vmcnt(0)
	v_pk_add_f32 v[4:5], v[6:7], v[4:5] neg_lo:[0,1] neg_hi:[0,1]
	scratch_store_dwordx2 off, v[4:5], off offset:368
	s_and_saveexec_b64 s[0:1], vcc
	s_cbranch_execz .LBB123_283
; %bb.282:
	scratch_load_dwordx2 v[4:5], off, off offset:360
	v_mov_b32_e32 v3, v2
	scratch_store_dwordx2 off, v[2:3], off offset:360
	s_waitcnt vmcnt(1)
	ds_write_b64 v1, v[4:5]
.LBB123_283:
	s_or_b64 exec, exec, s[0:1]
	s_waitcnt lgkmcnt(0)
	; wave barrier
	scratch_load_dwordx4 v[4:7], off, off offset:368
	scratch_load_dwordx4 v[8:11], off, off offset:384
	;; [unrolled: 1-line block ×7, first 2 shown]
	ds_read_b128 v[32:35], v2 offset:848
	ds_read_b128 v[36:39], v2 offset:864
	ds_read_b128 v[40:43], v2 offset:880
	ds_read_b128 v[44:47], v2 offset:896
	ds_read_b128 v[48:51], v2 offset:912
	ds_read_b128 v[52:55], v2 offset:928
	scratch_load_dwordx2 v[60:61], off, off offset:360
	ds_read_b128 v[56:59], v2 offset:944
	v_cmp_lt_u32_e32 vcc, 44, v0
	s_waitcnt vmcnt(7) lgkmcnt(6)
	v_mul_f32_e32 v67, v32, v5
	v_mul_f32_e32 v71, v34, v7
	s_waitcnt vmcnt(6) lgkmcnt(5)
	v_mul_f32_e32 v75, v36, v9
	v_mul_f32_e32 v79, v38, v11
	;; [unrolled: 3-line block ×3, first 2 shown]
	v_mul_f32_e32 v2, v33, v5
	v_mul_f32_e32 v5, v35, v7
	;; [unrolled: 1-line block ×6, first 2 shown]
	s_waitcnt vmcnt(4) lgkmcnt(3)
	v_pk_mul_f32 v[64:65], v[44:45], v[16:17] op_sel:[1,1] op_sel_hi:[0,1]
	v_mov_b32_e32 v66, v19
	s_waitcnt vmcnt(3) lgkmcnt(2)
	v_pk_mul_f32 v[68:69], v[48:49], v[20:21] op_sel:[1,1] op_sel_hi:[0,1]
	v_mov_b32_e32 v70, v23
	s_waitcnt vmcnt(1) lgkmcnt(0)
	v_pk_mul_f32 v[76:77], v[56:57], v[28:29] op_sel:[1,1] op_sel_hi:[0,1]
	v_fmac_f32_e32 v67, v33, v4
	v_fmac_f32_e32 v71, v35, v6
	;; [unrolled: 1-line block ×6, first 2 shown]
	v_fma_f32 v37, v32, v4, -v2
	v_fma_f32 v39, v34, v6, -v5
	;; [unrolled: 1-line block ×6, first 2 shown]
	v_pk_fma_f32 v[4:5], v[44:45], v[16:17], v[64:65] neg_lo:[0,0,1] neg_hi:[0,0,1]
	v_pk_fma_f32 v[6:7], v[44:45], v[16:17], v[64:65] op_sel_hi:[1,0,1]
	v_pk_mul_f32 v[8:9], v[46:47], v[66:67] op_sel:[1,0] op_sel_hi:[0,0]
	v_pk_fma_f32 v[10:11], v[48:49], v[20:21], v[68:69] neg_lo:[0,0,1] neg_hi:[0,0,1]
	v_pk_fma_f32 v[12:13], v[48:49], v[20:21], v[68:69] op_sel_hi:[1,0,1]
	v_pk_mul_f32 v[14:15], v[50:51], v[70:71] op_sel:[1,0] op_sel_hi:[0,0]
	v_pk_fma_f32 v[32:33], v[56:57], v[28:29], v[76:77] neg_lo:[0,0,1] neg_hi:[0,0,1]
	v_pk_fma_f32 v[28:29], v[56:57], v[28:29], v[76:77] op_sel_hi:[1,0,1]
	v_add_f32_e32 v37, 0, v37
	v_add_f32_e32 v28, 0, v67
	v_mov_b32_e32 v5, v7
	v_pk_fma_f32 v[6:7], v[46:47], v[18:19], v[8:9] neg_lo:[0,0,1] neg_hi:[0,0,1]
	v_pk_fma_f32 v[8:9], v[46:47], v[18:19], v[8:9] op_sel_hi:[1,0,1]
	v_mov_b32_e32 v11, v13
	v_pk_fma_f32 v[12:13], v[50:51], v[22:23], v[14:15] neg_lo:[0,0,1] neg_hi:[0,0,1]
	v_pk_fma_f32 v[14:15], v[50:51], v[22:23], v[14:15] op_sel_hi:[1,0,1]
	v_add_f32_e32 v8, v28, v71
	v_add_f32_e32 v14, v37, v39
	;; [unrolled: 1-line block ×4, first 2 shown]
	v_mov_b32_e32 v7, v9
	v_add_f32_e32 v9, v8, v79
	v_add_f32_e32 v8, v14, v38
	v_pk_add_f32 v[2:3], v[8:9], v[2:3]
	v_pk_mul_f32 v[72:73], v[52:53], v[24:25] op_sel:[1,1] op_sel_hi:[0,1]
	v_pk_add_f32 v[2:3], v[2:3], v[62:63]
	v_mov_b32_e32 v74, v27
	v_pk_add_f32 v[2:3], v[2:3], v[4:5]
	v_pk_fma_f32 v[16:17], v[52:53], v[24:25], v[72:73] neg_lo:[0,0,1] neg_hi:[0,0,1]
	v_pk_add_f32 v[2:3], v[2:3], v[6:7]
	v_pk_fma_f32 v[20:21], v[52:53], v[24:25], v[72:73] op_sel_hi:[1,0,1]
	v_pk_mul_f32 v[24:25], v[54:55], v[74:75] op_sel:[1,0] op_sel_hi:[0,0]
	v_mov_b32_e32 v13, v15
	v_pk_add_f32 v[2:3], v[2:3], v[10:11]
	v_mov_b32_e32 v78, v31
	v_mov_b32_e32 v17, v21
	v_pk_fma_f32 v[18:19], v[54:55], v[26:27], v[24:25] neg_lo:[0,0,1] neg_hi:[0,0,1]
	v_pk_fma_f32 v[20:21], v[54:55], v[26:27], v[24:25] op_sel_hi:[1,0,1]
	v_pk_add_f32 v[2:3], v[2:3], v[12:13]
	v_pk_mul_f32 v[34:35], v[58:59], v[78:79] op_sel:[1,0] op_sel_hi:[0,0]
	v_mov_b32_e32 v19, v21
	v_pk_add_f32 v[2:3], v[2:3], v[16:17]
	v_mov_b32_e32 v33, v29
	v_pk_fma_f32 v[22:23], v[58:59], v[30:31], v[34:35] neg_lo:[0,0,1] neg_hi:[0,0,1]
	v_pk_fma_f32 v[24:25], v[58:59], v[30:31], v[34:35] op_sel_hi:[1,0,1]
	v_pk_add_f32 v[2:3], v[2:3], v[18:19]
	v_mov_b32_e32 v23, v25
	v_pk_add_f32 v[2:3], v[2:3], v[32:33]
	s_nop 0
	v_pk_add_f32 v[2:3], v[2:3], v[22:23]
	s_waitcnt vmcnt(0)
	v_pk_add_f32 v[2:3], v[60:61], v[2:3] neg_lo:[0,1] neg_hi:[0,1]
	scratch_store_dwordx2 off, v[2:3], off offset:360
	s_and_saveexec_b64 s[0:1], vcc
	s_cbranch_execz .LBB123_285
; %bb.284:
	scratch_load_dwordx2 v[2:3], off, off offset:352
	v_mov_b32_e32 v4, 0
	v_mov_b32_e32 v5, v4
	scratch_store_dwordx2 off, v[4:5], off offset:352
	s_waitcnt vmcnt(1)
	ds_write_b64 v1, v[2:3]
.LBB123_285:
	s_or_b64 exec, exec, s[0:1]
	s_waitcnt lgkmcnt(0)
	; wave barrier
	scratch_load_dwordx4 v[4:7], off, off offset:360
	scratch_load_dwordx4 v[8:11], off, off offset:376
	;; [unrolled: 1-line block ×7, first 2 shown]
	scratch_load_dwordx2 v[60:61], off, off offset:472
	scratch_load_dwordx2 v[62:63], off, off offset:352
	v_mov_b32_e32 v2, 0
	ds_read2_b64 v[32:35], v2 offset0:105 offset1:106
	ds_read2_b64 v[36:39], v2 offset0:107 offset1:108
	;; [unrolled: 1-line block ×7, first 2 shown]
	ds_read_b64 v[64:65], v2 offset:952
	v_cmp_lt_u32_e32 vcc, 43, v0
	s_waitcnt vmcnt(8) lgkmcnt(7)
	v_mul_f32_e32 v71, v34, v7
	v_mul_f32_e32 v3, v32, v5
	s_waitcnt vmcnt(7) lgkmcnt(6)
	v_mul_f32_e32 v75, v36, v9
	s_waitcnt vmcnt(6) lgkmcnt(5)
	v_mul_f32_e32 v83, v40, v13
	v_mul_f32_e32 v67, v42, v15
	;; [unrolled: 1-line block ×5, first 2 shown]
	s_waitcnt vmcnt(5)
	v_mov_b32_e32 v70, v19
	s_waitcnt vmcnt(3) lgkmcnt(2)
	v_pk_mul_f32 v[76:77], v[52:53], v[24:25] op_sel:[1,1] op_sel_hi:[0,1]
	s_waitcnt vmcnt(2) lgkmcnt(1)
	v_pk_mul_f32 v[80:81], v[56:57], v[28:29] op_sel:[1,1] op_sel_hi:[0,1]
	v_fmac_f32_e32 v71, v35, v6
	v_mul_f32_e32 v7, v35, v7
	v_mul_f32_e32 v9, v37, v9
	v_fmac_f32_e32 v3, v33, v4
	v_fmac_f32_e32 v75, v37, v8
	;; [unrolled: 1-line block ×4, first 2 shown]
	v_fma_f32 v32, v32, v4, -v5
	v_fma_f32 v37, v40, v12, -v13
	;; [unrolled: 1-line block ×3, first 2 shown]
	v_pk_mul_f32 v[4:5], v[46:47], v[70:71] op_sel:[1,0] op_sel_hi:[0,0]
	v_pk_fma_f32 v[12:13], v[52:53], v[24:25], v[76:77] neg_lo:[0,0,1] neg_hi:[0,0,1]
	v_pk_fma_f32 v[14:15], v[52:53], v[24:25], v[76:77] op_sel_hi:[1,0,1]
	v_pk_fma_f32 v[24:25], v[56:57], v[28:29], v[80:81] op_sel_hi:[1,0,1]
	v_fma_f32 v34, v34, v6, -v7
	v_add_f32_e32 v3, 0, v3
	v_add_f32_e32 v24, 0, v32
	v_pk_fma_f32 v[32:33], v[46:47], v[18:19], v[4:5] neg_lo:[0,0,1] neg_hi:[0,0,1]
	v_pk_fma_f32 v[4:5], v[46:47], v[18:19], v[4:5] op_sel_hi:[1,0,1]
	v_mul_f32_e32 v79, v38, v11
	v_mul_f32_e32 v11, v39, v11
	v_fma_f32 v35, v36, v8, -v9
	v_add_f32_e32 v3, v3, v71
	v_add_f32_e32 v4, v24, v34
	v_fmac_f32_e32 v79, v39, v10
	v_fma_f32 v36, v38, v10, -v11
	v_add_f32_e32 v3, v3, v75
	v_add_f32_e32 v4, v4, v35
	;; [unrolled: 1-line block ×4, first 2 shown]
	v_mul_f32_e32 v69, v44, v17
	v_mul_f32_e32 v17, v45, v17
	v_mov_b32_e32 v33, v5
	v_add_f32_e32 v5, v3, v83
	v_add_f32_e32 v4, v4, v37
	v_pk_mul_f32 v[72:73], v[48:49], v[20:21] op_sel:[1,1] op_sel_hi:[0,1]
	v_mov_b32_e32 v74, v23
	v_fmac_f32_e32 v69, v45, v16
	v_fma_f32 v68, v44, v16, -v17
	v_pk_add_f32 v[4:5], v[4:5], v[66:67]
	v_pk_fma_f32 v[6:7], v[48:49], v[20:21], v[72:73] neg_lo:[0,0,1] neg_hi:[0,0,1]
	v_pk_fma_f32 v[8:9], v[48:49], v[20:21], v[72:73] op_sel_hi:[1,0,1]
	v_pk_mul_f32 v[10:11], v[50:51], v[74:75] op_sel:[1,0] op_sel_hi:[0,0]
	v_pk_add_f32 v[4:5], v[4:5], v[68:69]
	v_mov_b32_e32 v78, v27
	v_mov_b32_e32 v7, v9
	v_pk_fma_f32 v[8:9], v[50:51], v[22:23], v[10:11] neg_lo:[0,0,1] neg_hi:[0,0,1]
	v_pk_fma_f32 v[10:11], v[50:51], v[22:23], v[10:11] op_sel_hi:[1,0,1]
	v_pk_add_f32 v[4:5], v[4:5], v[32:33]
	v_pk_mul_f32 v[16:17], v[54:55], v[78:79] op_sel:[1,0] op_sel_hi:[0,0]
	v_mov_b32_e32 v9, v11
	v_pk_add_f32 v[4:5], v[4:5], v[6:7]
	v_mov_b32_e32 v82, v31
	v_mov_b32_e32 v13, v15
	v_pk_fma_f32 v[14:15], v[54:55], v[26:27], v[16:17] neg_lo:[0,0,1] neg_hi:[0,0,1]
	v_pk_fma_f32 v[16:17], v[54:55], v[26:27], v[16:17] op_sel_hi:[1,0,1]
	v_pk_add_f32 v[4:5], v[4:5], v[8:9]
	v_pk_fma_f32 v[20:21], v[56:57], v[28:29], v[80:81] neg_lo:[0,0,1] neg_hi:[0,0,1]
	v_pk_mul_f32 v[28:29], v[58:59], v[82:83] op_sel:[1,0] op_sel_hi:[0,0]
	v_mov_b32_e32 v15, v17
	v_pk_add_f32 v[4:5], v[4:5], v[12:13]
	v_mov_b32_e32 v21, v25
	v_pk_add_f32 v[4:5], v[4:5], v[14:15]
	v_pk_fma_f32 v[6:7], v[58:59], v[30:31], v[28:29] neg_lo:[0,0,1] neg_hi:[0,0,1]
	v_pk_fma_f32 v[8:9], v[58:59], v[30:31], v[28:29] op_sel_hi:[1,0,1]
	v_pk_add_f32 v[4:5], v[4:5], v[20:21]
	v_mov_b32_e32 v7, v9
	v_pk_add_f32 v[4:5], v[4:5], v[6:7]
	s_waitcnt vmcnt(1) lgkmcnt(0)
	v_pk_mul_f32 v[6:7], v[64:65], v[60:61] op_sel:[1,1] op_sel_hi:[0,1]
	v_pk_fma_f32 v[8:9], v[64:65], v[60:61], v[6:7] neg_lo:[0,0,1] neg_hi:[0,0,1]
	v_pk_fma_f32 v[6:7], v[64:65], v[60:61], v[6:7] op_sel_hi:[1,0,1]
	s_nop 0
	v_mov_b32_e32 v9, v7
	v_pk_add_f32 v[4:5], v[4:5], v[8:9]
	s_waitcnt vmcnt(0)
	v_pk_add_f32 v[4:5], v[62:63], v[4:5] neg_lo:[0,1] neg_hi:[0,1]
	scratch_store_dwordx2 off, v[4:5], off offset:352
	s_and_saveexec_b64 s[0:1], vcc
	s_cbranch_execz .LBB123_287
; %bb.286:
	scratch_load_dwordx2 v[4:5], off, off offset:344
	v_mov_b32_e32 v3, v2
	scratch_store_dwordx2 off, v[2:3], off offset:344
	s_waitcnt vmcnt(1)
	ds_write_b64 v1, v[4:5]
.LBB123_287:
	s_or_b64 exec, exec, s[0:1]
	s_waitcnt lgkmcnt(0)
	; wave barrier
	scratch_load_dwordx4 v[4:7], off, off offset:352
	scratch_load_dwordx4 v[8:11], off, off offset:368
	;; [unrolled: 1-line block ×7, first 2 shown]
	ds_read_b128 v[32:35], v2 offset:832
	ds_read_b128 v[36:39], v2 offset:848
	;; [unrolled: 1-line block ×4, first 2 shown]
	scratch_load_dwordx4 v[48:51], off, off offset:464
	ds_read_b128 v[52:55], v2 offset:896
	ds_read_b128 v[56:59], v2 offset:912
	;; [unrolled: 1-line block ×4, first 2 shown]
	scratch_load_dwordx2 v[2:3], off, off offset:344
	v_cmp_lt_u32_e32 vcc, 42, v0
	s_waitcnt vmcnt(8) lgkmcnt(7)
	v_mul_f32_e32 v75, v32, v5
	v_mul_f32_e32 v79, v34, v7
	s_waitcnt vmcnt(7) lgkmcnt(6)
	v_mul_f32_e32 v83, v36, v9
	v_mul_f32_e32 v84, v38, v11
	s_waitcnt vmcnt(6) lgkmcnt(5)
	v_mul_f32_e32 v85, v40, v13
	v_mul_f32_e32 v86, v42, v15
	v_mul_f32_e32 v5, v33, v5
	v_mul_f32_e32 v7, v35, v7
	;; [unrolled: 1-line block ×6, first 2 shown]
	s_waitcnt vmcnt(4) lgkmcnt(3)
	v_pk_mul_f32 v[72:73], v[52:53], v[20:21] op_sel:[1,1] op_sel_hi:[0,1]
	v_mov_b32_e32 v74, v23
	s_waitcnt vmcnt(3) lgkmcnt(2)
	v_pk_mul_f32 v[76:77], v[56:57], v[24:25] op_sel:[1,1] op_sel_hi:[0,1]
	v_mov_b32_e32 v78, v27
	v_fmac_f32_e32 v75, v33, v4
	v_fmac_f32_e32 v79, v35, v6
	;; [unrolled: 1-line block ×6, first 2 shown]
	v_fma_f32 v32, v32, v4, -v5
	v_fma_f32 v33, v34, v6, -v7
	;; [unrolled: 1-line block ×6, first 2 shown]
	v_pk_fma_f32 v[4:5], v[52:53], v[20:21], v[72:73] neg_lo:[0,0,1] neg_hi:[0,0,1]
	v_pk_fma_f32 v[6:7], v[52:53], v[20:21], v[72:73] op_sel_hi:[1,0,1]
	v_pk_mul_f32 v[8:9], v[54:55], v[74:75] op_sel:[1,0] op_sel_hi:[0,0]
	v_pk_fma_f32 v[10:11], v[56:57], v[24:25], v[76:77] neg_lo:[0,0,1] neg_hi:[0,0,1]
	v_pk_fma_f32 v[12:13], v[56:57], v[24:25], v[76:77] op_sel_hi:[1,0,1]
	v_pk_mul_f32 v[14:15], v[58:59], v[78:79] op_sel:[1,0] op_sel_hi:[0,0]
	v_add_f32_e32 v24, 0, v75
	v_add_f32_e32 v25, 0, v32
	v_mov_b32_e32 v5, v7
	v_pk_fma_f32 v[6:7], v[54:55], v[22:23], v[8:9] neg_lo:[0,0,1] neg_hi:[0,0,1]
	v_pk_fma_f32 v[8:9], v[54:55], v[22:23], v[8:9] op_sel_hi:[1,0,1]
	v_mov_b32_e32 v11, v13
	v_pk_fma_f32 v[12:13], v[58:59], v[26:27], v[14:15] neg_lo:[0,0,1] neg_hi:[0,0,1]
	v_pk_fma_f32 v[14:15], v[58:59], v[26:27], v[14:15] op_sel_hi:[1,0,1]
	v_add_f32_e32 v8, v24, v79
	v_add_f32_e32 v14, v25, v33
	v_mov_b32_e32 v7, v9
	v_add_f32_e32 v8, v8, v83
	v_add_f32_e32 v9, v14, v34
	;; [unrolled: 1-line block ×4, first 2 shown]
	v_mul_f32_e32 v69, v44, v17
	v_mul_f32_e32 v17, v45, v17
	v_add_f32_e32 v8, v8, v85
	v_add_f32_e32 v14, v9, v36
	v_mul_f32_e32 v71, v46, v19
	v_mul_f32_e32 v19, v47, v19
	v_fmac_f32_e32 v69, v45, v16
	v_fma_f32 v68, v44, v16, -v17
	v_add_f32_e32 v9, v8, v86
	v_add_f32_e32 v8, v14, v37
	v_fmac_f32_e32 v71, v47, v18
	v_fma_f32 v70, v46, v18, -v19
	v_pk_add_f32 v[8:9], v[8:9], v[68:69]
	s_waitcnt vmcnt(2) lgkmcnt(1)
	v_pk_mul_f32 v[80:81], v[60:61], v[28:29] op_sel:[1,1] op_sel_hi:[0,1]
	v_mov_b32_e32 v82, v31
	v_pk_add_f32 v[8:9], v[8:9], v[70:71]
	v_pk_fma_f32 v[16:17], v[60:61], v[28:29], v[80:81] neg_lo:[0,0,1] neg_hi:[0,0,1]
	v_pk_fma_f32 v[18:19], v[60:61], v[28:29], v[80:81] op_sel_hi:[1,0,1]
	v_pk_mul_f32 v[20:21], v[62:63], v[82:83] op_sel:[1,0] op_sel_hi:[0,0]
	v_pk_add_f32 v[4:5], v[8:9], v[4:5]
	v_mov_b32_e32 v17, v19
	v_pk_fma_f32 v[18:19], v[62:63], v[30:31], v[20:21] neg_lo:[0,0,1] neg_hi:[0,0,1]
	v_pk_add_f32 v[4:5], v[4:5], v[6:7]
	v_pk_fma_f32 v[6:7], v[62:63], v[30:31], v[20:21] op_sel_hi:[1,0,1]
	v_mov_b32_e32 v13, v15
	v_pk_add_f32 v[4:5], v[4:5], v[10:11]
	v_mov_b32_e32 v19, v7
	s_waitcnt vmcnt(1) lgkmcnt(0)
	v_pk_mul_f32 v[6:7], v[64:65], v[48:49] op_sel:[1,1] op_sel_hi:[0,1]
	v_pk_add_f32 v[4:5], v[4:5], v[12:13]
	v_pk_fma_f32 v[8:9], v[64:65], v[48:49], v[6:7] neg_lo:[0,0,1] neg_hi:[0,0,1]
	v_pk_fma_f32 v[6:7], v[64:65], v[48:49], v[6:7] op_sel_hi:[1,0,1]
	v_pk_add_f32 v[4:5], v[4:5], v[16:17]
	v_mov_b32_e32 v6, v51
	v_pk_add_f32 v[4:5], v[4:5], v[18:19]
	v_mov_b32_e32 v9, v7
	v_pk_mul_f32 v[6:7], v[66:67], v[6:7] op_sel:[1,0] op_sel_hi:[0,0]
	v_pk_add_f32 v[4:5], v[4:5], v[8:9]
	v_pk_fma_f32 v[8:9], v[66:67], v[50:51], v[6:7] neg_lo:[0,0,1] neg_hi:[0,0,1]
	v_pk_fma_f32 v[6:7], v[66:67], v[50:51], v[6:7] op_sel_hi:[1,0,1]
	s_nop 0
	v_mov_b32_e32 v9, v7
	v_pk_add_f32 v[4:5], v[4:5], v[8:9]
	s_waitcnt vmcnt(0)
	v_pk_add_f32 v[2:3], v[2:3], v[4:5] neg_lo:[0,1] neg_hi:[0,1]
	scratch_store_dwordx2 off, v[2:3], off offset:344
	s_and_saveexec_b64 s[0:1], vcc
	s_cbranch_execz .LBB123_289
; %bb.288:
	scratch_load_dwordx2 v[2:3], off, off offset:336
	v_mov_b32_e32 v4, 0
	v_mov_b32_e32 v5, v4
	scratch_store_dwordx2 off, v[4:5], off offset:336
	s_waitcnt vmcnt(1)
	ds_write_b64 v1, v[2:3]
.LBB123_289:
	s_or_b64 exec, exec, s[0:1]
	s_waitcnt lgkmcnt(0)
	; wave barrier
	scratch_load_dwordx4 v[4:7], off, off offset:344
	scratch_load_dwordx4 v[8:11], off, off offset:360
	;; [unrolled: 1-line block ×8, first 2 shown]
	scratch_load_dwordx2 v[68:69], off, off offset:472
	scratch_load_dwordx2 v[70:71], off, off offset:336
	v_mov_b32_e32 v2, 0
	ds_read2_b64 v[36:39], v2 offset0:103 offset1:104
	ds_read2_b64 v[40:43], v2 offset0:105 offset1:106
	;; [unrolled: 1-line block ×8, first 2 shown]
	ds_read_b64 v[72:73], v2 offset:952
	v_cmp_lt_u32_e32 vcc, 41, v0
	s_waitcnt vmcnt(9) lgkmcnt(8)
	v_mul_f32_e32 v79, v38, v7
	v_mul_f32_e32 v3, v36, v5
	s_waitcnt vmcnt(8) lgkmcnt(7)
	v_mul_f32_e32 v83, v40, v9
	s_waitcnt vmcnt(7) lgkmcnt(6)
	v_mul_f32_e32 v87, v44, v13
	v_mul_f32_e32 v5, v37, v5
	;; [unrolled: 1-line block ×5, first 2 shown]
	s_waitcnt vmcnt(5)
	v_mov_b32_e32 v78, v23
	s_waitcnt vmcnt(3) lgkmcnt(2)
	v_pk_mul_f32 v[84:85], v[60:61], v[28:29] op_sel:[1,1] op_sel_hi:[0,1]
	v_fmac_f32_e32 v79, v39, v6
	v_mul_f32_e32 v86, v42, v11
	v_mul_f32_e32 v89, v48, v17
	;; [unrolled: 1-line block ×4, first 2 shown]
	v_fmac_f32_e32 v3, v37, v4
	v_fmac_f32_e32 v87, v45, v12
	v_fma_f32 v36, v36, v4, -v5
	v_fma_f32 v37, v38, v6, -v7
	;; [unrolled: 1-line block ×4, first 2 shown]
	v_pk_mul_f32 v[4:5], v[54:55], v[78:79] op_sel:[1,0] op_sel_hi:[0,0]
	v_pk_fma_f32 v[12:13], v[60:61], v[28:29], v[84:85] neg_lo:[0,0,1] neg_hi:[0,0,1]
	v_fmac_f32_e32 v89, v49, v16
	v_fma_f32 v39, v42, v10, -v11
	v_fma_f32 v42, v48, v16, -v17
	v_add_f32_e32 v3, 0, v3
	v_add_f32_e32 v13, 0, v36
	v_pk_fma_f32 v[16:17], v[54:55], v[22:23], v[4:5] neg_lo:[0,0,1] neg_hi:[0,0,1]
	v_pk_fma_f32 v[4:5], v[54:55], v[22:23], v[4:5] op_sel_hi:[1,0,1]
	v_fmac_f32_e32 v83, v41, v8
	v_add_f32_e32 v3, v3, v79
	v_add_f32_e32 v4, v13, v37
	v_fmac_f32_e32 v86, v43, v10
	v_add_f32_e32 v3, v3, v83
	v_add_f32_e32 v4, v4, v38
	v_mul_f32_e32 v88, v46, v15
	v_mul_f32_e32 v15, v47, v15
	v_add_f32_e32 v3, v3, v86
	v_add_f32_e32 v4, v4, v39
	v_fmac_f32_e32 v88, v47, v14
	v_fma_f32 v41, v46, v14, -v15
	v_add_f32_e32 v3, v3, v87
	v_add_f32_e32 v4, v4, v40
	v_mul_f32_e32 v75, v50, v19
	v_mul_f32_e32 v19, v51, v19
	v_add_f32_e32 v3, v3, v88
	v_add_f32_e32 v4, v4, v41
	v_mul_f32_e32 v77, v52, v21
	v_mul_f32_e32 v21, v53, v21
	v_fmac_f32_e32 v75, v51, v18
	v_fma_f32 v74, v50, v18, -v19
	v_mov_b32_e32 v17, v5
	v_add_f32_e32 v5, v3, v89
	v_add_f32_e32 v4, v4, v42
	v_pk_mul_f32 v[80:81], v[56:57], v[24:25] op_sel:[1,1] op_sel_hi:[0,1]
	v_fmac_f32_e32 v77, v53, v20
	v_fma_f32 v76, v52, v20, -v21
	v_pk_add_f32 v[4:5], v[4:5], v[74:75]
	v_mov_b32_e32 v82, v27
	v_pk_fma_f32 v[6:7], v[56:57], v[24:25], v[80:81] neg_lo:[0,0,1] neg_hi:[0,0,1]
	v_pk_fma_f32 v[8:9], v[56:57], v[24:25], v[80:81] op_sel_hi:[1,0,1]
	v_pk_add_f32 v[4:5], v[4:5], v[76:77]
	v_pk_mul_f32 v[10:11], v[58:59], v[82:83] op_sel:[1,0] op_sel_hi:[0,0]
	v_mov_b32_e32 v7, v9
	v_pk_add_f32 v[4:5], v[4:5], v[16:17]
	v_pk_fma_f32 v[8:9], v[58:59], v[26:27], v[10:11] neg_lo:[0,0,1] neg_hi:[0,0,1]
	v_pk_fma_f32 v[10:11], v[58:59], v[26:27], v[10:11] op_sel_hi:[1,0,1]
	v_pk_add_f32 v[4:5], v[4:5], v[6:7]
	v_mov_b32_e32 v6, v31
	v_pk_fma_f32 v[14:15], v[60:61], v[28:29], v[84:85] op_sel_hi:[1,0,1]
	v_mov_b32_e32 v9, v11
	v_pk_mul_f32 v[6:7], v[62:63], v[6:7] op_sel:[1,0] op_sel_hi:[0,0]
	v_pk_add_f32 v[4:5], v[4:5], v[8:9]
	v_mov_b32_e32 v13, v15
	v_pk_fma_f32 v[8:9], v[62:63], v[30:31], v[6:7] neg_lo:[0,0,1] neg_hi:[0,0,1]
	v_pk_fma_f32 v[6:7], v[62:63], v[30:31], v[6:7] op_sel_hi:[1,0,1]
	v_pk_add_f32 v[4:5], v[4:5], v[12:13]
	v_mov_b32_e32 v9, v7
	s_waitcnt vmcnt(2) lgkmcnt(1)
	v_pk_mul_f32 v[6:7], v[64:65], v[32:33] op_sel:[1,1] op_sel_hi:[0,1]
	v_pk_add_f32 v[4:5], v[4:5], v[8:9]
	v_pk_fma_f32 v[8:9], v[64:65], v[32:33], v[6:7] neg_lo:[0,0,1] neg_hi:[0,0,1]
	v_pk_fma_f32 v[6:7], v[64:65], v[32:33], v[6:7] op_sel_hi:[1,0,1]
	s_nop 0
	v_mov_b32_e32 v6, v35
	v_mov_b32_e32 v9, v7
	v_pk_mul_f32 v[6:7], v[66:67], v[6:7] op_sel:[1,0] op_sel_hi:[0,0]
	v_pk_add_f32 v[4:5], v[4:5], v[8:9]
	v_pk_fma_f32 v[8:9], v[66:67], v[34:35], v[6:7] neg_lo:[0,0,1] neg_hi:[0,0,1]
	v_pk_fma_f32 v[6:7], v[66:67], v[34:35], v[6:7] op_sel_hi:[1,0,1]
	s_nop 0
	v_mov_b32_e32 v9, v7
	s_waitcnt vmcnt(1) lgkmcnt(0)
	v_pk_mul_f32 v[6:7], v[72:73], v[68:69] op_sel:[1,1] op_sel_hi:[0,1]
	v_pk_add_f32 v[4:5], v[4:5], v[8:9]
	v_pk_fma_f32 v[8:9], v[72:73], v[68:69], v[6:7] neg_lo:[0,0,1] neg_hi:[0,0,1]
	v_pk_fma_f32 v[6:7], v[72:73], v[68:69], v[6:7] op_sel_hi:[1,0,1]
	s_nop 0
	v_mov_b32_e32 v9, v7
	v_pk_add_f32 v[4:5], v[4:5], v[8:9]
	s_waitcnt vmcnt(0)
	v_pk_add_f32 v[4:5], v[70:71], v[4:5] neg_lo:[0,1] neg_hi:[0,1]
	scratch_store_dwordx2 off, v[4:5], off offset:336
	s_and_saveexec_b64 s[0:1], vcc
	s_cbranch_execz .LBB123_291
; %bb.290:
	scratch_load_dwordx2 v[4:5], off, off offset:328
	v_mov_b32_e32 v3, v2
	scratch_store_dwordx2 off, v[2:3], off offset:328
	s_waitcnt vmcnt(1)
	ds_write_b64 v1, v[4:5]
.LBB123_291:
	s_or_b64 exec, exec, s[0:1]
	s_waitcnt lgkmcnt(0)
	; wave barrier
	scratch_load_dwordx4 v[4:7], off, off offset:336
	scratch_load_dwordx4 v[8:11], off, off offset:352
	scratch_load_dwordx4 v[12:15], off, off offset:368
	scratch_load_dwordx4 v[16:19], off, off offset:384
	scratch_load_dwordx4 v[20:23], off, off offset:400
	scratch_load_dwordx4 v[24:27], off, off offset:416
	scratch_load_dwordx4 v[28:31], off, off offset:432
	ds_read_b128 v[32:35], v2 offset:816
	ds_read_b128 v[36:39], v2 offset:832
	;; [unrolled: 1-line block ×4, first 2 shown]
	scratch_load_dwordx4 v[48:51], off, off offset:448
	scratch_load_dwordx4 v[52:55], off, off offset:464
	ds_read_b128 v[56:59], v2 offset:880
	ds_read_b128 v[60:63], v2 offset:896
	;; [unrolled: 1-line block ×5, first 2 shown]
	scratch_load_dwordx2 v[2:3], off, off offset:328
	v_cmp_lt_u32_e32 vcc, 40, v0
	s_waitcnt vmcnt(9) lgkmcnt(8)
	v_mul_f32_e32 v83, v32, v5
	v_mul_f32_e32 v86, v34, v7
	s_waitcnt vmcnt(8) lgkmcnt(7)
	v_mul_f32_e32 v87, v36, v9
	s_waitcnt vmcnt(7) lgkmcnt(6)
	v_mul_f32_e32 v89, v40, v13
	v_mul_f32_e32 v5, v33, v5
	;; [unrolled: 1-line block ×5, first 2 shown]
	s_waitcnt vmcnt(4) lgkmcnt(3)
	v_pk_mul_f32 v[80:81], v[60:61], v[24:25] op_sel:[1,1] op_sel_hi:[0,1]
	v_mov_b32_e32 v82, v27
	s_waitcnt vmcnt(3) lgkmcnt(2)
	v_pk_mul_f32 v[84:85], v[64:65], v[28:29] op_sel:[1,1] op_sel_hi:[0,1]
	v_fmac_f32_e32 v83, v33, v4
	v_mul_f32_e32 v90, v42, v15
	v_mul_f32_e32 v91, v44, v17
	;; [unrolled: 1-line block ×4, first 2 shown]
	v_fmac_f32_e32 v86, v35, v6
	v_fmac_f32_e32 v87, v37, v8
	;; [unrolled: 1-line block ×3, first 2 shown]
	v_fma_f32 v32, v32, v4, -v5
	v_fma_f32 v33, v34, v6, -v7
	;; [unrolled: 1-line block ×4, first 2 shown]
	v_pk_fma_f32 v[4:5], v[60:61], v[24:25], v[80:81] neg_lo:[0,0,1] neg_hi:[0,0,1]
	v_pk_fma_f32 v[6:7], v[60:61], v[24:25], v[80:81] op_sel_hi:[1,0,1]
	v_pk_mul_f32 v[8:9], v[62:63], v[82:83] op_sel:[1,0] op_sel_hi:[0,0]
	v_pk_fma_f32 v[12:13], v[64:65], v[28:29], v[84:85] op_sel_hi:[1,0,1]
	v_fmac_f32_e32 v90, v43, v14
	v_fma_f32 v14, v42, v14, -v15
	v_fma_f32 v15, v44, v16, -v17
	v_add_f32_e32 v12, 0, v83
	v_add_f32_e32 v17, 0, v32
	v_mov_b32_e32 v5, v7
	v_pk_fma_f32 v[6:7], v[62:63], v[26:27], v[8:9] neg_lo:[0,0,1] neg_hi:[0,0,1]
	v_pk_fma_f32 v[8:9], v[62:63], v[26:27], v[8:9] op_sel_hi:[1,0,1]
	v_mul_f32_e32 v88, v38, v11
	v_mul_f32_e32 v11, v39, v11
	v_add_f32_e32 v8, v12, v86
	v_add_f32_e32 v12, v17, v33
	v_fmac_f32_e32 v88, v39, v10
	v_fma_f32 v35, v38, v10, -v11
	v_mov_b32_e32 v7, v9
	v_add_f32_e32 v8, v8, v87
	v_add_f32_e32 v9, v12, v34
	;; [unrolled: 1-line block ×6, first 2 shown]
	v_mul_f32_e32 v92, v46, v19
	v_mul_f32_e32 v19, v47, v19
	v_fmac_f32_e32 v91, v45, v16
	v_add_f32_e32 v8, v8, v90
	v_add_f32_e32 v9, v9, v14
	v_mul_f32_e32 v77, v56, v21
	v_mul_f32_e32 v21, v57, v21
	v_fmac_f32_e32 v92, v47, v18
	v_fma_f32 v16, v46, v18, -v19
	v_add_f32_e32 v8, v8, v91
	v_add_f32_e32 v12, v9, v15
	v_mul_f32_e32 v79, v58, v23
	v_mul_f32_e32 v23, v59, v23
	v_fmac_f32_e32 v77, v57, v20
	v_fma_f32 v76, v56, v20, -v21
	v_add_f32_e32 v9, v8, v92
	v_add_f32_e32 v8, v12, v16
	v_fmac_f32_e32 v79, v59, v22
	v_fma_f32 v78, v58, v22, -v23
	v_pk_add_f32 v[8:9], v[8:9], v[76:77]
	v_pk_fma_f32 v[10:11], v[64:65], v[28:29], v[84:85] neg_lo:[0,0,1] neg_hi:[0,0,1]
	v_pk_add_f32 v[8:9], v[8:9], v[78:79]
	v_mov_b32_e32 v11, v13
	v_pk_add_f32 v[4:5], v[8:9], v[4:5]
	s_nop 0
	v_pk_add_f32 v[4:5], v[4:5], v[6:7]
	v_mov_b32_e32 v6, v31
	v_pk_mul_f32 v[6:7], v[66:67], v[6:7] op_sel:[1,0] op_sel_hi:[0,0]
	v_pk_fma_f32 v[8:9], v[66:67], v[30:31], v[6:7] neg_lo:[0,0,1] neg_hi:[0,0,1]
	v_pk_fma_f32 v[6:7], v[66:67], v[30:31], v[6:7] op_sel_hi:[1,0,1]
	v_pk_add_f32 v[4:5], v[4:5], v[10:11]
	v_mov_b32_e32 v9, v7
	s_waitcnt vmcnt(2) lgkmcnt(1)
	v_pk_mul_f32 v[6:7], v[68:69], v[48:49] op_sel:[1,1] op_sel_hi:[0,1]
	v_pk_add_f32 v[4:5], v[4:5], v[8:9]
	v_pk_fma_f32 v[8:9], v[68:69], v[48:49], v[6:7] neg_lo:[0,0,1] neg_hi:[0,0,1]
	v_pk_fma_f32 v[6:7], v[68:69], v[48:49], v[6:7] op_sel_hi:[1,0,1]
	s_nop 0
	v_mov_b32_e32 v6, v51
	v_mov_b32_e32 v9, v7
	v_pk_mul_f32 v[6:7], v[70:71], v[6:7] op_sel:[1,0] op_sel_hi:[0,0]
	v_pk_add_f32 v[4:5], v[4:5], v[8:9]
	v_pk_fma_f32 v[8:9], v[70:71], v[50:51], v[6:7] neg_lo:[0,0,1] neg_hi:[0,0,1]
	v_pk_fma_f32 v[6:7], v[70:71], v[50:51], v[6:7] op_sel_hi:[1,0,1]
	s_nop 0
	v_mov_b32_e32 v9, v7
	s_waitcnt vmcnt(1) lgkmcnt(0)
	v_pk_mul_f32 v[6:7], v[72:73], v[52:53] op_sel:[1,1] op_sel_hi:[0,1]
	v_pk_add_f32 v[4:5], v[4:5], v[8:9]
	v_pk_fma_f32 v[8:9], v[72:73], v[52:53], v[6:7] neg_lo:[0,0,1] neg_hi:[0,0,1]
	v_pk_fma_f32 v[6:7], v[72:73], v[52:53], v[6:7] op_sel_hi:[1,0,1]
	s_nop 0
	v_mov_b32_e32 v6, v55
	v_mov_b32_e32 v9, v7
	v_pk_mul_f32 v[6:7], v[74:75], v[6:7] op_sel:[1,0] op_sel_hi:[0,0]
	v_pk_add_f32 v[4:5], v[4:5], v[8:9]
	v_pk_fma_f32 v[8:9], v[74:75], v[54:55], v[6:7] neg_lo:[0,0,1] neg_hi:[0,0,1]
	v_pk_fma_f32 v[6:7], v[74:75], v[54:55], v[6:7] op_sel_hi:[1,0,1]
	s_nop 0
	v_mov_b32_e32 v9, v7
	v_pk_add_f32 v[4:5], v[4:5], v[8:9]
	s_waitcnt vmcnt(0)
	v_pk_add_f32 v[2:3], v[2:3], v[4:5] neg_lo:[0,1] neg_hi:[0,1]
	scratch_store_dwordx2 off, v[2:3], off offset:328
	s_and_saveexec_b64 s[0:1], vcc
	s_cbranch_execz .LBB123_293
; %bb.292:
	scratch_load_dwordx2 v[2:3], off, off offset:320
	v_mov_b32_e32 v4, 0
	v_mov_b32_e32 v5, v4
	scratch_store_dwordx2 off, v[4:5], off offset:320
	s_waitcnt vmcnt(1)
	ds_write_b64 v1, v[2:3]
.LBB123_293:
	s_or_b64 exec, exec, s[0:1]
	s_waitcnt lgkmcnt(0)
	; wave barrier
	scratch_load_dwordx4 v[4:7], off, off offset:328
	scratch_load_dwordx4 v[8:11], off, off offset:344
	;; [unrolled: 1-line block ×9, first 2 shown]
	scratch_load_dwordx2 v[76:77], off, off offset:472
	scratch_load_dwordx2 v[78:79], off, off offset:320
	v_mov_b32_e32 v2, 0
	ds_read2_b64 v[40:43], v2 offset0:101 offset1:102
	ds_read2_b64 v[44:47], v2 offset0:103 offset1:104
	;; [unrolled: 1-line block ×9, first 2 shown]
	ds_read_b64 v[80:81], v2 offset:952
	v_cmp_lt_u32_e32 vcc, 39, v0
	s_waitcnt vmcnt(10) lgkmcnt(9)
	v_mul_f32_e32 v87, v42, v7
	v_mul_f32_e32 v3, v40, v5
	;; [unrolled: 1-line block ×3, first 2 shown]
	v_fmac_f32_e32 v87, v43, v6
	s_waitcnt vmcnt(9) lgkmcnt(8)
	v_mul_f32_e32 v88, v44, v9
	s_waitcnt vmcnt(5)
	v_mov_b32_e32 v86, v27
	v_mul_f32_e32 v89, v46, v11
	s_waitcnt lgkmcnt(7)
	v_mul_f32_e32 v91, v50, v15
	v_mul_f32_e32 v7, v43, v7
	;; [unrolled: 1-line block ×5, first 2 shown]
	v_fmac_f32_e32 v3, v41, v4
	v_fma_f32 v40, v40, v4, -v5
	s_waitcnt lgkmcnt(4)
	v_pk_mul_f32 v[4:5], v[62:63], v[86:87] op_sel:[1,0] op_sel_hi:[0,0]
	v_fmac_f32_e32 v88, v45, v8
	v_fma_f32 v41, v42, v6, -v7
	v_fma_f32 v8, v44, v8, -v9
	;; [unrolled: 1-line block ×4, first 2 shown]
	v_add_f32_e32 v3, 0, v3
	v_add_f32_e32 v15, 0, v40
	v_pk_fma_f32 v[6:7], v[62:63], v[26:27], v[4:5] neg_lo:[0,0,1] neg_hi:[0,0,1]
	v_pk_fma_f32 v[4:5], v[62:63], v[26:27], v[4:5] op_sel_hi:[1,0,1]
	v_add_f32_e32 v3, v3, v87
	v_add_f32_e32 v4, v15, v41
	v_mul_f32_e32 v90, v48, v13
	v_mul_f32_e32 v13, v49, v13
	v_fmac_f32_e32 v89, v47, v10
	v_add_f32_e32 v3, v3, v88
	v_add_f32_e32 v4, v4, v8
	v_fmac_f32_e32 v90, v49, v12
	v_fma_f32 v10, v48, v12, -v13
	v_add_f32_e32 v3, v3, v89
	v_add_f32_e32 v4, v4, v9
	v_mul_f32_e32 v92, v52, v17
	v_mul_f32_e32 v17, v53, v17
	v_fmac_f32_e32 v91, v51, v14
	v_add_f32_e32 v3, v3, v90
	v_add_f32_e32 v4, v4, v10
	v_mul_f32_e32 v93, v54, v19
	v_mul_f32_e32 v19, v55, v19
	v_fmac_f32_e32 v92, v53, v16
	v_fma_f32 v12, v52, v16, -v17
	v_add_f32_e32 v3, v3, v91
	v_add_f32_e32 v4, v4, v11
	v_mul_f32_e32 v94, v56, v21
	v_mul_f32_e32 v21, v57, v21
	v_fmac_f32_e32 v93, v55, v18
	v_fma_f32 v13, v54, v18, -v19
	;; [unrolled: 6-line block ×4, first 2 shown]
	v_mov_b32_e32 v7, v5
	v_add_f32_e32 v5, v3, v94
	v_add_f32_e32 v4, v4, v14
	v_fmac_f32_e32 v85, v61, v24
	v_fma_f32 v84, v60, v24, -v25
	v_pk_add_f32 v[4:5], v[4:5], v[82:83]
	s_nop 0
	v_pk_add_f32 v[4:5], v[4:5], v[84:85]
	s_nop 0
	v_pk_add_f32 v[4:5], v[4:5], v[6:7]
	s_waitcnt vmcnt(4) lgkmcnt(3)
	v_pk_mul_f32 v[6:7], v[64:65], v[28:29] op_sel:[1,1] op_sel_hi:[0,1]
	v_pk_fma_f32 v[8:9], v[64:65], v[28:29], v[6:7] neg_lo:[0,0,1] neg_hi:[0,0,1]
	v_pk_fma_f32 v[6:7], v[64:65], v[28:29], v[6:7] op_sel_hi:[1,0,1]
	s_nop 0
	v_mov_b32_e32 v6, v31
	v_mov_b32_e32 v9, v7
	v_pk_mul_f32 v[6:7], v[66:67], v[6:7] op_sel:[1,0] op_sel_hi:[0,0]
	v_pk_add_f32 v[4:5], v[4:5], v[8:9]
	v_pk_fma_f32 v[8:9], v[66:67], v[30:31], v[6:7] neg_lo:[0,0,1] neg_hi:[0,0,1]
	v_pk_fma_f32 v[6:7], v[66:67], v[30:31], v[6:7] op_sel_hi:[1,0,1]
	s_nop 0
	v_mov_b32_e32 v9, v7
	s_waitcnt vmcnt(3) lgkmcnt(2)
	v_pk_mul_f32 v[6:7], v[68:69], v[32:33] op_sel:[1,1] op_sel_hi:[0,1]
	v_pk_add_f32 v[4:5], v[4:5], v[8:9]
	v_pk_fma_f32 v[8:9], v[68:69], v[32:33], v[6:7] neg_lo:[0,0,1] neg_hi:[0,0,1]
	v_pk_fma_f32 v[6:7], v[68:69], v[32:33], v[6:7] op_sel_hi:[1,0,1]
	s_nop 0
	v_mov_b32_e32 v6, v35
	v_mov_b32_e32 v9, v7
	v_pk_mul_f32 v[6:7], v[70:71], v[6:7] op_sel:[1,0] op_sel_hi:[0,0]
	v_pk_add_f32 v[4:5], v[4:5], v[8:9]
	v_pk_fma_f32 v[8:9], v[70:71], v[34:35], v[6:7] neg_lo:[0,0,1] neg_hi:[0,0,1]
	v_pk_fma_f32 v[6:7], v[70:71], v[34:35], v[6:7] op_sel_hi:[1,0,1]
	s_nop 0
	v_mov_b32_e32 v9, v7
	s_waitcnt vmcnt(2) lgkmcnt(1)
	v_pk_mul_f32 v[6:7], v[72:73], v[36:37] op_sel:[1,1] op_sel_hi:[0,1]
	v_pk_add_f32 v[4:5], v[4:5], v[8:9]
	;; [unrolled: 14-line block ×3, first 2 shown]
	v_pk_fma_f32 v[8:9], v[80:81], v[76:77], v[6:7] neg_lo:[0,0,1] neg_hi:[0,0,1]
	v_pk_fma_f32 v[6:7], v[80:81], v[76:77], v[6:7] op_sel_hi:[1,0,1]
	s_nop 0
	v_mov_b32_e32 v9, v7
	v_pk_add_f32 v[4:5], v[4:5], v[8:9]
	s_waitcnt vmcnt(0)
	v_pk_add_f32 v[4:5], v[78:79], v[4:5] neg_lo:[0,1] neg_hi:[0,1]
	scratch_store_dwordx2 off, v[4:5], off offset:320
	s_and_saveexec_b64 s[0:1], vcc
	s_cbranch_execz .LBB123_295
; %bb.294:
	scratch_load_dwordx2 v[4:5], off, off offset:312
	v_mov_b32_e32 v3, v2
	scratch_store_dwordx2 off, v[2:3], off offset:312
	s_waitcnt vmcnt(1)
	ds_write_b64 v1, v[4:5]
.LBB123_295:
	s_or_b64 exec, exec, s[0:1]
	s_waitcnt lgkmcnt(0)
	; wave barrier
	scratch_load_dwordx4 v[4:7], off, off offset:320
	scratch_load_dwordx4 v[8:11], off, off offset:336
	scratch_load_dwordx4 v[12:15], off, off offset:352
	scratch_load_dwordx4 v[16:19], off, off offset:368
	scratch_load_dwordx4 v[20:23], off, off offset:384
	scratch_load_dwordx4 v[24:27], off, off offset:400
	scratch_load_dwordx4 v[28:31], off, off offset:416
	ds_read_b128 v[32:35], v2 offset:800
	ds_read_b128 v[36:39], v2 offset:816
	;; [unrolled: 1-line block ×6, first 2 shown]
	scratch_load_dwordx4 v[56:59], off, off offset:432
	scratch_load_dwordx4 v[60:63], off, off offset:448
	;; [unrolled: 1-line block ×3, first 2 shown]
	ds_read_b128 v[68:71], v2 offset:896
	ds_read_b128 v[72:75], v2 offset:912
	;; [unrolled: 1-line block ×4, first 2 shown]
	scratch_load_dwordx2 v[2:3], off, off offset:312
	v_cmp_lt_u32_e32 vcc, 38, v0
	s_waitcnt vmcnt(10) lgkmcnt(9)
	v_mul_f32_e32 v90, v32, v5
	v_mul_f32_e32 v5, v33, v5
	;; [unrolled: 1-line block ×3, first 2 shown]
	s_waitcnt vmcnt(9) lgkmcnt(8)
	v_mul_f32_e32 v92, v36, v9
	s_waitcnt vmcnt(8) lgkmcnt(7)
	v_mul_f32_e32 v95, v42, v15
	v_mul_f32_e32 v7, v35, v7
	v_mul_f32_e32 v9, v37, v9
	v_mul_f32_e32 v15, v43, v15
	v_fmac_f32_e32 v90, v33, v4
	v_fma_f32 v4, v32, v4, -v5
	v_fmac_f32_e32 v91, v35, v6
	v_fmac_f32_e32 v95, v43, v14
	v_fma_f32 v5, v34, v6, -v7
	v_fma_f32 v6, v36, v8, -v9
	;; [unrolled: 1-line block ×3, first 2 shown]
	v_add_f32_e32 v14, 0, v90
	v_add_f32_e32 v4, 0, v4
	v_mul_f32_e32 v93, v38, v11
	v_mul_f32_e32 v11, v39, v11
	v_fmac_f32_e32 v92, v37, v8
	v_add_f32_e32 v14, v14, v91
	v_add_f32_e32 v4, v4, v5
	v_mul_f32_e32 v94, v40, v13
	v_mul_f32_e32 v13, v41, v13
	v_fmac_f32_e32 v93, v39, v10
	v_fma_f32 v7, v38, v10, -v11
	v_add_f32_e32 v5, v14, v92
	v_add_f32_e32 v4, v4, v6
	v_fmac_f32_e32 v94, v41, v12
	v_fma_f32 v8, v40, v12, -v13
	v_add_f32_e32 v5, v5, v93
	v_add_f32_e32 v4, v4, v7
	s_waitcnt vmcnt(7) lgkmcnt(6)
	v_mul_f32_e32 v96, v44, v17
	v_mul_f32_e32 v17, v45, v17
	v_add_f32_e32 v5, v5, v94
	v_add_f32_e32 v4, v4, v8
	v_mul_f32_e32 v97, v46, v19
	v_mul_f32_e32 v19, v47, v19
	v_fmac_f32_e32 v96, v45, v16
	v_fma_f32 v10, v44, v16, -v17
	v_add_f32_e32 v5, v5, v95
	v_add_f32_e32 v4, v4, v9
	s_waitcnt vmcnt(6) lgkmcnt(5)
	v_mul_f32_e32 v98, v48, v21
	v_mul_f32_e32 v21, v49, v21
	v_fmac_f32_e32 v97, v47, v18
	v_fma_f32 v11, v46, v18, -v19
	v_add_f32_e32 v5, v5, v96
	v_add_f32_e32 v4, v4, v10
	v_mul_f32_e32 v99, v50, v23
	v_mul_f32_e32 v23, v51, v23
	v_fmac_f32_e32 v98, v49, v20
	v_fma_f32 v12, v48, v20, -v21
	v_add_f32_e32 v5, v5, v97
	v_add_f32_e32 v4, v4, v11
	s_waitcnt vmcnt(5) lgkmcnt(4)
	v_mul_f32_e32 v85, v52, v25
	v_mul_f32_e32 v25, v53, v25
	v_fmac_f32_e32 v99, v51, v22
	v_fma_f32 v13, v50, v22, -v23
	v_add_f32_e32 v5, v5, v98
	v_add_f32_e32 v4, v4, v12
	v_mul_f32_e32 v87, v54, v27
	v_mul_f32_e32 v27, v55, v27
	s_waitcnt vmcnt(4) lgkmcnt(3)
	v_pk_mul_f32 v[88:89], v[68:69], v[28:29] op_sel:[1,1] op_sel_hi:[0,1]
	v_fmac_f32_e32 v85, v53, v24
	v_fma_f32 v84, v52, v24, -v25
	v_add_f32_e32 v5, v5, v99
	v_add_f32_e32 v4, v4, v13
	v_fmac_f32_e32 v87, v55, v26
	v_fma_f32 v86, v54, v26, -v27
	v_pk_add_f32 v[4:5], v[4:5], v[84:85]
	v_pk_fma_f32 v[6:7], v[68:69], v[28:29], v[88:89] neg_lo:[0,0,1] neg_hi:[0,0,1]
	v_pk_fma_f32 v[8:9], v[68:69], v[28:29], v[88:89] op_sel_hi:[1,0,1]
	v_pk_add_f32 v[4:5], v[4:5], v[86:87]
	v_mov_b32_e32 v7, v9
	v_pk_add_f32 v[4:5], v[4:5], v[6:7]
	v_mov_b32_e32 v6, v31
	v_pk_mul_f32 v[6:7], v[70:71], v[6:7] op_sel:[1,0] op_sel_hi:[0,0]
	v_pk_fma_f32 v[8:9], v[70:71], v[30:31], v[6:7] neg_lo:[0,0,1] neg_hi:[0,0,1]
	v_pk_fma_f32 v[6:7], v[70:71], v[30:31], v[6:7] op_sel_hi:[1,0,1]
	s_nop 0
	v_mov_b32_e32 v9, v7
	s_waitcnt vmcnt(3) lgkmcnt(2)
	v_pk_mul_f32 v[6:7], v[72:73], v[56:57] op_sel:[1,1] op_sel_hi:[0,1]
	v_pk_add_f32 v[4:5], v[4:5], v[8:9]
	v_pk_fma_f32 v[8:9], v[72:73], v[56:57], v[6:7] neg_lo:[0,0,1] neg_hi:[0,0,1]
	v_pk_fma_f32 v[6:7], v[72:73], v[56:57], v[6:7] op_sel_hi:[1,0,1]
	s_nop 0
	v_mov_b32_e32 v6, v59
	v_mov_b32_e32 v9, v7
	v_pk_mul_f32 v[6:7], v[74:75], v[6:7] op_sel:[1,0] op_sel_hi:[0,0]
	v_pk_add_f32 v[4:5], v[4:5], v[8:9]
	v_pk_fma_f32 v[8:9], v[74:75], v[58:59], v[6:7] neg_lo:[0,0,1] neg_hi:[0,0,1]
	v_pk_fma_f32 v[6:7], v[74:75], v[58:59], v[6:7] op_sel_hi:[1,0,1]
	s_nop 0
	v_mov_b32_e32 v9, v7
	s_waitcnt vmcnt(2) lgkmcnt(1)
	v_pk_mul_f32 v[6:7], v[76:77], v[60:61] op_sel:[1,1] op_sel_hi:[0,1]
	v_pk_add_f32 v[4:5], v[4:5], v[8:9]
	v_pk_fma_f32 v[8:9], v[76:77], v[60:61], v[6:7] neg_lo:[0,0,1] neg_hi:[0,0,1]
	v_pk_fma_f32 v[6:7], v[76:77], v[60:61], v[6:7] op_sel_hi:[1,0,1]
	s_nop 0
	v_mov_b32_e32 v6, v63
	v_mov_b32_e32 v9, v7
	v_pk_mul_f32 v[6:7], v[78:79], v[6:7] op_sel:[1,0] op_sel_hi:[0,0]
	v_pk_add_f32 v[4:5], v[4:5], v[8:9]
	;; [unrolled: 14-line block ×3, first 2 shown]
	v_pk_fma_f32 v[8:9], v[82:83], v[66:67], v[6:7] neg_lo:[0,0,1] neg_hi:[0,0,1]
	v_pk_fma_f32 v[6:7], v[82:83], v[66:67], v[6:7] op_sel_hi:[1,0,1]
	s_nop 0
	v_mov_b32_e32 v9, v7
	v_pk_add_f32 v[4:5], v[4:5], v[8:9]
	s_waitcnt vmcnt(0)
	v_pk_add_f32 v[2:3], v[2:3], v[4:5] neg_lo:[0,1] neg_hi:[0,1]
	scratch_store_dwordx2 off, v[2:3], off offset:312
	s_and_saveexec_b64 s[0:1], vcc
	s_cbranch_execz .LBB123_297
; %bb.296:
	scratch_load_dwordx2 v[2:3], off, off offset:304
	v_mov_b32_e32 v4, 0
	v_mov_b32_e32 v5, v4
	scratch_store_dwordx2 off, v[4:5], off offset:304
	s_waitcnt vmcnt(1)
	ds_write_b64 v1, v[2:3]
.LBB123_297:
	s_or_b64 exec, exec, s[0:1]
	s_waitcnt lgkmcnt(0)
	; wave barrier
	scratch_load_dwordx4 v[2:5], off, off offset:312
	scratch_load_dwordx4 v[8:11], off, off offset:328
	;; [unrolled: 1-line block ×10, first 2 shown]
	scratch_load_dwordx2 v[76:77], off, off offset:472
	scratch_load_dwordx2 v[78:79], off, off offset:304
	v_mov_b32_e32 v6, 0
	ds_read2_b64 v[44:47], v6 offset0:99 offset1:100
	ds_read2_b64 v[48:51], v6 offset0:101 offset1:102
	;; [unrolled: 1-line block ×8, first 2 shown]
	v_cmp_lt_u32_e32 vcc, 37, v0
	s_waitcnt vmcnt(11) lgkmcnt(7)
	v_mul_f32_e32 v7, v44, v3
	v_mul_f32_e32 v3, v45, v3
	v_mul_f32_e32 v80, v46, v5
	v_mul_f32_e32 v5, v47, v5
	v_fmac_f32_e32 v7, v45, v2
	v_fma_f32 v2, v44, v2, -v3
	s_waitcnt vmcnt(10) lgkmcnt(6)
	v_mul_f32_e32 v82, v48, v9
	v_mul_f32_e32 v9, v49, v9
	v_fma_f32 v3, v46, v4, -v5
	v_add_f32_e32 v2, 0, v2
	v_mul_f32_e32 v84, v50, v11
	v_mul_f32_e32 v11, v51, v11
	v_fmac_f32_e32 v80, v47, v4
	v_fma_f32 v4, v48, v8, -v9
	v_add_f32_e32 v7, 0, v7
	v_add_f32_e32 v2, v2, v3
	s_waitcnt vmcnt(9) lgkmcnt(5)
	v_mul_f32_e32 v85, v52, v13
	v_mul_f32_e32 v13, v53, v13
	v_fmac_f32_e32 v82, v49, v8
	v_fma_f32 v5, v50, v10, -v11
	v_add_f32_e32 v7, v7, v80
	v_add_f32_e32 v2, v2, v4
	v_mul_f32_e32 v86, v54, v15
	v_mul_f32_e32 v15, v55, v15
	v_fmac_f32_e32 v84, v51, v10
	v_fma_f32 v8, v52, v12, -v13
	v_add_f32_e32 v3, v7, v82
	v_add_f32_e32 v2, v2, v5
	s_waitcnt vmcnt(8) lgkmcnt(4)
	v_mul_f32_e32 v87, v56, v17
	v_mul_f32_e32 v17, v57, v17
	v_fmac_f32_e32 v85, v53, v12
	v_fma_f32 v9, v54, v14, -v15
	v_add_f32_e32 v3, v3, v84
	;; [unrolled: 13-line block ×4, first 2 shown]
	v_add_f32_e32 v2, v2, v12
	v_fmac_f32_e32 v90, v63, v22
	v_fma_f32 v14, v64, v24, -v25
	v_add_f32_e32 v3, v3, v89
	v_add_f32_e32 v2, v2, v13
	v_mul_f32_e32 v81, v66, v27
	v_fmac_f32_e32 v91, v65, v24
	v_add_f32_e32 v3, v3, v90
	v_add_f32_e32 v12, v2, v14
	v_mul_f32_e32 v2, v67, v27
	s_waitcnt vmcnt(5)
	v_mov_b32_e32 v16, v31
	s_waitcnt lgkmcnt(1)
	v_mul_f32_e32 v83, v68, v29
	v_fmac_f32_e32 v81, v67, v26
	v_add_f32_e32 v13, v3, v91
	v_fma_f32 v80, v66, v26, -v2
	v_mul_f32_e32 v2, v69, v29
	v_pk_mul_f32 v[16:17], v[70:71], v[16:17] op_sel:[1,0] op_sel_hi:[0,0]
	v_fmac_f32_e32 v83, v69, v28
	v_fma_f32 v82, v68, v28, -v2
	v_pk_add_f32 v[12:13], v[12:13], v[80:81]
	v_pk_fma_f32 v[18:19], v[70:71], v[30:31], v[16:17] neg_lo:[0,0,1] neg_hi:[0,0,1]
	v_pk_fma_f32 v[16:17], v[70:71], v[30:31], v[16:17] op_sel_hi:[1,0,1]
	v_pk_add_f32 v[12:13], v[12:13], v[82:83]
	v_mov_b32_e32 v19, v17
	s_waitcnt vmcnt(4) lgkmcnt(0)
	v_pk_mul_f32 v[16:17], v[72:73], v[32:33] op_sel:[1,1] op_sel_hi:[0,1]
	v_pk_add_f32 v[12:13], v[12:13], v[18:19]
	v_pk_fma_f32 v[18:19], v[72:73], v[32:33], v[16:17] neg_lo:[0,0,1] neg_hi:[0,0,1]
	v_pk_fma_f32 v[16:17], v[72:73], v[32:33], v[16:17] op_sel_hi:[1,0,1]
	ds_read2_b64 v[2:5], v6 offset0:115 offset1:116
	ds_read2_b64 v[8:11], v6 offset0:117 offset1:118
	ds_read_b64 v[14:15], v6 offset:952
	v_mov_b32_e32 v16, v35
	v_mov_b32_e32 v19, v17
	v_pk_mul_f32 v[16:17], v[74:75], v[16:17] op_sel:[1,0] op_sel_hi:[0,0]
	v_pk_add_f32 v[12:13], v[12:13], v[18:19]
	v_pk_fma_f32 v[18:19], v[74:75], v[34:35], v[16:17] neg_lo:[0,0,1] neg_hi:[0,0,1]
	v_pk_fma_f32 v[16:17], v[74:75], v[34:35], v[16:17] op_sel_hi:[1,0,1]
	s_nop 0
	v_mov_b32_e32 v19, v17
	s_waitcnt vmcnt(3) lgkmcnt(2)
	v_pk_mul_f32 v[16:17], v[2:3], v[36:37] op_sel:[1,1] op_sel_hi:[0,1]
	v_pk_add_f32 v[12:13], v[12:13], v[18:19]
	v_pk_fma_f32 v[18:19], v[2:3], v[36:37], v[16:17] neg_lo:[0,0,1] neg_hi:[0,0,1]
	v_pk_fma_f32 v[2:3], v[2:3], v[36:37], v[16:17] op_sel_hi:[1,0,1]
	s_nop 0
	v_mov_b32_e32 v19, v3
	v_pk_add_f32 v[2:3], v[12:13], v[18:19]
	v_mov_b32_e32 v12, v39
	v_pk_mul_f32 v[12:13], v[4:5], v[12:13] op_sel:[1,0] op_sel_hi:[0,0]
	v_pk_fma_f32 v[16:17], v[4:5], v[38:39], v[12:13] neg_lo:[0,0,1] neg_hi:[0,0,1]
	v_pk_fma_f32 v[4:5], v[4:5], v[38:39], v[12:13] op_sel_hi:[1,0,1]
	s_nop 0
	v_mov_b32_e32 v17, v5
	s_waitcnt vmcnt(2) lgkmcnt(1)
	v_pk_mul_f32 v[4:5], v[8:9], v[40:41] op_sel:[1,1] op_sel_hi:[0,1]
	v_pk_fma_f32 v[12:13], v[8:9], v[40:41], v[4:5] neg_lo:[0,0,1] neg_hi:[0,0,1]
	v_pk_fma_f32 v[4:5], v[8:9], v[40:41], v[4:5] op_sel_hi:[1,0,1]
	v_pk_add_f32 v[2:3], v[2:3], v[16:17]
	v_mov_b32_e32 v4, v43
	v_mov_b32_e32 v13, v5
	v_pk_mul_f32 v[4:5], v[10:11], v[4:5] op_sel:[1,0] op_sel_hi:[0,0]
	v_pk_fma_f32 v[8:9], v[10:11], v[42:43], v[4:5] neg_lo:[0,0,1] neg_hi:[0,0,1]
	v_pk_fma_f32 v[4:5], v[10:11], v[42:43], v[4:5] op_sel_hi:[1,0,1]
	v_pk_add_f32 v[2:3], v[2:3], v[12:13]
	v_mov_b32_e32 v9, v5
	s_waitcnt vmcnt(1) lgkmcnt(0)
	v_pk_mul_f32 v[4:5], v[14:15], v[76:77] op_sel:[1,1] op_sel_hi:[0,1]
	v_pk_add_f32 v[2:3], v[2:3], v[8:9]
	v_pk_fma_f32 v[8:9], v[14:15], v[76:77], v[4:5] neg_lo:[0,0,1] neg_hi:[0,0,1]
	v_pk_fma_f32 v[4:5], v[14:15], v[76:77], v[4:5] op_sel_hi:[1,0,1]
	s_nop 0
	v_mov_b32_e32 v9, v5
	v_pk_add_f32 v[2:3], v[2:3], v[8:9]
	s_waitcnt vmcnt(0)
	v_pk_add_f32 v[2:3], v[78:79], v[2:3] neg_lo:[0,1] neg_hi:[0,1]
	scratch_store_dwordx2 off, v[2:3], off offset:304
	s_and_saveexec_b64 s[0:1], vcc
	s_cbranch_execz .LBB123_299
; %bb.298:
	scratch_load_dwordx2 v[2:3], off, off offset:296
	v_mov_b32_e32 v7, v6
	scratch_store_dwordx2 off, v[6:7], off offset:296
	s_waitcnt vmcnt(1)
	ds_write_b64 v1, v[2:3]
.LBB123_299:
	s_or_b64 exec, exec, s[0:1]
	s_waitcnt lgkmcnt(0)
	; wave barrier
	scratch_load_dwordx4 v[8:11], off, off offset:304
	scratch_load_dwordx4 v[12:15], off, off offset:320
	;; [unrolled: 1-line block ×7, first 2 shown]
	ds_read_b128 v[36:39], v6 offset:784
	ds_read_b128 v[40:43], v6 offset:800
	;; [unrolled: 1-line block ×6, first 2 shown]
	scratch_load_dwordx4 v[60:63], off, off offset:416
	scratch_load_dwordx4 v[64:67], off, off offset:432
	;; [unrolled: 1-line block ×4, first 2 shown]
	ds_read_b128 v[72:75], v6 offset:880
	ds_read_b128 v[76:79], v6 offset:896
	scratch_load_dwordx2 v[80:81], off, off offset:296
	v_cmp_lt_u32_e32 vcc, 36, v0
	s_waitcnt vmcnt(11) lgkmcnt(7)
	v_mul_f32_e32 v7, v36, v9
	v_mul_f32_e32 v82, v38, v11
	v_mul_f32_e32 v9, v37, v9
	v_fmac_f32_e32 v7, v37, v8
	s_waitcnt vmcnt(10) lgkmcnt(6)
	v_mul_f32_e32 v84, v40, v13
	v_mul_f32_e32 v11, v39, v11
	v_fmac_f32_e32 v82, v39, v10
	v_fma_f32 v8, v36, v8, -v9
	v_add_f32_e32 v7, 0, v7
	v_mul_f32_e32 v86, v42, v15
	v_mul_f32_e32 v13, v41, v13
	v_fmac_f32_e32 v84, v41, v12
	v_fma_f32 v9, v38, v10, -v11
	v_add_f32_e32 v8, 0, v8
	v_add_f32_e32 v7, v7, v82
	s_waitcnt vmcnt(9) lgkmcnt(5)
	v_mul_f32_e32 v87, v44, v17
	v_mul_f32_e32 v15, v43, v15
	v_fmac_f32_e32 v86, v43, v14
	v_fma_f32 v10, v40, v12, -v13
	v_add_f32_e32 v8, v8, v9
	v_add_f32_e32 v7, v7, v84
	v_mul_f32_e32 v88, v46, v19
	v_mul_f32_e32 v17, v45, v17
	v_fmac_f32_e32 v87, v45, v16
	v_fma_f32 v11, v42, v14, -v15
	v_add_f32_e32 v8, v8, v10
	v_add_f32_e32 v7, v7, v86
	s_waitcnt vmcnt(8) lgkmcnt(4)
	v_mul_f32_e32 v89, v48, v21
	v_mul_f32_e32 v19, v47, v19
	v_fmac_f32_e32 v88, v47, v18
	v_fma_f32 v12, v44, v16, -v17
	v_add_f32_e32 v8, v8, v11
	;; [unrolled: 13-line block ×4, first 2 shown]
	v_add_f32_e32 v7, v7, v91
	v_mul_f32_e32 v94, v58, v31
	v_mul_f32_e32 v29, v57, v29
	v_fmac_f32_e32 v93, v57, v28
	v_fma_f32 v17, v54, v26, -v27
	v_add_f32_e32 v8, v8, v16
	v_add_f32_e32 v7, v7, v92
	v_fmac_f32_e32 v94, v59, v30
	v_fma_f32 v18, v56, v28, -v29
	v_add_f32_e32 v8, v8, v17
	v_add_f32_e32 v7, v7, v93
	;; [unrolled: 1-line block ×4, first 2 shown]
	v_mul_f32_e32 v8, v59, v31
	v_fma_f32 v8, v58, v30, -v8
	s_waitcnt vmcnt(5) lgkmcnt(1)
	v_mul_f32_e32 v83, v72, v33
	v_add_f32_e32 v20, v7, v8
	v_mul_f32_e32 v7, v73, v33
	v_fmac_f32_e32 v83, v73, v32
	v_fma_f32 v82, v72, v32, -v7
	v_mul_f32_e32 v7, v75, v35
	v_fma_f32 v84, v74, v34, -v7
	ds_read_b128 v[8:11], v6 offset:912
	ds_read_b128 v[12:15], v6 offset:928
	;; [unrolled: 1-line block ×3, first 2 shown]
	v_pk_add_f32 v[6:7], v[20:21], v[82:83]
	s_waitcnt vmcnt(4) lgkmcnt(3)
	v_pk_mul_f32 v[20:21], v[76:77], v[60:61] op_sel:[1,1] op_sel_hi:[0,1]
	v_mul_f32_e32 v85, v74, v35
	v_pk_fma_f32 v[22:23], v[76:77], v[60:61], v[20:21] neg_lo:[0,0,1] neg_hi:[0,0,1]
	v_pk_fma_f32 v[20:21], v[76:77], v[60:61], v[20:21] op_sel_hi:[1,0,1]
	v_fmac_f32_e32 v85, v75, v34
	v_mov_b32_e32 v20, v63
	v_pk_add_f32 v[6:7], v[6:7], v[84:85]
	v_mov_b32_e32 v23, v21
	v_pk_mul_f32 v[20:21], v[78:79], v[20:21] op_sel:[1,0] op_sel_hi:[0,0]
	v_pk_add_f32 v[6:7], v[6:7], v[22:23]
	v_pk_fma_f32 v[22:23], v[78:79], v[62:63], v[20:21] neg_lo:[0,0,1] neg_hi:[0,0,1]
	v_pk_fma_f32 v[20:21], v[78:79], v[62:63], v[20:21] op_sel_hi:[1,0,1]
	s_nop 0
	v_mov_b32_e32 v23, v21
	s_waitcnt vmcnt(3) lgkmcnt(2)
	v_pk_mul_f32 v[20:21], v[8:9], v[64:65] op_sel:[1,1] op_sel_hi:[0,1]
	v_pk_add_f32 v[6:7], v[6:7], v[22:23]
	v_pk_fma_f32 v[22:23], v[8:9], v[64:65], v[20:21] neg_lo:[0,0,1] neg_hi:[0,0,1]
	v_pk_fma_f32 v[8:9], v[8:9], v[64:65], v[20:21] op_sel_hi:[1,0,1]
	s_nop 0
	v_mov_b32_e32 v8, v67
	v_mov_b32_e32 v23, v9
	v_pk_mul_f32 v[8:9], v[10:11], v[8:9] op_sel:[1,0] op_sel_hi:[0,0]
	v_pk_fma_f32 v[20:21], v[10:11], v[66:67], v[8:9] neg_lo:[0,0,1] neg_hi:[0,0,1]
	v_pk_fma_f32 v[8:9], v[10:11], v[66:67], v[8:9] op_sel_hi:[1,0,1]
	v_pk_add_f32 v[6:7], v[6:7], v[22:23]
	v_mov_b32_e32 v21, v9
	s_waitcnt vmcnt(2) lgkmcnt(1)
	v_pk_mul_f32 v[8:9], v[12:13], v[68:69] op_sel:[1,1] op_sel_hi:[0,1]
	v_pk_fma_f32 v[10:11], v[12:13], v[68:69], v[8:9] neg_lo:[0,0,1] neg_hi:[0,0,1]
	v_pk_fma_f32 v[8:9], v[12:13], v[68:69], v[8:9] op_sel_hi:[1,0,1]
	v_pk_add_f32 v[6:7], v[6:7], v[20:21]
	v_mov_b32_e32 v8, v71
	v_mov_b32_e32 v11, v9
	v_pk_mul_f32 v[8:9], v[14:15], v[8:9] op_sel:[1,0] op_sel_hi:[0,0]
	v_pk_add_f32 v[6:7], v[6:7], v[10:11]
	v_pk_fma_f32 v[10:11], v[14:15], v[70:71], v[8:9] neg_lo:[0,0,1] neg_hi:[0,0,1]
	v_pk_fma_f32 v[8:9], v[14:15], v[70:71], v[8:9] op_sel_hi:[1,0,1]
	s_nop 0
	v_mov_b32_e32 v11, v9
	s_waitcnt vmcnt(1) lgkmcnt(0)
	v_pk_mul_f32 v[8:9], v[16:17], v[2:3] op_sel:[1,1] op_sel_hi:[0,1]
	v_pk_add_f32 v[6:7], v[6:7], v[10:11]
	v_pk_fma_f32 v[10:11], v[16:17], v[2:3], v[8:9] neg_lo:[0,0,1] neg_hi:[0,0,1]
	v_pk_fma_f32 v[2:3], v[16:17], v[2:3], v[8:9] op_sel_hi:[1,0,1]
	s_nop 0
	v_mov_b32_e32 v11, v3
	v_pk_add_f32 v[2:3], v[6:7], v[10:11]
	v_mov_b32_e32 v6, v5
	v_pk_mul_f32 v[6:7], v[18:19], v[6:7] op_sel:[1,0] op_sel_hi:[0,0]
	v_pk_fma_f32 v[8:9], v[18:19], v[4:5], v[6:7] neg_lo:[0,0,1] neg_hi:[0,0,1]
	v_pk_fma_f32 v[4:5], v[18:19], v[4:5], v[6:7] op_sel_hi:[1,0,1]
	s_nop 0
	v_mov_b32_e32 v9, v5
	v_pk_add_f32 v[2:3], v[2:3], v[8:9]
	s_waitcnt vmcnt(0)
	v_pk_add_f32 v[2:3], v[80:81], v[2:3] neg_lo:[0,1] neg_hi:[0,1]
	scratch_store_dwordx2 off, v[2:3], off offset:296
	s_and_saveexec_b64 s[0:1], vcc
	s_cbranch_execz .LBB123_301
; %bb.300:
	scratch_load_dwordx2 v[2:3], off, off offset:288
	v_mov_b32_e32 v4, 0
	v_mov_b32_e32 v5, v4
	scratch_store_dwordx2 off, v[4:5], off offset:288
	s_waitcnt vmcnt(1)
	ds_write_b64 v1, v[2:3]
.LBB123_301:
	s_or_b64 exec, exec, s[0:1]
	s_waitcnt lgkmcnt(0)
	; wave barrier
	scratch_load_dwordx4 v[2:5], off, off offset:296
	scratch_load_dwordx4 v[14:17], off, off offset:312
	;; [unrolled: 1-line block ×11, first 2 shown]
	scratch_load_dwordx2 v[22:23], off, off offset:472
	scratch_load_dwordx2 v[36:37], off, off offset:288
	v_mov_b32_e32 v38, 0
	ds_read2_b64 v[52:55], v38 offset0:97 offset1:98
	ds_read2_b64 v[56:59], v38 offset0:99 offset1:100
	;; [unrolled: 1-line block ×8, first 2 shown]
	v_cmp_lt_u32_e32 vcc, 35, v0
	s_waitcnt vmcnt(12) lgkmcnt(7)
	v_mul_f32_e32 v39, v52, v3
	v_mul_f32_e32 v84, v54, v5
	;; [unrolled: 1-line block ×3, first 2 shown]
	v_fmac_f32_e32 v39, v53, v2
	s_waitcnt vmcnt(8) lgkmcnt(3)
	v_mul_f32_e32 v93, v68, v19
	v_mul_f32_e32 v19, v69, v19
	;; [unrolled: 1-line block ×4, first 2 shown]
	v_fmac_f32_e32 v84, v55, v4
	v_fmac_f32_e32 v93, v69, v18
	v_fma_f32 v2, v52, v2, -v3
	v_fma_f32 v18, v68, v18, -v19
	v_add_f32_e32 v19, 0, v39
	v_mul_f32_e32 v88, v58, v17
	v_fmac_f32_e32 v86, v57, v14
	v_fma_f32 v3, v54, v4, -v5
	v_add_f32_e32 v2, 0, v2
	v_add_f32_e32 v19, v19, v84
	v_mul_f32_e32 v89, v60, v25
	v_fmac_f32_e32 v88, v59, v16
	v_add_f32_e32 v2, v2, v3
	v_add_f32_e32 v3, v19, v86
	v_mul_f32_e32 v90, v62, v27
	v_fmac_f32_e32 v89, v61, v24
	v_add_f32_e32 v3, v3, v88
	v_mul_f32_e32 v91, v64, v29
	v_mul_f32_e32 v15, v57, v15
	v_fmac_f32_e32 v90, v63, v26
	v_add_f32_e32 v3, v3, v89
	v_mul_f32_e32 v92, v66, v31
	v_mul_f32_e32 v17, v59, v17
	v_fmac_f32_e32 v91, v65, v28
	v_fma_f32 v4, v56, v14, -v15
	v_add_f32_e32 v3, v3, v90
	v_mul_f32_e32 v25, v61, v25
	v_fmac_f32_e32 v92, v67, v30
	v_fma_f32 v5, v58, v16, -v17
	v_add_f32_e32 v2, v2, v4
	v_add_f32_e32 v3, v3, v91
	v_mul_f32_e32 v94, v70, v21
	v_mul_f32_e32 v27, v63, v27
	v_fma_f32 v14, v60, v24, -v25
	v_add_f32_e32 v2, v2, v5
	v_add_f32_e32 v3, v3, v92
	s_waitcnt vmcnt(7) lgkmcnt(2)
	v_mul_f32_e32 v95, v72, v33
	v_mul_f32_e32 v29, v65, v29
	v_fmac_f32_e32 v94, v71, v20
	v_fma_f32 v15, v62, v26, -v27
	v_add_f32_e32 v2, v2, v14
	v_add_f32_e32 v3, v3, v93
	v_mul_f32_e32 v96, v74, v35
	v_mul_f32_e32 v31, v67, v31
	v_fmac_f32_e32 v95, v73, v32
	v_fma_f32 v16, v64, v28, -v29
	v_add_f32_e32 v2, v2, v15
	v_add_f32_e32 v3, v3, v94
	s_waitcnt vmcnt(6) lgkmcnt(1)
	v_mul_f32_e32 v97, v76, v41
	v_fmac_f32_e32 v96, v75, v34
	v_fma_f32 v17, v66, v30, -v31
	v_add_f32_e32 v2, v2, v16
	v_add_f32_e32 v3, v3, v95
	v_mul_f32_e32 v21, v71, v21
	v_fmac_f32_e32 v97, v77, v40
	v_add_f32_e32 v2, v2, v17
	v_add_f32_e32 v3, v3, v96
	;; [unrolled: 1-line block ×4, first 2 shown]
	v_fma_f32 v3, v70, v20, -v21
	v_add_f32_e32 v2, v2, v3
	v_mul_f32_e32 v3, v73, v33
	v_fma_f32 v3, v72, v32, -v3
	v_add_f32_e32 v2, v2, v3
	v_mul_f32_e32 v3, v75, v35
	;; [unrolled: 3-line block ×4, first 2 shown]
	v_mul_f32_e32 v85, v78, v43
	v_fma_f32 v84, v78, v42, -v2
	s_waitcnt vmcnt(5) lgkmcnt(0)
	v_mul_f32_e32 v2, v81, v45
	v_mov_b32_e32 v28, v47
	v_mul_f32_e32 v87, v80, v45
	v_fmac_f32_e32 v85, v79, v42
	v_fma_f32 v86, v80, v44, -v2
	ds_read2_b64 v[2:5], v38 offset0:113 offset1:114
	ds_read2_b64 v[14:17], v38 offset0:115 offset1:116
	;; [unrolled: 1-line block ×3, first 2 shown]
	ds_read_b64 v[26:27], v38 offset:952
	v_pk_mul_f32 v[28:29], v[82:83], v[28:29] op_sel:[1,0] op_sel_hi:[0,0]
	v_fmac_f32_e32 v87, v81, v44
	v_pk_add_f32 v[24:25], v[24:25], v[84:85]
	v_pk_fma_f32 v[30:31], v[82:83], v[46:47], v[28:29] neg_lo:[0,0,1] neg_hi:[0,0,1]
	v_pk_fma_f32 v[28:29], v[82:83], v[46:47], v[28:29] op_sel_hi:[1,0,1]
	v_pk_add_f32 v[24:25], v[24:25], v[86:87]
	v_mov_b32_e32 v31, v29
	s_waitcnt vmcnt(4) lgkmcnt(3)
	v_pk_mul_f32 v[28:29], v[2:3], v[48:49] op_sel:[1,1] op_sel_hi:[0,1]
	v_pk_add_f32 v[24:25], v[24:25], v[30:31]
	v_pk_fma_f32 v[30:31], v[2:3], v[48:49], v[28:29] neg_lo:[0,0,1] neg_hi:[0,0,1]
	v_pk_fma_f32 v[2:3], v[2:3], v[48:49], v[28:29] op_sel_hi:[1,0,1]
	s_nop 0
	v_mov_b32_e32 v31, v3
	v_pk_add_f32 v[2:3], v[24:25], v[30:31]
	v_mov_b32_e32 v24, v51
	v_pk_mul_f32 v[24:25], v[4:5], v[24:25] op_sel:[1,0] op_sel_hi:[0,0]
	v_pk_fma_f32 v[28:29], v[4:5], v[50:51], v[24:25] neg_lo:[0,0,1] neg_hi:[0,0,1]
	v_pk_fma_f32 v[4:5], v[4:5], v[50:51], v[24:25] op_sel_hi:[1,0,1]
	s_nop 0
	v_mov_b32_e32 v29, v5
	s_waitcnt vmcnt(3) lgkmcnt(2)
	v_pk_mul_f32 v[4:5], v[14:15], v[10:11] op_sel:[1,1] op_sel_hi:[0,1]
	v_pk_fma_f32 v[24:25], v[14:15], v[10:11], v[4:5] neg_lo:[0,0,1] neg_hi:[0,0,1]
	v_pk_fma_f32 v[4:5], v[14:15], v[10:11], v[4:5] op_sel_hi:[1,0,1]
	v_pk_add_f32 v[2:3], v[2:3], v[28:29]
	v_mov_b32_e32 v4, v13
	v_mov_b32_e32 v25, v5
	v_pk_mul_f32 v[4:5], v[16:17], v[4:5] op_sel:[1,0] op_sel_hi:[0,0]
	v_pk_fma_f32 v[10:11], v[16:17], v[12:13], v[4:5] neg_lo:[0,0,1] neg_hi:[0,0,1]
	v_pk_fma_f32 v[4:5], v[16:17], v[12:13], v[4:5] op_sel_hi:[1,0,1]
	v_pk_add_f32 v[2:3], v[2:3], v[24:25]
	v_mov_b32_e32 v11, v5
	s_waitcnt vmcnt(2) lgkmcnt(1)
	v_pk_mul_f32 v[4:5], v[18:19], v[6:7] op_sel:[1,1] op_sel_hi:[0,1]
	v_pk_add_f32 v[2:3], v[2:3], v[10:11]
	v_pk_fma_f32 v[10:11], v[18:19], v[6:7], v[4:5] neg_lo:[0,0,1] neg_hi:[0,0,1]
	v_pk_fma_f32 v[4:5], v[18:19], v[6:7], v[4:5] op_sel_hi:[1,0,1]
	s_nop 0
	v_mov_b32_e32 v4, v9
	v_mov_b32_e32 v11, v5
	v_pk_mul_f32 v[4:5], v[20:21], v[4:5] op_sel:[1,0] op_sel_hi:[0,0]
	v_pk_fma_f32 v[6:7], v[20:21], v[8:9], v[4:5] neg_lo:[0,0,1] neg_hi:[0,0,1]
	v_pk_fma_f32 v[4:5], v[20:21], v[8:9], v[4:5] op_sel_hi:[1,0,1]
	v_pk_add_f32 v[2:3], v[2:3], v[10:11]
	v_mov_b32_e32 v7, v5
	s_waitcnt vmcnt(1) lgkmcnt(0)
	v_pk_mul_f32 v[4:5], v[26:27], v[22:23] op_sel:[1,1] op_sel_hi:[0,1]
	v_pk_add_f32 v[2:3], v[2:3], v[6:7]
	v_pk_fma_f32 v[6:7], v[26:27], v[22:23], v[4:5] neg_lo:[0,0,1] neg_hi:[0,0,1]
	v_pk_fma_f32 v[4:5], v[26:27], v[22:23], v[4:5] op_sel_hi:[1,0,1]
	s_nop 0
	v_mov_b32_e32 v7, v5
	v_pk_add_f32 v[2:3], v[2:3], v[6:7]
	s_waitcnt vmcnt(0)
	v_pk_add_f32 v[2:3], v[36:37], v[2:3] neg_lo:[0,1] neg_hi:[0,1]
	scratch_store_dwordx2 off, v[2:3], off offset:288
	s_and_saveexec_b64 s[0:1], vcc
	s_cbranch_execz .LBB123_303
; %bb.302:
	scratch_load_dwordx2 v[2:3], off, off offset:280
	v_mov_b32_e32 v39, v38
	scratch_store_dwordx2 off, v[38:39], off offset:280
	s_waitcnt vmcnt(1)
	ds_write_b64 v1, v[2:3]
.LBB123_303:
	s_or_b64 exec, exec, s[0:1]
	s_waitcnt lgkmcnt(0)
	; wave barrier
	scratch_load_dwordx4 v[6:9], off, off offset:288
	scratch_load_dwordx4 v[18:21], off, off offset:304
	;; [unrolled: 1-line block ×8, first 2 shown]
	ds_read_b128 v[48:51], v38 offset:768
	ds_read_b128 v[52:55], v38 offset:784
	;; [unrolled: 1-line block ×8, first 2 shown]
	scratch_load_dwordx4 v[80:83], off, off offset:416
	scratch_load_dwordx4 v[26:29], off, off offset:432
	;; [unrolled: 1-line block ×4, first 2 shown]
	scratch_load_dwordx2 v[84:85], off, off offset:280
	v_cmp_lt_u32_e32 vcc, 34, v0
	s_waitcnt vmcnt(12) lgkmcnt(7)
	v_mul_f32_e32 v39, v48, v7
	v_mul_f32_e32 v86, v50, v9
	v_mul_f32_e32 v7, v49, v7
	v_fmac_f32_e32 v39, v49, v6
	s_waitcnt vmcnt(8) lgkmcnt(3)
	v_mul_f32_e32 v95, v64, v15
	v_mul_f32_e32 v15, v65, v15
	;; [unrolled: 1-line block ×4, first 2 shown]
	v_fmac_f32_e32 v86, v51, v8
	v_fmac_f32_e32 v95, v65, v14
	v_fma_f32 v6, v48, v6, -v7
	v_fma_f32 v14, v64, v14, -v15
	v_add_f32_e32 v15, 0, v39
	v_mul_f32_e32 v90, v54, v21
	v_fmac_f32_e32 v88, v53, v18
	v_fma_f32 v7, v50, v8, -v9
	v_add_f32_e32 v6, 0, v6
	v_add_f32_e32 v15, v15, v86
	v_mul_f32_e32 v91, v56, v35
	v_fmac_f32_e32 v90, v55, v20
	v_add_f32_e32 v6, v6, v7
	v_add_f32_e32 v7, v15, v88
	v_mul_f32_e32 v92, v58, v37
	v_fmac_f32_e32 v91, v57, v34
	v_add_f32_e32 v7, v7, v90
	v_mul_f32_e32 v93, v60, v41
	v_fmac_f32_e32 v92, v59, v36
	;; [unrolled: 3-line block ×4, first 2 shown]
	v_add_f32_e32 v7, v7, v93
	v_mul_f32_e32 v96, v66, v17
	v_mul_f32_e32 v21, v55, v21
	v_fma_f32 v8, v52, v18, -v19
	v_add_f32_e32 v7, v7, v94
	s_waitcnt vmcnt(7) lgkmcnt(2)
	v_mul_f32_e32 v97, v68, v23
	v_mul_f32_e32 v35, v57, v35
	v_fmac_f32_e32 v96, v67, v16
	v_fma_f32 v9, v54, v20, -v21
	v_add_f32_e32 v6, v6, v8
	v_add_f32_e32 v7, v7, v95
	v_mul_f32_e32 v98, v70, v25
	v_mul_f32_e32 v37, v59, v37
	v_fmac_f32_e32 v97, v69, v22
	v_fma_f32 v18, v56, v34, -v35
	v_add_f32_e32 v6, v6, v9
	v_add_f32_e32 v7, v7, v96
	s_waitcnt vmcnt(6) lgkmcnt(1)
	v_mul_f32_e32 v99, v72, v31
	v_mul_f32_e32 v41, v61, v41
	v_fmac_f32_e32 v98, v71, v24
	v_fma_f32 v19, v58, v36, -v37
	v_add_f32_e32 v6, v6, v18
	v_add_f32_e32 v7, v7, v97
	v_mul_f32_e32 v100, v74, v33
	v_mul_f32_e32 v43, v63, v43
	v_fmac_f32_e32 v99, v73, v30
	v_fma_f32 v20, v60, v40, -v41
	v_add_f32_e32 v6, v6, v19
	v_add_f32_e32 v7, v7, v98
	v_fmac_f32_e32 v100, v75, v32
	v_fma_f32 v21, v62, v42, -v43
	v_add_f32_e32 v6, v6, v20
	v_add_f32_e32 v7, v7, v99
	;; [unrolled: 1-line block ×4, first 2 shown]
	v_mul_f32_e32 v7, v67, v17
	v_add_f32_e32 v6, v6, v14
	v_fma_f32 v7, v66, v16, -v7
	v_add_f32_e32 v6, v6, v7
	v_mul_f32_e32 v7, v69, v23
	v_fma_f32 v7, v68, v22, -v7
	v_add_f32_e32 v6, v6, v7
	v_mul_f32_e32 v7, v71, v25
	;; [unrolled: 3-line block ×4, first 2 shown]
	v_fma_f32 v7, v74, v32, -v7
	v_add_f32_e32 v34, v6, v7
	s_waitcnt vmcnt(5) lgkmcnt(0)
	v_mul_f32_e32 v6, v77, v45
	v_fma_f32 v86, v76, v44, -v6
	v_mul_f32_e32 v6, v79, v47
	v_fma_f32 v88, v78, v46, -v6
	ds_read_b128 v[6:9], v38 offset:896
	ds_read_b128 v[14:17], v38 offset:912
	;; [unrolled: 1-line block ×4, first 2 shown]
	v_mul_f32_e32 v87, v76, v45
	v_mul_f32_e32 v89, v78, v47
	v_fmac_f32_e32 v87, v77, v44
	s_waitcnt vmcnt(4) lgkmcnt(3)
	v_pk_mul_f32 v[32:33], v[6:7], v[80:81] op_sel:[1,1] op_sel_hi:[0,1]
	v_fmac_f32_e32 v89, v79, v46
	v_pk_add_f32 v[30:31], v[34:35], v[86:87]
	v_pk_fma_f32 v[34:35], v[6:7], v[80:81], v[32:33] neg_lo:[0,0,1] neg_hi:[0,0,1]
	v_pk_fma_f32 v[6:7], v[6:7], v[80:81], v[32:33] op_sel_hi:[1,0,1]
	v_pk_add_f32 v[30:31], v[30:31], v[88:89]
	v_mov_b32_e32 v35, v7
	v_pk_add_f32 v[6:7], v[30:31], v[34:35]
	v_mov_b32_e32 v30, v83
	v_pk_mul_f32 v[30:31], v[8:9], v[30:31] op_sel:[1,0] op_sel_hi:[0,0]
	v_pk_fma_f32 v[32:33], v[8:9], v[82:83], v[30:31] neg_lo:[0,0,1] neg_hi:[0,0,1]
	v_pk_fma_f32 v[8:9], v[8:9], v[82:83], v[30:31] op_sel_hi:[1,0,1]
	s_nop 0
	v_mov_b32_e32 v33, v9
	s_waitcnt vmcnt(3) lgkmcnt(2)
	v_pk_mul_f32 v[8:9], v[14:15], v[26:27] op_sel:[1,1] op_sel_hi:[0,1]
	v_pk_fma_f32 v[30:31], v[14:15], v[26:27], v[8:9] neg_lo:[0,0,1] neg_hi:[0,0,1]
	v_pk_fma_f32 v[8:9], v[14:15], v[26:27], v[8:9] op_sel_hi:[1,0,1]
	v_pk_add_f32 v[6:7], v[6:7], v[32:33]
	v_mov_b32_e32 v8, v29
	v_mov_b32_e32 v31, v9
	v_pk_mul_f32 v[8:9], v[16:17], v[8:9] op_sel:[1,0] op_sel_hi:[0,0]
	v_pk_fma_f32 v[14:15], v[16:17], v[28:29], v[8:9] neg_lo:[0,0,1] neg_hi:[0,0,1]
	v_pk_fma_f32 v[8:9], v[16:17], v[28:29], v[8:9] op_sel_hi:[1,0,1]
	v_pk_add_f32 v[6:7], v[6:7], v[30:31]
	v_mov_b32_e32 v15, v9
	s_waitcnt vmcnt(2) lgkmcnt(1)
	v_pk_mul_f32 v[8:9], v[18:19], v[10:11] op_sel:[1,1] op_sel_hi:[0,1]
	v_pk_add_f32 v[6:7], v[6:7], v[14:15]
	v_pk_fma_f32 v[14:15], v[18:19], v[10:11], v[8:9] neg_lo:[0,0,1] neg_hi:[0,0,1]
	v_pk_fma_f32 v[8:9], v[18:19], v[10:11], v[8:9] op_sel_hi:[1,0,1]
	s_nop 0
	v_mov_b32_e32 v8, v13
	v_mov_b32_e32 v15, v9
	v_pk_mul_f32 v[8:9], v[20:21], v[8:9] op_sel:[1,0] op_sel_hi:[0,0]
	v_pk_fma_f32 v[10:11], v[20:21], v[12:13], v[8:9] neg_lo:[0,0,1] neg_hi:[0,0,1]
	v_pk_fma_f32 v[8:9], v[20:21], v[12:13], v[8:9] op_sel_hi:[1,0,1]
	v_pk_add_f32 v[6:7], v[6:7], v[14:15]
	v_mov_b32_e32 v11, v9
	s_waitcnt vmcnt(1) lgkmcnt(0)
	v_pk_mul_f32 v[8:9], v[22:23], v[2:3] op_sel:[1,1] op_sel_hi:[0,1]
	v_pk_add_f32 v[6:7], v[6:7], v[10:11]
	v_pk_fma_f32 v[10:11], v[22:23], v[2:3], v[8:9] neg_lo:[0,0,1] neg_hi:[0,0,1]
	v_pk_fma_f32 v[2:3], v[22:23], v[2:3], v[8:9] op_sel_hi:[1,0,1]
	s_nop 0
	v_mov_b32_e32 v11, v3
	v_pk_add_f32 v[2:3], v[6:7], v[10:11]
	v_mov_b32_e32 v6, v5
	v_pk_mul_f32 v[6:7], v[24:25], v[6:7] op_sel:[1,0] op_sel_hi:[0,0]
	v_pk_fma_f32 v[8:9], v[24:25], v[4:5], v[6:7] neg_lo:[0,0,1] neg_hi:[0,0,1]
	v_pk_fma_f32 v[4:5], v[24:25], v[4:5], v[6:7] op_sel_hi:[1,0,1]
	s_nop 0
	v_mov_b32_e32 v9, v5
	v_pk_add_f32 v[2:3], v[2:3], v[8:9]
	s_waitcnt vmcnt(0)
	v_pk_add_f32 v[2:3], v[84:85], v[2:3] neg_lo:[0,1] neg_hi:[0,1]
	scratch_store_dwordx2 off, v[2:3], off offset:280
	s_and_saveexec_b64 s[0:1], vcc
	s_cbranch_execz .LBB123_305
; %bb.304:
	scratch_load_dwordx2 v[2:3], off, off offset:272
	v_mov_b32_e32 v4, 0
	v_mov_b32_e32 v5, v4
	scratch_store_dwordx2 off, v[4:5], off offset:272
	s_waitcnt vmcnt(1)
	ds_write_b64 v1, v[2:3]
.LBB123_305:
	s_or_b64 exec, exec, s[0:1]
	s_waitcnt lgkmcnt(0)
	; wave barrier
	scratch_load_dwordx4 v[2:5], off, off offset:280
	scratch_load_dwordx4 v[22:25], off, off offset:296
	;; [unrolled: 1-line block ×12, first 2 shown]
	scratch_load_dwordx2 v[50:51], off, off offset:472
	scratch_load_dwordx2 v[56:57], off, off offset:272
	v_mov_b32_e32 v58, 0
	ds_read2_b64 v[52:55], v58 offset0:95 offset1:96
	ds_read2_b64 v[60:63], v58 offset0:97 offset1:98
	;; [unrolled: 1-line block ×10, first 2 shown]
	v_cmp_lt_u32_e32 vcc, 33, v0
	s_waitcnt vmcnt(13) lgkmcnt(9)
	v_mul_f32_e32 v59, v52, v3
	v_mul_f32_e32 v96, v54, v5
	;; [unrolled: 1-line block ×3, first 2 shown]
	s_waitcnt vmcnt(10) lgkmcnt(6)
	v_mul_f32_e32 v103, v68, v11
	v_mul_f32_e32 v11, v69, v11
	v_fmac_f32_e32 v59, v53, v2
	v_mul_f32_e32 v98, v60, v23
	v_mul_f32_e32 v5, v55, v5
	v_fmac_f32_e32 v96, v55, v4
	v_fmac_f32_e32 v103, v69, v10
	v_fma_f32 v2, v52, v2, -v3
	v_fma_f32 v10, v68, v10, -v11
	v_add_f32_e32 v11, 0, v59
	v_mul_f32_e32 v100, v62, v25
	v_fmac_f32_e32 v98, v61, v22
	v_fma_f32 v3, v54, v4, -v5
	v_add_f32_e32 v2, 0, v2
	v_add_f32_e32 v11, v11, v96
	v_mul_f32_e32 v101, v64, v39
	v_fmac_f32_e32 v100, v63, v24
	v_add_f32_e32 v2, v2, v3
	v_add_f32_e32 v3, v11, v98
	v_mul_f32_e32 v102, v66, v41
	v_fmac_f32_e32 v101, v65, v38
	v_add_f32_e32 v3, v3, v100
	v_fmac_f32_e32 v102, v67, v40
	v_add_f32_e32 v3, v3, v101
	v_mul_f32_e32 v104, v70, v13
	v_add_f32_e32 v3, v3, v102
	s_waitcnt vmcnt(9) lgkmcnt(5)
	v_mul_f32_e32 v105, v72, v15
	v_fmac_f32_e32 v104, v71, v12
	v_add_f32_e32 v3, v3, v103
	v_mul_f32_e32 v106, v74, v17
	v_fmac_f32_e32 v105, v73, v14
	v_add_f32_e32 v3, v3, v104
	s_waitcnt vmcnt(8) lgkmcnt(4)
	v_mul_f32_e32 v107, v76, v27
	v_fmac_f32_e32 v106, v75, v16
	v_add_f32_e32 v3, v3, v105
	v_mul_f32_e32 v108, v78, v29
	v_mul_f32_e32 v23, v61, v23
	v_fmac_f32_e32 v107, v77, v26
	v_add_f32_e32 v3, v3, v106
	s_waitcnt vmcnt(7) lgkmcnt(3)
	v_mul_f32_e32 v109, v80, v31
	v_mul_f32_e32 v25, v63, v25
	v_fmac_f32_e32 v108, v79, v28
	v_fma_f32 v4, v60, v22, -v23
	v_add_f32_e32 v3, v3, v107
	v_mul_f32_e32 v110, v82, v33
	v_mul_f32_e32 v39, v65, v39
	v_fmac_f32_e32 v109, v81, v30
	v_fma_f32 v5, v62, v24, -v25
	v_add_f32_e32 v2, v2, v4
	v_add_f32_e32 v3, v3, v108
	s_waitcnt vmcnt(6) lgkmcnt(2)
	v_mul_f32_e32 v111, v84, v43
	v_mul_f32_e32 v41, v67, v41
	v_fmac_f32_e32 v110, v83, v32
	v_fma_f32 v22, v64, v38, -v39
	v_add_f32_e32 v2, v2, v5
	v_add_f32_e32 v3, v3, v109
	v_fmac_f32_e32 v111, v85, v42
	v_fma_f32 v23, v66, v40, -v41
	v_add_f32_e32 v2, v2, v22
	v_add_f32_e32 v3, v3, v110
	;; [unrolled: 1-line block ×4, first 2 shown]
	v_mul_f32_e32 v3, v71, v13
	v_add_f32_e32 v2, v2, v10
	v_fma_f32 v3, v70, v12, -v3
	v_add_f32_e32 v2, v2, v3
	v_mul_f32_e32 v3, v73, v15
	v_fma_f32 v3, v72, v14, -v3
	v_add_f32_e32 v2, v2, v3
	v_mul_f32_e32 v3, v75, v17
	;; [unrolled: 3-line block ×7, first 2 shown]
	v_fma_f32 v3, v84, v42, -v3
	v_mul_f32_e32 v97, v86, v45
	v_add_f32_e32 v22, v2, v3
	v_mul_f32_e32 v2, v87, v45
	v_fmac_f32_e32 v97, v87, v44
	v_fma_f32 v96, v86, v44, -v2
	v_pk_add_f32 v[16:17], v[22:23], v[96:97]
	s_waitcnt vmcnt(5)
	v_mov_b32_e32 v22, v49
	s_waitcnt lgkmcnt(1)
	v_mul_f32_e32 v99, v88, v47
	v_mul_f32_e32 v2, v89, v47
	v_pk_mul_f32 v[22:23], v[90:91], v[22:23] op_sel:[1,0] op_sel_hi:[0,0]
	v_fmac_f32_e32 v99, v89, v46
	v_fma_f32 v98, v88, v46, -v2
	v_pk_fma_f32 v[24:25], v[90:91], v[48:49], v[22:23] neg_lo:[0,0,1] neg_hi:[0,0,1]
	v_pk_fma_f32 v[22:23], v[90:91], v[48:49], v[22:23] op_sel_hi:[1,0,1]
	v_pk_add_f32 v[16:17], v[16:17], v[98:99]
	v_mov_b32_e32 v25, v23
	s_waitcnt vmcnt(4) lgkmcnt(0)
	v_pk_mul_f32 v[22:23], v[92:93], v[34:35] op_sel:[1,1] op_sel_hi:[0,1]
	v_pk_add_f32 v[16:17], v[16:17], v[24:25]
	v_pk_fma_f32 v[24:25], v[92:93], v[34:35], v[22:23] neg_lo:[0,0,1] neg_hi:[0,0,1]
	v_pk_fma_f32 v[22:23], v[92:93], v[34:35], v[22:23] op_sel_hi:[1,0,1]
	ds_read2_b64 v[2:5], v58 offset0:115 offset1:116
	ds_read2_b64 v[10:13], v58 offset0:117 offset1:118
	ds_read_b64 v[14:15], v58 offset:952
	v_mov_b32_e32 v22, v37
	v_mov_b32_e32 v25, v23
	v_pk_mul_f32 v[22:23], v[94:95], v[22:23] op_sel:[1,0] op_sel_hi:[0,0]
	v_pk_add_f32 v[16:17], v[16:17], v[24:25]
	v_pk_fma_f32 v[24:25], v[94:95], v[36:37], v[22:23] neg_lo:[0,0,1] neg_hi:[0,0,1]
	v_pk_fma_f32 v[22:23], v[94:95], v[36:37], v[22:23] op_sel_hi:[1,0,1]
	s_nop 0
	v_mov_b32_e32 v25, v23
	s_waitcnt vmcnt(3) lgkmcnt(2)
	v_pk_mul_f32 v[22:23], v[2:3], v[18:19] op_sel:[1,1] op_sel_hi:[0,1]
	v_pk_add_f32 v[16:17], v[16:17], v[24:25]
	v_pk_fma_f32 v[24:25], v[2:3], v[18:19], v[22:23] neg_lo:[0,0,1] neg_hi:[0,0,1]
	v_pk_fma_f32 v[2:3], v[2:3], v[18:19], v[22:23] op_sel_hi:[1,0,1]
	s_nop 0
	v_mov_b32_e32 v25, v3
	v_pk_add_f32 v[2:3], v[16:17], v[24:25]
	v_mov_b32_e32 v16, v21
	v_pk_mul_f32 v[16:17], v[4:5], v[16:17] op_sel:[1,0] op_sel_hi:[0,0]
	v_pk_fma_f32 v[18:19], v[4:5], v[20:21], v[16:17] neg_lo:[0,0,1] neg_hi:[0,0,1]
	v_pk_fma_f32 v[4:5], v[4:5], v[20:21], v[16:17] op_sel_hi:[1,0,1]
	s_nop 0
	v_mov_b32_e32 v19, v5
	s_waitcnt vmcnt(2) lgkmcnt(1)
	v_pk_mul_f32 v[4:5], v[10:11], v[6:7] op_sel:[1,1] op_sel_hi:[0,1]
	v_pk_fma_f32 v[16:17], v[10:11], v[6:7], v[4:5] neg_lo:[0,0,1] neg_hi:[0,0,1]
	v_pk_fma_f32 v[4:5], v[10:11], v[6:7], v[4:5] op_sel_hi:[1,0,1]
	v_pk_add_f32 v[2:3], v[2:3], v[18:19]
	v_mov_b32_e32 v4, v9
	v_mov_b32_e32 v17, v5
	v_pk_mul_f32 v[4:5], v[12:13], v[4:5] op_sel:[1,0] op_sel_hi:[0,0]
	v_pk_fma_f32 v[6:7], v[12:13], v[8:9], v[4:5] neg_lo:[0,0,1] neg_hi:[0,0,1]
	v_pk_fma_f32 v[4:5], v[12:13], v[8:9], v[4:5] op_sel_hi:[1,0,1]
	v_pk_add_f32 v[2:3], v[2:3], v[16:17]
	v_mov_b32_e32 v7, v5
	s_waitcnt vmcnt(1) lgkmcnt(0)
	v_pk_mul_f32 v[4:5], v[14:15], v[50:51] op_sel:[1,1] op_sel_hi:[0,1]
	v_pk_add_f32 v[2:3], v[2:3], v[6:7]
	v_pk_fma_f32 v[6:7], v[14:15], v[50:51], v[4:5] neg_lo:[0,0,1] neg_hi:[0,0,1]
	v_pk_fma_f32 v[4:5], v[14:15], v[50:51], v[4:5] op_sel_hi:[1,0,1]
	s_nop 0
	v_mov_b32_e32 v7, v5
	v_pk_add_f32 v[2:3], v[2:3], v[6:7]
	s_waitcnt vmcnt(0)
	v_pk_add_f32 v[2:3], v[56:57], v[2:3] neg_lo:[0,1] neg_hi:[0,1]
	scratch_store_dwordx2 off, v[2:3], off offset:272
	s_and_saveexec_b64 s[0:1], vcc
	s_cbranch_execz .LBB123_307
; %bb.306:
	scratch_load_dwordx2 v[2:3], off, off offset:264
	v_mov_b32_e32 v59, v58
	scratch_store_dwordx2 off, v[58:59], off offset:264
	s_waitcnt vmcnt(1)
	ds_write_b64 v1, v[2:3]
.LBB123_307:
	s_or_b64 exec, exec, s[0:1]
	s_waitcnt lgkmcnt(0)
	; wave barrier
	scratch_load_dwordx4 v[10:13], off, off offset:272
	scratch_load_dwordx4 v[26:29], off, off offset:288
	;; [unrolled: 1-line block ×9, first 2 shown]
	ds_read_b128 v[60:63], v58 offset:752
	ds_read_b128 v[64:67], v58 offset:768
	;; [unrolled: 1-line block ×8, first 2 shown]
	scratch_load_dwordx4 v[50:53], off, off offset:416
	scratch_load_dwordx4 v[34:37], off, off offset:432
	;; [unrolled: 1-line block ×4, first 2 shown]
	ds_read_b128 v[88:91], v58 offset:880
	ds_read_b128 v[92:95], v58 offset:896
	scratch_load_dwordx2 v[96:97], off, off offset:264
	v_cmp_lt_u32_e32 vcc, 32, v0
	s_waitcnt vmcnt(13) lgkmcnt(9)
	v_mul_f32_e32 v59, v60, v11
	v_mul_f32_e32 v98, v62, v13
	v_fmac_f32_e32 v59, v61, v10
	s_waitcnt vmcnt(10) lgkmcnt(6)
	v_mul_f32_e32 v105, v72, v3
	v_mul_f32_e32 v3, v73, v3
	;; [unrolled: 1-line block ×3, first 2 shown]
	v_fmac_f32_e32 v98, v63, v12
	v_fmac_f32_e32 v105, v73, v2
	v_fma_f32 v2, v72, v2, -v3
	v_add_f32_e32 v3, 0, v59
	v_mul_f32_e32 v102, v66, v29
	v_fmac_f32_e32 v100, v65, v26
	v_add_f32_e32 v3, v3, v98
	v_mul_f32_e32 v103, v68, v43
	v_fmac_f32_e32 v102, v67, v28
	;; [unrolled: 3-line block ×3, first 2 shown]
	v_add_f32_e32 v3, v3, v102
	v_fmac_f32_e32 v104, v71, v44
	v_add_f32_e32 v3, v3, v103
	v_mul_f32_e32 v106, v74, v5
	v_add_f32_e32 v3, v3, v104
	s_waitcnt vmcnt(9) lgkmcnt(5)
	v_mul_f32_e32 v107, v76, v15
	v_fmac_f32_e32 v106, v75, v4
	v_add_f32_e32 v3, v3, v105
	v_mul_f32_e32 v108, v78, v17
	v_fmac_f32_e32 v107, v77, v14
	v_add_f32_e32 v3, v3, v106
	s_waitcnt vmcnt(8) lgkmcnt(4)
	v_mul_f32_e32 v109, v80, v19
	v_mul_f32_e32 v11, v61, v11
	v_fmac_f32_e32 v108, v79, v16
	v_add_f32_e32 v3, v3, v107
	v_mul_f32_e32 v110, v82, v21
	v_mul_f32_e32 v13, v63, v13
	v_fmac_f32_e32 v109, v81, v18
	v_fma_f32 v10, v60, v10, -v11
	v_add_f32_e32 v3, v3, v108
	s_waitcnt vmcnt(7) lgkmcnt(3)
	v_mul_f32_e32 v111, v84, v31
	v_mul_f32_e32 v27, v65, v27
	v_fmac_f32_e32 v110, v83, v20
	v_fma_f32 v11, v62, v12, -v13
	v_add_f32_e32 v10, 0, v10
	v_add_f32_e32 v3, v3, v109
	v_mul_f32_e32 v112, v86, v33
	v_mul_f32_e32 v29, v67, v29
	v_fmac_f32_e32 v111, v85, v30
	v_fma_f32 v12, v64, v26, -v27
	v_add_f32_e32 v10, v10, v11
	v_add_f32_e32 v3, v3, v110
	s_waitcnt vmcnt(6) lgkmcnt(2)
	v_mul_f32_e32 v113, v54, v39
	v_mul_f32_e32 v43, v69, v43
	v_fmac_f32_e32 v112, v87, v32
	v_fma_f32 v13, v66, v28, -v29
	v_add_f32_e32 v10, v10, v12
	v_add_f32_e32 v3, v3, v111
	v_mul_f32_e32 v114, v56, v41
	v_mul_f32_e32 v45, v71, v45
	v_fmac_f32_e32 v113, v55, v38
	v_fma_f32 v26, v68, v42, -v43
	v_add_f32_e32 v10, v10, v13
	v_add_f32_e32 v3, v3, v112
	v_fmac_f32_e32 v114, v57, v40
	v_fma_f32 v27, v70, v44, -v45
	v_add_f32_e32 v10, v10, v26
	v_add_f32_e32 v3, v3, v113
	;; [unrolled: 1-line block ×4, first 2 shown]
	v_mul_f32_e32 v3, v75, v5
	v_add_f32_e32 v2, v10, v2
	v_fma_f32 v3, v74, v4, -v3
	v_add_f32_e32 v2, v2, v3
	v_mul_f32_e32 v3, v77, v15
	v_fma_f32 v3, v76, v14, -v3
	v_add_f32_e32 v2, v2, v3
	v_mul_f32_e32 v3, v79, v17
	;; [unrolled: 3-line block ×8, first 2 shown]
	v_fma_f32 v3, v56, v40, -v3
	s_waitcnt vmcnt(5) lgkmcnt(1)
	v_mul_f32_e32 v99, v88, v47
	v_add_f32_e32 v26, v2, v3
	v_mul_f32_e32 v2, v89, v47
	v_fmac_f32_e32 v99, v89, v46
	v_fma_f32 v98, v88, v46, -v2
	s_waitcnt vmcnt(4) lgkmcnt(0)
	v_pk_mul_f32 v[20:21], v[92:93], v[50:51] op_sel:[1,1] op_sel_hi:[0,1]
	v_mul_f32_e32 v101, v90, v49
	v_mul_f32_e32 v2, v91, v49
	v_pk_add_f32 v[18:19], v[26:27], v[98:99]
	v_pk_fma_f32 v[26:27], v[92:93], v[50:51], v[20:21] neg_lo:[0,0,1] neg_hi:[0,0,1]
	v_pk_fma_f32 v[20:21], v[92:93], v[50:51], v[20:21] op_sel_hi:[1,0,1]
	v_fmac_f32_e32 v101, v91, v48
	v_fma_f32 v100, v90, v48, -v2
	ds_read_b128 v[2:5], v58 offset:912
	ds_read_b128 v[10:13], v58 offset:928
	;; [unrolled: 1-line block ×3, first 2 shown]
	v_mov_b32_e32 v20, v53
	v_pk_add_f32 v[18:19], v[18:19], v[100:101]
	v_mov_b32_e32 v27, v21
	v_pk_mul_f32 v[20:21], v[94:95], v[20:21] op_sel:[1,0] op_sel_hi:[0,0]
	v_pk_add_f32 v[18:19], v[18:19], v[26:27]
	v_pk_fma_f32 v[26:27], v[94:95], v[52:53], v[20:21] neg_lo:[0,0,1] neg_hi:[0,0,1]
	v_pk_fma_f32 v[20:21], v[94:95], v[52:53], v[20:21] op_sel_hi:[1,0,1]
	s_nop 0
	v_mov_b32_e32 v27, v21
	s_waitcnt vmcnt(3) lgkmcnt(2)
	v_pk_mul_f32 v[20:21], v[2:3], v[34:35] op_sel:[1,1] op_sel_hi:[0,1]
	v_pk_add_f32 v[18:19], v[18:19], v[26:27]
	v_pk_fma_f32 v[26:27], v[2:3], v[34:35], v[20:21] neg_lo:[0,0,1] neg_hi:[0,0,1]
	v_pk_fma_f32 v[2:3], v[2:3], v[34:35], v[20:21] op_sel_hi:[1,0,1]
	s_nop 0
	v_mov_b32_e32 v27, v3
	v_pk_add_f32 v[2:3], v[18:19], v[26:27]
	v_mov_b32_e32 v18, v37
	v_pk_mul_f32 v[18:19], v[4:5], v[18:19] op_sel:[1,0] op_sel_hi:[0,0]
	v_pk_fma_f32 v[20:21], v[4:5], v[36:37], v[18:19] neg_lo:[0,0,1] neg_hi:[0,0,1]
	v_pk_fma_f32 v[4:5], v[4:5], v[36:37], v[18:19] op_sel_hi:[1,0,1]
	s_nop 0
	v_mov_b32_e32 v21, v5
	s_waitcnt vmcnt(2) lgkmcnt(1)
	v_pk_mul_f32 v[4:5], v[10:11], v[22:23] op_sel:[1,1] op_sel_hi:[0,1]
	v_pk_fma_f32 v[18:19], v[10:11], v[22:23], v[4:5] neg_lo:[0,0,1] neg_hi:[0,0,1]
	v_pk_fma_f32 v[4:5], v[10:11], v[22:23], v[4:5] op_sel_hi:[1,0,1]
	v_pk_add_f32 v[2:3], v[2:3], v[20:21]
	v_mov_b32_e32 v4, v25
	v_mov_b32_e32 v19, v5
	v_pk_mul_f32 v[4:5], v[12:13], v[4:5] op_sel:[1,0] op_sel_hi:[0,0]
	v_pk_fma_f32 v[10:11], v[12:13], v[24:25], v[4:5] neg_lo:[0,0,1] neg_hi:[0,0,1]
	v_pk_fma_f32 v[4:5], v[12:13], v[24:25], v[4:5] op_sel_hi:[1,0,1]
	v_pk_add_f32 v[2:3], v[2:3], v[18:19]
	v_mov_b32_e32 v11, v5
	s_waitcnt vmcnt(1) lgkmcnt(0)
	v_pk_mul_f32 v[4:5], v[14:15], v[6:7] op_sel:[1,1] op_sel_hi:[0,1]
	v_pk_add_f32 v[2:3], v[2:3], v[10:11]
	v_pk_fma_f32 v[10:11], v[14:15], v[6:7], v[4:5] neg_lo:[0,0,1] neg_hi:[0,0,1]
	v_pk_fma_f32 v[4:5], v[14:15], v[6:7], v[4:5] op_sel_hi:[1,0,1]
	s_nop 0
	v_mov_b32_e32 v4, v9
	v_mov_b32_e32 v11, v5
	v_pk_mul_f32 v[4:5], v[16:17], v[4:5] op_sel:[1,0] op_sel_hi:[0,0]
	v_pk_fma_f32 v[6:7], v[16:17], v[8:9], v[4:5] neg_lo:[0,0,1] neg_hi:[0,0,1]
	v_pk_fma_f32 v[4:5], v[16:17], v[8:9], v[4:5] op_sel_hi:[1,0,1]
	v_pk_add_f32 v[2:3], v[2:3], v[10:11]
	v_mov_b32_e32 v7, v5
	v_pk_add_f32 v[2:3], v[2:3], v[6:7]
	s_waitcnt vmcnt(0)
	v_pk_add_f32 v[2:3], v[96:97], v[2:3] neg_lo:[0,1] neg_hi:[0,1]
	scratch_store_dwordx2 off, v[2:3], off offset:264
	s_and_saveexec_b64 s[0:1], vcc
	s_cbranch_execz .LBB123_309
; %bb.308:
	scratch_load_dwordx2 v[2:3], off, off offset:256
	v_mov_b32_e32 v4, 0
	v_mov_b32_e32 v5, v4
	scratch_store_dwordx2 off, v[4:5], off offset:256
	s_waitcnt vmcnt(1)
	ds_write_b64 v1, v[2:3]
.LBB123_309:
	s_or_b64 exec, exec, s[0:1]
	s_waitcnt lgkmcnt(0)
	; wave barrier
	scratch_load_dwordx4 v[10:13], off, off offset:264
	scratch_load_dwordx4 v[30:33], off, off offset:280
	;; [unrolled: 1-line block ×13, first 2 shown]
	scratch_load_dwordx2 v[54:55], off, off offset:472
	scratch_load_dwordx2 v[80:81], off, off offset:256
	v_mov_b32_e32 v82, 0
	ds_read2_b64 v[56:59], v82 offset0:93 offset1:94
	ds_read2_b64 v[60:63], v82 offset0:95 offset1:96
	;; [unrolled: 1-line block ×10, first 2 shown]
	v_cmp_lt_u32_e32 vcc, 31, v0
	s_waitcnt vmcnt(14) lgkmcnt(9)
	v_mul_f32_e32 v83, v56, v11
	v_mul_f32_e32 v100, v58, v13
	s_waitcnt vmcnt(12) lgkmcnt(7)
	v_mul_f32_e32 v105, v64, v3
	v_mul_f32_e32 v3, v65, v3
	v_fmac_f32_e32 v83, v57, v10
	v_mul_f32_e32 v102, v60, v31
	v_fmac_f32_e32 v100, v59, v12
	v_fmac_f32_e32 v105, v65, v2
	v_fma_f32 v2, v64, v2, -v3
	v_add_f32_e32 v3, 0, v83
	v_mul_f32_e32 v104, v62, v33
	v_fmac_f32_e32 v102, v61, v30
	v_add_f32_e32 v3, v3, v100
	v_fmac_f32_e32 v104, v63, v32
	v_add_f32_e32 v3, v3, v102
	v_mul_f32_e32 v106, v66, v5
	v_add_f32_e32 v3, v3, v104
	s_waitcnt vmcnt(11) lgkmcnt(6)
	v_mul_f32_e32 v107, v68, v7
	v_fmac_f32_e32 v106, v67, v4
	v_add_f32_e32 v3, v3, v105
	v_mul_f32_e32 v108, v70, v9
	v_fmac_f32_e32 v107, v69, v6
	v_add_f32_e32 v3, v3, v106
	s_waitcnt vmcnt(10) lgkmcnt(5)
	v_mul_f32_e32 v109, v72, v19
	v_fmac_f32_e32 v108, v71, v8
	v_add_f32_e32 v3, v3, v107
	v_mul_f32_e32 v110, v74, v21
	v_fmac_f32_e32 v109, v73, v18
	;; [unrolled: 7-line block ×3, first 2 shown]
	v_add_f32_e32 v3, v3, v110
	s_waitcnt vmcnt(8) lgkmcnt(3)
	v_mul_f32_e32 v113, v84, v35
	v_mul_f32_e32 v11, v57, v11
	v_fmac_f32_e32 v112, v79, v24
	v_add_f32_e32 v3, v3, v111
	v_mul_f32_e32 v114, v86, v37
	v_mul_f32_e32 v13, v59, v13
	v_fmac_f32_e32 v113, v85, v34
	v_fma_f32 v10, v56, v10, -v11
	v_add_f32_e32 v3, v3, v112
	s_waitcnt vmcnt(7) lgkmcnt(2)
	v_mul_f32_e32 v115, v88, v39
	v_mul_f32_e32 v31, v61, v31
	v_fmac_f32_e32 v114, v87, v36
	v_fma_f32 v11, v58, v12, -v13
	v_add_f32_e32 v10, 0, v10
	v_add_f32_e32 v3, v3, v113
	v_mul_f32_e32 v116, v90, v41
	v_mul_f32_e32 v33, v63, v33
	v_fmac_f32_e32 v115, v89, v38
	v_fma_f32 v12, v60, v30, -v31
	v_add_f32_e32 v10, v10, v11
	v_add_f32_e32 v3, v3, v114
	s_waitcnt vmcnt(6) lgkmcnt(1)
	v_mul_f32_e32 v117, v92, v51
	v_fmac_f32_e32 v116, v91, v40
	v_fma_f32 v13, v62, v32, -v33
	v_add_f32_e32 v10, v10, v12
	v_add_f32_e32 v3, v3, v115
	v_mul_f32_e32 v5, v67, v5
	v_fmac_f32_e32 v117, v93, v50
	v_add_f32_e32 v10, v10, v13
	v_add_f32_e32 v3, v3, v116
	;; [unrolled: 1-line block ×4, first 2 shown]
	v_fma_f32 v3, v66, v4, -v5
	v_add_f32_e32 v2, v2, v3
	v_mul_f32_e32 v3, v69, v7
	v_fma_f32 v3, v68, v6, -v3
	v_add_f32_e32 v2, v2, v3
	v_mul_f32_e32 v3, v71, v9
	;; [unrolled: 3-line block ×12, first 2 shown]
	v_mul_f32_e32 v101, v94, v53
	v_fma_f32 v100, v94, v52, -v2
	s_waitcnt vmcnt(5) lgkmcnt(0)
	v_mul_f32_e32 v2, v97, v47
	v_mov_b32_e32 v22, v49
	v_mul_f32_e32 v103, v96, v47
	v_fmac_f32_e32 v101, v95, v52
	v_fma_f32 v102, v96, v46, -v2
	ds_read2_b64 v[2:5], v82 offset0:113 offset1:114
	ds_read2_b64 v[6:9], v82 offset0:115 offset1:116
	;; [unrolled: 1-line block ×3, first 2 shown]
	ds_read_b64 v[18:19], v82 offset:952
	v_pk_mul_f32 v[22:23], v[98:99], v[22:23] op_sel:[1,0] op_sel_hi:[0,0]
	v_fmac_f32_e32 v103, v97, v46
	v_pk_add_f32 v[20:21], v[30:31], v[100:101]
	v_pk_fma_f32 v[24:25], v[98:99], v[48:49], v[22:23] neg_lo:[0,0,1] neg_hi:[0,0,1]
	v_pk_fma_f32 v[22:23], v[98:99], v[48:49], v[22:23] op_sel_hi:[1,0,1]
	v_pk_add_f32 v[20:21], v[20:21], v[102:103]
	v_mov_b32_e32 v25, v23
	s_waitcnt vmcnt(4) lgkmcnt(3)
	v_pk_mul_f32 v[22:23], v[2:3], v[42:43] op_sel:[1,1] op_sel_hi:[0,1]
	v_pk_add_f32 v[20:21], v[20:21], v[24:25]
	v_pk_fma_f32 v[24:25], v[2:3], v[42:43], v[22:23] neg_lo:[0,0,1] neg_hi:[0,0,1]
	v_pk_fma_f32 v[2:3], v[2:3], v[42:43], v[22:23] op_sel_hi:[1,0,1]
	s_nop 0
	v_mov_b32_e32 v25, v3
	v_pk_add_f32 v[2:3], v[20:21], v[24:25]
	v_mov_b32_e32 v20, v45
	v_pk_mul_f32 v[20:21], v[4:5], v[20:21] op_sel:[1,0] op_sel_hi:[0,0]
	v_pk_fma_f32 v[22:23], v[4:5], v[44:45], v[20:21] neg_lo:[0,0,1] neg_hi:[0,0,1]
	v_pk_fma_f32 v[4:5], v[4:5], v[44:45], v[20:21] op_sel_hi:[1,0,1]
	s_nop 0
	v_mov_b32_e32 v23, v5
	s_waitcnt vmcnt(3) lgkmcnt(2)
	v_pk_mul_f32 v[4:5], v[6:7], v[26:27] op_sel:[1,1] op_sel_hi:[0,1]
	v_pk_fma_f32 v[20:21], v[6:7], v[26:27], v[4:5] neg_lo:[0,0,1] neg_hi:[0,0,1]
	v_pk_fma_f32 v[4:5], v[6:7], v[26:27], v[4:5] op_sel_hi:[1,0,1]
	v_pk_add_f32 v[2:3], v[2:3], v[22:23]
	v_mov_b32_e32 v4, v29
	v_mov_b32_e32 v21, v5
	v_pk_mul_f32 v[4:5], v[8:9], v[4:5] op_sel:[1,0] op_sel_hi:[0,0]
	v_pk_fma_f32 v[6:7], v[8:9], v[28:29], v[4:5] neg_lo:[0,0,1] neg_hi:[0,0,1]
	v_pk_fma_f32 v[4:5], v[8:9], v[28:29], v[4:5] op_sel_hi:[1,0,1]
	v_pk_add_f32 v[2:3], v[2:3], v[20:21]
	v_mov_b32_e32 v7, v5
	s_waitcnt vmcnt(2) lgkmcnt(1)
	v_pk_mul_f32 v[4:5], v[10:11], v[14:15] op_sel:[1,1] op_sel_hi:[0,1]
	v_pk_add_f32 v[2:3], v[2:3], v[6:7]
	v_pk_fma_f32 v[6:7], v[10:11], v[14:15], v[4:5] neg_lo:[0,0,1] neg_hi:[0,0,1]
	v_pk_fma_f32 v[4:5], v[10:11], v[14:15], v[4:5] op_sel_hi:[1,0,1]
	s_nop 0
	v_mov_b32_e32 v4, v17
	v_mov_b32_e32 v7, v5
	v_pk_mul_f32 v[4:5], v[12:13], v[4:5] op_sel:[1,0] op_sel_hi:[0,0]
	v_pk_add_f32 v[2:3], v[2:3], v[6:7]
	v_pk_fma_f32 v[6:7], v[12:13], v[16:17], v[4:5] neg_lo:[0,0,1] neg_hi:[0,0,1]
	v_pk_fma_f32 v[4:5], v[12:13], v[16:17], v[4:5] op_sel_hi:[1,0,1]
	s_nop 0
	v_mov_b32_e32 v7, v5
	s_waitcnt vmcnt(1) lgkmcnt(0)
	v_pk_mul_f32 v[4:5], v[18:19], v[54:55] op_sel:[1,1] op_sel_hi:[0,1]
	v_pk_add_f32 v[2:3], v[2:3], v[6:7]
	v_pk_fma_f32 v[6:7], v[18:19], v[54:55], v[4:5] neg_lo:[0,0,1] neg_hi:[0,0,1]
	v_pk_fma_f32 v[4:5], v[18:19], v[54:55], v[4:5] op_sel_hi:[1,0,1]
	s_nop 0
	v_mov_b32_e32 v7, v5
	v_pk_add_f32 v[2:3], v[2:3], v[6:7]
	s_waitcnt vmcnt(0)
	v_pk_add_f32 v[2:3], v[80:81], v[2:3] neg_lo:[0,1] neg_hi:[0,1]
	scratch_store_dwordx2 off, v[2:3], off offset:256
	s_and_saveexec_b64 s[0:1], vcc
	s_cbranch_execz .LBB123_311
; %bb.310:
	scratch_load_dwordx2 v[2:3], off, off offset:248
	v_mov_b32_e32 v83, v82
	scratch_store_dwordx2 off, v[82:83], off offset:248
	s_waitcnt vmcnt(1)
	ds_write_b64 v1, v[2:3]
.LBB123_311:
	s_or_b64 exec, exec, s[0:1]
	s_waitcnt lgkmcnt(0)
	; wave barrier
	scratch_load_dwordx4 v[18:21], off, off offset:256
	scratch_load_dwordx4 v[34:37], off, off offset:272
	;; [unrolled: 1-line block ×10, first 2 shown]
	ds_read_b128 v[84:87], v82 offset:736
	ds_read_b128 v[88:91], v82 offset:752
	;; [unrolled: 1-line block ×10, first 2 shown]
	scratch_load_dwordx4 v[54:57], off, off offset:416
	scratch_load_dwordx4 v[46:49], off, off offset:432
	;; [unrolled: 1-line block ×4, first 2 shown]
	scratch_load_dwordx2 v[100:101], off, off offset:248
	v_cmp_lt_u32_e32 vcc, 30, v0
	s_waitcnt vmcnt(14) lgkmcnt(9)
	v_mul_f32_e32 v83, v84, v19
	v_mul_f32_e32 v102, v86, v21
	s_waitcnt vmcnt(12) lgkmcnt(7)
	v_mul_f32_e32 v107, v92, v3
	v_mul_f32_e32 v3, v93, v3
	v_fmac_f32_e32 v83, v85, v18
	v_mul_f32_e32 v104, v88, v35
	v_fmac_f32_e32 v102, v87, v20
	v_fmac_f32_e32 v107, v93, v2
	v_fma_f32 v2, v92, v2, -v3
	v_add_f32_e32 v3, 0, v83
	v_mul_f32_e32 v106, v90, v37
	v_fmac_f32_e32 v104, v89, v34
	v_add_f32_e32 v3, v3, v102
	v_fmac_f32_e32 v106, v91, v36
	v_add_f32_e32 v3, v3, v104
	v_mul_f32_e32 v108, v94, v5
	v_add_f32_e32 v3, v3, v106
	s_waitcnt vmcnt(11) lgkmcnt(6)
	v_mul_f32_e32 v109, v96, v7
	v_fmac_f32_e32 v108, v95, v4
	v_add_f32_e32 v3, v3, v107
	v_mul_f32_e32 v110, v98, v9
	v_fmac_f32_e32 v109, v97, v6
	v_add_f32_e32 v3, v3, v108
	s_waitcnt vmcnt(10) lgkmcnt(5)
	v_mul_f32_e32 v111, v78, v11
	v_fmac_f32_e32 v110, v99, v8
	v_add_f32_e32 v3, v3, v109
	v_mul_f32_e32 v112, v80, v13
	v_fmac_f32_e32 v111, v79, v10
	;; [unrolled: 7-line block ×4, first 2 shown]
	v_add_f32_e32 v3, v3, v114
	s_waitcnt vmcnt(7) lgkmcnt(2)
	v_mul_f32_e32 v117, v66, v39
	v_mul_f32_e32 v19, v85, v19
	v_fmac_f32_e32 v116, v73, v28
	v_add_f32_e32 v3, v3, v115
	v_mul_f32_e32 v118, v68, v41
	v_mul_f32_e32 v21, v87, v21
	v_fmac_f32_e32 v117, v67, v38
	v_fma_f32 v18, v84, v18, -v19
	v_add_f32_e32 v3, v3, v116
	s_waitcnt vmcnt(6) lgkmcnt(1)
	v_mul_f32_e32 v119, v62, v43
	v_mul_f32_e32 v35, v89, v35
	v_fmac_f32_e32 v118, v69, v40
	v_fma_f32 v19, v86, v20, -v21
	v_add_f32_e32 v18, 0, v18
	v_add_f32_e32 v3, v3, v117
	v_mul_f32_e32 v120, v64, v45
	v_mul_f32_e32 v37, v91, v37
	v_fmac_f32_e32 v119, v63, v42
	v_fma_f32 v20, v88, v34, -v35
	v_add_f32_e32 v18, v18, v19
	v_add_f32_e32 v3, v3, v118
	v_fmac_f32_e32 v120, v65, v44
	v_fma_f32 v21, v90, v36, -v37
	v_add_f32_e32 v18, v18, v20
	v_add_f32_e32 v3, v3, v119
	;; [unrolled: 1-line block ×4, first 2 shown]
	v_mul_f32_e32 v3, v95, v5
	v_add_f32_e32 v2, v18, v2
	v_fma_f32 v3, v94, v4, -v3
	v_add_f32_e32 v2, v2, v3
	v_mul_f32_e32 v3, v97, v7
	v_fma_f32 v3, v96, v6, -v3
	v_add_f32_e32 v2, v2, v3
	v_mul_f32_e32 v3, v99, v9
	;; [unrolled: 3-line block ×12, first 2 shown]
	v_fma_f32 v3, v64, v44, -v3
	v_add_f32_e32 v34, v2, v3
	s_waitcnt vmcnt(5) lgkmcnt(0)
	v_mul_f32_e32 v2, v59, v51
	v_fma_f32 v102, v58, v50, -v2
	v_mul_f32_e32 v2, v61, v53
	v_fma_f32 v104, v60, v52, -v2
	ds_read_b128 v[2:5], v82 offset:896
	ds_read_b128 v[6:9], v82 offset:912
	;; [unrolled: 1-line block ×4, first 2 shown]
	v_mul_f32_e32 v103, v58, v51
	v_mul_f32_e32 v105, v60, v53
	v_fmac_f32_e32 v103, v59, v50
	s_waitcnt vmcnt(4) lgkmcnt(3)
	v_pk_mul_f32 v[24:25], v[2:3], v[54:55] op_sel:[1,1] op_sel_hi:[0,1]
	v_fmac_f32_e32 v105, v61, v52
	v_pk_add_f32 v[22:23], v[34:35], v[102:103]
	v_pk_fma_f32 v[26:27], v[2:3], v[54:55], v[24:25] neg_lo:[0,0,1] neg_hi:[0,0,1]
	v_pk_fma_f32 v[2:3], v[2:3], v[54:55], v[24:25] op_sel_hi:[1,0,1]
	v_pk_add_f32 v[22:23], v[22:23], v[104:105]
	v_mov_b32_e32 v27, v3
	v_pk_add_f32 v[2:3], v[22:23], v[26:27]
	v_mov_b32_e32 v22, v57
	v_pk_mul_f32 v[22:23], v[4:5], v[22:23] op_sel:[1,0] op_sel_hi:[0,0]
	v_pk_fma_f32 v[24:25], v[4:5], v[56:57], v[22:23] neg_lo:[0,0,1] neg_hi:[0,0,1]
	v_pk_fma_f32 v[4:5], v[4:5], v[56:57], v[22:23] op_sel_hi:[1,0,1]
	s_nop 0
	v_mov_b32_e32 v25, v5
	s_waitcnt vmcnt(3) lgkmcnt(2)
	v_pk_mul_f32 v[4:5], v[6:7], v[46:47] op_sel:[1,1] op_sel_hi:[0,1]
	v_pk_fma_f32 v[22:23], v[6:7], v[46:47], v[4:5] neg_lo:[0,0,1] neg_hi:[0,0,1]
	v_pk_fma_f32 v[4:5], v[6:7], v[46:47], v[4:5] op_sel_hi:[1,0,1]
	v_pk_add_f32 v[2:3], v[2:3], v[24:25]
	v_mov_b32_e32 v4, v49
	v_mov_b32_e32 v23, v5
	v_pk_mul_f32 v[4:5], v[8:9], v[4:5] op_sel:[1,0] op_sel_hi:[0,0]
	v_pk_fma_f32 v[6:7], v[8:9], v[48:49], v[4:5] neg_lo:[0,0,1] neg_hi:[0,0,1]
	v_pk_fma_f32 v[4:5], v[8:9], v[48:49], v[4:5] op_sel_hi:[1,0,1]
	v_pk_add_f32 v[2:3], v[2:3], v[22:23]
	v_mov_b32_e32 v7, v5
	s_waitcnt vmcnt(2) lgkmcnt(1)
	v_pk_mul_f32 v[4:5], v[10:11], v[30:31] op_sel:[1,1] op_sel_hi:[0,1]
	v_pk_add_f32 v[2:3], v[2:3], v[6:7]
	v_pk_fma_f32 v[6:7], v[10:11], v[30:31], v[4:5] neg_lo:[0,0,1] neg_hi:[0,0,1]
	v_pk_fma_f32 v[4:5], v[10:11], v[30:31], v[4:5] op_sel_hi:[1,0,1]
	s_nop 0
	v_mov_b32_e32 v4, v33
	v_mov_b32_e32 v7, v5
	v_pk_mul_f32 v[4:5], v[12:13], v[4:5] op_sel:[1,0] op_sel_hi:[0,0]
	v_pk_add_f32 v[2:3], v[2:3], v[6:7]
	v_pk_fma_f32 v[6:7], v[12:13], v[32:33], v[4:5] neg_lo:[0,0,1] neg_hi:[0,0,1]
	v_pk_fma_f32 v[4:5], v[12:13], v[32:33], v[4:5] op_sel_hi:[1,0,1]
	s_nop 0
	v_mov_b32_e32 v7, v5
	s_waitcnt vmcnt(1) lgkmcnt(0)
	v_pk_mul_f32 v[4:5], v[18:19], v[14:15] op_sel:[1,1] op_sel_hi:[0,1]
	v_pk_add_f32 v[2:3], v[2:3], v[6:7]
	v_pk_fma_f32 v[6:7], v[18:19], v[14:15], v[4:5] neg_lo:[0,0,1] neg_hi:[0,0,1]
	v_pk_fma_f32 v[4:5], v[18:19], v[14:15], v[4:5] op_sel_hi:[1,0,1]
	s_nop 0
	v_mov_b32_e32 v4, v17
	v_mov_b32_e32 v7, v5
	v_pk_mul_f32 v[4:5], v[20:21], v[4:5] op_sel:[1,0] op_sel_hi:[0,0]
	v_pk_add_f32 v[2:3], v[2:3], v[6:7]
	v_pk_fma_f32 v[6:7], v[20:21], v[16:17], v[4:5] neg_lo:[0,0,1] neg_hi:[0,0,1]
	v_pk_fma_f32 v[4:5], v[20:21], v[16:17], v[4:5] op_sel_hi:[1,0,1]
	s_nop 0
	v_mov_b32_e32 v7, v5
	v_pk_add_f32 v[2:3], v[2:3], v[6:7]
	s_waitcnt vmcnt(0)
	v_pk_add_f32 v[2:3], v[100:101], v[2:3] neg_lo:[0,1] neg_hi:[0,1]
	scratch_store_dwordx2 off, v[2:3], off offset:248
	s_and_saveexec_b64 s[0:1], vcc
	s_cbranch_execz .LBB123_313
; %bb.312:
	scratch_load_dwordx2 v[2:3], off, off offset:240
	v_mov_b32_e32 v4, 0
	v_mov_b32_e32 v5, v4
	scratch_store_dwordx2 off, v[4:5], off offset:240
	s_waitcnt vmcnt(1)
	ds_write_b64 v1, v[2:3]
.LBB123_313:
	s_or_b64 exec, exec, s[0:1]
	s_waitcnt lgkmcnt(0)
	; wave barrier
	scratch_load_dwordx4 v[18:21], off, off offset:248
	scratch_load_dwordx4 v[2:5], off, off offset:264
	;; [unrolled: 1-line block ×14, first 2 shown]
	scratch_load_dwordx2 v[58:59], off, off offset:472
	scratch_load_dwordx2 v[100:101], off, off offset:240
	v_mov_b32_e32 v102, 0
	ds_read2_b64 v[60:63], v102 offset0:91 offset1:92
	ds_read2_b64 v[64:67], v102 offset0:93 offset1:94
	;; [unrolled: 1-line block ×12, first 2 shown]
	v_cmp_lt_u32_e32 vcc, 29, v0
	s_waitcnt vmcnt(15) lgkmcnt(11)
	v_mul_f32_e32 v103, v60, v19
	v_mul_f32_e32 v112, v62, v21
	s_waitcnt vmcnt(14) lgkmcnt(10)
	v_mul_f32_e32 v114, v64, v3
	v_mul_f32_e32 v3, v65, v3
	v_fmac_f32_e32 v103, v61, v18
	v_fmac_f32_e32 v112, v63, v20
	;; [unrolled: 1-line block ×3, first 2 shown]
	v_fma_f32 v2, v64, v2, -v3
	v_add_f32_e32 v3, 0, v103
	v_mul_f32_e32 v116, v66, v5
	v_add_f32_e32 v3, v3, v112
	s_waitcnt vmcnt(13) lgkmcnt(9)
	v_mul_f32_e32 v117, v68, v7
	v_fmac_f32_e32 v116, v67, v4
	v_add_f32_e32 v3, v3, v114
	v_mul_f32_e32 v118, v70, v9
	v_fmac_f32_e32 v117, v69, v6
	v_add_f32_e32 v3, v3, v116
	s_waitcnt vmcnt(12) lgkmcnt(8)
	v_mul_f32_e32 v119, v72, v11
	v_fmac_f32_e32 v118, v71, v8
	v_add_f32_e32 v3, v3, v117
	v_mul_f32_e32 v120, v74, v13
	v_fmac_f32_e32 v119, v73, v10
	;; [unrolled: 7-line block ×6, first 2 shown]
	v_add_f32_e32 v3, v3, v126
	s_waitcnt vmcnt(7) lgkmcnt(3)
	v_mul_f32_e32 v129, v92, v43
	v_fmac_f32_e32 v128, v91, v40
	v_add_f32_e32 v3, v3, v127
	v_mul_f32_e32 v130, v94, v45
	v_mul_f32_e32 v19, v61, v19
	v_fmac_f32_e32 v129, v93, v42
	v_add_f32_e32 v3, v3, v128
	s_waitcnt vmcnt(6) lgkmcnt(2)
	v_mul_f32_e32 v131, v96, v51
	v_mul_f32_e32 v21, v63, v21
	v_fmac_f32_e32 v130, v95, v44
	v_fma_f32 v18, v60, v18, -v19
	v_add_f32_e32 v3, v3, v129
	v_fmac_f32_e32 v131, v97, v50
	v_fma_f32 v19, v62, v20, -v21
	v_add_f32_e32 v18, 0, v18
	v_add_f32_e32 v3, v3, v130
	;; [unrolled: 1-line block ×4, first 2 shown]
	v_mul_f32_e32 v3, v67, v5
	v_add_f32_e32 v2, v18, v2
	v_fma_f32 v3, v66, v4, -v3
	v_add_f32_e32 v2, v2, v3
	v_mul_f32_e32 v3, v69, v7
	v_fma_f32 v3, v68, v6, -v3
	v_add_f32_e32 v2, v2, v3
	v_mul_f32_e32 v3, v71, v9
	;; [unrolled: 3-line block ×15, first 2 shown]
	v_fma_f32 v3, v96, v50, -v3
	v_mul_f32_e32 v113, v98, v53
	v_add_f32_e32 v18, v2, v3
	v_mul_f32_e32 v2, v99, v53
	s_waitcnt vmcnt(5)
	v_mov_b32_e32 v14, v57
	s_waitcnt lgkmcnt(1)
	v_mul_f32_e32 v115, v104, v55
	v_fmac_f32_e32 v113, v99, v52
	v_fma_f32 v112, v98, v52, -v2
	v_mul_f32_e32 v2, v105, v55
	v_pk_mul_f32 v[14:15], v[106:107], v[14:15] op_sel:[1,0] op_sel_hi:[0,0]
	v_fmac_f32_e32 v115, v105, v54
	v_fma_f32 v114, v104, v54, -v2
	v_pk_add_f32 v[12:13], v[18:19], v[112:113]
	v_pk_fma_f32 v[16:17], v[106:107], v[56:57], v[14:15] neg_lo:[0,0,1] neg_hi:[0,0,1]
	v_pk_fma_f32 v[14:15], v[106:107], v[56:57], v[14:15] op_sel_hi:[1,0,1]
	v_pk_add_f32 v[12:13], v[12:13], v[114:115]
	v_mov_b32_e32 v17, v15
	s_waitcnt vmcnt(4) lgkmcnt(0)
	v_pk_mul_f32 v[14:15], v[108:109], v[46:47] op_sel:[1,1] op_sel_hi:[0,1]
	v_pk_add_f32 v[12:13], v[12:13], v[16:17]
	v_pk_fma_f32 v[16:17], v[108:109], v[46:47], v[14:15] neg_lo:[0,0,1] neg_hi:[0,0,1]
	v_pk_fma_f32 v[14:15], v[108:109], v[46:47], v[14:15] op_sel_hi:[1,0,1]
	ds_read2_b64 v[2:5], v102 offset0:115 offset1:116
	ds_read2_b64 v[6:9], v102 offset0:117 offset1:118
	ds_read_b64 v[10:11], v102 offset:952
	v_mov_b32_e32 v14, v49
	v_mov_b32_e32 v17, v15
	v_pk_mul_f32 v[14:15], v[110:111], v[14:15] op_sel:[1,0] op_sel_hi:[0,0]
	v_pk_add_f32 v[12:13], v[12:13], v[16:17]
	v_pk_fma_f32 v[16:17], v[110:111], v[48:49], v[14:15] neg_lo:[0,0,1] neg_hi:[0,0,1]
	v_pk_fma_f32 v[14:15], v[110:111], v[48:49], v[14:15] op_sel_hi:[1,0,1]
	s_nop 0
	v_mov_b32_e32 v17, v15
	s_waitcnt vmcnt(3) lgkmcnt(2)
	v_pk_mul_f32 v[14:15], v[2:3], v[34:35] op_sel:[1,1] op_sel_hi:[0,1]
	v_pk_add_f32 v[12:13], v[12:13], v[16:17]
	v_pk_fma_f32 v[16:17], v[2:3], v[34:35], v[14:15] neg_lo:[0,0,1] neg_hi:[0,0,1]
	v_pk_fma_f32 v[2:3], v[2:3], v[34:35], v[14:15] op_sel_hi:[1,0,1]
	s_nop 0
	v_mov_b32_e32 v17, v3
	v_pk_add_f32 v[2:3], v[12:13], v[16:17]
	v_mov_b32_e32 v12, v37
	v_pk_mul_f32 v[12:13], v[4:5], v[12:13] op_sel:[1,0] op_sel_hi:[0,0]
	v_pk_fma_f32 v[14:15], v[4:5], v[36:37], v[12:13] neg_lo:[0,0,1] neg_hi:[0,0,1]
	v_pk_fma_f32 v[4:5], v[4:5], v[36:37], v[12:13] op_sel_hi:[1,0,1]
	s_nop 0
	v_mov_b32_e32 v15, v5
	s_waitcnt vmcnt(2) lgkmcnt(1)
	v_pk_mul_f32 v[4:5], v[6:7], v[22:23] op_sel:[1,1] op_sel_hi:[0,1]
	v_pk_fma_f32 v[12:13], v[6:7], v[22:23], v[4:5] neg_lo:[0,0,1] neg_hi:[0,0,1]
	v_pk_fma_f32 v[4:5], v[6:7], v[22:23], v[4:5] op_sel_hi:[1,0,1]
	v_pk_add_f32 v[2:3], v[2:3], v[14:15]
	v_mov_b32_e32 v4, v25
	v_mov_b32_e32 v13, v5
	v_pk_mul_f32 v[4:5], v[8:9], v[4:5] op_sel:[1,0] op_sel_hi:[0,0]
	v_pk_fma_f32 v[6:7], v[8:9], v[24:25], v[4:5] neg_lo:[0,0,1] neg_hi:[0,0,1]
	v_pk_fma_f32 v[4:5], v[8:9], v[24:25], v[4:5] op_sel_hi:[1,0,1]
	v_pk_add_f32 v[2:3], v[2:3], v[12:13]
	v_mov_b32_e32 v7, v5
	s_waitcnt vmcnt(1) lgkmcnt(0)
	v_pk_mul_f32 v[4:5], v[10:11], v[58:59] op_sel:[1,1] op_sel_hi:[0,1]
	v_pk_add_f32 v[2:3], v[2:3], v[6:7]
	v_pk_fma_f32 v[6:7], v[10:11], v[58:59], v[4:5] neg_lo:[0,0,1] neg_hi:[0,0,1]
	v_pk_fma_f32 v[4:5], v[10:11], v[58:59], v[4:5] op_sel_hi:[1,0,1]
	s_nop 0
	v_mov_b32_e32 v7, v5
	v_pk_add_f32 v[2:3], v[2:3], v[6:7]
	s_waitcnt vmcnt(0)
	v_pk_add_f32 v[2:3], v[100:101], v[2:3] neg_lo:[0,1] neg_hi:[0,1]
	scratch_store_dwordx2 off, v[2:3], off offset:240
	s_and_saveexec_b64 s[0:1], vcc
	s_cbranch_execz .LBB123_315
; %bb.314:
	scratch_load_dwordx2 v[2:3], off, off offset:232
	v_mov_b32_e32 v103, v102
	scratch_store_dwordx2 off, v[102:103], off offset:232
	s_waitcnt vmcnt(1)
	ds_write_b64 v1, v[2:3]
.LBB123_315:
	s_or_b64 exec, exec, s[0:1]
	s_waitcnt lgkmcnt(0)
	; wave barrier
	scratch_load_dwordx4 v[22:25], off, off offset:240
	scratch_load_dwordx4 v[2:5], off, off offset:256
	scratch_load_dwordx4 v[6:9], off, off offset:272
	scratch_load_dwordx4 v[10:13], off, off offset:288
	scratch_load_dwordx4 v[14:17], off, off offset:304
	scratch_load_dwordx4 v[18:21], off, off offset:320
	scratch_load_dwordx4 v[30:33], off, off offset:336
	scratch_load_dwordx4 v[34:37], off, off offset:352
	scratch_load_dwordx4 v[42:45], off, off offset:368
	scratch_load_dwordx4 v[46:49], off, off offset:384
	scratch_load_dwordx4 v[54:57], off, off offset:400
	ds_read_b128 v[104:107], v102 offset:720
	ds_read_b128 v[98:101], v102 offset:736
	;; [unrolled: 1-line block ×10, first 2 shown]
	scratch_load_dwordx4 v[58:61], off, off offset:416
	scratch_load_dwordx4 v[50:53], off, off offset:432
	;; [unrolled: 1-line block ×4, first 2 shown]
	ds_read_b128 v[78:81], v102 offset:880
	ds_read_b128 v[108:111], v102 offset:896
	scratch_load_dwordx2 v[112:113], off, off offset:232
	v_cmp_lt_u32_e32 vcc, 28, v0
	s_waitcnt vmcnt(15) lgkmcnt(11)
	v_mul_f32_e32 v103, v104, v23
	v_mul_f32_e32 v114, v106, v25
	s_waitcnt vmcnt(14) lgkmcnt(10)
	v_mul_f32_e32 v116, v98, v3
	v_mul_f32_e32 v3, v99, v3
	v_fmac_f32_e32 v103, v105, v22
	v_fmac_f32_e32 v114, v107, v24
	;; [unrolled: 1-line block ×3, first 2 shown]
	v_fma_f32 v2, v98, v2, -v3
	v_add_f32_e32 v3, 0, v103
	v_mul_f32_e32 v118, v100, v5
	v_add_f32_e32 v3, v3, v114
	s_waitcnt vmcnt(13) lgkmcnt(9)
	v_mul_f32_e32 v119, v94, v7
	v_fmac_f32_e32 v118, v101, v4
	v_add_f32_e32 v3, v3, v116
	v_mul_f32_e32 v120, v96, v9
	v_fmac_f32_e32 v119, v95, v6
	v_add_f32_e32 v3, v3, v118
	s_waitcnt vmcnt(12) lgkmcnt(8)
	v_mul_f32_e32 v121, v90, v11
	v_fmac_f32_e32 v120, v97, v8
	v_add_f32_e32 v3, v3, v119
	v_mul_f32_e32 v122, v92, v13
	v_fmac_f32_e32 v121, v91, v10
	;; [unrolled: 7-line block ×7, first 2 shown]
	v_add_f32_e32 v3, v3, v130
	s_waitcnt vmcnt(6) lgkmcnt(2)
	v_mul_f32_e32 v133, v62, v47
	v_mul_f32_e32 v23, v105, v23
	v_fmac_f32_e32 v132, v69, v44
	v_add_f32_e32 v3, v3, v131
	v_mul_f32_e32 v134, v64, v49
	v_mul_f32_e32 v25, v107, v25
	v_fmac_f32_e32 v133, v63, v46
	v_fma_f32 v22, v104, v22, -v23
	v_add_f32_e32 v3, v3, v132
	v_fmac_f32_e32 v134, v65, v48
	v_fma_f32 v23, v106, v24, -v25
	v_add_f32_e32 v22, 0, v22
	v_add_f32_e32 v3, v3, v133
	;; [unrolled: 1-line block ×4, first 2 shown]
	v_mul_f32_e32 v3, v101, v5
	v_add_f32_e32 v2, v22, v2
	v_fma_f32 v3, v100, v4, -v3
	v_add_f32_e32 v2, v2, v3
	v_mul_f32_e32 v3, v95, v7
	v_fma_f32 v3, v94, v6, -v3
	v_add_f32_e32 v2, v2, v3
	v_mul_f32_e32 v3, v97, v9
	;; [unrolled: 3-line block ×16, first 2 shown]
	v_fma_f32 v3, v64, v48, -v3
	s_waitcnt vmcnt(5) lgkmcnt(1)
	v_mul_f32_e32 v115, v78, v55
	v_add_f32_e32 v22, v2, v3
	v_mul_f32_e32 v2, v79, v55
	s_waitcnt vmcnt(4) lgkmcnt(0)
	v_pk_mul_f32 v[16:17], v[108:109], v[58:59] op_sel:[1,1] op_sel_hi:[0,1]
	v_mul_f32_e32 v117, v80, v57
	v_fmac_f32_e32 v115, v79, v54
	v_fma_f32 v114, v78, v54, -v2
	v_mul_f32_e32 v2, v81, v57
	v_pk_fma_f32 v[18:19], v[108:109], v[58:59], v[16:17] neg_lo:[0,0,1] neg_hi:[0,0,1]
	v_pk_fma_f32 v[16:17], v[108:109], v[58:59], v[16:17] op_sel_hi:[1,0,1]
	v_fmac_f32_e32 v117, v81, v56
	v_fma_f32 v116, v80, v56, -v2
	ds_read_b128 v[2:5], v102 offset:912
	ds_read_b128 v[6:9], v102 offset:928
	;; [unrolled: 1-line block ×3, first 2 shown]
	v_pk_add_f32 v[14:15], v[22:23], v[114:115]
	v_mov_b32_e32 v16, v61
	v_pk_add_f32 v[14:15], v[14:15], v[116:117]
	v_mov_b32_e32 v19, v17
	v_pk_mul_f32 v[16:17], v[110:111], v[16:17] op_sel:[1,0] op_sel_hi:[0,0]
	v_pk_add_f32 v[14:15], v[14:15], v[18:19]
	v_pk_fma_f32 v[18:19], v[110:111], v[60:61], v[16:17] neg_lo:[0,0,1] neg_hi:[0,0,1]
	v_pk_fma_f32 v[16:17], v[110:111], v[60:61], v[16:17] op_sel_hi:[1,0,1]
	s_nop 0
	v_mov_b32_e32 v19, v17
	s_waitcnt vmcnt(3) lgkmcnt(2)
	v_pk_mul_f32 v[16:17], v[2:3], v[50:51] op_sel:[1,1] op_sel_hi:[0,1]
	v_pk_add_f32 v[14:15], v[14:15], v[18:19]
	v_pk_fma_f32 v[18:19], v[2:3], v[50:51], v[16:17] neg_lo:[0,0,1] neg_hi:[0,0,1]
	v_pk_fma_f32 v[2:3], v[2:3], v[50:51], v[16:17] op_sel_hi:[1,0,1]
	s_nop 0
	v_mov_b32_e32 v19, v3
	v_pk_add_f32 v[2:3], v[14:15], v[18:19]
	v_mov_b32_e32 v14, v53
	v_pk_mul_f32 v[14:15], v[4:5], v[14:15] op_sel:[1,0] op_sel_hi:[0,0]
	v_pk_fma_f32 v[16:17], v[4:5], v[52:53], v[14:15] neg_lo:[0,0,1] neg_hi:[0,0,1]
	v_pk_fma_f32 v[4:5], v[4:5], v[52:53], v[14:15] op_sel_hi:[1,0,1]
	s_nop 0
	v_mov_b32_e32 v17, v5
	s_waitcnt vmcnt(2) lgkmcnt(1)
	v_pk_mul_f32 v[4:5], v[6:7], v[38:39] op_sel:[1,1] op_sel_hi:[0,1]
	v_pk_fma_f32 v[14:15], v[6:7], v[38:39], v[4:5] neg_lo:[0,0,1] neg_hi:[0,0,1]
	v_pk_fma_f32 v[4:5], v[6:7], v[38:39], v[4:5] op_sel_hi:[1,0,1]
	v_pk_add_f32 v[2:3], v[2:3], v[16:17]
	v_mov_b32_e32 v4, v41
	v_mov_b32_e32 v15, v5
	v_pk_mul_f32 v[4:5], v[8:9], v[4:5] op_sel:[1,0] op_sel_hi:[0,0]
	v_pk_fma_f32 v[6:7], v[8:9], v[40:41], v[4:5] neg_lo:[0,0,1] neg_hi:[0,0,1]
	v_pk_fma_f32 v[4:5], v[8:9], v[40:41], v[4:5] op_sel_hi:[1,0,1]
	v_pk_add_f32 v[2:3], v[2:3], v[14:15]
	v_mov_b32_e32 v7, v5
	s_waitcnt vmcnt(1) lgkmcnt(0)
	v_pk_mul_f32 v[4:5], v[10:11], v[26:27] op_sel:[1,1] op_sel_hi:[0,1]
	v_pk_add_f32 v[2:3], v[2:3], v[6:7]
	v_pk_fma_f32 v[6:7], v[10:11], v[26:27], v[4:5] neg_lo:[0,0,1] neg_hi:[0,0,1]
	v_pk_fma_f32 v[4:5], v[10:11], v[26:27], v[4:5] op_sel_hi:[1,0,1]
	s_nop 0
	v_mov_b32_e32 v4, v29
	v_mov_b32_e32 v7, v5
	v_pk_mul_f32 v[4:5], v[12:13], v[4:5] op_sel:[1,0] op_sel_hi:[0,0]
	v_pk_add_f32 v[2:3], v[2:3], v[6:7]
	v_pk_fma_f32 v[6:7], v[12:13], v[28:29], v[4:5] neg_lo:[0,0,1] neg_hi:[0,0,1]
	v_pk_fma_f32 v[4:5], v[12:13], v[28:29], v[4:5] op_sel_hi:[1,0,1]
	s_nop 0
	v_mov_b32_e32 v7, v5
	v_pk_add_f32 v[2:3], v[2:3], v[6:7]
	s_waitcnt vmcnt(0)
	v_pk_add_f32 v[2:3], v[112:113], v[2:3] neg_lo:[0,1] neg_hi:[0,1]
	scratch_store_dwordx2 off, v[2:3], off offset:232
	s_and_saveexec_b64 s[0:1], vcc
	s_cbranch_execz .LBB123_317
; %bb.316:
	scratch_load_dwordx2 v[2:3], off, off offset:224
	v_mov_b32_e32 v4, 0
	v_mov_b32_e32 v5, v4
	scratch_store_dwordx2 off, v[4:5], off offset:224
	s_waitcnt vmcnt(1)
	ds_write_b64 v1, v[2:3]
.LBB123_317:
	s_or_b64 exec, exec, s[0:1]
	s_waitcnt lgkmcnt(0)
	; wave barrier
	scratch_load_dwordx4 v[6:9], off, off offset:232
	scratch_load_dwordx4 v[14:17], off, off offset:248
	;; [unrolled: 1-line block ×10, first 2 shown]
	v_mov_b32_e32 v62, 0
	ds_read2_b64 v[2:5], v62 offset0:89 offset1:90
	scratch_load_dwordx4 v[88:91], off, off offset:392
	scratch_load_dwordx4 v[96:99], off, off offset:408
	v_cmp_lt_u32_e32 vcc, 27, v0
	s_waitcnt vmcnt(11) lgkmcnt(0)
	v_mul_f32_e32 v10, v2, v7
	v_fmac_f32_e32 v10, v3, v6
	v_mul_f32_e32 v11, v4, v9
	v_add_f32_e32 v10, 0, v10
	v_fmac_f32_e32 v11, v5, v8
	v_add_f32_e32 v18, v10, v11
	ds_read2_b64 v[10:13], v62 offset0:91 offset1:92
	v_mul_f32_e32 v3, v3, v7
	v_fma_f32 v2, v2, v6, -v3
	v_mul_f32_e32 v3, v5, v9
	v_add_f32_e32 v2, 0, v2
	s_waitcnt vmcnt(10) lgkmcnt(0)
	v_mul_f32_e32 v19, v10, v15
	v_fmac_f32_e32 v19, v11, v14
	v_add_f32_e32 v18, v18, v19
	v_mul_f32_e32 v19, v12, v17
	v_fmac_f32_e32 v19, v13, v16
	v_add_f32_e32 v26, v18, v19
	ds_read2_b64 v[18:21], v62 offset0:93 offset1:94
	v_fma_f32 v3, v4, v8, -v3
	v_add_f32_e32 v2, v2, v3
	v_mul_f32_e32 v3, v11, v15
	v_fma_f32 v3, v10, v14, -v3
	s_waitcnt vmcnt(9) lgkmcnt(0)
	v_mul_f32_e32 v27, v18, v23
	v_fmac_f32_e32 v27, v19, v22
	v_add_f32_e32 v26, v26, v27
	v_mul_f32_e32 v27, v20, v25
	v_fmac_f32_e32 v27, v21, v24
	v_add_f32_e32 v34, v26, v27
	ds_read2_b64 v[26:29], v62 offset0:95 offset1:96
	v_add_f32_e32 v2, v2, v3
	v_mul_f32_e32 v3, v13, v17
	v_fma_f32 v3, v12, v16, -v3
	v_add_f32_e32 v2, v2, v3
	s_waitcnt vmcnt(8) lgkmcnt(0)
	v_mul_f32_e32 v35, v26, v31
	v_fmac_f32_e32 v35, v27, v30
	v_add_f32_e32 v34, v34, v35
	v_mul_f32_e32 v35, v28, v33
	v_fmac_f32_e32 v35, v29, v32
	v_add_f32_e32 v42, v34, v35
	ds_read2_b64 v[34:37], v62 offset0:97 offset1:98
	v_mul_f32_e32 v3, v19, v23
	v_fma_f32 v3, v18, v22, -v3
	v_add_f32_e32 v2, v2, v3
	v_mul_f32_e32 v3, v21, v25
	s_waitcnt vmcnt(7) lgkmcnt(0)
	v_mul_f32_e32 v43, v34, v39
	v_fmac_f32_e32 v43, v35, v38
	v_add_f32_e32 v42, v42, v43
	v_mul_f32_e32 v43, v36, v41
	v_fmac_f32_e32 v43, v37, v40
	v_add_f32_e32 v50, v42, v43
	ds_read2_b64 v[42:45], v62 offset0:99 offset1:100
	v_fma_f32 v3, v20, v24, -v3
	v_add_f32_e32 v2, v2, v3
	v_mul_f32_e32 v3, v27, v31
	v_fma_f32 v3, v26, v30, -v3
	s_waitcnt vmcnt(6) lgkmcnt(0)
	v_mul_f32_e32 v51, v42, v47
	v_fmac_f32_e32 v51, v43, v46
	v_add_f32_e32 v50, v50, v51
	v_mul_f32_e32 v51, v44, v49
	v_fmac_f32_e32 v51, v45, v48
	v_add_f32_e32 v58, v50, v51
	ds_read2_b64 v[50:53], v62 offset0:101 offset1:102
	v_add_f32_e32 v2, v2, v3
	v_mul_f32_e32 v3, v29, v33
	v_fma_f32 v3, v28, v32, -v3
	v_add_f32_e32 v2, v2, v3
	s_waitcnt vmcnt(5) lgkmcnt(0)
	v_mul_f32_e32 v59, v50, v55
	v_fmac_f32_e32 v59, v51, v54
	v_add_f32_e32 v58, v58, v59
	v_mul_f32_e32 v59, v52, v57
	v_fmac_f32_e32 v59, v53, v56
	v_add_f32_e32 v63, v58, v59
	ds_read2_b64 v[58:61], v62 offset0:103 offset1:104
	v_mul_f32_e32 v3, v35, v39
	v_fma_f32 v3, v34, v38, -v3
	v_add_f32_e32 v2, v2, v3
	v_mul_f32_e32 v3, v37, v41
	;; [unrolled: 36-line block ×3, first 2 shown]
	s_waitcnt vmcnt(1) lgkmcnt(0)
	v_mul_f32_e32 v92, v84, v89
	v_fmac_f32_e32 v92, v85, v88
	v_add_f32_e32 v113, v63, v92
	ds_read2_b64 v[92:95], v62 offset0:111 offset1:112
	scratch_load_dwordx4 v[100:103], off, off offset:424
	scratch_load_dwordx4 v[104:107], off, off offset:440
	;; [unrolled: 1-line block ×3, first 2 shown]
	scratch_load_dwordx2 v[118:119], off, off offset:472
	v_fma_f32 v3, v52, v56, -v3
	v_add_f32_e32 v2, v2, v3
	v_mul_f32_e32 v3, v59, v65
	v_fma_f32 v3, v58, v64, -v3
	v_add_f32_e32 v2, v2, v3
	v_mul_f32_e32 v3, v61, v67
	;; [unrolled: 3-line block ×8, first 2 shown]
	v_mul_f32_e32 v115, v86, v91
	v_fma_f32 v114, v86, v90, -v2
	s_waitcnt vmcnt(4) lgkmcnt(0)
	v_mul_f32_e32 v2, v93, v97
	v_mov_b32_e32 v18, v99
	v_fmac_f32_e32 v115, v87, v90
	v_mul_f32_e32 v117, v92, v97
	v_fma_f32 v116, v92, v96, -v2
	ds_read2_b64 v[2:5], v62 offset0:113 offset1:114
	ds_read2_b64 v[6:9], v62 offset0:115 offset1:116
	;; [unrolled: 1-line block ×3, first 2 shown]
	ds_read_b64 v[14:15], v62 offset:952
	v_pk_mul_f32 v[18:19], v[94:95], v[18:19] op_sel:[1,0] op_sel_hi:[0,0]
	v_fmac_f32_e32 v117, v93, v96
	v_pk_add_f32 v[16:17], v[112:113], v[114:115]
	v_pk_fma_f32 v[20:21], v[94:95], v[98:99], v[18:19] neg_lo:[0,0,1] neg_hi:[0,0,1]
	v_pk_fma_f32 v[18:19], v[94:95], v[98:99], v[18:19] op_sel_hi:[1,0,1]
	v_pk_add_f32 v[16:17], v[16:17], v[116:117]
	v_mov_b32_e32 v21, v19
	v_pk_add_f32 v[16:17], v[16:17], v[20:21]
	s_waitcnt vmcnt(3) lgkmcnt(3)
	v_pk_mul_f32 v[18:19], v[2:3], v[100:101] op_sel:[1,1] op_sel_hi:[0,1]
	v_pk_fma_f32 v[20:21], v[2:3], v[100:101], v[18:19] neg_lo:[0,0,1] neg_hi:[0,0,1]
	v_pk_fma_f32 v[2:3], v[2:3], v[100:101], v[18:19] op_sel_hi:[1,0,1]
	s_nop 0
	v_mov_b32_e32 v21, v3
	v_pk_add_f32 v[2:3], v[16:17], v[20:21]
	v_mov_b32_e32 v16, v103
	v_pk_mul_f32 v[16:17], v[4:5], v[16:17] op_sel:[1,0] op_sel_hi:[0,0]
	v_pk_fma_f32 v[18:19], v[4:5], v[102:103], v[16:17] neg_lo:[0,0,1] neg_hi:[0,0,1]
	v_pk_fma_f32 v[4:5], v[4:5], v[102:103], v[16:17] op_sel_hi:[1,0,1]
	s_nop 0
	v_mov_b32_e32 v19, v5
	s_waitcnt vmcnt(2) lgkmcnt(2)
	v_pk_mul_f32 v[4:5], v[6:7], v[104:105] op_sel:[1,1] op_sel_hi:[0,1]
	v_pk_fma_f32 v[16:17], v[6:7], v[104:105], v[4:5] neg_lo:[0,0,1] neg_hi:[0,0,1]
	v_pk_fma_f32 v[4:5], v[6:7], v[104:105], v[4:5] op_sel_hi:[1,0,1]
	v_pk_add_f32 v[2:3], v[2:3], v[18:19]
	v_mov_b32_e32 v4, v107
	v_mov_b32_e32 v17, v5
	v_pk_mul_f32 v[4:5], v[8:9], v[4:5] op_sel:[1,0] op_sel_hi:[0,0]
	v_pk_fma_f32 v[6:7], v[8:9], v[106:107], v[4:5] neg_lo:[0,0,1] neg_hi:[0,0,1]
	v_pk_fma_f32 v[4:5], v[8:9], v[106:107], v[4:5] op_sel_hi:[1,0,1]
	v_pk_add_f32 v[2:3], v[2:3], v[16:17]
	v_mov_b32_e32 v7, v5
	s_waitcnt vmcnt(1) lgkmcnt(1)
	v_pk_mul_f32 v[4:5], v[10:11], v[108:109] op_sel:[1,1] op_sel_hi:[0,1]
	v_pk_add_f32 v[2:3], v[2:3], v[6:7]
	v_pk_fma_f32 v[6:7], v[10:11], v[108:109], v[4:5] neg_lo:[0,0,1] neg_hi:[0,0,1]
	v_pk_fma_f32 v[4:5], v[10:11], v[108:109], v[4:5] op_sel_hi:[1,0,1]
	s_nop 0
	v_mov_b32_e32 v4, v111
	v_mov_b32_e32 v7, v5
	v_pk_mul_f32 v[4:5], v[12:13], v[4:5] op_sel:[1,0] op_sel_hi:[0,0]
	v_pk_add_f32 v[2:3], v[2:3], v[6:7]
	v_pk_fma_f32 v[6:7], v[12:13], v[110:111], v[4:5] neg_lo:[0,0,1] neg_hi:[0,0,1]
	v_pk_fma_f32 v[4:5], v[12:13], v[110:111], v[4:5] op_sel_hi:[1,0,1]
	s_nop 0
	v_mov_b32_e32 v7, v5
	s_waitcnt vmcnt(0) lgkmcnt(0)
	v_pk_mul_f32 v[4:5], v[14:15], v[118:119] op_sel:[1,1] op_sel_hi:[0,1]
	v_pk_add_f32 v[2:3], v[2:3], v[6:7]
	v_pk_fma_f32 v[6:7], v[14:15], v[118:119], v[4:5] neg_lo:[0,0,1] neg_hi:[0,0,1]
	v_pk_fma_f32 v[4:5], v[14:15], v[118:119], v[4:5] op_sel_hi:[1,0,1]
	s_nop 0
	v_mov_b32_e32 v7, v5
	scratch_load_dwordx2 v[4:5], off, off offset:224
	v_pk_add_f32 v[2:3], v[2:3], v[6:7]
	s_waitcnt vmcnt(0)
	v_pk_add_f32 v[2:3], v[4:5], v[2:3] neg_lo:[0,1] neg_hi:[0,1]
	scratch_store_dwordx2 off, v[2:3], off offset:224
	s_and_saveexec_b64 s[0:1], vcc
	s_cbranch_execz .LBB123_319
; %bb.318:
	scratch_load_dwordx2 v[2:3], off, off offset:216
	v_mov_b32_e32 v63, v62
	scratch_store_dwordx2 off, v[62:63], off offset:216
	s_waitcnt vmcnt(1)
	ds_write_b64 v1, v[2:3]
.LBB123_319:
	s_or_b64 exec, exec, s[0:1]
	s_waitcnt lgkmcnt(0)
	; wave barrier
	ds_read_b128 v[14:17], v62 offset:704
	ds_read_b128 v[10:13], v62 offset:720
	;; [unrolled: 1-line block ×4, first 2 shown]
	scratch_load_dwordx4 v[18:21], off, off offset:224
	scratch_load_dwordx4 v[38:41], off, off offset:288
	;; [unrolled: 1-line block ×6, first 2 shown]
	v_cmp_lt_u32_e32 vcc, 26, v0
	scratch_load_dwordx4 v[46:49], off, off offset:304
	scratch_load_dwordx4 v[54:57], off, off offset:320
	scratch_load_dwordx4 v[64:67], off, off offset:336
	s_waitcnt vmcnt(8) lgkmcnt(3)
	v_mul_f32_e32 v22, v14, v19
	v_fmac_f32_e32 v22, v15, v18
	v_mul_f32_e32 v23, v16, v21
	v_add_f32_e32 v22, 0, v22
	v_fmac_f32_e32 v23, v17, v20
	v_add_f32_e32 v26, v22, v23
	scratch_load_dwordx4 v[22:25], off, off offset:240
	v_mul_f32_e32 v15, v15, v19
	v_fma_f32 v14, v14, v18, -v15
	v_mul_f32_e32 v15, v17, v21
	v_add_f32_e32 v14, 0, v14
	v_fma_f32 v15, v16, v20, -v15
	v_add_f32_e32 v14, v14, v15
	s_waitcnt vmcnt(0) lgkmcnt(2)
	v_mul_f32_e32 v27, v10, v23
	v_fmac_f32_e32 v27, v11, v22
	v_add_f32_e32 v26, v26, v27
	v_mul_f32_e32 v27, v12, v25
	v_fmac_f32_e32 v27, v13, v24
	v_add_f32_e32 v30, v26, v27
	scratch_load_dwordx4 v[26:29], off, off offset:256
	v_mul_f32_e32 v11, v11, v23
	v_fma_f32 v10, v10, v22, -v11
	v_mul_f32_e32 v11, v13, v25
	v_add_f32_e32 v10, v14, v10
	v_fma_f32 v11, v12, v24, -v11
	v_add_f32_e32 v10, v10, v11
	s_waitcnt vmcnt(0) lgkmcnt(1)
	v_mul_f32_e32 v31, v6, v27
	v_fmac_f32_e32 v31, v7, v26
	v_add_f32_e32 v30, v30, v31
	v_mul_f32_e32 v31, v8, v29
	;; [unrolled: 14-line block ×3, first 2 shown]
	v_fmac_f32_e32 v35, v5, v32
	v_add_f32_e32 v42, v34, v35
	ds_read_b128 v[34:37], v62 offset:768
	v_mul_f32_e32 v3, v3, v31
	v_fma_f32 v2, v2, v30, -v3
	v_mul_f32_e32 v3, v5, v33
	v_add_f32_e32 v2, v6, v2
	s_waitcnt lgkmcnt(0)
	v_mul_f32_e32 v43, v34, v39
	v_fmac_f32_e32 v43, v35, v38
	v_add_f32_e32 v42, v42, v43
	v_mul_f32_e32 v43, v36, v41
	v_fmac_f32_e32 v43, v37, v40
	v_add_f32_e32 v50, v42, v43
	ds_read_b128 v[42:45], v62 offset:784
	v_fma_f32 v3, v4, v32, -v3
	v_add_f32_e32 v2, v2, v3
	v_mul_f32_e32 v3, v35, v39
	v_fma_f32 v3, v34, v38, -v3
	s_waitcnt lgkmcnt(0)
	v_mul_f32_e32 v51, v42, v47
	v_fmac_f32_e32 v51, v43, v46
	v_add_f32_e32 v50, v50, v51
	v_mul_f32_e32 v51, v44, v49
	v_fmac_f32_e32 v51, v45, v48
	v_add_f32_e32 v58, v50, v51
	ds_read_b128 v[50:53], v62 offset:800
	v_add_f32_e32 v2, v2, v3
	v_mul_f32_e32 v3, v37, v41
	v_fma_f32 v3, v36, v40, -v3
	v_add_f32_e32 v2, v2, v3
	s_waitcnt lgkmcnt(0)
	v_mul_f32_e32 v59, v50, v55
	v_fmac_f32_e32 v59, v51, v54
	v_add_f32_e32 v58, v58, v59
	v_mul_f32_e32 v59, v52, v57
	v_fmac_f32_e32 v59, v53, v56
	v_add_f32_e32 v63, v58, v59
	ds_read_b128 v[58:61], v62 offset:816
	v_mul_f32_e32 v3, v43, v47
	v_fma_f32 v3, v42, v46, -v3
	v_add_f32_e32 v2, v2, v3
	v_mul_f32_e32 v3, v45, v49
	s_waitcnt lgkmcnt(0)
	v_mul_f32_e32 v68, v58, v65
	v_fmac_f32_e32 v68, v59, v64
	v_add_f32_e32 v63, v63, v68
	v_mul_f32_e32 v68, v60, v67
	v_fmac_f32_e32 v68, v61, v66
	v_add_f32_e32 v63, v63, v68
	ds_read_b128 v[68:71], v62 offset:832
	v_fma_f32 v3, v44, v48, -v3
	v_add_f32_e32 v2, v2, v3
	v_mul_f32_e32 v3, v51, v55
	v_fma_f32 v3, v50, v54, -v3
	s_waitcnt lgkmcnt(0)
	v_mul_f32_e32 v76, v68, v73
	v_fmac_f32_e32 v76, v69, v72
	v_add_f32_e32 v63, v63, v76
	v_mul_f32_e32 v76, v70, v75
	v_fmac_f32_e32 v76, v71, v74
	v_add_f32_e32 v63, v63, v76
	ds_read_b128 v[76:79], v62 offset:848
	v_add_f32_e32 v2, v2, v3
	v_mul_f32_e32 v3, v53, v57
	v_fma_f32 v3, v52, v56, -v3
	v_add_f32_e32 v2, v2, v3
	s_waitcnt lgkmcnt(0)
	v_mul_f32_e32 v84, v76, v81
	v_fmac_f32_e32 v84, v77, v80
	v_add_f32_e32 v63, v63, v84
	v_mul_f32_e32 v84, v78, v83
	v_fmac_f32_e32 v84, v79, v82
	v_add_f32_e32 v63, v63, v84
	ds_read_b128 v[84:87], v62 offset:864
	v_mul_f32_e32 v3, v59, v65
	v_fma_f32 v3, v58, v64, -v3
	v_add_f32_e32 v2, v2, v3
	v_mul_f32_e32 v3, v61, v67
	s_waitcnt lgkmcnt(0)
	v_mul_f32_e32 v92, v84, v89
	v_fmac_f32_e32 v92, v85, v88
	v_add_f32_e32 v63, v63, v92
	v_mul_f32_e32 v92, v86, v91
	v_fmac_f32_e32 v92, v87, v90
	v_add_f32_e32 v117, v63, v92
	ds_read_b128 v[92:95], v62 offset:880
	scratch_load_dwordx4 v[100:103], off, off offset:416
	scratch_load_dwordx4 v[104:107], off, off offset:432
	;; [unrolled: 1-line block ×4, first 2 shown]
	v_fma_f32 v3, v60, v66, -v3
	v_add_f32_e32 v2, v2, v3
	v_mul_f32_e32 v3, v69, v73
	v_fma_f32 v3, v68, v72, -v3
	v_add_f32_e32 v2, v2, v3
	v_mul_f32_e32 v3, v71, v75
	;; [unrolled: 3-line block ×6, first 2 shown]
	v_fma_f32 v3, v86, v90, -v3
	v_add_f32_e32 v116, v2, v3
	s_waitcnt lgkmcnt(0)
	v_mul_f32_e32 v2, v93, v97
	v_fma_f32 v118, v92, v96, -v2
	v_mul_f32_e32 v2, v95, v99
	v_fma_f32 v120, v94, v98, -v2
	ds_read_b128 v[2:5], v62 offset:896
	ds_read_b128 v[6:9], v62 offset:912
	;; [unrolled: 1-line block ×4, first 2 shown]
	v_mul_f32_e32 v119, v92, v97
	v_fmac_f32_e32 v119, v93, v96
	v_mul_f32_e32 v121, v94, v99
	v_fmac_f32_e32 v121, v95, v98
	v_pk_add_f32 v[18:19], v[116:117], v[118:119]
	s_waitcnt vmcnt(3) lgkmcnt(3)
	v_pk_mul_f32 v[20:21], v[2:3], v[100:101] op_sel:[1,1] op_sel_hi:[0,1]
	v_pk_fma_f32 v[22:23], v[2:3], v[100:101], v[20:21] neg_lo:[0,0,1] neg_hi:[0,0,1]
	v_pk_fma_f32 v[2:3], v[2:3], v[100:101], v[20:21] op_sel_hi:[1,0,1]
	v_pk_add_f32 v[18:19], v[18:19], v[120:121]
	v_mov_b32_e32 v23, v3
	v_pk_add_f32 v[2:3], v[18:19], v[22:23]
	v_mov_b32_e32 v18, v103
	v_pk_mul_f32 v[18:19], v[4:5], v[18:19] op_sel:[1,0] op_sel_hi:[0,0]
	v_pk_fma_f32 v[20:21], v[4:5], v[102:103], v[18:19] neg_lo:[0,0,1] neg_hi:[0,0,1]
	v_pk_fma_f32 v[4:5], v[4:5], v[102:103], v[18:19] op_sel_hi:[1,0,1]
	s_nop 0
	v_mov_b32_e32 v21, v5
	s_waitcnt vmcnt(2) lgkmcnt(2)
	v_pk_mul_f32 v[4:5], v[6:7], v[104:105] op_sel:[1,1] op_sel_hi:[0,1]
	v_pk_fma_f32 v[18:19], v[6:7], v[104:105], v[4:5] neg_lo:[0,0,1] neg_hi:[0,0,1]
	v_pk_fma_f32 v[4:5], v[6:7], v[104:105], v[4:5] op_sel_hi:[1,0,1]
	v_pk_add_f32 v[2:3], v[2:3], v[20:21]
	v_mov_b32_e32 v4, v107
	v_mov_b32_e32 v19, v5
	v_pk_mul_f32 v[4:5], v[8:9], v[4:5] op_sel:[1,0] op_sel_hi:[0,0]
	v_pk_fma_f32 v[6:7], v[8:9], v[106:107], v[4:5] neg_lo:[0,0,1] neg_hi:[0,0,1]
	v_pk_fma_f32 v[4:5], v[8:9], v[106:107], v[4:5] op_sel_hi:[1,0,1]
	v_pk_add_f32 v[2:3], v[2:3], v[18:19]
	v_mov_b32_e32 v7, v5
	s_waitcnt vmcnt(1) lgkmcnt(1)
	v_pk_mul_f32 v[4:5], v[10:11], v[108:109] op_sel:[1,1] op_sel_hi:[0,1]
	v_pk_add_f32 v[2:3], v[2:3], v[6:7]
	v_pk_fma_f32 v[6:7], v[10:11], v[108:109], v[4:5] neg_lo:[0,0,1] neg_hi:[0,0,1]
	v_pk_fma_f32 v[4:5], v[10:11], v[108:109], v[4:5] op_sel_hi:[1,0,1]
	s_nop 0
	v_mov_b32_e32 v4, v111
	v_mov_b32_e32 v7, v5
	v_pk_mul_f32 v[4:5], v[12:13], v[4:5] op_sel:[1,0] op_sel_hi:[0,0]
	v_pk_add_f32 v[2:3], v[2:3], v[6:7]
	v_pk_fma_f32 v[6:7], v[12:13], v[110:111], v[4:5] neg_lo:[0,0,1] neg_hi:[0,0,1]
	v_pk_fma_f32 v[4:5], v[12:13], v[110:111], v[4:5] op_sel_hi:[1,0,1]
	s_nop 0
	v_mov_b32_e32 v7, v5
	s_waitcnt vmcnt(0) lgkmcnt(0)
	v_pk_mul_f32 v[4:5], v[14:15], v[112:113] op_sel:[1,1] op_sel_hi:[0,1]
	v_pk_add_f32 v[2:3], v[2:3], v[6:7]
	v_pk_fma_f32 v[6:7], v[14:15], v[112:113], v[4:5] neg_lo:[0,0,1] neg_hi:[0,0,1]
	v_pk_fma_f32 v[4:5], v[14:15], v[112:113], v[4:5] op_sel_hi:[1,0,1]
	s_nop 0
	v_mov_b32_e32 v4, v115
	v_mov_b32_e32 v7, v5
	v_pk_mul_f32 v[4:5], v[16:17], v[4:5] op_sel:[1,0] op_sel_hi:[0,0]
	v_pk_add_f32 v[2:3], v[2:3], v[6:7]
	v_pk_fma_f32 v[6:7], v[16:17], v[114:115], v[4:5] neg_lo:[0,0,1] neg_hi:[0,0,1]
	v_pk_fma_f32 v[4:5], v[16:17], v[114:115], v[4:5] op_sel_hi:[1,0,1]
	s_nop 0
	v_mov_b32_e32 v7, v5
	scratch_load_dwordx2 v[4:5], off, off offset:216
	v_pk_add_f32 v[2:3], v[2:3], v[6:7]
	s_waitcnt vmcnt(0)
	v_pk_add_f32 v[2:3], v[4:5], v[2:3] neg_lo:[0,1] neg_hi:[0,1]
	scratch_store_dwordx2 off, v[2:3], off offset:216
	s_and_saveexec_b64 s[0:1], vcc
	s_cbranch_execz .LBB123_321
; %bb.320:
	scratch_load_dwordx2 v[2:3], off, off offset:208
	v_mov_b32_e32 v4, 0
	v_mov_b32_e32 v5, v4
	scratch_store_dwordx2 off, v[4:5], off offset:208
	s_waitcnt vmcnt(1)
	ds_write_b64 v1, v[2:3]
.LBB123_321:
	s_or_b64 exec, exec, s[0:1]
	s_waitcnt lgkmcnt(0)
	; wave barrier
	scratch_load_dwordx4 v[6:9], off, off offset:216
	scratch_load_dwordx4 v[14:17], off, off offset:232
	;; [unrolled: 1-line block ×10, first 2 shown]
	v_mov_b32_e32 v70, 0
	ds_read2_b64 v[2:5], v70 offset0:87 offset1:88
	scratch_load_dwordx4 v[88:91], off, off offset:376
	scratch_load_dwordx4 v[96:99], off, off offset:392
	;; [unrolled: 1-line block ×3, first 2 shown]
	v_cmp_lt_u32_e32 vcc, 25, v0
	s_waitcnt vmcnt(12) lgkmcnt(0)
	v_mul_f32_e32 v10, v2, v7
	v_fmac_f32_e32 v10, v3, v6
	v_mul_f32_e32 v11, v4, v9
	v_add_f32_e32 v10, 0, v10
	v_fmac_f32_e32 v11, v5, v8
	v_add_f32_e32 v18, v10, v11
	ds_read2_b64 v[10:13], v70 offset0:89 offset1:90
	v_mul_f32_e32 v3, v3, v7
	v_fma_f32 v2, v2, v6, -v3
	v_mul_f32_e32 v3, v5, v9
	v_add_f32_e32 v2, 0, v2
	s_waitcnt vmcnt(11) lgkmcnt(0)
	v_mul_f32_e32 v19, v10, v15
	v_fmac_f32_e32 v19, v11, v14
	v_add_f32_e32 v18, v18, v19
	v_mul_f32_e32 v19, v12, v17
	v_fmac_f32_e32 v19, v13, v16
	v_add_f32_e32 v26, v18, v19
	ds_read2_b64 v[18:21], v70 offset0:91 offset1:92
	v_fma_f32 v3, v4, v8, -v3
	v_add_f32_e32 v2, v2, v3
	v_mul_f32_e32 v3, v11, v15
	v_fma_f32 v3, v10, v14, -v3
	s_waitcnt vmcnt(10) lgkmcnt(0)
	v_mul_f32_e32 v27, v18, v23
	v_fmac_f32_e32 v27, v19, v22
	v_add_f32_e32 v26, v26, v27
	v_mul_f32_e32 v27, v20, v25
	v_fmac_f32_e32 v27, v21, v24
	v_add_f32_e32 v34, v26, v27
	ds_read2_b64 v[26:29], v70 offset0:93 offset1:94
	v_add_f32_e32 v2, v2, v3
	v_mul_f32_e32 v3, v13, v17
	v_fma_f32 v3, v12, v16, -v3
	v_add_f32_e32 v2, v2, v3
	s_waitcnt vmcnt(9) lgkmcnt(0)
	v_mul_f32_e32 v35, v26, v31
	v_fmac_f32_e32 v35, v27, v30
	v_add_f32_e32 v34, v34, v35
	v_mul_f32_e32 v35, v28, v33
	v_fmac_f32_e32 v35, v29, v32
	v_add_f32_e32 v42, v34, v35
	ds_read2_b64 v[34:37], v70 offset0:95 offset1:96
	v_mul_f32_e32 v3, v19, v23
	v_fma_f32 v3, v18, v22, -v3
	v_add_f32_e32 v2, v2, v3
	v_mul_f32_e32 v3, v21, v25
	s_waitcnt vmcnt(8) lgkmcnt(0)
	v_mul_f32_e32 v43, v34, v39
	v_fmac_f32_e32 v43, v35, v38
	v_add_f32_e32 v42, v42, v43
	v_mul_f32_e32 v43, v36, v41
	v_fmac_f32_e32 v43, v37, v40
	v_add_f32_e32 v50, v42, v43
	ds_read2_b64 v[42:45], v70 offset0:97 offset1:98
	v_fma_f32 v3, v20, v24, -v3
	v_add_f32_e32 v2, v2, v3
	v_mul_f32_e32 v3, v27, v31
	v_fma_f32 v3, v26, v30, -v3
	s_waitcnt vmcnt(7) lgkmcnt(0)
	v_mul_f32_e32 v51, v42, v47
	v_fmac_f32_e32 v51, v43, v46
	v_add_f32_e32 v50, v50, v51
	v_mul_f32_e32 v51, v44, v49
	v_fmac_f32_e32 v51, v45, v48
	v_add_f32_e32 v58, v50, v51
	ds_read2_b64 v[50:53], v70 offset0:99 offset1:100
	v_add_f32_e32 v2, v2, v3
	v_mul_f32_e32 v3, v29, v33
	v_fma_f32 v3, v28, v32, -v3
	v_add_f32_e32 v2, v2, v3
	s_waitcnt vmcnt(6) lgkmcnt(0)
	v_mul_f32_e32 v59, v50, v55
	v_fmac_f32_e32 v59, v51, v54
	v_add_f32_e32 v58, v58, v59
	v_mul_f32_e32 v59, v52, v57
	v_fmac_f32_e32 v59, v53, v56
	v_add_f32_e32 v66, v58, v59
	ds_read2_b64 v[58:61], v70 offset0:101 offset1:102
	v_mul_f32_e32 v3, v35, v39
	v_fma_f32 v3, v34, v38, -v3
	v_add_f32_e32 v2, v2, v3
	v_mul_f32_e32 v3, v37, v41
	;; [unrolled: 36-line block ×3, first 2 shown]
	s_waitcnt vmcnt(2) lgkmcnt(0)
	v_mul_f32_e32 v92, v84, v89
	v_fmac_f32_e32 v92, v85, v88
	v_add_f32_e32 v71, v71, v92
	v_mul_f32_e32 v92, v86, v91
	v_fmac_f32_e32 v92, v87, v90
	v_add_f32_e32 v71, v71, v92
	ds_read2_b64 v[92:95], v70 offset0:109 offset1:110
	v_fma_f32 v3, v52, v56, -v3
	v_add_f32_e32 v2, v2, v3
	v_mul_f32_e32 v3, v59, v63
	v_fma_f32 v3, v58, v62, -v3
	s_waitcnt vmcnt(1) lgkmcnt(0)
	v_mul_f32_e32 v100, v92, v97
	v_fmac_f32_e32 v100, v93, v96
	v_add_f32_e32 v121, v71, v100
	ds_read2_b64 v[100:103], v70 offset0:111 offset1:112
	scratch_load_dwordx4 v[108:111], off, off offset:424
	scratch_load_dwordx4 v[112:115], off, off offset:440
	;; [unrolled: 1-line block ×3, first 2 shown]
	scratch_load_dwordx2 v[126:127], off, off offset:472
	v_add_f32_e32 v2, v2, v3
	v_mul_f32_e32 v3, v61, v65
	v_fma_f32 v3, v60, v64, -v3
	v_add_f32_e32 v2, v2, v3
	v_mul_f32_e32 v3, v67, v73
	v_fma_f32 v3, v66, v72, -v3
	;; [unrolled: 3-line block ×8, first 2 shown]
	v_add_f32_e32 v120, v2, v3
	v_mul_f32_e32 v2, v95, v99
	v_mul_f32_e32 v123, v94, v99
	v_fma_f32 v122, v94, v98, -v2
	s_waitcnt vmcnt(4) lgkmcnt(0)
	v_mul_f32_e32 v2, v101, v105
	v_mov_b32_e32 v18, v107
	v_fmac_f32_e32 v123, v95, v98
	v_mul_f32_e32 v125, v100, v105
	v_fma_f32 v124, v100, v104, -v2
	ds_read2_b64 v[2:5], v70 offset0:113 offset1:114
	ds_read2_b64 v[6:9], v70 offset0:115 offset1:116
	;; [unrolled: 1-line block ×3, first 2 shown]
	ds_read_b64 v[14:15], v70 offset:952
	v_pk_mul_f32 v[18:19], v[102:103], v[18:19] op_sel:[1,0] op_sel_hi:[0,0]
	v_fmac_f32_e32 v125, v101, v104
	v_pk_add_f32 v[16:17], v[120:121], v[122:123]
	v_pk_fma_f32 v[20:21], v[102:103], v[106:107], v[18:19] neg_lo:[0,0,1] neg_hi:[0,0,1]
	v_pk_fma_f32 v[18:19], v[102:103], v[106:107], v[18:19] op_sel_hi:[1,0,1]
	v_pk_add_f32 v[16:17], v[16:17], v[124:125]
	v_mov_b32_e32 v21, v19
	v_pk_add_f32 v[16:17], v[16:17], v[20:21]
	s_waitcnt vmcnt(3) lgkmcnt(3)
	v_pk_mul_f32 v[18:19], v[2:3], v[108:109] op_sel:[1,1] op_sel_hi:[0,1]
	v_pk_fma_f32 v[20:21], v[2:3], v[108:109], v[18:19] neg_lo:[0,0,1] neg_hi:[0,0,1]
	v_pk_fma_f32 v[2:3], v[2:3], v[108:109], v[18:19] op_sel_hi:[1,0,1]
	s_nop 0
	v_mov_b32_e32 v21, v3
	v_pk_add_f32 v[2:3], v[16:17], v[20:21]
	v_mov_b32_e32 v16, v111
	v_pk_mul_f32 v[16:17], v[4:5], v[16:17] op_sel:[1,0] op_sel_hi:[0,0]
	v_pk_fma_f32 v[18:19], v[4:5], v[110:111], v[16:17] neg_lo:[0,0,1] neg_hi:[0,0,1]
	v_pk_fma_f32 v[4:5], v[4:5], v[110:111], v[16:17] op_sel_hi:[1,0,1]
	s_nop 0
	v_mov_b32_e32 v19, v5
	s_waitcnt vmcnt(2) lgkmcnt(2)
	v_pk_mul_f32 v[4:5], v[6:7], v[112:113] op_sel:[1,1] op_sel_hi:[0,1]
	v_pk_fma_f32 v[16:17], v[6:7], v[112:113], v[4:5] neg_lo:[0,0,1] neg_hi:[0,0,1]
	v_pk_fma_f32 v[4:5], v[6:7], v[112:113], v[4:5] op_sel_hi:[1,0,1]
	v_pk_add_f32 v[2:3], v[2:3], v[18:19]
	v_mov_b32_e32 v4, v115
	v_mov_b32_e32 v17, v5
	v_pk_mul_f32 v[4:5], v[8:9], v[4:5] op_sel:[1,0] op_sel_hi:[0,0]
	v_pk_fma_f32 v[6:7], v[8:9], v[114:115], v[4:5] neg_lo:[0,0,1] neg_hi:[0,0,1]
	v_pk_fma_f32 v[4:5], v[8:9], v[114:115], v[4:5] op_sel_hi:[1,0,1]
	v_pk_add_f32 v[2:3], v[2:3], v[16:17]
	v_mov_b32_e32 v7, v5
	s_waitcnt vmcnt(1) lgkmcnt(1)
	v_pk_mul_f32 v[4:5], v[10:11], v[116:117] op_sel:[1,1] op_sel_hi:[0,1]
	v_pk_add_f32 v[2:3], v[2:3], v[6:7]
	v_pk_fma_f32 v[6:7], v[10:11], v[116:117], v[4:5] neg_lo:[0,0,1] neg_hi:[0,0,1]
	v_pk_fma_f32 v[4:5], v[10:11], v[116:117], v[4:5] op_sel_hi:[1,0,1]
	s_nop 0
	v_mov_b32_e32 v4, v119
	v_mov_b32_e32 v7, v5
	v_pk_mul_f32 v[4:5], v[12:13], v[4:5] op_sel:[1,0] op_sel_hi:[0,0]
	v_pk_add_f32 v[2:3], v[2:3], v[6:7]
	v_pk_fma_f32 v[6:7], v[12:13], v[118:119], v[4:5] neg_lo:[0,0,1] neg_hi:[0,0,1]
	v_pk_fma_f32 v[4:5], v[12:13], v[118:119], v[4:5] op_sel_hi:[1,0,1]
	s_nop 0
	v_mov_b32_e32 v7, v5
	s_waitcnt vmcnt(0) lgkmcnt(0)
	v_pk_mul_f32 v[4:5], v[14:15], v[126:127] op_sel:[1,1] op_sel_hi:[0,1]
	v_pk_add_f32 v[2:3], v[2:3], v[6:7]
	v_pk_fma_f32 v[6:7], v[14:15], v[126:127], v[4:5] neg_lo:[0,0,1] neg_hi:[0,0,1]
	v_pk_fma_f32 v[4:5], v[14:15], v[126:127], v[4:5] op_sel_hi:[1,0,1]
	s_nop 0
	v_mov_b32_e32 v7, v5
	scratch_load_dwordx2 v[4:5], off, off offset:208
	v_pk_add_f32 v[2:3], v[2:3], v[6:7]
	s_waitcnt vmcnt(0)
	v_pk_add_f32 v[2:3], v[4:5], v[2:3] neg_lo:[0,1] neg_hi:[0,1]
	scratch_store_dwordx2 off, v[2:3], off offset:208
	s_and_saveexec_b64 s[0:1], vcc
	s_cbranch_execz .LBB123_323
; %bb.322:
	scratch_load_dwordx2 v[2:3], off, off offset:200
	v_mov_b32_e32 v71, v70
	scratch_store_dwordx2 off, v[70:71], off offset:200
	s_waitcnt vmcnt(1)
	ds_write_b64 v1, v[2:3]
.LBB123_323:
	s_or_b64 exec, exec, s[0:1]
	s_waitcnt lgkmcnt(0)
	; wave barrier
	ds_read_b128 v[14:17], v70 offset:688
	ds_read_b128 v[10:13], v70 offset:704
	;; [unrolled: 1-line block ×4, first 2 shown]
	scratch_load_dwordx4 v[18:21], off, off offset:208
	scratch_load_dwordx4 v[34:37], off, off offset:256
	;; [unrolled: 1-line block ×8, first 2 shown]
	ds_read_b128 v[38:41], v70 offset:752
	ds_read_b128 v[54:57], v70 offset:768
	;; [unrolled: 1-line block ×8, first 2 shown]
	scratch_load_dwordx4 v[126:129], off, off offset:400
	ds_read_b128 v[122:125], v70 offset:880
	v_cmp_lt_u32_e32 vcc, 24, v0
	scratch_load_dwordx4 v[50:53], off, off offset:272
	scratch_load_dwordx4 v[62:65], off, off offset:288
	s_waitcnt vmcnt(10) lgkmcnt(12)
	v_mul_f32_e32 v22, v14, v19
	v_fmac_f32_e32 v22, v15, v18
	v_mul_f32_e32 v23, v16, v21
	v_add_f32_e32 v22, 0, v22
	v_fmac_f32_e32 v23, v17, v20
	v_add_f32_e32 v26, v22, v23
	scratch_load_dwordx4 v[22:25], off, off offset:224
	v_mul_f32_e32 v15, v15, v19
	v_fma_f32 v14, v14, v18, -v15
	v_mul_f32_e32 v15, v17, v21
	v_add_f32_e32 v14, 0, v14
	v_fma_f32 v15, v16, v20, -v15
	v_add_f32_e32 v14, v14, v15
	s_waitcnt vmcnt(3) lgkmcnt(0)
	v_mul_f32_e32 v75, v122, v127
	v_fmac_f32_e32 v75, v123, v126
	v_mul_f32_e32 v77, v124, v129
	v_fmac_f32_e32 v77, v125, v128
	s_waitcnt vmcnt(0)
	v_mul_f32_e32 v27, v10, v23
	v_fmac_f32_e32 v27, v11, v22
	v_add_f32_e32 v26, v26, v27
	v_mul_f32_e32 v27, v12, v25
	v_fmac_f32_e32 v27, v13, v24
	v_add_f32_e32 v30, v26, v27
	scratch_load_dwordx4 v[26:29], off, off offset:240
	v_mul_f32_e32 v11, v11, v23
	v_fma_f32 v10, v10, v22, -v11
	v_mul_f32_e32 v11, v13, v25
	v_add_f32_e32 v10, v14, v10
	v_fma_f32 v11, v12, v24, -v11
	v_add_f32_e32 v10, v10, v11
	s_waitcnt vmcnt(0)
	v_mul_f32_e32 v31, v6, v27
	v_fmac_f32_e32 v31, v7, v26
	v_add_f32_e32 v30, v30, v31
	v_mul_f32_e32 v31, v8, v29
	v_fmac_f32_e32 v31, v9, v28
	v_add_f32_e32 v30, v30, v31
	;; [unrolled: 3-line block ×20, first 2 shown]
	scratch_load_dwordx4 v[58:61], off, off offset:416
	scratch_load_dwordx4 v[46:49], off, off offset:432
	;; [unrolled: 1-line block ×4, first 2 shown]
	v_mul_f32_e32 v7, v7, v27
	v_fma_f32 v6, v6, v26, -v7
	v_mul_f32_e32 v7, v9, v29
	v_add_f32_e32 v6, v10, v6
	v_fma_f32 v7, v8, v28, -v7
	v_mul_f32_e32 v3, v3, v35
	v_add_f32_e32 v6, v6, v7
	;; [unrolled: 3-line block ×3, first 2 shown]
	v_fma_f32 v3, v4, v36, -v3
	v_add_f32_e32 v2, v2, v3
	v_mul_f32_e32 v3, v39, v51
	v_fma_f32 v3, v38, v50, -v3
	v_add_f32_e32 v2, v2, v3
	v_mul_f32_e32 v3, v41, v53
	;; [unrolled: 3-line block ×17, first 2 shown]
	v_fma_f32 v74, v122, v126, -v2
	v_mul_f32_e32 v2, v125, v129
	v_fma_f32 v76, v124, v128, -v2
	ds_read_b128 v[2:5], v70 offset:896
	ds_read_b128 v[6:9], v70 offset:912
	;; [unrolled: 1-line block ×4, first 2 shown]
	v_pk_add_f32 v[18:19], v[72:73], v[74:75]
	s_waitcnt vmcnt(3) lgkmcnt(3)
	v_pk_mul_f32 v[20:21], v[2:3], v[58:59] op_sel:[1,1] op_sel_hi:[0,1]
	v_pk_fma_f32 v[22:23], v[2:3], v[58:59], v[20:21] neg_lo:[0,0,1] neg_hi:[0,0,1]
	v_pk_fma_f32 v[2:3], v[2:3], v[58:59], v[20:21] op_sel_hi:[1,0,1]
	v_pk_add_f32 v[18:19], v[18:19], v[76:77]
	v_mov_b32_e32 v23, v3
	v_pk_add_f32 v[2:3], v[18:19], v[22:23]
	v_mov_b32_e32 v18, v61
	v_pk_mul_f32 v[18:19], v[4:5], v[18:19] op_sel:[1,0] op_sel_hi:[0,0]
	v_pk_fma_f32 v[20:21], v[4:5], v[60:61], v[18:19] neg_lo:[0,0,1] neg_hi:[0,0,1]
	v_pk_fma_f32 v[4:5], v[4:5], v[60:61], v[18:19] op_sel_hi:[1,0,1]
	s_nop 0
	v_mov_b32_e32 v21, v5
	s_waitcnt vmcnt(2) lgkmcnt(2)
	v_pk_mul_f32 v[4:5], v[6:7], v[46:47] op_sel:[1,1] op_sel_hi:[0,1]
	v_pk_fma_f32 v[18:19], v[6:7], v[46:47], v[4:5] neg_lo:[0,0,1] neg_hi:[0,0,1]
	v_pk_fma_f32 v[4:5], v[6:7], v[46:47], v[4:5] op_sel_hi:[1,0,1]
	v_pk_add_f32 v[2:3], v[2:3], v[20:21]
	v_mov_b32_e32 v4, v49
	v_mov_b32_e32 v19, v5
	v_pk_mul_f32 v[4:5], v[8:9], v[4:5] op_sel:[1,0] op_sel_hi:[0,0]
	v_pk_fma_f32 v[6:7], v[8:9], v[48:49], v[4:5] neg_lo:[0,0,1] neg_hi:[0,0,1]
	v_pk_fma_f32 v[4:5], v[8:9], v[48:49], v[4:5] op_sel_hi:[1,0,1]
	v_pk_add_f32 v[2:3], v[2:3], v[18:19]
	v_mov_b32_e32 v7, v5
	s_waitcnt vmcnt(1) lgkmcnt(1)
	v_pk_mul_f32 v[4:5], v[10:11], v[42:43] op_sel:[1,1] op_sel_hi:[0,1]
	v_pk_add_f32 v[2:3], v[2:3], v[6:7]
	v_pk_fma_f32 v[6:7], v[10:11], v[42:43], v[4:5] neg_lo:[0,0,1] neg_hi:[0,0,1]
	v_pk_fma_f32 v[4:5], v[10:11], v[42:43], v[4:5] op_sel_hi:[1,0,1]
	s_nop 0
	v_mov_b32_e32 v4, v45
	v_mov_b32_e32 v7, v5
	v_pk_mul_f32 v[4:5], v[12:13], v[4:5] op_sel:[1,0] op_sel_hi:[0,0]
	v_pk_add_f32 v[2:3], v[2:3], v[6:7]
	v_pk_fma_f32 v[6:7], v[12:13], v[44:45], v[4:5] neg_lo:[0,0,1] neg_hi:[0,0,1]
	v_pk_fma_f32 v[4:5], v[12:13], v[44:45], v[4:5] op_sel_hi:[1,0,1]
	s_nop 0
	v_mov_b32_e32 v7, v5
	s_waitcnt vmcnt(0) lgkmcnt(0)
	v_pk_mul_f32 v[4:5], v[14:15], v[30:31] op_sel:[1,1] op_sel_hi:[0,1]
	v_pk_add_f32 v[2:3], v[2:3], v[6:7]
	v_pk_fma_f32 v[6:7], v[14:15], v[30:31], v[4:5] neg_lo:[0,0,1] neg_hi:[0,0,1]
	v_pk_fma_f32 v[4:5], v[14:15], v[30:31], v[4:5] op_sel_hi:[1,0,1]
	s_nop 0
	v_mov_b32_e32 v4, v33
	v_mov_b32_e32 v7, v5
	v_pk_mul_f32 v[4:5], v[16:17], v[4:5] op_sel:[1,0] op_sel_hi:[0,0]
	v_pk_add_f32 v[2:3], v[2:3], v[6:7]
	v_pk_fma_f32 v[6:7], v[16:17], v[32:33], v[4:5] neg_lo:[0,0,1] neg_hi:[0,0,1]
	v_pk_fma_f32 v[4:5], v[16:17], v[32:33], v[4:5] op_sel_hi:[1,0,1]
	s_nop 0
	v_mov_b32_e32 v7, v5
	scratch_load_dwordx2 v[4:5], off, off offset:200
	v_pk_add_f32 v[2:3], v[2:3], v[6:7]
	s_waitcnt vmcnt(0)
	v_pk_add_f32 v[2:3], v[4:5], v[2:3] neg_lo:[0,1] neg_hi:[0,1]
	scratch_store_dwordx2 off, v[2:3], off offset:200
	s_and_saveexec_b64 s[0:1], vcc
	s_cbranch_execz .LBB123_325
; %bb.324:
	scratch_load_dwordx2 v[2:3], off, off offset:192
	v_mov_b32_e32 v4, 0
	v_mov_b32_e32 v5, v4
	scratch_store_dwordx2 off, v[4:5], off offset:192
	s_waitcnt vmcnt(1)
	ds_write_b64 v1, v[2:3]
.LBB123_325:
	s_or_b64 exec, exec, s[0:1]
	s_waitcnt lgkmcnt(0)
	; wave barrier
	scratch_load_dwordx4 v[6:9], off, off offset:200
	scratch_load_dwordx4 v[14:17], off, off offset:216
	;; [unrolled: 1-line block ×10, first 2 shown]
	v_mov_b32_e32 v70, 0
	ds_read2_b64 v[2:5], v70 offset0:85 offset1:86
	scratch_load_dwordx4 v[88:91], off, off offset:360
	scratch_load_dwordx4 v[96:99], off, off offset:376
	;; [unrolled: 1-line block ×4, first 2 shown]
	v_cmp_lt_u32_e32 vcc, 23, v0
	s_waitcnt vmcnt(13) lgkmcnt(0)
	v_mul_f32_e32 v10, v2, v7
	v_fmac_f32_e32 v10, v3, v6
	v_mul_f32_e32 v11, v4, v9
	v_add_f32_e32 v10, 0, v10
	v_fmac_f32_e32 v11, v5, v8
	v_add_f32_e32 v18, v10, v11
	ds_read2_b64 v[10:13], v70 offset0:87 offset1:88
	v_mul_f32_e32 v3, v3, v7
	v_fma_f32 v2, v2, v6, -v3
	v_mul_f32_e32 v3, v5, v9
	v_add_f32_e32 v2, 0, v2
	s_waitcnt vmcnt(12) lgkmcnt(0)
	v_mul_f32_e32 v19, v10, v15
	v_fmac_f32_e32 v19, v11, v14
	v_add_f32_e32 v18, v18, v19
	v_mul_f32_e32 v19, v12, v17
	v_fmac_f32_e32 v19, v13, v16
	v_add_f32_e32 v26, v18, v19
	ds_read2_b64 v[18:21], v70 offset0:89 offset1:90
	v_fma_f32 v3, v4, v8, -v3
	v_add_f32_e32 v2, v2, v3
	v_mul_f32_e32 v3, v11, v15
	v_fma_f32 v3, v10, v14, -v3
	s_waitcnt vmcnt(11) lgkmcnt(0)
	v_mul_f32_e32 v27, v18, v23
	v_fmac_f32_e32 v27, v19, v22
	v_add_f32_e32 v26, v26, v27
	v_mul_f32_e32 v27, v20, v25
	v_fmac_f32_e32 v27, v21, v24
	v_add_f32_e32 v34, v26, v27
	ds_read2_b64 v[26:29], v70 offset0:91 offset1:92
	v_add_f32_e32 v2, v2, v3
	v_mul_f32_e32 v3, v13, v17
	v_fma_f32 v3, v12, v16, -v3
	v_add_f32_e32 v2, v2, v3
	s_waitcnt vmcnt(10) lgkmcnt(0)
	v_mul_f32_e32 v35, v26, v31
	v_fmac_f32_e32 v35, v27, v30
	v_add_f32_e32 v34, v34, v35
	v_mul_f32_e32 v35, v28, v33
	v_fmac_f32_e32 v35, v29, v32
	v_add_f32_e32 v42, v34, v35
	ds_read2_b64 v[34:37], v70 offset0:93 offset1:94
	v_mul_f32_e32 v3, v19, v23
	v_fma_f32 v3, v18, v22, -v3
	v_add_f32_e32 v2, v2, v3
	v_mul_f32_e32 v3, v21, v25
	s_waitcnt vmcnt(9) lgkmcnt(0)
	v_mul_f32_e32 v43, v34, v39
	v_fmac_f32_e32 v43, v35, v38
	v_add_f32_e32 v42, v42, v43
	v_mul_f32_e32 v43, v36, v41
	v_fmac_f32_e32 v43, v37, v40
	v_add_f32_e32 v50, v42, v43
	ds_read2_b64 v[42:45], v70 offset0:95 offset1:96
	v_fma_f32 v3, v20, v24, -v3
	v_add_f32_e32 v2, v2, v3
	v_mul_f32_e32 v3, v27, v31
	v_fma_f32 v3, v26, v30, -v3
	s_waitcnt vmcnt(8) lgkmcnt(0)
	v_mul_f32_e32 v51, v42, v47
	v_fmac_f32_e32 v51, v43, v46
	v_add_f32_e32 v50, v50, v51
	v_mul_f32_e32 v51, v44, v49
	v_fmac_f32_e32 v51, v45, v48
	v_add_f32_e32 v58, v50, v51
	ds_read2_b64 v[50:53], v70 offset0:97 offset1:98
	v_add_f32_e32 v2, v2, v3
	v_mul_f32_e32 v3, v29, v33
	v_fma_f32 v3, v28, v32, -v3
	v_add_f32_e32 v2, v2, v3
	s_waitcnt vmcnt(7) lgkmcnt(0)
	v_mul_f32_e32 v59, v50, v55
	v_fmac_f32_e32 v59, v51, v54
	v_add_f32_e32 v58, v58, v59
	v_mul_f32_e32 v59, v52, v57
	v_fmac_f32_e32 v59, v53, v56
	v_add_f32_e32 v66, v58, v59
	ds_read2_b64 v[58:61], v70 offset0:99 offset1:100
	v_mul_f32_e32 v3, v35, v39
	v_fma_f32 v3, v34, v38, -v3
	v_add_f32_e32 v2, v2, v3
	v_mul_f32_e32 v3, v37, v41
	;; [unrolled: 36-line block ×3, first 2 shown]
	s_waitcnt vmcnt(3) lgkmcnt(0)
	v_mul_f32_e32 v92, v84, v89
	v_fmac_f32_e32 v92, v85, v88
	v_add_f32_e32 v71, v71, v92
	v_mul_f32_e32 v92, v86, v91
	v_fmac_f32_e32 v92, v87, v90
	v_add_f32_e32 v71, v71, v92
	ds_read2_b64 v[92:95], v70 offset0:107 offset1:108
	v_fma_f32 v3, v52, v56, -v3
	v_add_f32_e32 v2, v2, v3
	v_mul_f32_e32 v3, v59, v63
	v_fma_f32 v3, v58, v62, -v3
	s_waitcnt vmcnt(2) lgkmcnt(0)
	v_mul_f32_e32 v100, v92, v97
	v_fmac_f32_e32 v100, v93, v96
	v_add_f32_e32 v71, v71, v100
	v_mul_f32_e32 v100, v94, v99
	v_fmac_f32_e32 v100, v95, v98
	v_add_f32_e32 v71, v71, v100
	ds_read2_b64 v[100:103], v70 offset0:109 offset1:110
	v_add_f32_e32 v2, v2, v3
	v_mul_f32_e32 v3, v61, v65
	v_fma_f32 v3, v60, v64, -v3
	v_add_f32_e32 v2, v2, v3
	s_waitcnt vmcnt(1) lgkmcnt(0)
	v_mul_f32_e32 v108, v100, v105
	v_fmac_f32_e32 v108, v101, v104
	v_add_f32_e32 v129, v71, v108
	ds_read2_b64 v[108:111], v70 offset0:111 offset1:112
	scratch_load_dwordx4 v[116:119], off, off offset:424
	scratch_load_dwordx4 v[120:123], off, off offset:440
	;; [unrolled: 1-line block ×3, first 2 shown]
	scratch_load_dwordx2 v[134:135], off, off offset:472
	v_mul_f32_e32 v3, v67, v73
	v_fma_f32 v3, v66, v72, -v3
	v_add_f32_e32 v2, v2, v3
	v_mul_f32_e32 v3, v69, v75
	v_fma_f32 v3, v68, v74, -v3
	v_add_f32_e32 v2, v2, v3
	;; [unrolled: 3-line block ×9, first 2 shown]
	v_mul_f32_e32 v2, v103, v107
	v_mul_f32_e32 v131, v102, v107
	v_fma_f32 v130, v102, v106, -v2
	s_waitcnt vmcnt(4) lgkmcnt(0)
	v_mul_f32_e32 v2, v109, v113
	v_mov_b32_e32 v18, v115
	v_fmac_f32_e32 v131, v103, v106
	v_mul_f32_e32 v133, v108, v113
	v_fma_f32 v132, v108, v112, -v2
	ds_read2_b64 v[2:5], v70 offset0:113 offset1:114
	ds_read2_b64 v[6:9], v70 offset0:115 offset1:116
	ds_read2_b64 v[10:13], v70 offset0:117 offset1:118
	ds_read_b64 v[14:15], v70 offset:952
	v_pk_mul_f32 v[18:19], v[110:111], v[18:19] op_sel:[1,0] op_sel_hi:[0,0]
	v_fmac_f32_e32 v133, v109, v112
	v_pk_add_f32 v[16:17], v[128:129], v[130:131]
	v_pk_fma_f32 v[20:21], v[110:111], v[114:115], v[18:19] neg_lo:[0,0,1] neg_hi:[0,0,1]
	v_pk_fma_f32 v[18:19], v[110:111], v[114:115], v[18:19] op_sel_hi:[1,0,1]
	v_pk_add_f32 v[16:17], v[16:17], v[132:133]
	v_mov_b32_e32 v21, v19
	v_pk_add_f32 v[16:17], v[16:17], v[20:21]
	s_waitcnt vmcnt(3) lgkmcnt(3)
	v_pk_mul_f32 v[18:19], v[2:3], v[116:117] op_sel:[1,1] op_sel_hi:[0,1]
	v_pk_fma_f32 v[20:21], v[2:3], v[116:117], v[18:19] neg_lo:[0,0,1] neg_hi:[0,0,1]
	v_pk_fma_f32 v[2:3], v[2:3], v[116:117], v[18:19] op_sel_hi:[1,0,1]
	s_nop 0
	v_mov_b32_e32 v21, v3
	v_pk_add_f32 v[2:3], v[16:17], v[20:21]
	v_mov_b32_e32 v16, v119
	v_pk_mul_f32 v[16:17], v[4:5], v[16:17] op_sel:[1,0] op_sel_hi:[0,0]
	v_pk_fma_f32 v[18:19], v[4:5], v[118:119], v[16:17] neg_lo:[0,0,1] neg_hi:[0,0,1]
	v_pk_fma_f32 v[4:5], v[4:5], v[118:119], v[16:17] op_sel_hi:[1,0,1]
	s_nop 0
	v_mov_b32_e32 v19, v5
	s_waitcnt vmcnt(2) lgkmcnt(2)
	v_pk_mul_f32 v[4:5], v[6:7], v[120:121] op_sel:[1,1] op_sel_hi:[0,1]
	v_pk_fma_f32 v[16:17], v[6:7], v[120:121], v[4:5] neg_lo:[0,0,1] neg_hi:[0,0,1]
	v_pk_fma_f32 v[4:5], v[6:7], v[120:121], v[4:5] op_sel_hi:[1,0,1]
	v_pk_add_f32 v[2:3], v[2:3], v[18:19]
	v_mov_b32_e32 v4, v123
	v_mov_b32_e32 v17, v5
	v_pk_mul_f32 v[4:5], v[8:9], v[4:5] op_sel:[1,0] op_sel_hi:[0,0]
	v_pk_fma_f32 v[6:7], v[8:9], v[122:123], v[4:5] neg_lo:[0,0,1] neg_hi:[0,0,1]
	v_pk_fma_f32 v[4:5], v[8:9], v[122:123], v[4:5] op_sel_hi:[1,0,1]
	v_pk_add_f32 v[2:3], v[2:3], v[16:17]
	v_mov_b32_e32 v7, v5
	s_waitcnt vmcnt(1) lgkmcnt(1)
	v_pk_mul_f32 v[4:5], v[10:11], v[124:125] op_sel:[1,1] op_sel_hi:[0,1]
	v_pk_add_f32 v[2:3], v[2:3], v[6:7]
	v_pk_fma_f32 v[6:7], v[10:11], v[124:125], v[4:5] neg_lo:[0,0,1] neg_hi:[0,0,1]
	v_pk_fma_f32 v[4:5], v[10:11], v[124:125], v[4:5] op_sel_hi:[1,0,1]
	s_nop 0
	v_mov_b32_e32 v4, v127
	v_mov_b32_e32 v7, v5
	v_pk_mul_f32 v[4:5], v[12:13], v[4:5] op_sel:[1,0] op_sel_hi:[0,0]
	v_pk_add_f32 v[2:3], v[2:3], v[6:7]
	v_pk_fma_f32 v[6:7], v[12:13], v[126:127], v[4:5] neg_lo:[0,0,1] neg_hi:[0,0,1]
	v_pk_fma_f32 v[4:5], v[12:13], v[126:127], v[4:5] op_sel_hi:[1,0,1]
	s_nop 0
	v_mov_b32_e32 v7, v5
	s_waitcnt vmcnt(0) lgkmcnt(0)
	v_pk_mul_f32 v[4:5], v[14:15], v[134:135] op_sel:[1,1] op_sel_hi:[0,1]
	v_pk_add_f32 v[2:3], v[2:3], v[6:7]
	v_pk_fma_f32 v[6:7], v[14:15], v[134:135], v[4:5] neg_lo:[0,0,1] neg_hi:[0,0,1]
	v_pk_fma_f32 v[4:5], v[14:15], v[134:135], v[4:5] op_sel_hi:[1,0,1]
	s_nop 0
	v_mov_b32_e32 v7, v5
	scratch_load_dwordx2 v[4:5], off, off offset:192
	v_pk_add_f32 v[2:3], v[2:3], v[6:7]
	s_waitcnt vmcnt(0)
	v_pk_add_f32 v[2:3], v[4:5], v[2:3] neg_lo:[0,1] neg_hi:[0,1]
	scratch_store_dwordx2 off, v[2:3], off offset:192
	s_and_saveexec_b64 s[0:1], vcc
	s_cbranch_execz .LBB123_327
; %bb.326:
	scratch_load_dwordx2 v[2:3], off, off offset:184
	v_mov_b32_e32 v71, v70
	scratch_store_dwordx2 off, v[70:71], off offset:184
	s_waitcnt vmcnt(1)
	ds_write_b64 v1, v[2:3]
.LBB123_327:
	s_or_b64 exec, exec, s[0:1]
	s_waitcnt lgkmcnt(0)
	; wave barrier
	ds_read_b128 v[14:17], v70 offset:672
	ds_read_b128 v[10:13], v70 offset:688
	;; [unrolled: 1-line block ×4, first 2 shown]
	scratch_load_dwordx4 v[18:21], off, off offset:192
	scratch_load_dwordx4 v[38:41], off, off offset:256
	;; [unrolled: 1-line block ×8, first 2 shown]
	v_cmp_lt_u32_e32 vcc, 22, v0
	scratch_load_dwordx4 v[46:49], off, off offset:272
	scratch_load_dwordx4 v[54:57], off, off offset:288
	;; [unrolled: 1-line block ×3, first 2 shown]
	s_waitcnt vmcnt(10) lgkmcnt(3)
	v_mul_f32_e32 v22, v14, v19
	v_fmac_f32_e32 v22, v15, v18
	v_mul_f32_e32 v23, v16, v21
	v_add_f32_e32 v22, 0, v22
	v_fmac_f32_e32 v23, v17, v20
	v_add_f32_e32 v26, v22, v23
	scratch_load_dwordx4 v[22:25], off, off offset:208
	v_mul_f32_e32 v15, v15, v19
	v_fma_f32 v14, v14, v18, -v15
	v_mul_f32_e32 v15, v17, v21
	v_add_f32_e32 v14, 0, v14
	v_fma_f32 v15, v16, v20, -v15
	v_add_f32_e32 v14, v14, v15
	s_waitcnt vmcnt(0) lgkmcnt(2)
	v_mul_f32_e32 v27, v10, v23
	v_fmac_f32_e32 v27, v11, v22
	v_add_f32_e32 v26, v26, v27
	v_mul_f32_e32 v27, v12, v25
	v_fmac_f32_e32 v27, v13, v24
	v_add_f32_e32 v30, v26, v27
	scratch_load_dwordx4 v[26:29], off, off offset:224
	v_mul_f32_e32 v11, v11, v23
	v_fma_f32 v10, v10, v22, -v11
	v_mul_f32_e32 v11, v13, v25
	v_add_f32_e32 v10, v14, v10
	v_fma_f32 v11, v12, v24, -v11
	v_add_f32_e32 v10, v10, v11
	s_waitcnt vmcnt(0) lgkmcnt(1)
	v_mul_f32_e32 v31, v6, v27
	v_fmac_f32_e32 v31, v7, v26
	v_add_f32_e32 v30, v30, v31
	v_mul_f32_e32 v31, v8, v29
	v_fmac_f32_e32 v31, v9, v28
	v_add_f32_e32 v34, v30, v31
	scratch_load_dwordx4 v[30:33], off, off offset:240
	v_mul_f32_e32 v7, v7, v27
	v_fma_f32 v6, v6, v26, -v7
	v_mul_f32_e32 v7, v9, v29
	v_add_f32_e32 v6, v10, v6
	v_fma_f32 v7, v8, v28, -v7
	v_add_f32_e32 v6, v6, v7
	s_waitcnt vmcnt(0) lgkmcnt(0)
	v_mul_f32_e32 v35, v2, v31
	v_fmac_f32_e32 v35, v3, v30
	v_add_f32_e32 v34, v34, v35
	v_mul_f32_e32 v35, v4, v33
	v_fmac_f32_e32 v35, v5, v32
	v_add_f32_e32 v42, v34, v35
	ds_read_b128 v[34:37], v70 offset:736
	v_mul_f32_e32 v3, v3, v31
	v_fma_f32 v2, v2, v30, -v3
	v_mul_f32_e32 v3, v5, v33
	v_add_f32_e32 v2, v6, v2
	s_waitcnt lgkmcnt(0)
	v_mul_f32_e32 v43, v34, v39
	v_fmac_f32_e32 v43, v35, v38
	v_add_f32_e32 v42, v42, v43
	v_mul_f32_e32 v43, v36, v41
	v_fmac_f32_e32 v43, v37, v40
	v_add_f32_e32 v50, v42, v43
	ds_read_b128 v[42:45], v70 offset:752
	v_fma_f32 v3, v4, v32, -v3
	v_add_f32_e32 v2, v2, v3
	v_mul_f32_e32 v3, v35, v39
	v_fma_f32 v3, v34, v38, -v3
	s_waitcnt lgkmcnt(0)
	v_mul_f32_e32 v51, v42, v47
	v_fmac_f32_e32 v51, v43, v46
	v_add_f32_e32 v50, v50, v51
	v_mul_f32_e32 v51, v44, v49
	v_fmac_f32_e32 v51, v45, v48
	v_add_f32_e32 v58, v50, v51
	ds_read_b128 v[50:53], v70 offset:768
	v_add_f32_e32 v2, v2, v3
	v_mul_f32_e32 v3, v37, v41
	v_fma_f32 v3, v36, v40, -v3
	v_add_f32_e32 v2, v2, v3
	s_waitcnt lgkmcnt(0)
	v_mul_f32_e32 v59, v50, v55
	v_fmac_f32_e32 v59, v51, v54
	v_add_f32_e32 v58, v58, v59
	v_mul_f32_e32 v59, v52, v57
	v_fmac_f32_e32 v59, v53, v56
	v_add_f32_e32 v66, v58, v59
	ds_read_b128 v[58:61], v70 offset:784
	v_mul_f32_e32 v3, v43, v47
	v_fma_f32 v3, v42, v46, -v3
	v_add_f32_e32 v2, v2, v3
	v_mul_f32_e32 v3, v45, v49
	s_waitcnt lgkmcnt(0)
	v_mul_f32_e32 v67, v58, v63
	v_fmac_f32_e32 v67, v59, v62
	v_add_f32_e32 v66, v66, v67
	v_mul_f32_e32 v67, v60, v65
	v_fmac_f32_e32 v67, v61, v64
	v_add_f32_e32 v71, v66, v67
	ds_read_b128 v[66:69], v70 offset:800
	v_fma_f32 v3, v44, v48, -v3
	v_add_f32_e32 v2, v2, v3
	v_mul_f32_e32 v3, v51, v55
	v_fma_f32 v3, v50, v54, -v3
	s_waitcnt lgkmcnt(0)
	v_mul_f32_e32 v76, v66, v73
	v_fmac_f32_e32 v76, v67, v72
	v_add_f32_e32 v71, v71, v76
	v_mul_f32_e32 v76, v68, v75
	v_fmac_f32_e32 v76, v69, v74
	v_add_f32_e32 v71, v71, v76
	ds_read_b128 v[76:79], v70 offset:816
	v_add_f32_e32 v2, v2, v3
	v_mul_f32_e32 v3, v53, v57
	v_fma_f32 v3, v52, v56, -v3
	v_add_f32_e32 v2, v2, v3
	s_waitcnt lgkmcnt(0)
	v_mul_f32_e32 v84, v76, v81
	v_fmac_f32_e32 v84, v77, v80
	v_add_f32_e32 v71, v71, v84
	v_mul_f32_e32 v84, v78, v83
	v_fmac_f32_e32 v84, v79, v82
	v_add_f32_e32 v71, v71, v84
	ds_read_b128 v[84:87], v70 offset:832
	v_mul_f32_e32 v3, v59, v63
	v_fma_f32 v3, v58, v62, -v3
	v_add_f32_e32 v2, v2, v3
	v_mul_f32_e32 v3, v61, v65
	s_waitcnt lgkmcnt(0)
	v_mul_f32_e32 v92, v84, v89
	v_fmac_f32_e32 v92, v85, v88
	v_add_f32_e32 v71, v71, v92
	v_mul_f32_e32 v92, v86, v91
	v_fmac_f32_e32 v92, v87, v90
	v_add_f32_e32 v71, v71, v92
	ds_read_b128 v[92:95], v70 offset:848
	v_fma_f32 v3, v60, v64, -v3
	v_add_f32_e32 v2, v2, v3
	v_mul_f32_e32 v3, v67, v73
	v_fma_f32 v3, v66, v72, -v3
	s_waitcnt lgkmcnt(0)
	v_mul_f32_e32 v100, v92, v97
	v_fmac_f32_e32 v100, v93, v96
	v_add_f32_e32 v71, v71, v100
	v_mul_f32_e32 v100, v94, v99
	v_fmac_f32_e32 v100, v95, v98
	v_add_f32_e32 v71, v71, v100
	ds_read_b128 v[100:103], v70 offset:864
	v_add_f32_e32 v2, v2, v3
	v_mul_f32_e32 v3, v69, v75
	v_fma_f32 v3, v68, v74, -v3
	v_add_f32_e32 v2, v2, v3
	s_waitcnt lgkmcnt(0)
	v_mul_f32_e32 v108, v100, v105
	v_fmac_f32_e32 v108, v101, v104
	v_add_f32_e32 v71, v71, v108
	v_mul_f32_e32 v108, v102, v107
	v_fmac_f32_e32 v108, v103, v106
	v_add_f32_e32 v133, v71, v108
	ds_read_b128 v[108:111], v70 offset:880
	scratch_load_dwordx4 v[116:119], off, off offset:416
	scratch_load_dwordx4 v[120:123], off, off offset:432
	;; [unrolled: 1-line block ×4, first 2 shown]
	v_mul_f32_e32 v3, v77, v81
	v_fma_f32 v3, v76, v80, -v3
	v_add_f32_e32 v2, v2, v3
	v_mul_f32_e32 v3, v79, v83
	v_fma_f32 v3, v78, v82, -v3
	v_add_f32_e32 v2, v2, v3
	;; [unrolled: 3-line block ×8, first 2 shown]
	s_waitcnt lgkmcnt(0)
	v_mul_f32_e32 v2, v109, v113
	v_fma_f32 v134, v108, v112, -v2
	v_mul_f32_e32 v2, v111, v115
	v_fma_f32 v136, v110, v114, -v2
	ds_read_b128 v[2:5], v70 offset:896
	ds_read_b128 v[6:9], v70 offset:912
	;; [unrolled: 1-line block ×4, first 2 shown]
	v_mul_f32_e32 v135, v108, v113
	v_fmac_f32_e32 v135, v109, v112
	v_mul_f32_e32 v137, v110, v115
	v_fmac_f32_e32 v137, v111, v114
	v_pk_add_f32 v[18:19], v[132:133], v[134:135]
	s_waitcnt vmcnt(3) lgkmcnt(3)
	v_pk_mul_f32 v[20:21], v[2:3], v[116:117] op_sel:[1,1] op_sel_hi:[0,1]
	v_pk_fma_f32 v[22:23], v[2:3], v[116:117], v[20:21] neg_lo:[0,0,1] neg_hi:[0,0,1]
	v_pk_fma_f32 v[2:3], v[2:3], v[116:117], v[20:21] op_sel_hi:[1,0,1]
	v_pk_add_f32 v[18:19], v[18:19], v[136:137]
	v_mov_b32_e32 v23, v3
	v_pk_add_f32 v[2:3], v[18:19], v[22:23]
	v_mov_b32_e32 v18, v119
	v_pk_mul_f32 v[18:19], v[4:5], v[18:19] op_sel:[1,0] op_sel_hi:[0,0]
	v_pk_fma_f32 v[20:21], v[4:5], v[118:119], v[18:19] neg_lo:[0,0,1] neg_hi:[0,0,1]
	v_pk_fma_f32 v[4:5], v[4:5], v[118:119], v[18:19] op_sel_hi:[1,0,1]
	s_nop 0
	v_mov_b32_e32 v21, v5
	s_waitcnt vmcnt(2) lgkmcnt(2)
	v_pk_mul_f32 v[4:5], v[6:7], v[120:121] op_sel:[1,1] op_sel_hi:[0,1]
	v_pk_fma_f32 v[18:19], v[6:7], v[120:121], v[4:5] neg_lo:[0,0,1] neg_hi:[0,0,1]
	v_pk_fma_f32 v[4:5], v[6:7], v[120:121], v[4:5] op_sel_hi:[1,0,1]
	v_pk_add_f32 v[2:3], v[2:3], v[20:21]
	v_mov_b32_e32 v4, v123
	v_mov_b32_e32 v19, v5
	v_pk_mul_f32 v[4:5], v[8:9], v[4:5] op_sel:[1,0] op_sel_hi:[0,0]
	v_pk_fma_f32 v[6:7], v[8:9], v[122:123], v[4:5] neg_lo:[0,0,1] neg_hi:[0,0,1]
	v_pk_fma_f32 v[4:5], v[8:9], v[122:123], v[4:5] op_sel_hi:[1,0,1]
	v_pk_add_f32 v[2:3], v[2:3], v[18:19]
	v_mov_b32_e32 v7, v5
	s_waitcnt vmcnt(1) lgkmcnt(1)
	v_pk_mul_f32 v[4:5], v[10:11], v[124:125] op_sel:[1,1] op_sel_hi:[0,1]
	v_pk_add_f32 v[2:3], v[2:3], v[6:7]
	v_pk_fma_f32 v[6:7], v[10:11], v[124:125], v[4:5] neg_lo:[0,0,1] neg_hi:[0,0,1]
	v_pk_fma_f32 v[4:5], v[10:11], v[124:125], v[4:5] op_sel_hi:[1,0,1]
	s_nop 0
	v_mov_b32_e32 v4, v127
	v_mov_b32_e32 v7, v5
	v_pk_mul_f32 v[4:5], v[12:13], v[4:5] op_sel:[1,0] op_sel_hi:[0,0]
	v_pk_add_f32 v[2:3], v[2:3], v[6:7]
	v_pk_fma_f32 v[6:7], v[12:13], v[126:127], v[4:5] neg_lo:[0,0,1] neg_hi:[0,0,1]
	v_pk_fma_f32 v[4:5], v[12:13], v[126:127], v[4:5] op_sel_hi:[1,0,1]
	s_nop 0
	v_mov_b32_e32 v7, v5
	s_waitcnt vmcnt(0) lgkmcnt(0)
	v_pk_mul_f32 v[4:5], v[14:15], v[128:129] op_sel:[1,1] op_sel_hi:[0,1]
	v_pk_add_f32 v[2:3], v[2:3], v[6:7]
	v_pk_fma_f32 v[6:7], v[14:15], v[128:129], v[4:5] neg_lo:[0,0,1] neg_hi:[0,0,1]
	v_pk_fma_f32 v[4:5], v[14:15], v[128:129], v[4:5] op_sel_hi:[1,0,1]
	s_nop 0
	v_mov_b32_e32 v4, v131
	v_mov_b32_e32 v7, v5
	v_pk_mul_f32 v[4:5], v[16:17], v[4:5] op_sel:[1,0] op_sel_hi:[0,0]
	v_pk_add_f32 v[2:3], v[2:3], v[6:7]
	v_pk_fma_f32 v[6:7], v[16:17], v[130:131], v[4:5] neg_lo:[0,0,1] neg_hi:[0,0,1]
	v_pk_fma_f32 v[4:5], v[16:17], v[130:131], v[4:5] op_sel_hi:[1,0,1]
	s_nop 0
	v_mov_b32_e32 v7, v5
	scratch_load_dwordx2 v[4:5], off, off offset:184
	v_pk_add_f32 v[2:3], v[2:3], v[6:7]
	s_waitcnt vmcnt(0)
	v_pk_add_f32 v[2:3], v[4:5], v[2:3] neg_lo:[0,1] neg_hi:[0,1]
	scratch_store_dwordx2 off, v[2:3], off offset:184
	s_and_saveexec_b64 s[0:1], vcc
	s_cbranch_execz .LBB123_329
; %bb.328:
	scratch_load_dwordx2 v[2:3], off, off offset:176
	v_mov_b32_e32 v4, 0
	v_mov_b32_e32 v5, v4
	scratch_store_dwordx2 off, v[4:5], off offset:176
	s_waitcnt vmcnt(1)
	ds_write_b64 v1, v[2:3]
.LBB123_329:
	s_or_b64 exec, exec, s[0:1]
	s_waitcnt lgkmcnt(0)
	; wave barrier
	scratch_load_dwordx4 v[6:9], off, off offset:184
	scratch_load_dwordx4 v[14:17], off, off offset:200
	;; [unrolled: 1-line block ×10, first 2 shown]
	v_mov_b32_e32 v86, 0
	ds_read2_b64 v[2:5], v86 offset0:83 offset1:84
	scratch_load_dwordx4 v[88:91], off, off offset:344
	scratch_load_dwordx4 v[96:99], off, off offset:360
	;; [unrolled: 1-line block ×5, first 2 shown]
	v_cmp_lt_u32_e32 vcc, 21, v0
	s_waitcnt vmcnt(14) lgkmcnt(0)
	v_mul_f32_e32 v10, v2, v7
	v_fmac_f32_e32 v10, v3, v6
	v_mul_f32_e32 v11, v4, v9
	v_add_f32_e32 v10, 0, v10
	v_fmac_f32_e32 v11, v5, v8
	v_add_f32_e32 v18, v10, v11
	ds_read2_b64 v[10:13], v86 offset0:85 offset1:86
	v_mul_f32_e32 v3, v3, v7
	v_fma_f32 v2, v2, v6, -v3
	v_mul_f32_e32 v3, v5, v9
	v_add_f32_e32 v2, 0, v2
	s_waitcnt vmcnt(13) lgkmcnt(0)
	v_mul_f32_e32 v19, v10, v15
	v_fmac_f32_e32 v19, v11, v14
	v_add_f32_e32 v18, v18, v19
	v_mul_f32_e32 v19, v12, v17
	v_fmac_f32_e32 v19, v13, v16
	v_add_f32_e32 v26, v18, v19
	ds_read2_b64 v[18:21], v86 offset0:87 offset1:88
	v_fma_f32 v3, v4, v8, -v3
	v_add_f32_e32 v2, v2, v3
	v_mul_f32_e32 v3, v11, v15
	v_fma_f32 v3, v10, v14, -v3
	s_waitcnt vmcnt(12) lgkmcnt(0)
	v_mul_f32_e32 v27, v18, v23
	v_fmac_f32_e32 v27, v19, v22
	v_add_f32_e32 v26, v26, v27
	v_mul_f32_e32 v27, v20, v25
	v_fmac_f32_e32 v27, v21, v24
	v_add_f32_e32 v34, v26, v27
	ds_read2_b64 v[26:29], v86 offset0:89 offset1:90
	v_add_f32_e32 v2, v2, v3
	v_mul_f32_e32 v3, v13, v17
	v_fma_f32 v3, v12, v16, -v3
	v_add_f32_e32 v2, v2, v3
	s_waitcnt vmcnt(11) lgkmcnt(0)
	v_mul_f32_e32 v35, v26, v31
	v_fmac_f32_e32 v35, v27, v30
	v_add_f32_e32 v34, v34, v35
	v_mul_f32_e32 v35, v28, v33
	v_fmac_f32_e32 v35, v29, v32
	v_add_f32_e32 v42, v34, v35
	ds_read2_b64 v[34:37], v86 offset0:91 offset1:92
	v_mul_f32_e32 v3, v19, v23
	v_fma_f32 v3, v18, v22, -v3
	v_add_f32_e32 v2, v2, v3
	v_mul_f32_e32 v3, v21, v25
	s_waitcnt vmcnt(10) lgkmcnt(0)
	v_mul_f32_e32 v43, v34, v39
	v_fmac_f32_e32 v43, v35, v38
	v_add_f32_e32 v42, v42, v43
	v_mul_f32_e32 v43, v36, v41
	v_fmac_f32_e32 v43, v37, v40
	v_add_f32_e32 v50, v42, v43
	ds_read2_b64 v[42:45], v86 offset0:93 offset1:94
	v_fma_f32 v3, v20, v24, -v3
	v_add_f32_e32 v2, v2, v3
	v_mul_f32_e32 v3, v27, v31
	v_fma_f32 v3, v26, v30, -v3
	s_waitcnt vmcnt(9) lgkmcnt(0)
	v_mul_f32_e32 v51, v42, v47
	v_fmac_f32_e32 v51, v43, v46
	v_add_f32_e32 v50, v50, v51
	v_mul_f32_e32 v51, v44, v49
	v_fmac_f32_e32 v51, v45, v48
	v_add_f32_e32 v58, v50, v51
	ds_read2_b64 v[50:53], v86 offset0:95 offset1:96
	v_add_f32_e32 v2, v2, v3
	v_mul_f32_e32 v3, v29, v33
	v_fma_f32 v3, v28, v32, -v3
	v_add_f32_e32 v2, v2, v3
	s_waitcnt vmcnt(8) lgkmcnt(0)
	v_mul_f32_e32 v59, v50, v55
	v_fmac_f32_e32 v59, v51, v54
	v_add_f32_e32 v58, v58, v59
	v_mul_f32_e32 v59, v52, v57
	v_fmac_f32_e32 v59, v53, v56
	v_add_f32_e32 v66, v58, v59
	ds_read2_b64 v[58:61], v86 offset0:97 offset1:98
	v_mul_f32_e32 v3, v35, v39
	v_fma_f32 v3, v34, v38, -v3
	v_add_f32_e32 v2, v2, v3
	v_mul_f32_e32 v3, v37, v41
	;; [unrolled: 36-line block ×4, first 2 shown]
	s_waitcnt vmcnt(1) lgkmcnt(0)
	v_mul_f32_e32 v116, v108, v113
	v_fmac_f32_e32 v116, v109, v112
	v_add_f32_e32 v137, v87, v116
	ds_read2_b64 v[116:119], v86 offset0:111 offset1:112
	scratch_load_dwordx4 v[124:127], off, off offset:424
	scratch_load_dwordx4 v[128:131], off, off offset:440
	;; [unrolled: 1-line block ×3, first 2 shown]
	scratch_load_dwordx2 v[142:143], off, off offset:472
	v_fma_f32 v3, v68, v72, -v3
	v_add_f32_e32 v2, v2, v3
	v_mul_f32_e32 v3, v75, v79
	v_fma_f32 v3, v74, v78, -v3
	v_add_f32_e32 v2, v2, v3
	v_mul_f32_e32 v3, v77, v81
	;; [unrolled: 3-line block ×10, first 2 shown]
	v_mul_f32_e32 v139, v110, v115
	v_fma_f32 v138, v110, v114, -v2
	s_waitcnt vmcnt(4) lgkmcnt(0)
	v_mul_f32_e32 v2, v117, v121
	v_mov_b32_e32 v18, v123
	v_fmac_f32_e32 v139, v111, v114
	v_mul_f32_e32 v141, v116, v121
	v_fma_f32 v140, v116, v120, -v2
	ds_read2_b64 v[2:5], v86 offset0:113 offset1:114
	ds_read2_b64 v[6:9], v86 offset0:115 offset1:116
	;; [unrolled: 1-line block ×3, first 2 shown]
	ds_read_b64 v[14:15], v86 offset:952
	v_pk_mul_f32 v[18:19], v[118:119], v[18:19] op_sel:[1,0] op_sel_hi:[0,0]
	v_fmac_f32_e32 v141, v117, v120
	v_pk_add_f32 v[16:17], v[136:137], v[138:139]
	v_pk_fma_f32 v[20:21], v[118:119], v[122:123], v[18:19] neg_lo:[0,0,1] neg_hi:[0,0,1]
	v_pk_fma_f32 v[18:19], v[118:119], v[122:123], v[18:19] op_sel_hi:[1,0,1]
	v_pk_add_f32 v[16:17], v[16:17], v[140:141]
	v_mov_b32_e32 v21, v19
	v_pk_add_f32 v[16:17], v[16:17], v[20:21]
	s_waitcnt vmcnt(3) lgkmcnt(3)
	v_pk_mul_f32 v[18:19], v[2:3], v[124:125] op_sel:[1,1] op_sel_hi:[0,1]
	v_pk_fma_f32 v[20:21], v[2:3], v[124:125], v[18:19] neg_lo:[0,0,1] neg_hi:[0,0,1]
	v_pk_fma_f32 v[2:3], v[2:3], v[124:125], v[18:19] op_sel_hi:[1,0,1]
	s_nop 0
	v_mov_b32_e32 v21, v3
	v_pk_add_f32 v[2:3], v[16:17], v[20:21]
	v_mov_b32_e32 v16, v127
	v_pk_mul_f32 v[16:17], v[4:5], v[16:17] op_sel:[1,0] op_sel_hi:[0,0]
	v_pk_fma_f32 v[18:19], v[4:5], v[126:127], v[16:17] neg_lo:[0,0,1] neg_hi:[0,0,1]
	v_pk_fma_f32 v[4:5], v[4:5], v[126:127], v[16:17] op_sel_hi:[1,0,1]
	s_nop 0
	v_mov_b32_e32 v19, v5
	s_waitcnt vmcnt(2) lgkmcnt(2)
	v_pk_mul_f32 v[4:5], v[6:7], v[128:129] op_sel:[1,1] op_sel_hi:[0,1]
	v_pk_fma_f32 v[16:17], v[6:7], v[128:129], v[4:5] neg_lo:[0,0,1] neg_hi:[0,0,1]
	v_pk_fma_f32 v[4:5], v[6:7], v[128:129], v[4:5] op_sel_hi:[1,0,1]
	v_pk_add_f32 v[2:3], v[2:3], v[18:19]
	v_mov_b32_e32 v4, v131
	v_mov_b32_e32 v17, v5
	v_pk_mul_f32 v[4:5], v[8:9], v[4:5] op_sel:[1,0] op_sel_hi:[0,0]
	v_pk_fma_f32 v[6:7], v[8:9], v[130:131], v[4:5] neg_lo:[0,0,1] neg_hi:[0,0,1]
	v_pk_fma_f32 v[4:5], v[8:9], v[130:131], v[4:5] op_sel_hi:[1,0,1]
	v_pk_add_f32 v[2:3], v[2:3], v[16:17]
	v_mov_b32_e32 v7, v5
	s_waitcnt vmcnt(1) lgkmcnt(1)
	v_pk_mul_f32 v[4:5], v[10:11], v[132:133] op_sel:[1,1] op_sel_hi:[0,1]
	v_pk_add_f32 v[2:3], v[2:3], v[6:7]
	v_pk_fma_f32 v[6:7], v[10:11], v[132:133], v[4:5] neg_lo:[0,0,1] neg_hi:[0,0,1]
	v_pk_fma_f32 v[4:5], v[10:11], v[132:133], v[4:5] op_sel_hi:[1,0,1]
	s_nop 0
	v_mov_b32_e32 v4, v135
	v_mov_b32_e32 v7, v5
	v_pk_mul_f32 v[4:5], v[12:13], v[4:5] op_sel:[1,0] op_sel_hi:[0,0]
	v_pk_add_f32 v[2:3], v[2:3], v[6:7]
	v_pk_fma_f32 v[6:7], v[12:13], v[134:135], v[4:5] neg_lo:[0,0,1] neg_hi:[0,0,1]
	v_pk_fma_f32 v[4:5], v[12:13], v[134:135], v[4:5] op_sel_hi:[1,0,1]
	s_nop 0
	v_mov_b32_e32 v7, v5
	s_waitcnt vmcnt(0) lgkmcnt(0)
	v_pk_mul_f32 v[4:5], v[14:15], v[142:143] op_sel:[1,1] op_sel_hi:[0,1]
	v_pk_add_f32 v[2:3], v[2:3], v[6:7]
	v_pk_fma_f32 v[6:7], v[14:15], v[142:143], v[4:5] neg_lo:[0,0,1] neg_hi:[0,0,1]
	v_pk_fma_f32 v[4:5], v[14:15], v[142:143], v[4:5] op_sel_hi:[1,0,1]
	s_nop 0
	v_mov_b32_e32 v7, v5
	scratch_load_dwordx2 v[4:5], off, off offset:176
	v_pk_add_f32 v[2:3], v[2:3], v[6:7]
	s_waitcnt vmcnt(0)
	v_pk_add_f32 v[2:3], v[4:5], v[2:3] neg_lo:[0,1] neg_hi:[0,1]
	scratch_store_dwordx2 off, v[2:3], off offset:176
	s_and_saveexec_b64 s[0:1], vcc
	s_cbranch_execz .LBB123_331
; %bb.330:
	scratch_load_dwordx2 v[2:3], off, off offset:168
	v_mov_b32_e32 v87, v86
	scratch_store_dwordx2 off, v[86:87], off offset:168
	s_waitcnt vmcnt(1)
	ds_write_b64 v1, v[2:3]
.LBB123_331:
	s_or_b64 exec, exec, s[0:1]
	s_waitcnt lgkmcnt(0)
	; wave barrier
	ds_read_b128 v[14:17], v86 offset:656
	ds_read_b128 v[10:13], v86 offset:672
	;; [unrolled: 1-line block ×4, first 2 shown]
	scratch_load_dwordx4 v[18:21], off, off offset:176
	scratch_load_dwordx4 v[38:41], off, off offset:240
	;; [unrolled: 1-line block ×9, first 2 shown]
	v_cmp_lt_u32_e32 vcc, 20, v0
	scratch_load_dwordx4 v[46:49], off, off offset:256
	scratch_load_dwordx4 v[54:57], off, off offset:272
	;; [unrolled: 1-line block ×3, first 2 shown]
	s_waitcnt vmcnt(11) lgkmcnt(3)
	v_mul_f32_e32 v22, v14, v19
	v_fmac_f32_e32 v22, v15, v18
	v_mul_f32_e32 v23, v16, v21
	v_add_f32_e32 v22, 0, v22
	v_fmac_f32_e32 v23, v17, v20
	v_add_f32_e32 v26, v22, v23
	scratch_load_dwordx4 v[22:25], off, off offset:192
	v_mul_f32_e32 v15, v15, v19
	v_fma_f32 v14, v14, v18, -v15
	v_mul_f32_e32 v15, v17, v21
	v_add_f32_e32 v14, 0, v14
	v_fma_f32 v15, v16, v20, -v15
	v_add_f32_e32 v14, v14, v15
	s_waitcnt vmcnt(0) lgkmcnt(2)
	v_mul_f32_e32 v27, v10, v23
	v_fmac_f32_e32 v27, v11, v22
	v_add_f32_e32 v26, v26, v27
	v_mul_f32_e32 v27, v12, v25
	v_fmac_f32_e32 v27, v13, v24
	v_add_f32_e32 v30, v26, v27
	scratch_load_dwordx4 v[26:29], off, off offset:208
	v_mul_f32_e32 v11, v11, v23
	v_fma_f32 v10, v10, v22, -v11
	v_mul_f32_e32 v11, v13, v25
	v_add_f32_e32 v10, v14, v10
	v_fma_f32 v11, v12, v24, -v11
	v_add_f32_e32 v10, v10, v11
	s_waitcnt vmcnt(0) lgkmcnt(1)
	v_mul_f32_e32 v31, v6, v27
	v_fmac_f32_e32 v31, v7, v26
	v_add_f32_e32 v30, v30, v31
	v_mul_f32_e32 v31, v8, v29
	;; [unrolled: 14-line block ×3, first 2 shown]
	v_fmac_f32_e32 v35, v5, v32
	v_add_f32_e32 v42, v34, v35
	ds_read_b128 v[34:37], v86 offset:720
	v_mul_f32_e32 v3, v3, v31
	v_fma_f32 v2, v2, v30, -v3
	v_mul_f32_e32 v3, v5, v33
	v_add_f32_e32 v2, v6, v2
	s_waitcnt lgkmcnt(0)
	v_mul_f32_e32 v43, v34, v39
	v_fmac_f32_e32 v43, v35, v38
	v_add_f32_e32 v42, v42, v43
	v_mul_f32_e32 v43, v36, v41
	v_fmac_f32_e32 v43, v37, v40
	v_add_f32_e32 v50, v42, v43
	ds_read_b128 v[42:45], v86 offset:736
	v_fma_f32 v3, v4, v32, -v3
	v_add_f32_e32 v2, v2, v3
	v_mul_f32_e32 v3, v35, v39
	v_fma_f32 v3, v34, v38, -v3
	s_waitcnt lgkmcnt(0)
	v_mul_f32_e32 v51, v42, v47
	v_fmac_f32_e32 v51, v43, v46
	v_add_f32_e32 v50, v50, v51
	v_mul_f32_e32 v51, v44, v49
	v_fmac_f32_e32 v51, v45, v48
	v_add_f32_e32 v58, v50, v51
	ds_read_b128 v[50:53], v86 offset:752
	v_add_f32_e32 v2, v2, v3
	v_mul_f32_e32 v3, v37, v41
	v_fma_f32 v3, v36, v40, -v3
	v_add_f32_e32 v2, v2, v3
	s_waitcnt lgkmcnt(0)
	v_mul_f32_e32 v59, v50, v55
	v_fmac_f32_e32 v59, v51, v54
	v_add_f32_e32 v58, v58, v59
	v_mul_f32_e32 v59, v52, v57
	v_fmac_f32_e32 v59, v53, v56
	v_add_f32_e32 v66, v58, v59
	ds_read_b128 v[58:61], v86 offset:768
	v_mul_f32_e32 v3, v43, v47
	v_fma_f32 v3, v42, v46, -v3
	v_add_f32_e32 v2, v2, v3
	v_mul_f32_e32 v3, v45, v49
	s_waitcnt lgkmcnt(0)
	v_mul_f32_e32 v67, v58, v63
	v_fmac_f32_e32 v67, v59, v62
	v_add_f32_e32 v66, v66, v67
	v_mul_f32_e32 v67, v60, v65
	v_fmac_f32_e32 v67, v61, v64
	v_add_f32_e32 v74, v66, v67
	ds_read_b128 v[66:69], v86 offset:784
	v_fma_f32 v3, v44, v48, -v3
	v_add_f32_e32 v2, v2, v3
	v_mul_f32_e32 v3, v51, v55
	v_fma_f32 v3, v50, v54, -v3
	s_waitcnt lgkmcnt(0)
	v_mul_f32_e32 v75, v66, v71
	v_fmac_f32_e32 v75, v67, v70
	v_add_f32_e32 v74, v74, v75
	v_mul_f32_e32 v75, v68, v73
	v_fmac_f32_e32 v75, v69, v72
	v_add_f32_e32 v82, v74, v75
	ds_read_b128 v[74:77], v86 offset:800
	v_add_f32_e32 v2, v2, v3
	v_mul_f32_e32 v3, v53, v57
	v_fma_f32 v3, v52, v56, -v3
	v_add_f32_e32 v2, v2, v3
	s_waitcnt lgkmcnt(0)
	v_mul_f32_e32 v83, v74, v79
	v_fmac_f32_e32 v83, v75, v78
	v_add_f32_e32 v82, v82, v83
	v_mul_f32_e32 v83, v76, v81
	v_fmac_f32_e32 v83, v77, v80
	v_add_f32_e32 v87, v82, v83
	ds_read_b128 v[82:85], v86 offset:816
	v_mul_f32_e32 v3, v59, v63
	v_fma_f32 v3, v58, v62, -v3
	v_add_f32_e32 v2, v2, v3
	v_mul_f32_e32 v3, v61, v65
	s_waitcnt lgkmcnt(0)
	v_mul_f32_e32 v92, v82, v89
	v_fmac_f32_e32 v92, v83, v88
	v_add_f32_e32 v87, v87, v92
	v_mul_f32_e32 v92, v84, v91
	v_fmac_f32_e32 v92, v85, v90
	v_add_f32_e32 v87, v87, v92
	ds_read_b128 v[92:95], v86 offset:832
	v_fma_f32 v3, v60, v64, -v3
	v_add_f32_e32 v2, v2, v3
	v_mul_f32_e32 v3, v67, v71
	v_fma_f32 v3, v66, v70, -v3
	s_waitcnt lgkmcnt(0)
	v_mul_f32_e32 v100, v92, v97
	v_fmac_f32_e32 v100, v93, v96
	v_add_f32_e32 v87, v87, v100
	v_mul_f32_e32 v100, v94, v99
	v_fmac_f32_e32 v100, v95, v98
	v_add_f32_e32 v87, v87, v100
	ds_read_b128 v[100:103], v86 offset:848
	v_add_f32_e32 v2, v2, v3
	v_mul_f32_e32 v3, v69, v73
	v_fma_f32 v3, v68, v72, -v3
	v_add_f32_e32 v2, v2, v3
	s_waitcnt lgkmcnt(0)
	v_mul_f32_e32 v108, v100, v105
	v_fmac_f32_e32 v108, v101, v104
	v_add_f32_e32 v87, v87, v108
	v_mul_f32_e32 v108, v102, v107
	v_fmac_f32_e32 v108, v103, v106
	v_add_f32_e32 v87, v87, v108
	ds_read_b128 v[108:111], v86 offset:864
	v_mul_f32_e32 v3, v75, v79
	v_fma_f32 v3, v74, v78, -v3
	v_add_f32_e32 v2, v2, v3
	v_mul_f32_e32 v3, v77, v81
	s_waitcnt lgkmcnt(0)
	v_mul_f32_e32 v116, v108, v113
	v_fmac_f32_e32 v116, v109, v112
	v_add_f32_e32 v87, v87, v116
	v_mul_f32_e32 v116, v110, v115
	v_fmac_f32_e32 v116, v111, v114
	v_add_f32_e32 v141, v87, v116
	ds_read_b128 v[116:119], v86 offset:880
	scratch_load_dwordx4 v[124:127], off, off offset:416
	scratch_load_dwordx4 v[128:131], off, off offset:432
	;; [unrolled: 1-line block ×4, first 2 shown]
	v_fma_f32 v3, v76, v80, -v3
	v_add_f32_e32 v2, v2, v3
	v_mul_f32_e32 v3, v83, v89
	v_fma_f32 v3, v82, v88, -v3
	v_add_f32_e32 v2, v2, v3
	v_mul_f32_e32 v3, v85, v91
	v_fma_f32 v3, v84, v90, -v3
	v_add_f32_e32 v2, v2, v3
	v_mul_f32_e32 v3, v93, v97
	v_fma_f32 v3, v92, v96, -v3
	v_add_f32_e32 v2, v2, v3
	v_mul_f32_e32 v3, v95, v99
	v_fma_f32 v3, v94, v98, -v3
	v_add_f32_e32 v2, v2, v3
	v_mul_f32_e32 v3, v101, v105
	v_fma_f32 v3, v100, v104, -v3
	v_add_f32_e32 v2, v2, v3
	v_mul_f32_e32 v3, v103, v107
	v_fma_f32 v3, v102, v106, -v3
	v_add_f32_e32 v2, v2, v3
	v_mul_f32_e32 v3, v109, v113
	v_fma_f32 v3, v108, v112, -v3
	v_add_f32_e32 v2, v2, v3
	v_mul_f32_e32 v3, v111, v115
	v_fma_f32 v3, v110, v114, -v3
	v_add_f32_e32 v140, v2, v3
	s_waitcnt lgkmcnt(0)
	v_mul_f32_e32 v2, v117, v121
	v_fma_f32 v142, v116, v120, -v2
	v_mul_f32_e32 v2, v119, v123
	v_fma_f32 v144, v118, v122, -v2
	ds_read_b128 v[2:5], v86 offset:896
	ds_read_b128 v[6:9], v86 offset:912
	;; [unrolled: 1-line block ×4, first 2 shown]
	v_mul_f32_e32 v143, v116, v121
	v_fmac_f32_e32 v143, v117, v120
	v_mul_f32_e32 v145, v118, v123
	v_fmac_f32_e32 v145, v119, v122
	v_pk_add_f32 v[18:19], v[140:141], v[142:143]
	s_waitcnt vmcnt(3) lgkmcnt(3)
	v_pk_mul_f32 v[20:21], v[2:3], v[124:125] op_sel:[1,1] op_sel_hi:[0,1]
	v_pk_fma_f32 v[22:23], v[2:3], v[124:125], v[20:21] neg_lo:[0,0,1] neg_hi:[0,0,1]
	v_pk_fma_f32 v[2:3], v[2:3], v[124:125], v[20:21] op_sel_hi:[1,0,1]
	v_pk_add_f32 v[18:19], v[18:19], v[144:145]
	v_mov_b32_e32 v23, v3
	v_pk_add_f32 v[2:3], v[18:19], v[22:23]
	v_mov_b32_e32 v18, v127
	v_pk_mul_f32 v[18:19], v[4:5], v[18:19] op_sel:[1,0] op_sel_hi:[0,0]
	v_pk_fma_f32 v[20:21], v[4:5], v[126:127], v[18:19] neg_lo:[0,0,1] neg_hi:[0,0,1]
	v_pk_fma_f32 v[4:5], v[4:5], v[126:127], v[18:19] op_sel_hi:[1,0,1]
	s_nop 0
	v_mov_b32_e32 v21, v5
	s_waitcnt vmcnt(2) lgkmcnt(2)
	v_pk_mul_f32 v[4:5], v[6:7], v[128:129] op_sel:[1,1] op_sel_hi:[0,1]
	v_pk_fma_f32 v[18:19], v[6:7], v[128:129], v[4:5] neg_lo:[0,0,1] neg_hi:[0,0,1]
	v_pk_fma_f32 v[4:5], v[6:7], v[128:129], v[4:5] op_sel_hi:[1,0,1]
	v_pk_add_f32 v[2:3], v[2:3], v[20:21]
	v_mov_b32_e32 v4, v131
	v_mov_b32_e32 v19, v5
	v_pk_mul_f32 v[4:5], v[8:9], v[4:5] op_sel:[1,0] op_sel_hi:[0,0]
	v_pk_fma_f32 v[6:7], v[8:9], v[130:131], v[4:5] neg_lo:[0,0,1] neg_hi:[0,0,1]
	v_pk_fma_f32 v[4:5], v[8:9], v[130:131], v[4:5] op_sel_hi:[1,0,1]
	v_pk_add_f32 v[2:3], v[2:3], v[18:19]
	v_mov_b32_e32 v7, v5
	s_waitcnt vmcnt(1) lgkmcnt(1)
	v_pk_mul_f32 v[4:5], v[10:11], v[132:133] op_sel:[1,1] op_sel_hi:[0,1]
	v_pk_add_f32 v[2:3], v[2:3], v[6:7]
	v_pk_fma_f32 v[6:7], v[10:11], v[132:133], v[4:5] neg_lo:[0,0,1] neg_hi:[0,0,1]
	v_pk_fma_f32 v[4:5], v[10:11], v[132:133], v[4:5] op_sel_hi:[1,0,1]
	s_nop 0
	v_mov_b32_e32 v4, v135
	v_mov_b32_e32 v7, v5
	v_pk_mul_f32 v[4:5], v[12:13], v[4:5] op_sel:[1,0] op_sel_hi:[0,0]
	v_pk_add_f32 v[2:3], v[2:3], v[6:7]
	v_pk_fma_f32 v[6:7], v[12:13], v[134:135], v[4:5] neg_lo:[0,0,1] neg_hi:[0,0,1]
	v_pk_fma_f32 v[4:5], v[12:13], v[134:135], v[4:5] op_sel_hi:[1,0,1]
	s_nop 0
	v_mov_b32_e32 v7, v5
	s_waitcnt vmcnt(0) lgkmcnt(0)
	v_pk_mul_f32 v[4:5], v[14:15], v[136:137] op_sel:[1,1] op_sel_hi:[0,1]
	v_pk_add_f32 v[2:3], v[2:3], v[6:7]
	v_pk_fma_f32 v[6:7], v[14:15], v[136:137], v[4:5] neg_lo:[0,0,1] neg_hi:[0,0,1]
	v_pk_fma_f32 v[4:5], v[14:15], v[136:137], v[4:5] op_sel_hi:[1,0,1]
	s_nop 0
	v_mov_b32_e32 v4, v139
	v_mov_b32_e32 v7, v5
	v_pk_mul_f32 v[4:5], v[16:17], v[4:5] op_sel:[1,0] op_sel_hi:[0,0]
	v_pk_add_f32 v[2:3], v[2:3], v[6:7]
	v_pk_fma_f32 v[6:7], v[16:17], v[138:139], v[4:5] neg_lo:[0,0,1] neg_hi:[0,0,1]
	v_pk_fma_f32 v[4:5], v[16:17], v[138:139], v[4:5] op_sel_hi:[1,0,1]
	s_nop 0
	v_mov_b32_e32 v7, v5
	scratch_load_dwordx2 v[4:5], off, off offset:168
	v_pk_add_f32 v[2:3], v[2:3], v[6:7]
	s_waitcnt vmcnt(0)
	v_pk_add_f32 v[2:3], v[4:5], v[2:3] neg_lo:[0,1] neg_hi:[0,1]
	scratch_store_dwordx2 off, v[2:3], off offset:168
	s_and_saveexec_b64 s[0:1], vcc
	s_cbranch_execz .LBB123_333
; %bb.332:
	scratch_load_dwordx2 v[2:3], off, off offset:160
	v_mov_b32_e32 v4, 0
	v_mov_b32_e32 v5, v4
	scratch_store_dwordx2 off, v[4:5], off offset:160
	s_waitcnt vmcnt(1)
	ds_write_b64 v1, v[2:3]
.LBB123_333:
	s_or_b64 exec, exec, s[0:1]
	s_waitcnt lgkmcnt(0)
	; wave barrier
	scratch_load_dwordx4 v[6:9], off, off offset:168
	scratch_load_dwordx4 v[14:17], off, off offset:184
	;; [unrolled: 1-line block ×10, first 2 shown]
	v_mov_b32_e32 v94, 0
	ds_read2_b64 v[2:5], v94 offset0:81 offset1:82
	scratch_load_dwordx4 v[86:89], off, off offset:328
	scratch_load_dwordx4 v[96:99], off, off offset:344
	;; [unrolled: 1-line block ×6, first 2 shown]
	v_cmp_lt_u32_e32 vcc, 19, v0
	s_waitcnt vmcnt(15) lgkmcnt(0)
	v_mul_f32_e32 v10, v2, v7
	v_fmac_f32_e32 v10, v3, v6
	v_mul_f32_e32 v11, v4, v9
	v_add_f32_e32 v10, 0, v10
	v_fmac_f32_e32 v11, v5, v8
	v_add_f32_e32 v18, v10, v11
	ds_read2_b64 v[10:13], v94 offset0:83 offset1:84
	v_mul_f32_e32 v3, v3, v7
	v_fma_f32 v2, v2, v6, -v3
	v_mul_f32_e32 v3, v5, v9
	v_add_f32_e32 v2, 0, v2
	s_waitcnt vmcnt(14) lgkmcnt(0)
	v_mul_f32_e32 v19, v10, v15
	v_fmac_f32_e32 v19, v11, v14
	v_add_f32_e32 v18, v18, v19
	v_mul_f32_e32 v19, v12, v17
	v_fmac_f32_e32 v19, v13, v16
	v_add_f32_e32 v26, v18, v19
	ds_read2_b64 v[18:21], v94 offset0:85 offset1:86
	v_fma_f32 v3, v4, v8, -v3
	v_add_f32_e32 v2, v2, v3
	v_mul_f32_e32 v3, v11, v15
	v_fma_f32 v3, v10, v14, -v3
	s_waitcnt vmcnt(13) lgkmcnt(0)
	v_mul_f32_e32 v27, v18, v23
	v_fmac_f32_e32 v27, v19, v22
	v_add_f32_e32 v26, v26, v27
	v_mul_f32_e32 v27, v20, v25
	v_fmac_f32_e32 v27, v21, v24
	v_add_f32_e32 v34, v26, v27
	ds_read2_b64 v[26:29], v94 offset0:87 offset1:88
	v_add_f32_e32 v2, v2, v3
	v_mul_f32_e32 v3, v13, v17
	v_fma_f32 v3, v12, v16, -v3
	v_add_f32_e32 v2, v2, v3
	s_waitcnt vmcnt(12) lgkmcnt(0)
	v_mul_f32_e32 v35, v26, v31
	v_fmac_f32_e32 v35, v27, v30
	v_add_f32_e32 v34, v34, v35
	v_mul_f32_e32 v35, v28, v33
	v_fmac_f32_e32 v35, v29, v32
	v_add_f32_e32 v42, v34, v35
	ds_read2_b64 v[34:37], v94 offset0:89 offset1:90
	v_mul_f32_e32 v3, v19, v23
	v_fma_f32 v3, v18, v22, -v3
	v_add_f32_e32 v2, v2, v3
	v_mul_f32_e32 v3, v21, v25
	s_waitcnt vmcnt(11) lgkmcnt(0)
	v_mul_f32_e32 v43, v34, v39
	v_fmac_f32_e32 v43, v35, v38
	v_add_f32_e32 v42, v42, v43
	v_mul_f32_e32 v43, v36, v41
	v_fmac_f32_e32 v43, v37, v40
	v_add_f32_e32 v50, v42, v43
	ds_read2_b64 v[42:45], v94 offset0:91 offset1:92
	v_fma_f32 v3, v20, v24, -v3
	v_add_f32_e32 v2, v2, v3
	v_mul_f32_e32 v3, v27, v31
	v_fma_f32 v3, v26, v30, -v3
	s_waitcnt vmcnt(10) lgkmcnt(0)
	v_mul_f32_e32 v51, v42, v47
	v_fmac_f32_e32 v51, v43, v46
	v_add_f32_e32 v50, v50, v51
	v_mul_f32_e32 v51, v44, v49
	v_fmac_f32_e32 v51, v45, v48
	v_add_f32_e32 v58, v50, v51
	ds_read2_b64 v[50:53], v94 offset0:93 offset1:94
	v_add_f32_e32 v2, v2, v3
	v_mul_f32_e32 v3, v29, v33
	v_fma_f32 v3, v28, v32, -v3
	v_add_f32_e32 v2, v2, v3
	s_waitcnt vmcnt(9) lgkmcnt(0)
	v_mul_f32_e32 v59, v50, v55
	v_fmac_f32_e32 v59, v51, v54
	v_add_f32_e32 v58, v58, v59
	v_mul_f32_e32 v59, v52, v57
	v_fmac_f32_e32 v59, v53, v56
	v_add_f32_e32 v66, v58, v59
	ds_read2_b64 v[58:61], v94 offset0:95 offset1:96
	v_mul_f32_e32 v3, v35, v39
	v_fma_f32 v3, v34, v38, -v3
	v_add_f32_e32 v2, v2, v3
	v_mul_f32_e32 v3, v37, v41
	s_waitcnt vmcnt(8) lgkmcnt(0)
	v_mul_f32_e32 v67, v58, v63
	v_fmac_f32_e32 v67, v59, v62
	v_add_f32_e32 v66, v66, v67
	v_mul_f32_e32 v67, v60, v65
	v_fmac_f32_e32 v67, v61, v64
	v_add_f32_e32 v74, v66, v67
	ds_read2_b64 v[66:69], v94 offset0:97 offset1:98
	v_fma_f32 v3, v36, v40, -v3
	v_add_f32_e32 v2, v2, v3
	v_mul_f32_e32 v3, v43, v47
	v_fma_f32 v3, v42, v46, -v3
	s_waitcnt vmcnt(7) lgkmcnt(0)
	v_mul_f32_e32 v75, v66, v71
	v_fmac_f32_e32 v75, v67, v70
	v_add_f32_e32 v74, v74, v75
	v_mul_f32_e32 v75, v68, v73
	v_fmac_f32_e32 v75, v69, v72
	v_add_f32_e32 v82, v74, v75
	ds_read2_b64 v[74:77], v94 offset0:99 offset1:100
	v_add_f32_e32 v2, v2, v3
	v_mul_f32_e32 v3, v45, v49
	v_fma_f32 v3, v44, v48, -v3
	v_add_f32_e32 v2, v2, v3
	s_waitcnt vmcnt(6) lgkmcnt(0)
	v_mul_f32_e32 v83, v74, v79
	v_fmac_f32_e32 v83, v75, v78
	v_add_f32_e32 v82, v82, v83
	v_mul_f32_e32 v83, v76, v81
	v_fmac_f32_e32 v83, v77, v80
	v_add_f32_e32 v90, v82, v83
	ds_read2_b64 v[82:85], v94 offset0:101 offset1:102
	v_mul_f32_e32 v3, v51, v55
	v_fma_f32 v3, v50, v54, -v3
	v_add_f32_e32 v2, v2, v3
	v_mul_f32_e32 v3, v53, v57
	s_waitcnt vmcnt(5) lgkmcnt(0)
	v_mul_f32_e32 v91, v82, v87
	v_fmac_f32_e32 v91, v83, v86
	v_add_f32_e32 v90, v90, v91
	v_mul_f32_e32 v91, v84, v89
	v_fmac_f32_e32 v91, v85, v88
	v_add_f32_e32 v95, v90, v91
	ds_read2_b64 v[90:93], v94 offset0:103 offset1:104
	v_fma_f32 v3, v52, v56, -v3
	v_add_f32_e32 v2, v2, v3
	v_mul_f32_e32 v3, v59, v63
	v_fma_f32 v3, v58, v62, -v3
	s_waitcnt vmcnt(4) lgkmcnt(0)
	v_mul_f32_e32 v100, v90, v97
	v_fmac_f32_e32 v100, v91, v96
	v_add_f32_e32 v95, v95, v100
	v_mul_f32_e32 v100, v92, v99
	v_fmac_f32_e32 v100, v93, v98
	v_add_f32_e32 v95, v95, v100
	ds_read2_b64 v[100:103], v94 offset0:105 offset1:106
	v_add_f32_e32 v2, v2, v3
	v_mul_f32_e32 v3, v61, v65
	v_fma_f32 v3, v60, v64, -v3
	v_add_f32_e32 v2, v2, v3
	s_waitcnt vmcnt(3) lgkmcnt(0)
	v_mul_f32_e32 v108, v100, v105
	v_fmac_f32_e32 v108, v101, v104
	v_add_f32_e32 v95, v95, v108
	v_mul_f32_e32 v108, v102, v107
	v_fmac_f32_e32 v108, v103, v106
	v_add_f32_e32 v95, v95, v108
	ds_read2_b64 v[108:111], v94 offset0:107 offset1:108
	v_mul_f32_e32 v3, v67, v71
	v_fma_f32 v3, v66, v70, -v3
	v_add_f32_e32 v2, v2, v3
	v_mul_f32_e32 v3, v69, v73
	s_waitcnt vmcnt(2) lgkmcnt(0)
	v_mul_f32_e32 v116, v108, v113
	v_fmac_f32_e32 v116, v109, v112
	v_add_f32_e32 v95, v95, v116
	v_mul_f32_e32 v116, v110, v115
	v_fmac_f32_e32 v116, v111, v114
	v_add_f32_e32 v95, v95, v116
	ds_read2_b64 v[116:119], v94 offset0:109 offset1:110
	v_fma_f32 v3, v68, v72, -v3
	v_add_f32_e32 v2, v2, v3
	v_mul_f32_e32 v3, v75, v79
	v_fma_f32 v3, v74, v78, -v3
	s_waitcnt vmcnt(1) lgkmcnt(0)
	v_mul_f32_e32 v124, v116, v121
	v_fmac_f32_e32 v124, v117, v120
	v_add_f32_e32 v145, v95, v124
	ds_read2_b64 v[124:127], v94 offset0:111 offset1:112
	scratch_load_dwordx4 v[132:135], off, off offset:424
	scratch_load_dwordx4 v[136:139], off, off offset:440
	;; [unrolled: 1-line block ×3, first 2 shown]
	scratch_load_dwordx2 v[166:167], off, off offset:472
	v_add_f32_e32 v2, v2, v3
	v_mul_f32_e32 v3, v77, v81
	v_fma_f32 v3, v76, v80, -v3
	v_add_f32_e32 v2, v2, v3
	v_mul_f32_e32 v3, v83, v87
	v_fma_f32 v3, v82, v86, -v3
	;; [unrolled: 3-line block ×10, first 2 shown]
	v_add_f32_e32 v144, v2, v3
	v_mul_f32_e32 v2, v119, v123
	v_mul_f32_e32 v147, v118, v123
	v_fma_f32 v146, v118, v122, -v2
	s_waitcnt vmcnt(4) lgkmcnt(0)
	v_mul_f32_e32 v2, v125, v129
	v_mov_b32_e32 v18, v131
	v_fmac_f32_e32 v147, v119, v122
	v_mul_f32_e32 v149, v124, v129
	v_fma_f32 v148, v124, v128, -v2
	ds_read2_b64 v[2:5], v94 offset0:113 offset1:114
	ds_read2_b64 v[6:9], v94 offset0:115 offset1:116
	;; [unrolled: 1-line block ×3, first 2 shown]
	ds_read_b64 v[14:15], v94 offset:952
	v_pk_mul_f32 v[18:19], v[126:127], v[18:19] op_sel:[1,0] op_sel_hi:[0,0]
	v_fmac_f32_e32 v149, v125, v128
	v_pk_add_f32 v[16:17], v[144:145], v[146:147]
	v_pk_fma_f32 v[20:21], v[126:127], v[130:131], v[18:19] neg_lo:[0,0,1] neg_hi:[0,0,1]
	v_pk_fma_f32 v[18:19], v[126:127], v[130:131], v[18:19] op_sel_hi:[1,0,1]
	v_pk_add_f32 v[16:17], v[16:17], v[148:149]
	v_mov_b32_e32 v21, v19
	v_pk_add_f32 v[16:17], v[16:17], v[20:21]
	s_waitcnt vmcnt(3) lgkmcnt(3)
	v_pk_mul_f32 v[18:19], v[2:3], v[132:133] op_sel:[1,1] op_sel_hi:[0,1]
	v_pk_fma_f32 v[20:21], v[2:3], v[132:133], v[18:19] neg_lo:[0,0,1] neg_hi:[0,0,1]
	v_pk_fma_f32 v[2:3], v[2:3], v[132:133], v[18:19] op_sel_hi:[1,0,1]
	s_nop 0
	v_mov_b32_e32 v21, v3
	v_pk_add_f32 v[2:3], v[16:17], v[20:21]
	v_mov_b32_e32 v16, v135
	v_pk_mul_f32 v[16:17], v[4:5], v[16:17] op_sel:[1,0] op_sel_hi:[0,0]
	v_pk_fma_f32 v[18:19], v[4:5], v[134:135], v[16:17] neg_lo:[0,0,1] neg_hi:[0,0,1]
	v_pk_fma_f32 v[4:5], v[4:5], v[134:135], v[16:17] op_sel_hi:[1,0,1]
	s_nop 0
	v_mov_b32_e32 v19, v5
	s_waitcnt vmcnt(2) lgkmcnt(2)
	v_pk_mul_f32 v[4:5], v[6:7], v[136:137] op_sel:[1,1] op_sel_hi:[0,1]
	v_pk_fma_f32 v[16:17], v[6:7], v[136:137], v[4:5] neg_lo:[0,0,1] neg_hi:[0,0,1]
	v_pk_fma_f32 v[4:5], v[6:7], v[136:137], v[4:5] op_sel_hi:[1,0,1]
	v_pk_add_f32 v[2:3], v[2:3], v[18:19]
	v_mov_b32_e32 v4, v139
	v_mov_b32_e32 v17, v5
	v_pk_mul_f32 v[4:5], v[8:9], v[4:5] op_sel:[1,0] op_sel_hi:[0,0]
	v_pk_fma_f32 v[6:7], v[8:9], v[138:139], v[4:5] neg_lo:[0,0,1] neg_hi:[0,0,1]
	v_pk_fma_f32 v[4:5], v[8:9], v[138:139], v[4:5] op_sel_hi:[1,0,1]
	v_pk_add_f32 v[2:3], v[2:3], v[16:17]
	v_mov_b32_e32 v7, v5
	s_waitcnt vmcnt(1) lgkmcnt(1)
	v_pk_mul_f32 v[4:5], v[10:11], v[140:141] op_sel:[1,1] op_sel_hi:[0,1]
	v_pk_add_f32 v[2:3], v[2:3], v[6:7]
	v_pk_fma_f32 v[6:7], v[10:11], v[140:141], v[4:5] neg_lo:[0,0,1] neg_hi:[0,0,1]
	v_pk_fma_f32 v[4:5], v[10:11], v[140:141], v[4:5] op_sel_hi:[1,0,1]
	s_nop 0
	v_mov_b32_e32 v4, v143
	v_mov_b32_e32 v7, v5
	v_pk_mul_f32 v[4:5], v[12:13], v[4:5] op_sel:[1,0] op_sel_hi:[0,0]
	v_pk_add_f32 v[2:3], v[2:3], v[6:7]
	v_pk_fma_f32 v[6:7], v[12:13], v[142:143], v[4:5] neg_lo:[0,0,1] neg_hi:[0,0,1]
	v_pk_fma_f32 v[4:5], v[12:13], v[142:143], v[4:5] op_sel_hi:[1,0,1]
	s_nop 0
	v_mov_b32_e32 v7, v5
	s_waitcnt vmcnt(0) lgkmcnt(0)
	v_pk_mul_f32 v[4:5], v[14:15], v[166:167] op_sel:[1,1] op_sel_hi:[0,1]
	v_pk_add_f32 v[2:3], v[2:3], v[6:7]
	v_pk_fma_f32 v[6:7], v[14:15], v[166:167], v[4:5] neg_lo:[0,0,1] neg_hi:[0,0,1]
	v_pk_fma_f32 v[4:5], v[14:15], v[166:167], v[4:5] op_sel_hi:[1,0,1]
	s_nop 0
	v_mov_b32_e32 v7, v5
	scratch_load_dwordx2 v[4:5], off, off offset:160
	v_pk_add_f32 v[2:3], v[2:3], v[6:7]
	s_waitcnt vmcnt(0)
	v_pk_add_f32 v[2:3], v[4:5], v[2:3] neg_lo:[0,1] neg_hi:[0,1]
	scratch_store_dwordx2 off, v[2:3], off offset:160
	s_and_saveexec_b64 s[0:1], vcc
	s_cbranch_execz .LBB123_335
; %bb.334:
	scratch_load_dwordx2 v[2:3], off, off offset:152
	v_mov_b32_e32 v95, v94
	scratch_store_dwordx2 off, v[94:95], off offset:152
	s_waitcnt vmcnt(1)
	ds_write_b64 v1, v[2:3]
.LBB123_335:
	s_or_b64 exec, exec, s[0:1]
	s_waitcnt lgkmcnt(0)
	; wave barrier
	ds_read_b128 v[14:17], v94 offset:640
	ds_read_b128 v[10:13], v94 offset:656
	;; [unrolled: 1-line block ×4, first 2 shown]
	scratch_load_dwordx4 v[18:21], off, off offset:160
	scratch_load_dwordx4 v[38:41], off, off offset:224
	;; [unrolled: 1-line block ×10, first 2 shown]
	v_cmp_lt_u32_e32 vcc, 18, v0
	scratch_load_dwordx4 v[46:49], off, off offset:240
	scratch_load_dwordx4 v[54:57], off, off offset:256
	scratch_load_dwordx4 v[62:65], off, off offset:272
	s_waitcnt vmcnt(12) lgkmcnt(3)
	v_mul_f32_e32 v22, v14, v19
	v_fmac_f32_e32 v22, v15, v18
	v_mul_f32_e32 v23, v16, v21
	v_add_f32_e32 v22, 0, v22
	v_fmac_f32_e32 v23, v17, v20
	v_add_f32_e32 v26, v22, v23
	scratch_load_dwordx4 v[22:25], off, off offset:176
	v_mul_f32_e32 v15, v15, v19
	v_fma_f32 v14, v14, v18, -v15
	v_mul_f32_e32 v15, v17, v21
	v_add_f32_e32 v14, 0, v14
	v_fma_f32 v15, v16, v20, -v15
	v_add_f32_e32 v14, v14, v15
	s_waitcnt vmcnt(0) lgkmcnt(2)
	v_mul_f32_e32 v27, v10, v23
	v_fmac_f32_e32 v27, v11, v22
	v_add_f32_e32 v26, v26, v27
	v_mul_f32_e32 v27, v12, v25
	v_fmac_f32_e32 v27, v13, v24
	v_add_f32_e32 v30, v26, v27
	scratch_load_dwordx4 v[26:29], off, off offset:192
	v_mul_f32_e32 v11, v11, v23
	v_fma_f32 v10, v10, v22, -v11
	v_mul_f32_e32 v11, v13, v25
	v_add_f32_e32 v10, v14, v10
	v_fma_f32 v11, v12, v24, -v11
	v_add_f32_e32 v10, v10, v11
	s_waitcnt vmcnt(0) lgkmcnt(1)
	v_mul_f32_e32 v31, v6, v27
	v_fmac_f32_e32 v31, v7, v26
	v_add_f32_e32 v30, v30, v31
	v_mul_f32_e32 v31, v8, v29
	;; [unrolled: 14-line block ×3, first 2 shown]
	v_fmac_f32_e32 v35, v5, v32
	v_add_f32_e32 v42, v34, v35
	ds_read_b128 v[34:37], v94 offset:704
	v_mul_f32_e32 v3, v3, v31
	v_fma_f32 v2, v2, v30, -v3
	v_mul_f32_e32 v3, v5, v33
	v_add_f32_e32 v2, v6, v2
	s_waitcnt lgkmcnt(0)
	v_mul_f32_e32 v43, v34, v39
	v_fmac_f32_e32 v43, v35, v38
	v_add_f32_e32 v42, v42, v43
	v_mul_f32_e32 v43, v36, v41
	v_fmac_f32_e32 v43, v37, v40
	v_add_f32_e32 v50, v42, v43
	ds_read_b128 v[42:45], v94 offset:720
	v_fma_f32 v3, v4, v32, -v3
	v_add_f32_e32 v2, v2, v3
	v_mul_f32_e32 v3, v35, v39
	v_fma_f32 v3, v34, v38, -v3
	s_waitcnt lgkmcnt(0)
	v_mul_f32_e32 v51, v42, v47
	v_fmac_f32_e32 v51, v43, v46
	v_add_f32_e32 v50, v50, v51
	v_mul_f32_e32 v51, v44, v49
	v_fmac_f32_e32 v51, v45, v48
	v_add_f32_e32 v58, v50, v51
	ds_read_b128 v[50:53], v94 offset:736
	v_add_f32_e32 v2, v2, v3
	v_mul_f32_e32 v3, v37, v41
	v_fma_f32 v3, v36, v40, -v3
	v_add_f32_e32 v2, v2, v3
	s_waitcnt lgkmcnt(0)
	v_mul_f32_e32 v59, v50, v55
	v_fmac_f32_e32 v59, v51, v54
	v_add_f32_e32 v58, v58, v59
	v_mul_f32_e32 v59, v52, v57
	v_fmac_f32_e32 v59, v53, v56
	v_add_f32_e32 v66, v58, v59
	ds_read_b128 v[58:61], v94 offset:752
	v_mul_f32_e32 v3, v43, v47
	v_fma_f32 v3, v42, v46, -v3
	v_add_f32_e32 v2, v2, v3
	v_mul_f32_e32 v3, v45, v49
	s_waitcnt lgkmcnt(0)
	v_mul_f32_e32 v67, v58, v63
	v_fmac_f32_e32 v67, v59, v62
	v_add_f32_e32 v66, v66, v67
	v_mul_f32_e32 v67, v60, v65
	v_fmac_f32_e32 v67, v61, v64
	v_add_f32_e32 v74, v66, v67
	ds_read_b128 v[66:69], v94 offset:768
	v_fma_f32 v3, v44, v48, -v3
	v_add_f32_e32 v2, v2, v3
	v_mul_f32_e32 v3, v51, v55
	v_fma_f32 v3, v50, v54, -v3
	s_waitcnt lgkmcnt(0)
	v_mul_f32_e32 v75, v66, v71
	v_fmac_f32_e32 v75, v67, v70
	v_add_f32_e32 v74, v74, v75
	v_mul_f32_e32 v75, v68, v73
	v_fmac_f32_e32 v75, v69, v72
	v_add_f32_e32 v82, v74, v75
	ds_read_b128 v[74:77], v94 offset:784
	v_add_f32_e32 v2, v2, v3
	v_mul_f32_e32 v3, v53, v57
	v_fma_f32 v3, v52, v56, -v3
	v_add_f32_e32 v2, v2, v3
	s_waitcnt lgkmcnt(0)
	v_mul_f32_e32 v83, v74, v79
	v_fmac_f32_e32 v83, v75, v78
	v_add_f32_e32 v82, v82, v83
	v_mul_f32_e32 v83, v76, v81
	v_fmac_f32_e32 v83, v77, v80
	v_add_f32_e32 v90, v82, v83
	ds_read_b128 v[82:85], v94 offset:800
	v_mul_f32_e32 v3, v59, v63
	v_fma_f32 v3, v58, v62, -v3
	v_add_f32_e32 v2, v2, v3
	v_mul_f32_e32 v3, v61, v65
	s_waitcnt lgkmcnt(0)
	v_mul_f32_e32 v91, v82, v87
	v_fmac_f32_e32 v91, v83, v86
	v_add_f32_e32 v90, v90, v91
	v_mul_f32_e32 v91, v84, v89
	v_fmac_f32_e32 v91, v85, v88
	v_add_f32_e32 v95, v90, v91
	ds_read_b128 v[90:93], v94 offset:816
	v_fma_f32 v3, v60, v64, -v3
	v_add_f32_e32 v2, v2, v3
	v_mul_f32_e32 v3, v67, v71
	v_fma_f32 v3, v66, v70, -v3
	s_waitcnt lgkmcnt(0)
	v_mul_f32_e32 v100, v90, v97
	v_fmac_f32_e32 v100, v91, v96
	v_add_f32_e32 v95, v95, v100
	v_mul_f32_e32 v100, v92, v99
	v_fmac_f32_e32 v100, v93, v98
	v_add_f32_e32 v95, v95, v100
	ds_read_b128 v[100:103], v94 offset:832
	v_add_f32_e32 v2, v2, v3
	v_mul_f32_e32 v3, v69, v73
	v_fma_f32 v3, v68, v72, -v3
	v_add_f32_e32 v2, v2, v3
	s_waitcnt lgkmcnt(0)
	v_mul_f32_e32 v108, v100, v105
	v_fmac_f32_e32 v108, v101, v104
	v_add_f32_e32 v95, v95, v108
	v_mul_f32_e32 v108, v102, v107
	v_fmac_f32_e32 v108, v103, v106
	v_add_f32_e32 v95, v95, v108
	ds_read_b128 v[108:111], v94 offset:848
	v_mul_f32_e32 v3, v75, v79
	v_fma_f32 v3, v74, v78, -v3
	v_add_f32_e32 v2, v2, v3
	v_mul_f32_e32 v3, v77, v81
	s_waitcnt lgkmcnt(0)
	v_mul_f32_e32 v116, v108, v113
	v_fmac_f32_e32 v116, v109, v112
	v_add_f32_e32 v95, v95, v116
	v_mul_f32_e32 v116, v110, v115
	v_fmac_f32_e32 v116, v111, v114
	v_add_f32_e32 v95, v95, v116
	ds_read_b128 v[116:119], v94 offset:864
	v_fma_f32 v3, v76, v80, -v3
	v_add_f32_e32 v2, v2, v3
	v_mul_f32_e32 v3, v83, v87
	v_fma_f32 v3, v82, v86, -v3
	s_waitcnt lgkmcnt(0)
	v_mul_f32_e32 v124, v116, v121
	v_fmac_f32_e32 v124, v117, v120
	v_add_f32_e32 v95, v95, v124
	v_mul_f32_e32 v124, v118, v123
	v_fmac_f32_e32 v124, v119, v122
	v_add_f32_e32 v149, v95, v124
	ds_read_b128 v[124:127], v94 offset:880
	scratch_load_dwordx4 v[132:135], off, off offset:416
	scratch_load_dwordx4 v[136:139], off, off offset:432
	;; [unrolled: 1-line block ×4, first 2 shown]
	v_add_f32_e32 v2, v2, v3
	v_mul_f32_e32 v3, v85, v89
	v_fma_f32 v3, v84, v88, -v3
	v_add_f32_e32 v2, v2, v3
	v_mul_f32_e32 v3, v91, v97
	v_fma_f32 v3, v90, v96, -v3
	;; [unrolled: 3-line block ×9, first 2 shown]
	v_add_f32_e32 v148, v2, v3
	s_waitcnt lgkmcnt(0)
	v_mul_f32_e32 v2, v125, v129
	v_fma_f32 v166, v124, v128, -v2
	v_mul_f32_e32 v2, v127, v131
	v_fma_f32 v168, v126, v130, -v2
	ds_read_b128 v[2:5], v94 offset:896
	ds_read_b128 v[6:9], v94 offset:912
	;; [unrolled: 1-line block ×4, first 2 shown]
	v_mul_f32_e32 v167, v124, v129
	v_fmac_f32_e32 v167, v125, v128
	v_mul_f32_e32 v169, v126, v131
	v_fmac_f32_e32 v169, v127, v130
	v_pk_add_f32 v[18:19], v[148:149], v[166:167]
	s_waitcnt vmcnt(3) lgkmcnt(3)
	v_pk_mul_f32 v[20:21], v[2:3], v[132:133] op_sel:[1,1] op_sel_hi:[0,1]
	v_pk_fma_f32 v[22:23], v[2:3], v[132:133], v[20:21] neg_lo:[0,0,1] neg_hi:[0,0,1]
	v_pk_fma_f32 v[2:3], v[2:3], v[132:133], v[20:21] op_sel_hi:[1,0,1]
	v_pk_add_f32 v[18:19], v[18:19], v[168:169]
	v_mov_b32_e32 v23, v3
	v_pk_add_f32 v[2:3], v[18:19], v[22:23]
	v_mov_b32_e32 v18, v135
	v_pk_mul_f32 v[18:19], v[4:5], v[18:19] op_sel:[1,0] op_sel_hi:[0,0]
	v_pk_fma_f32 v[20:21], v[4:5], v[134:135], v[18:19] neg_lo:[0,0,1] neg_hi:[0,0,1]
	v_pk_fma_f32 v[4:5], v[4:5], v[134:135], v[18:19] op_sel_hi:[1,0,1]
	s_nop 0
	v_mov_b32_e32 v21, v5
	s_waitcnt vmcnt(2) lgkmcnt(2)
	v_pk_mul_f32 v[4:5], v[6:7], v[136:137] op_sel:[1,1] op_sel_hi:[0,1]
	v_pk_fma_f32 v[18:19], v[6:7], v[136:137], v[4:5] neg_lo:[0,0,1] neg_hi:[0,0,1]
	v_pk_fma_f32 v[4:5], v[6:7], v[136:137], v[4:5] op_sel_hi:[1,0,1]
	v_pk_add_f32 v[2:3], v[2:3], v[20:21]
	v_mov_b32_e32 v4, v139
	v_mov_b32_e32 v19, v5
	v_pk_mul_f32 v[4:5], v[8:9], v[4:5] op_sel:[1,0] op_sel_hi:[0,0]
	v_pk_fma_f32 v[6:7], v[8:9], v[138:139], v[4:5] neg_lo:[0,0,1] neg_hi:[0,0,1]
	v_pk_fma_f32 v[4:5], v[8:9], v[138:139], v[4:5] op_sel_hi:[1,0,1]
	v_pk_add_f32 v[2:3], v[2:3], v[18:19]
	v_mov_b32_e32 v7, v5
	s_waitcnt vmcnt(1) lgkmcnt(1)
	v_pk_mul_f32 v[4:5], v[10:11], v[140:141] op_sel:[1,1] op_sel_hi:[0,1]
	v_pk_add_f32 v[2:3], v[2:3], v[6:7]
	v_pk_fma_f32 v[6:7], v[10:11], v[140:141], v[4:5] neg_lo:[0,0,1] neg_hi:[0,0,1]
	v_pk_fma_f32 v[4:5], v[10:11], v[140:141], v[4:5] op_sel_hi:[1,0,1]
	s_nop 0
	v_mov_b32_e32 v4, v143
	v_mov_b32_e32 v7, v5
	v_pk_mul_f32 v[4:5], v[12:13], v[4:5] op_sel:[1,0] op_sel_hi:[0,0]
	v_pk_add_f32 v[2:3], v[2:3], v[6:7]
	v_pk_fma_f32 v[6:7], v[12:13], v[142:143], v[4:5] neg_lo:[0,0,1] neg_hi:[0,0,1]
	v_pk_fma_f32 v[4:5], v[12:13], v[142:143], v[4:5] op_sel_hi:[1,0,1]
	s_nop 0
	v_mov_b32_e32 v7, v5
	s_waitcnt vmcnt(0) lgkmcnt(0)
	v_pk_mul_f32 v[4:5], v[14:15], v[144:145] op_sel:[1,1] op_sel_hi:[0,1]
	v_pk_add_f32 v[2:3], v[2:3], v[6:7]
	v_pk_fma_f32 v[6:7], v[14:15], v[144:145], v[4:5] neg_lo:[0,0,1] neg_hi:[0,0,1]
	v_pk_fma_f32 v[4:5], v[14:15], v[144:145], v[4:5] op_sel_hi:[1,0,1]
	s_nop 0
	v_mov_b32_e32 v4, v147
	v_mov_b32_e32 v7, v5
	v_pk_mul_f32 v[4:5], v[16:17], v[4:5] op_sel:[1,0] op_sel_hi:[0,0]
	v_pk_add_f32 v[2:3], v[2:3], v[6:7]
	v_pk_fma_f32 v[6:7], v[16:17], v[146:147], v[4:5] neg_lo:[0,0,1] neg_hi:[0,0,1]
	v_pk_fma_f32 v[4:5], v[16:17], v[146:147], v[4:5] op_sel_hi:[1,0,1]
	s_nop 0
	v_mov_b32_e32 v7, v5
	scratch_load_dwordx2 v[4:5], off, off offset:152
	v_pk_add_f32 v[2:3], v[2:3], v[6:7]
	s_waitcnt vmcnt(0)
	v_pk_add_f32 v[2:3], v[4:5], v[2:3] neg_lo:[0,1] neg_hi:[0,1]
	scratch_store_dwordx2 off, v[2:3], off offset:152
	s_and_saveexec_b64 s[0:1], vcc
	s_cbranch_execz .LBB123_337
; %bb.336:
	scratch_load_dwordx2 v[2:3], off, off offset:144
	v_mov_b32_e32 v4, 0
	v_mov_b32_e32 v5, v4
	scratch_store_dwordx2 off, v[4:5], off offset:144
	s_waitcnt vmcnt(1)
	ds_write_b64 v1, v[2:3]
.LBB123_337:
	s_or_b64 exec, exec, s[0:1]
	s_waitcnt lgkmcnt(0)
	; wave barrier
	scratch_load_dwordx4 v[6:9], off, off offset:152
	scratch_load_dwordx4 v[14:17], off, off offset:168
	;; [unrolled: 1-line block ×10, first 2 shown]
	v_mov_b32_e32 v102, 0
	ds_read2_b64 v[2:5], v102 offset0:79 offset1:80
	scratch_load_dwordx4 v[86:89], off, off offset:312
	scratch_load_dwordx4 v[94:97], off, off offset:328
	;; [unrolled: 1-line block ×7, first 2 shown]
	v_cmp_lt_u32_e32 vcc, 17, v0
	s_waitcnt vmcnt(16) lgkmcnt(0)
	v_mul_f32_e32 v10, v2, v7
	v_fmac_f32_e32 v10, v3, v6
	v_mul_f32_e32 v11, v4, v9
	v_add_f32_e32 v10, 0, v10
	v_fmac_f32_e32 v11, v5, v8
	v_add_f32_e32 v18, v10, v11
	ds_read2_b64 v[10:13], v102 offset0:81 offset1:82
	v_mul_f32_e32 v3, v3, v7
	v_fma_f32 v2, v2, v6, -v3
	v_mul_f32_e32 v3, v5, v9
	v_add_f32_e32 v2, 0, v2
	s_waitcnt vmcnt(15) lgkmcnt(0)
	v_mul_f32_e32 v19, v10, v15
	v_fmac_f32_e32 v19, v11, v14
	v_add_f32_e32 v18, v18, v19
	v_mul_f32_e32 v19, v12, v17
	v_fmac_f32_e32 v19, v13, v16
	v_add_f32_e32 v26, v18, v19
	ds_read2_b64 v[18:21], v102 offset0:83 offset1:84
	v_fma_f32 v3, v4, v8, -v3
	v_add_f32_e32 v2, v2, v3
	v_mul_f32_e32 v3, v11, v15
	v_fma_f32 v3, v10, v14, -v3
	s_waitcnt vmcnt(14) lgkmcnt(0)
	v_mul_f32_e32 v27, v18, v23
	v_fmac_f32_e32 v27, v19, v22
	v_add_f32_e32 v26, v26, v27
	v_mul_f32_e32 v27, v20, v25
	v_fmac_f32_e32 v27, v21, v24
	v_add_f32_e32 v34, v26, v27
	ds_read2_b64 v[26:29], v102 offset0:85 offset1:86
	v_add_f32_e32 v2, v2, v3
	v_mul_f32_e32 v3, v13, v17
	v_fma_f32 v3, v12, v16, -v3
	v_add_f32_e32 v2, v2, v3
	s_waitcnt vmcnt(13) lgkmcnt(0)
	v_mul_f32_e32 v35, v26, v31
	v_fmac_f32_e32 v35, v27, v30
	v_add_f32_e32 v34, v34, v35
	v_mul_f32_e32 v35, v28, v33
	v_fmac_f32_e32 v35, v29, v32
	v_add_f32_e32 v42, v34, v35
	ds_read2_b64 v[34:37], v102 offset0:87 offset1:88
	v_mul_f32_e32 v3, v19, v23
	v_fma_f32 v3, v18, v22, -v3
	v_add_f32_e32 v2, v2, v3
	v_mul_f32_e32 v3, v21, v25
	s_waitcnt vmcnt(12) lgkmcnt(0)
	v_mul_f32_e32 v43, v34, v39
	v_fmac_f32_e32 v43, v35, v38
	v_add_f32_e32 v42, v42, v43
	v_mul_f32_e32 v43, v36, v41
	v_fmac_f32_e32 v43, v37, v40
	v_add_f32_e32 v50, v42, v43
	ds_read2_b64 v[42:45], v102 offset0:89 offset1:90
	v_fma_f32 v3, v20, v24, -v3
	v_add_f32_e32 v2, v2, v3
	v_mul_f32_e32 v3, v27, v31
	v_fma_f32 v3, v26, v30, -v3
	s_waitcnt vmcnt(11) lgkmcnt(0)
	v_mul_f32_e32 v51, v42, v47
	v_fmac_f32_e32 v51, v43, v46
	v_add_f32_e32 v50, v50, v51
	v_mul_f32_e32 v51, v44, v49
	v_fmac_f32_e32 v51, v45, v48
	v_add_f32_e32 v58, v50, v51
	ds_read2_b64 v[50:53], v102 offset0:91 offset1:92
	v_add_f32_e32 v2, v2, v3
	v_mul_f32_e32 v3, v29, v33
	v_fma_f32 v3, v28, v32, -v3
	v_add_f32_e32 v2, v2, v3
	s_waitcnt vmcnt(10) lgkmcnt(0)
	v_mul_f32_e32 v59, v50, v55
	v_fmac_f32_e32 v59, v51, v54
	v_add_f32_e32 v58, v58, v59
	v_mul_f32_e32 v59, v52, v57
	v_fmac_f32_e32 v59, v53, v56
	v_add_f32_e32 v66, v58, v59
	ds_read2_b64 v[58:61], v102 offset0:93 offset1:94
	v_mul_f32_e32 v3, v35, v39
	v_fma_f32 v3, v34, v38, -v3
	v_add_f32_e32 v2, v2, v3
	v_mul_f32_e32 v3, v37, v41
	;; [unrolled: 36-line block ×4, first 2 shown]
	s_waitcnt vmcnt(3) lgkmcnt(0)
	v_mul_f32_e32 v116, v108, v113
	v_fmac_f32_e32 v116, v109, v112
	v_add_f32_e32 v103, v103, v116
	v_mul_f32_e32 v116, v110, v115
	v_fmac_f32_e32 v116, v111, v114
	v_add_f32_e32 v103, v103, v116
	ds_read2_b64 v[116:119], v102 offset0:107 offset1:108
	v_fma_f32 v3, v68, v72, -v3
	v_add_f32_e32 v2, v2, v3
	v_mul_f32_e32 v3, v75, v79
	v_fma_f32 v3, v74, v78, -v3
	s_waitcnt vmcnt(2) lgkmcnt(0)
	v_mul_f32_e32 v124, v116, v121
	v_fmac_f32_e32 v124, v117, v120
	v_add_f32_e32 v103, v103, v124
	v_mul_f32_e32 v124, v118, v123
	v_fmac_f32_e32 v124, v119, v122
	v_add_f32_e32 v103, v103, v124
	ds_read2_b64 v[124:127], v102 offset0:109 offset1:110
	v_add_f32_e32 v2, v2, v3
	v_mul_f32_e32 v3, v77, v81
	v_fma_f32 v3, v76, v80, -v3
	v_add_f32_e32 v2, v2, v3
	s_waitcnt vmcnt(1) lgkmcnt(0)
	v_mul_f32_e32 v132, v124, v129
	v_fmac_f32_e32 v132, v125, v128
	v_add_f32_e32 v149, v103, v132
	ds_read2_b64 v[132:135], v102 offset0:111 offset1:112
	scratch_load_dwordx4 v[140:143], off, off offset:424
	scratch_load_dwordx4 v[144:147], off, off offset:440
	;; [unrolled: 1-line block ×3, first 2 shown]
	scratch_load_dwordx2 v[174:175], off, off offset:472
	v_mul_f32_e32 v3, v83, v87
	v_fma_f32 v3, v82, v86, -v3
	v_add_f32_e32 v2, v2, v3
	v_mul_f32_e32 v3, v85, v89
	v_fma_f32 v3, v84, v88, -v3
	v_add_f32_e32 v2, v2, v3
	;; [unrolled: 3-line block ×11, first 2 shown]
	v_mul_f32_e32 v2, v127, v131
	v_mul_f32_e32 v171, v126, v131
	v_fma_f32 v170, v126, v130, -v2
	s_waitcnt vmcnt(4) lgkmcnt(0)
	v_mul_f32_e32 v2, v133, v137
	v_mov_b32_e32 v18, v139
	v_fmac_f32_e32 v171, v127, v130
	v_mul_f32_e32 v173, v132, v137
	v_fma_f32 v172, v132, v136, -v2
	ds_read2_b64 v[2:5], v102 offset0:113 offset1:114
	ds_read2_b64 v[6:9], v102 offset0:115 offset1:116
	;; [unrolled: 1-line block ×3, first 2 shown]
	ds_read_b64 v[14:15], v102 offset:952
	v_pk_mul_f32 v[18:19], v[134:135], v[18:19] op_sel:[1,0] op_sel_hi:[0,0]
	v_fmac_f32_e32 v173, v133, v136
	v_pk_add_f32 v[16:17], v[148:149], v[170:171]
	v_pk_fma_f32 v[20:21], v[134:135], v[138:139], v[18:19] neg_lo:[0,0,1] neg_hi:[0,0,1]
	v_pk_fma_f32 v[18:19], v[134:135], v[138:139], v[18:19] op_sel_hi:[1,0,1]
	v_pk_add_f32 v[16:17], v[16:17], v[172:173]
	v_mov_b32_e32 v21, v19
	v_pk_add_f32 v[16:17], v[16:17], v[20:21]
	s_waitcnt vmcnt(3) lgkmcnt(3)
	v_pk_mul_f32 v[18:19], v[2:3], v[140:141] op_sel:[1,1] op_sel_hi:[0,1]
	v_pk_fma_f32 v[20:21], v[2:3], v[140:141], v[18:19] neg_lo:[0,0,1] neg_hi:[0,0,1]
	v_pk_fma_f32 v[2:3], v[2:3], v[140:141], v[18:19] op_sel_hi:[1,0,1]
	s_nop 0
	v_mov_b32_e32 v21, v3
	v_pk_add_f32 v[2:3], v[16:17], v[20:21]
	v_mov_b32_e32 v16, v143
	v_pk_mul_f32 v[16:17], v[4:5], v[16:17] op_sel:[1,0] op_sel_hi:[0,0]
	v_pk_fma_f32 v[18:19], v[4:5], v[142:143], v[16:17] neg_lo:[0,0,1] neg_hi:[0,0,1]
	v_pk_fma_f32 v[4:5], v[4:5], v[142:143], v[16:17] op_sel_hi:[1,0,1]
	s_nop 0
	v_mov_b32_e32 v19, v5
	s_waitcnt vmcnt(2) lgkmcnt(2)
	v_pk_mul_f32 v[4:5], v[6:7], v[144:145] op_sel:[1,1] op_sel_hi:[0,1]
	v_pk_fma_f32 v[16:17], v[6:7], v[144:145], v[4:5] neg_lo:[0,0,1] neg_hi:[0,0,1]
	v_pk_fma_f32 v[4:5], v[6:7], v[144:145], v[4:5] op_sel_hi:[1,0,1]
	v_pk_add_f32 v[2:3], v[2:3], v[18:19]
	v_mov_b32_e32 v4, v147
	v_mov_b32_e32 v17, v5
	v_pk_mul_f32 v[4:5], v[8:9], v[4:5] op_sel:[1,0] op_sel_hi:[0,0]
	v_pk_fma_f32 v[6:7], v[8:9], v[146:147], v[4:5] neg_lo:[0,0,1] neg_hi:[0,0,1]
	v_pk_fma_f32 v[4:5], v[8:9], v[146:147], v[4:5] op_sel_hi:[1,0,1]
	v_pk_add_f32 v[2:3], v[2:3], v[16:17]
	v_mov_b32_e32 v7, v5
	s_waitcnt vmcnt(1) lgkmcnt(1)
	v_pk_mul_f32 v[4:5], v[10:11], v[166:167] op_sel:[1,1] op_sel_hi:[0,1]
	v_pk_add_f32 v[2:3], v[2:3], v[6:7]
	v_pk_fma_f32 v[6:7], v[10:11], v[166:167], v[4:5] neg_lo:[0,0,1] neg_hi:[0,0,1]
	v_pk_fma_f32 v[4:5], v[10:11], v[166:167], v[4:5] op_sel_hi:[1,0,1]
	s_nop 0
	v_mov_b32_e32 v4, v169
	v_mov_b32_e32 v7, v5
	v_pk_mul_f32 v[4:5], v[12:13], v[4:5] op_sel:[1,0] op_sel_hi:[0,0]
	v_pk_add_f32 v[2:3], v[2:3], v[6:7]
	v_pk_fma_f32 v[6:7], v[12:13], v[168:169], v[4:5] neg_lo:[0,0,1] neg_hi:[0,0,1]
	v_pk_fma_f32 v[4:5], v[12:13], v[168:169], v[4:5] op_sel_hi:[1,0,1]
	s_nop 0
	v_mov_b32_e32 v7, v5
	s_waitcnt vmcnt(0) lgkmcnt(0)
	v_pk_mul_f32 v[4:5], v[14:15], v[174:175] op_sel:[1,1] op_sel_hi:[0,1]
	v_pk_add_f32 v[2:3], v[2:3], v[6:7]
	v_pk_fma_f32 v[6:7], v[14:15], v[174:175], v[4:5] neg_lo:[0,0,1] neg_hi:[0,0,1]
	v_pk_fma_f32 v[4:5], v[14:15], v[174:175], v[4:5] op_sel_hi:[1,0,1]
	s_nop 0
	v_mov_b32_e32 v7, v5
	scratch_load_dwordx2 v[4:5], off, off offset:144
	v_pk_add_f32 v[2:3], v[2:3], v[6:7]
	s_waitcnt vmcnt(0)
	v_pk_add_f32 v[2:3], v[4:5], v[2:3] neg_lo:[0,1] neg_hi:[0,1]
	scratch_store_dwordx2 off, v[2:3], off offset:144
	s_and_saveexec_b64 s[0:1], vcc
	s_cbranch_execz .LBB123_339
; %bb.338:
	scratch_load_dwordx2 v[2:3], off, off offset:136
	v_mov_b32_e32 v103, v102
	scratch_store_dwordx2 off, v[102:103], off offset:136
	s_waitcnt vmcnt(1)
	ds_write_b64 v1, v[2:3]
.LBB123_339:
	s_or_b64 exec, exec, s[0:1]
	s_waitcnt lgkmcnt(0)
	; wave barrier
	ds_read_b128 v[14:17], v102 offset:624
	ds_read_b128 v[10:13], v102 offset:640
	;; [unrolled: 1-line block ×4, first 2 shown]
	scratch_load_dwordx4 v[18:21], off, off offset:144
	scratch_load_dwordx4 v[38:41], off, off offset:208
	;; [unrolled: 1-line block ×11, first 2 shown]
	v_cmp_lt_u32_e32 vcc, 16, v0
	scratch_load_dwordx4 v[46:49], off, off offset:224
	scratch_load_dwordx4 v[54:57], off, off offset:240
	;; [unrolled: 1-line block ×3, first 2 shown]
	s_waitcnt vmcnt(13) lgkmcnt(3)
	v_mul_f32_e32 v22, v14, v19
	v_fmac_f32_e32 v22, v15, v18
	v_mul_f32_e32 v23, v16, v21
	v_add_f32_e32 v22, 0, v22
	v_fmac_f32_e32 v23, v17, v20
	v_add_f32_e32 v26, v22, v23
	scratch_load_dwordx4 v[22:25], off, off offset:160
	v_mul_f32_e32 v15, v15, v19
	v_fma_f32 v14, v14, v18, -v15
	v_mul_f32_e32 v15, v17, v21
	v_add_f32_e32 v14, 0, v14
	v_fma_f32 v15, v16, v20, -v15
	v_add_f32_e32 v14, v14, v15
	s_waitcnt vmcnt(0) lgkmcnt(2)
	v_mul_f32_e32 v27, v10, v23
	v_fmac_f32_e32 v27, v11, v22
	v_add_f32_e32 v26, v26, v27
	v_mul_f32_e32 v27, v12, v25
	v_fmac_f32_e32 v27, v13, v24
	v_add_f32_e32 v30, v26, v27
	scratch_load_dwordx4 v[26:29], off, off offset:176
	v_mul_f32_e32 v11, v11, v23
	v_fma_f32 v10, v10, v22, -v11
	v_mul_f32_e32 v11, v13, v25
	v_add_f32_e32 v10, v14, v10
	v_fma_f32 v11, v12, v24, -v11
	v_add_f32_e32 v10, v10, v11
	s_waitcnt vmcnt(0) lgkmcnt(1)
	v_mul_f32_e32 v31, v6, v27
	v_fmac_f32_e32 v31, v7, v26
	v_add_f32_e32 v30, v30, v31
	v_mul_f32_e32 v31, v8, v29
	;; [unrolled: 14-line block ×3, first 2 shown]
	v_fmac_f32_e32 v35, v5, v32
	v_add_f32_e32 v42, v34, v35
	ds_read_b128 v[34:37], v102 offset:688
	v_mul_f32_e32 v3, v3, v31
	v_fma_f32 v2, v2, v30, -v3
	v_mul_f32_e32 v3, v5, v33
	v_add_f32_e32 v2, v6, v2
	s_waitcnt lgkmcnt(0)
	v_mul_f32_e32 v43, v34, v39
	v_fmac_f32_e32 v43, v35, v38
	v_add_f32_e32 v42, v42, v43
	v_mul_f32_e32 v43, v36, v41
	v_fmac_f32_e32 v43, v37, v40
	v_add_f32_e32 v50, v42, v43
	ds_read_b128 v[42:45], v102 offset:704
	v_fma_f32 v3, v4, v32, -v3
	v_add_f32_e32 v2, v2, v3
	v_mul_f32_e32 v3, v35, v39
	v_fma_f32 v3, v34, v38, -v3
	s_waitcnt lgkmcnt(0)
	v_mul_f32_e32 v51, v42, v47
	v_fmac_f32_e32 v51, v43, v46
	v_add_f32_e32 v50, v50, v51
	v_mul_f32_e32 v51, v44, v49
	v_fmac_f32_e32 v51, v45, v48
	v_add_f32_e32 v58, v50, v51
	ds_read_b128 v[50:53], v102 offset:720
	v_add_f32_e32 v2, v2, v3
	v_mul_f32_e32 v3, v37, v41
	v_fma_f32 v3, v36, v40, -v3
	v_add_f32_e32 v2, v2, v3
	s_waitcnt lgkmcnt(0)
	v_mul_f32_e32 v59, v50, v55
	v_fmac_f32_e32 v59, v51, v54
	v_add_f32_e32 v58, v58, v59
	v_mul_f32_e32 v59, v52, v57
	v_fmac_f32_e32 v59, v53, v56
	v_add_f32_e32 v66, v58, v59
	ds_read_b128 v[58:61], v102 offset:736
	v_mul_f32_e32 v3, v43, v47
	v_fma_f32 v3, v42, v46, -v3
	v_add_f32_e32 v2, v2, v3
	v_mul_f32_e32 v3, v45, v49
	s_waitcnt lgkmcnt(0)
	v_mul_f32_e32 v67, v58, v63
	v_fmac_f32_e32 v67, v59, v62
	v_add_f32_e32 v66, v66, v67
	v_mul_f32_e32 v67, v60, v65
	v_fmac_f32_e32 v67, v61, v64
	v_add_f32_e32 v74, v66, v67
	ds_read_b128 v[66:69], v102 offset:752
	v_fma_f32 v3, v44, v48, -v3
	v_add_f32_e32 v2, v2, v3
	v_mul_f32_e32 v3, v51, v55
	v_fma_f32 v3, v50, v54, -v3
	s_waitcnt lgkmcnt(0)
	v_mul_f32_e32 v75, v66, v71
	v_fmac_f32_e32 v75, v67, v70
	v_add_f32_e32 v74, v74, v75
	v_mul_f32_e32 v75, v68, v73
	v_fmac_f32_e32 v75, v69, v72
	v_add_f32_e32 v82, v74, v75
	ds_read_b128 v[74:77], v102 offset:768
	v_add_f32_e32 v2, v2, v3
	v_mul_f32_e32 v3, v53, v57
	v_fma_f32 v3, v52, v56, -v3
	v_add_f32_e32 v2, v2, v3
	s_waitcnt lgkmcnt(0)
	v_mul_f32_e32 v83, v74, v79
	v_fmac_f32_e32 v83, v75, v78
	v_add_f32_e32 v82, v82, v83
	v_mul_f32_e32 v83, v76, v81
	v_fmac_f32_e32 v83, v77, v80
	v_add_f32_e32 v90, v82, v83
	ds_read_b128 v[82:85], v102 offset:784
	v_mul_f32_e32 v3, v59, v63
	v_fma_f32 v3, v58, v62, -v3
	v_add_f32_e32 v2, v2, v3
	v_mul_f32_e32 v3, v61, v65
	s_waitcnt lgkmcnt(0)
	v_mul_f32_e32 v91, v82, v87
	v_fmac_f32_e32 v91, v83, v86
	v_add_f32_e32 v90, v90, v91
	v_mul_f32_e32 v91, v84, v89
	v_fmac_f32_e32 v91, v85, v88
	v_add_f32_e32 v98, v90, v91
	ds_read_b128 v[90:93], v102 offset:800
	v_fma_f32 v3, v60, v64, -v3
	v_add_f32_e32 v2, v2, v3
	v_mul_f32_e32 v3, v67, v71
	v_fma_f32 v3, v66, v70, -v3
	s_waitcnt lgkmcnt(0)
	v_mul_f32_e32 v99, v90, v95
	v_fmac_f32_e32 v99, v91, v94
	v_add_f32_e32 v98, v98, v99
	v_mul_f32_e32 v99, v92, v97
	v_fmac_f32_e32 v99, v93, v96
	v_add_f32_e32 v103, v98, v99
	ds_read_b128 v[98:101], v102 offset:816
	v_add_f32_e32 v2, v2, v3
	v_mul_f32_e32 v3, v69, v73
	v_fma_f32 v3, v68, v72, -v3
	v_add_f32_e32 v2, v2, v3
	s_waitcnt lgkmcnt(0)
	v_mul_f32_e32 v108, v98, v105
	v_fmac_f32_e32 v108, v99, v104
	v_add_f32_e32 v103, v103, v108
	v_mul_f32_e32 v108, v100, v107
	v_fmac_f32_e32 v108, v101, v106
	v_add_f32_e32 v103, v103, v108
	ds_read_b128 v[108:111], v102 offset:832
	v_mul_f32_e32 v3, v75, v79
	v_fma_f32 v3, v74, v78, -v3
	v_add_f32_e32 v2, v2, v3
	v_mul_f32_e32 v3, v77, v81
	s_waitcnt lgkmcnt(0)
	v_mul_f32_e32 v116, v108, v113
	v_fmac_f32_e32 v116, v109, v112
	v_add_f32_e32 v103, v103, v116
	v_mul_f32_e32 v116, v110, v115
	v_fmac_f32_e32 v116, v111, v114
	v_add_f32_e32 v103, v103, v116
	ds_read_b128 v[116:119], v102 offset:848
	v_fma_f32 v3, v76, v80, -v3
	v_add_f32_e32 v2, v2, v3
	v_mul_f32_e32 v3, v83, v87
	v_fma_f32 v3, v82, v86, -v3
	s_waitcnt lgkmcnt(0)
	v_mul_f32_e32 v124, v116, v121
	v_fmac_f32_e32 v124, v117, v120
	v_add_f32_e32 v103, v103, v124
	v_mul_f32_e32 v124, v118, v123
	v_fmac_f32_e32 v124, v119, v122
	v_add_f32_e32 v103, v103, v124
	ds_read_b128 v[124:127], v102 offset:864
	v_add_f32_e32 v2, v2, v3
	v_mul_f32_e32 v3, v85, v89
	v_fma_f32 v3, v84, v88, -v3
	v_add_f32_e32 v2, v2, v3
	s_waitcnt lgkmcnt(0)
	v_mul_f32_e32 v132, v124, v129
	v_fmac_f32_e32 v132, v125, v128
	v_add_f32_e32 v103, v103, v132
	v_mul_f32_e32 v132, v126, v131
	v_fmac_f32_e32 v132, v127, v130
	v_add_f32_e32 v149, v103, v132
	ds_read_b128 v[132:135], v102 offset:880
	scratch_load_dwordx4 v[140:143], off, off offset:416
	scratch_load_dwordx4 v[144:147], off, off offset:432
	;; [unrolled: 1-line block ×4, first 2 shown]
	v_mul_f32_e32 v3, v91, v95
	v_fma_f32 v3, v90, v94, -v3
	v_add_f32_e32 v2, v2, v3
	v_mul_f32_e32 v3, v93, v97
	v_fma_f32 v3, v92, v96, -v3
	v_add_f32_e32 v2, v2, v3
	;; [unrolled: 3-line block ×10, first 2 shown]
	s_waitcnt lgkmcnt(0)
	v_mul_f32_e32 v2, v133, v137
	v_fma_f32 v174, v132, v136, -v2
	v_mul_f32_e32 v2, v135, v139
	v_fma_f32 v176, v134, v138, -v2
	ds_read_b128 v[2:5], v102 offset:896
	ds_read_b128 v[6:9], v102 offset:912
	;; [unrolled: 1-line block ×4, first 2 shown]
	v_mul_f32_e32 v175, v132, v137
	v_fmac_f32_e32 v175, v133, v136
	v_mul_f32_e32 v177, v134, v139
	v_fmac_f32_e32 v177, v135, v138
	v_pk_add_f32 v[18:19], v[148:149], v[174:175]
	s_waitcnt vmcnt(3) lgkmcnt(3)
	v_pk_mul_f32 v[20:21], v[2:3], v[140:141] op_sel:[1,1] op_sel_hi:[0,1]
	v_pk_fma_f32 v[22:23], v[2:3], v[140:141], v[20:21] neg_lo:[0,0,1] neg_hi:[0,0,1]
	v_pk_fma_f32 v[2:3], v[2:3], v[140:141], v[20:21] op_sel_hi:[1,0,1]
	v_pk_add_f32 v[18:19], v[18:19], v[176:177]
	v_mov_b32_e32 v23, v3
	v_pk_add_f32 v[2:3], v[18:19], v[22:23]
	v_mov_b32_e32 v18, v143
	v_pk_mul_f32 v[18:19], v[4:5], v[18:19] op_sel:[1,0] op_sel_hi:[0,0]
	v_pk_fma_f32 v[20:21], v[4:5], v[142:143], v[18:19] neg_lo:[0,0,1] neg_hi:[0,0,1]
	v_pk_fma_f32 v[4:5], v[4:5], v[142:143], v[18:19] op_sel_hi:[1,0,1]
	s_nop 0
	v_mov_b32_e32 v21, v5
	s_waitcnt vmcnt(2) lgkmcnt(2)
	v_pk_mul_f32 v[4:5], v[6:7], v[144:145] op_sel:[1,1] op_sel_hi:[0,1]
	v_pk_fma_f32 v[18:19], v[6:7], v[144:145], v[4:5] neg_lo:[0,0,1] neg_hi:[0,0,1]
	v_pk_fma_f32 v[4:5], v[6:7], v[144:145], v[4:5] op_sel_hi:[1,0,1]
	v_pk_add_f32 v[2:3], v[2:3], v[20:21]
	v_mov_b32_e32 v4, v147
	v_mov_b32_e32 v19, v5
	v_pk_mul_f32 v[4:5], v[8:9], v[4:5] op_sel:[1,0] op_sel_hi:[0,0]
	v_pk_fma_f32 v[6:7], v[8:9], v[146:147], v[4:5] neg_lo:[0,0,1] neg_hi:[0,0,1]
	v_pk_fma_f32 v[4:5], v[8:9], v[146:147], v[4:5] op_sel_hi:[1,0,1]
	v_pk_add_f32 v[2:3], v[2:3], v[18:19]
	v_mov_b32_e32 v7, v5
	s_waitcnt vmcnt(1) lgkmcnt(1)
	v_pk_mul_f32 v[4:5], v[10:11], v[166:167] op_sel:[1,1] op_sel_hi:[0,1]
	v_pk_add_f32 v[2:3], v[2:3], v[6:7]
	v_pk_fma_f32 v[6:7], v[10:11], v[166:167], v[4:5] neg_lo:[0,0,1] neg_hi:[0,0,1]
	v_pk_fma_f32 v[4:5], v[10:11], v[166:167], v[4:5] op_sel_hi:[1,0,1]
	s_nop 0
	v_mov_b32_e32 v4, v169
	v_mov_b32_e32 v7, v5
	v_pk_mul_f32 v[4:5], v[12:13], v[4:5] op_sel:[1,0] op_sel_hi:[0,0]
	v_pk_add_f32 v[2:3], v[2:3], v[6:7]
	v_pk_fma_f32 v[6:7], v[12:13], v[168:169], v[4:5] neg_lo:[0,0,1] neg_hi:[0,0,1]
	v_pk_fma_f32 v[4:5], v[12:13], v[168:169], v[4:5] op_sel_hi:[1,0,1]
	s_nop 0
	v_mov_b32_e32 v7, v5
	s_waitcnt vmcnt(0) lgkmcnt(0)
	v_pk_mul_f32 v[4:5], v[14:15], v[170:171] op_sel:[1,1] op_sel_hi:[0,1]
	v_pk_add_f32 v[2:3], v[2:3], v[6:7]
	v_pk_fma_f32 v[6:7], v[14:15], v[170:171], v[4:5] neg_lo:[0,0,1] neg_hi:[0,0,1]
	v_pk_fma_f32 v[4:5], v[14:15], v[170:171], v[4:5] op_sel_hi:[1,0,1]
	s_nop 0
	v_mov_b32_e32 v4, v173
	v_mov_b32_e32 v7, v5
	v_pk_mul_f32 v[4:5], v[16:17], v[4:5] op_sel:[1,0] op_sel_hi:[0,0]
	v_pk_add_f32 v[2:3], v[2:3], v[6:7]
	v_pk_fma_f32 v[6:7], v[16:17], v[172:173], v[4:5] neg_lo:[0,0,1] neg_hi:[0,0,1]
	v_pk_fma_f32 v[4:5], v[16:17], v[172:173], v[4:5] op_sel_hi:[1,0,1]
	s_nop 0
	v_mov_b32_e32 v7, v5
	scratch_load_dwordx2 v[4:5], off, off offset:136
	v_pk_add_f32 v[2:3], v[2:3], v[6:7]
	s_waitcnt vmcnt(0)
	v_pk_add_f32 v[2:3], v[4:5], v[2:3] neg_lo:[0,1] neg_hi:[0,1]
	scratch_store_dwordx2 off, v[2:3], off offset:136
	s_and_saveexec_b64 s[0:1], vcc
	s_cbranch_execz .LBB123_341
; %bb.340:
	scratch_load_dwordx2 v[2:3], off, off offset:128
	v_mov_b32_e32 v4, 0
	v_mov_b32_e32 v5, v4
	scratch_store_dwordx2 off, v[4:5], off offset:128
	s_waitcnt vmcnt(1)
	ds_write_b64 v1, v[2:3]
.LBB123_341:
	s_or_b64 exec, exec, s[0:1]
	s_waitcnt lgkmcnt(0)
	; wave barrier
	scratch_load_dwordx4 v[6:9], off, off offset:136
	scratch_load_dwordx4 v[14:17], off, off offset:152
	scratch_load_dwordx4 v[22:25], off, off offset:168
	scratch_load_dwordx4 v[30:33], off, off offset:184
	scratch_load_dwordx4 v[38:41], off, off offset:200
	scratch_load_dwordx4 v[46:49], off, off offset:216
	scratch_load_dwordx4 v[54:57], off, off offset:232
	scratch_load_dwordx4 v[62:65], off, off offset:248
	scratch_load_dwordx4 v[70:73], off, off offset:264
	scratch_load_dwordx4 v[78:81], off, off offset:280
	v_mov_b32_e32 v102, 0
	ds_read2_b64 v[2:5], v102 offset0:77 offset1:78
	scratch_load_dwordx4 v[86:89], off, off offset:296
	scratch_load_dwordx4 v[94:97], off, off offset:312
	;; [unrolled: 1-line block ×8, first 2 shown]
	v_cmp_lt_u32_e32 vcc, 15, v0
	s_waitcnt vmcnt(17) lgkmcnt(0)
	v_mul_f32_e32 v10, v2, v7
	v_fmac_f32_e32 v10, v3, v6
	v_mul_f32_e32 v11, v4, v9
	v_add_f32_e32 v10, 0, v10
	v_fmac_f32_e32 v11, v5, v8
	v_add_f32_e32 v18, v10, v11
	ds_read2_b64 v[10:13], v102 offset0:79 offset1:80
	v_mul_f32_e32 v3, v3, v7
	v_fma_f32 v2, v2, v6, -v3
	v_mul_f32_e32 v3, v5, v9
	v_add_f32_e32 v2, 0, v2
	s_waitcnt vmcnt(16) lgkmcnt(0)
	v_mul_f32_e32 v19, v10, v15
	v_fmac_f32_e32 v19, v11, v14
	v_add_f32_e32 v18, v18, v19
	v_mul_f32_e32 v19, v12, v17
	v_fmac_f32_e32 v19, v13, v16
	v_add_f32_e32 v26, v18, v19
	ds_read2_b64 v[18:21], v102 offset0:81 offset1:82
	v_fma_f32 v3, v4, v8, -v3
	v_add_f32_e32 v2, v2, v3
	v_mul_f32_e32 v3, v11, v15
	v_fma_f32 v3, v10, v14, -v3
	s_waitcnt vmcnt(15) lgkmcnt(0)
	v_mul_f32_e32 v27, v18, v23
	v_fmac_f32_e32 v27, v19, v22
	v_add_f32_e32 v26, v26, v27
	v_mul_f32_e32 v27, v20, v25
	v_fmac_f32_e32 v27, v21, v24
	v_add_f32_e32 v34, v26, v27
	ds_read2_b64 v[26:29], v102 offset0:83 offset1:84
	v_add_f32_e32 v2, v2, v3
	v_mul_f32_e32 v3, v13, v17
	v_fma_f32 v3, v12, v16, -v3
	v_add_f32_e32 v2, v2, v3
	s_waitcnt vmcnt(14) lgkmcnt(0)
	v_mul_f32_e32 v35, v26, v31
	v_fmac_f32_e32 v35, v27, v30
	v_add_f32_e32 v34, v34, v35
	v_mul_f32_e32 v35, v28, v33
	v_fmac_f32_e32 v35, v29, v32
	v_add_f32_e32 v42, v34, v35
	ds_read2_b64 v[34:37], v102 offset0:85 offset1:86
	v_mul_f32_e32 v3, v19, v23
	v_fma_f32 v3, v18, v22, -v3
	v_add_f32_e32 v2, v2, v3
	v_mul_f32_e32 v3, v21, v25
	s_waitcnt vmcnt(13) lgkmcnt(0)
	v_mul_f32_e32 v43, v34, v39
	v_fmac_f32_e32 v43, v35, v38
	v_add_f32_e32 v42, v42, v43
	v_mul_f32_e32 v43, v36, v41
	v_fmac_f32_e32 v43, v37, v40
	v_add_f32_e32 v50, v42, v43
	ds_read2_b64 v[42:45], v102 offset0:87 offset1:88
	v_fma_f32 v3, v20, v24, -v3
	v_add_f32_e32 v2, v2, v3
	v_mul_f32_e32 v3, v27, v31
	v_fma_f32 v3, v26, v30, -v3
	s_waitcnt vmcnt(12) lgkmcnt(0)
	v_mul_f32_e32 v51, v42, v47
	v_fmac_f32_e32 v51, v43, v46
	v_add_f32_e32 v50, v50, v51
	v_mul_f32_e32 v51, v44, v49
	v_fmac_f32_e32 v51, v45, v48
	v_add_f32_e32 v58, v50, v51
	ds_read2_b64 v[50:53], v102 offset0:89 offset1:90
	v_add_f32_e32 v2, v2, v3
	v_mul_f32_e32 v3, v29, v33
	v_fma_f32 v3, v28, v32, -v3
	v_add_f32_e32 v2, v2, v3
	s_waitcnt vmcnt(11) lgkmcnt(0)
	v_mul_f32_e32 v59, v50, v55
	v_fmac_f32_e32 v59, v51, v54
	v_add_f32_e32 v58, v58, v59
	v_mul_f32_e32 v59, v52, v57
	v_fmac_f32_e32 v59, v53, v56
	v_add_f32_e32 v66, v58, v59
	ds_read2_b64 v[58:61], v102 offset0:91 offset1:92
	v_mul_f32_e32 v3, v35, v39
	v_fma_f32 v3, v34, v38, -v3
	v_add_f32_e32 v2, v2, v3
	v_mul_f32_e32 v3, v37, v41
	;; [unrolled: 36-line block ×5, first 2 shown]
	s_waitcnt vmcnt(1) lgkmcnt(0)
	v_mul_f32_e32 v140, v132, v137
	v_fmac_f32_e32 v140, v133, v136
	v_add_f32_e32 v149, v103, v140
	ds_read2_b64 v[140:143], v102 offset0:111 offset1:112
	scratch_load_dwordx4 v[166:169], off, off offset:424
	scratch_load_dwordx4 v[170:173], off, off offset:440
	;; [unrolled: 1-line block ×3, first 2 shown]
	scratch_load_dwordx2 v[182:183], off, off offset:472
	v_fma_f32 v3, v84, v88, -v3
	v_add_f32_e32 v2, v2, v3
	v_mul_f32_e32 v3, v91, v95
	v_fma_f32 v3, v90, v94, -v3
	v_add_f32_e32 v2, v2, v3
	v_mul_f32_e32 v3, v93, v97
	;; [unrolled: 3-line block ×12, first 2 shown]
	v_mul_f32_e32 v179, v134, v139
	v_fma_f32 v178, v134, v138, -v2
	s_waitcnt vmcnt(4) lgkmcnt(0)
	v_mul_f32_e32 v2, v141, v145
	v_mov_b32_e32 v18, v147
	v_fmac_f32_e32 v179, v135, v138
	v_mul_f32_e32 v181, v140, v145
	v_fma_f32 v180, v140, v144, -v2
	ds_read2_b64 v[2:5], v102 offset0:113 offset1:114
	ds_read2_b64 v[6:9], v102 offset0:115 offset1:116
	;; [unrolled: 1-line block ×3, first 2 shown]
	ds_read_b64 v[14:15], v102 offset:952
	v_pk_mul_f32 v[18:19], v[142:143], v[18:19] op_sel:[1,0] op_sel_hi:[0,0]
	v_fmac_f32_e32 v181, v141, v144
	v_pk_add_f32 v[16:17], v[148:149], v[178:179]
	v_pk_fma_f32 v[20:21], v[142:143], v[146:147], v[18:19] neg_lo:[0,0,1] neg_hi:[0,0,1]
	v_pk_fma_f32 v[18:19], v[142:143], v[146:147], v[18:19] op_sel_hi:[1,0,1]
	v_pk_add_f32 v[16:17], v[16:17], v[180:181]
	v_mov_b32_e32 v21, v19
	v_pk_add_f32 v[16:17], v[16:17], v[20:21]
	s_waitcnt vmcnt(3) lgkmcnt(3)
	v_pk_mul_f32 v[18:19], v[2:3], v[166:167] op_sel:[1,1] op_sel_hi:[0,1]
	v_pk_fma_f32 v[20:21], v[2:3], v[166:167], v[18:19] neg_lo:[0,0,1] neg_hi:[0,0,1]
	v_pk_fma_f32 v[2:3], v[2:3], v[166:167], v[18:19] op_sel_hi:[1,0,1]
	s_nop 0
	v_mov_b32_e32 v21, v3
	v_pk_add_f32 v[2:3], v[16:17], v[20:21]
	v_mov_b32_e32 v16, v169
	v_pk_mul_f32 v[16:17], v[4:5], v[16:17] op_sel:[1,0] op_sel_hi:[0,0]
	v_pk_fma_f32 v[18:19], v[4:5], v[168:169], v[16:17] neg_lo:[0,0,1] neg_hi:[0,0,1]
	v_pk_fma_f32 v[4:5], v[4:5], v[168:169], v[16:17] op_sel_hi:[1,0,1]
	s_nop 0
	v_mov_b32_e32 v19, v5
	s_waitcnt vmcnt(2) lgkmcnt(2)
	v_pk_mul_f32 v[4:5], v[6:7], v[170:171] op_sel:[1,1] op_sel_hi:[0,1]
	v_pk_fma_f32 v[16:17], v[6:7], v[170:171], v[4:5] neg_lo:[0,0,1] neg_hi:[0,0,1]
	v_pk_fma_f32 v[4:5], v[6:7], v[170:171], v[4:5] op_sel_hi:[1,0,1]
	v_pk_add_f32 v[2:3], v[2:3], v[18:19]
	v_mov_b32_e32 v4, v173
	v_mov_b32_e32 v17, v5
	v_pk_mul_f32 v[4:5], v[8:9], v[4:5] op_sel:[1,0] op_sel_hi:[0,0]
	v_pk_fma_f32 v[6:7], v[8:9], v[172:173], v[4:5] neg_lo:[0,0,1] neg_hi:[0,0,1]
	v_pk_fma_f32 v[4:5], v[8:9], v[172:173], v[4:5] op_sel_hi:[1,0,1]
	v_pk_add_f32 v[2:3], v[2:3], v[16:17]
	v_mov_b32_e32 v7, v5
	s_waitcnt vmcnt(1) lgkmcnt(1)
	v_pk_mul_f32 v[4:5], v[10:11], v[174:175] op_sel:[1,1] op_sel_hi:[0,1]
	v_pk_add_f32 v[2:3], v[2:3], v[6:7]
	v_pk_fma_f32 v[6:7], v[10:11], v[174:175], v[4:5] neg_lo:[0,0,1] neg_hi:[0,0,1]
	v_pk_fma_f32 v[4:5], v[10:11], v[174:175], v[4:5] op_sel_hi:[1,0,1]
	s_nop 0
	v_mov_b32_e32 v4, v177
	v_mov_b32_e32 v7, v5
	v_pk_mul_f32 v[4:5], v[12:13], v[4:5] op_sel:[1,0] op_sel_hi:[0,0]
	v_pk_add_f32 v[2:3], v[2:3], v[6:7]
	v_pk_fma_f32 v[6:7], v[12:13], v[176:177], v[4:5] neg_lo:[0,0,1] neg_hi:[0,0,1]
	v_pk_fma_f32 v[4:5], v[12:13], v[176:177], v[4:5] op_sel_hi:[1,0,1]
	s_nop 0
	v_mov_b32_e32 v7, v5
	s_waitcnt vmcnt(0) lgkmcnt(0)
	v_pk_mul_f32 v[4:5], v[14:15], v[182:183] op_sel:[1,1] op_sel_hi:[0,1]
	v_pk_add_f32 v[2:3], v[2:3], v[6:7]
	v_pk_fma_f32 v[6:7], v[14:15], v[182:183], v[4:5] neg_lo:[0,0,1] neg_hi:[0,0,1]
	v_pk_fma_f32 v[4:5], v[14:15], v[182:183], v[4:5] op_sel_hi:[1,0,1]
	s_nop 0
	v_mov_b32_e32 v7, v5
	scratch_load_dwordx2 v[4:5], off, off offset:128
	v_pk_add_f32 v[2:3], v[2:3], v[6:7]
	s_waitcnt vmcnt(0)
	v_pk_add_f32 v[2:3], v[4:5], v[2:3] neg_lo:[0,1] neg_hi:[0,1]
	scratch_store_dwordx2 off, v[2:3], off offset:128
	s_and_saveexec_b64 s[0:1], vcc
	s_cbranch_execz .LBB123_343
; %bb.342:
	scratch_load_dwordx2 v[2:3], off, off offset:120
	v_mov_b32_e32 v103, v102
	scratch_store_dwordx2 off, v[102:103], off offset:120
	s_waitcnt vmcnt(1)
	ds_write_b64 v1, v[2:3]
.LBB123_343:
	s_or_b64 exec, exec, s[0:1]
	s_waitcnt lgkmcnt(0)
	; wave barrier
	ds_read_b128 v[14:17], v102 offset:608
	ds_read_b128 v[10:13], v102 offset:624
	;; [unrolled: 1-line block ×4, first 2 shown]
	scratch_load_dwordx4 v[18:21], off, off offset:128
	scratch_load_dwordx4 v[38:41], off, off offset:192
	;; [unrolled: 1-line block ×12, first 2 shown]
	v_cmp_lt_u32_e32 vcc, 14, v0
	scratch_load_dwordx4 v[46:49], off, off offset:208
	scratch_load_dwordx4 v[54:57], off, off offset:224
	;; [unrolled: 1-line block ×3, first 2 shown]
	s_waitcnt vmcnt(14) lgkmcnt(3)
	v_mul_f32_e32 v22, v14, v19
	v_fmac_f32_e32 v22, v15, v18
	v_mul_f32_e32 v23, v16, v21
	v_add_f32_e32 v22, 0, v22
	v_fmac_f32_e32 v23, v17, v20
	v_add_f32_e32 v26, v22, v23
	scratch_load_dwordx4 v[22:25], off, off offset:144
	v_mul_f32_e32 v15, v15, v19
	v_fma_f32 v14, v14, v18, -v15
	v_mul_f32_e32 v15, v17, v21
	v_add_f32_e32 v14, 0, v14
	v_fma_f32 v15, v16, v20, -v15
	v_add_f32_e32 v14, v14, v15
	s_waitcnt vmcnt(0) lgkmcnt(2)
	v_mul_f32_e32 v27, v10, v23
	v_fmac_f32_e32 v27, v11, v22
	v_add_f32_e32 v26, v26, v27
	v_mul_f32_e32 v27, v12, v25
	v_fmac_f32_e32 v27, v13, v24
	v_add_f32_e32 v30, v26, v27
	scratch_load_dwordx4 v[26:29], off, off offset:160
	v_mul_f32_e32 v11, v11, v23
	v_fma_f32 v10, v10, v22, -v11
	v_mul_f32_e32 v11, v13, v25
	v_add_f32_e32 v10, v14, v10
	v_fma_f32 v11, v12, v24, -v11
	v_add_f32_e32 v10, v10, v11
	s_waitcnt vmcnt(0) lgkmcnt(1)
	v_mul_f32_e32 v31, v6, v27
	v_fmac_f32_e32 v31, v7, v26
	v_add_f32_e32 v30, v30, v31
	v_mul_f32_e32 v31, v8, v29
	;; [unrolled: 14-line block ×3, first 2 shown]
	v_fmac_f32_e32 v35, v5, v32
	v_add_f32_e32 v42, v34, v35
	ds_read_b128 v[34:37], v102 offset:672
	v_mul_f32_e32 v3, v3, v31
	v_fma_f32 v2, v2, v30, -v3
	v_mul_f32_e32 v3, v5, v33
	v_add_f32_e32 v2, v6, v2
	s_waitcnt lgkmcnt(0)
	v_mul_f32_e32 v43, v34, v39
	v_fmac_f32_e32 v43, v35, v38
	v_add_f32_e32 v42, v42, v43
	v_mul_f32_e32 v43, v36, v41
	v_fmac_f32_e32 v43, v37, v40
	v_add_f32_e32 v50, v42, v43
	ds_read_b128 v[42:45], v102 offset:688
	v_fma_f32 v3, v4, v32, -v3
	v_add_f32_e32 v2, v2, v3
	v_mul_f32_e32 v3, v35, v39
	v_fma_f32 v3, v34, v38, -v3
	s_waitcnt lgkmcnt(0)
	v_mul_f32_e32 v51, v42, v47
	v_fmac_f32_e32 v51, v43, v46
	v_add_f32_e32 v50, v50, v51
	v_mul_f32_e32 v51, v44, v49
	v_fmac_f32_e32 v51, v45, v48
	v_add_f32_e32 v58, v50, v51
	ds_read_b128 v[50:53], v102 offset:704
	v_add_f32_e32 v2, v2, v3
	v_mul_f32_e32 v3, v37, v41
	v_fma_f32 v3, v36, v40, -v3
	v_add_f32_e32 v2, v2, v3
	s_waitcnt lgkmcnt(0)
	v_mul_f32_e32 v59, v50, v55
	v_fmac_f32_e32 v59, v51, v54
	v_add_f32_e32 v58, v58, v59
	v_mul_f32_e32 v59, v52, v57
	v_fmac_f32_e32 v59, v53, v56
	v_add_f32_e32 v66, v58, v59
	ds_read_b128 v[58:61], v102 offset:720
	v_mul_f32_e32 v3, v43, v47
	v_fma_f32 v3, v42, v46, -v3
	v_add_f32_e32 v2, v2, v3
	v_mul_f32_e32 v3, v45, v49
	s_waitcnt lgkmcnt(0)
	v_mul_f32_e32 v67, v58, v63
	v_fmac_f32_e32 v67, v59, v62
	v_add_f32_e32 v66, v66, v67
	v_mul_f32_e32 v67, v60, v65
	v_fmac_f32_e32 v67, v61, v64
	v_add_f32_e32 v74, v66, v67
	ds_read_b128 v[66:69], v102 offset:736
	v_fma_f32 v3, v44, v48, -v3
	v_add_f32_e32 v2, v2, v3
	v_mul_f32_e32 v3, v51, v55
	v_fma_f32 v3, v50, v54, -v3
	s_waitcnt lgkmcnt(0)
	v_mul_f32_e32 v75, v66, v71
	v_fmac_f32_e32 v75, v67, v70
	v_add_f32_e32 v74, v74, v75
	v_mul_f32_e32 v75, v68, v73
	v_fmac_f32_e32 v75, v69, v72
	v_add_f32_e32 v82, v74, v75
	ds_read_b128 v[74:77], v102 offset:752
	v_add_f32_e32 v2, v2, v3
	v_mul_f32_e32 v3, v53, v57
	v_fma_f32 v3, v52, v56, -v3
	v_add_f32_e32 v2, v2, v3
	s_waitcnt lgkmcnt(0)
	v_mul_f32_e32 v83, v74, v79
	v_fmac_f32_e32 v83, v75, v78
	v_add_f32_e32 v82, v82, v83
	v_mul_f32_e32 v83, v76, v81
	v_fmac_f32_e32 v83, v77, v80
	v_add_f32_e32 v90, v82, v83
	ds_read_b128 v[82:85], v102 offset:768
	v_mul_f32_e32 v3, v59, v63
	v_fma_f32 v3, v58, v62, -v3
	v_add_f32_e32 v2, v2, v3
	v_mul_f32_e32 v3, v61, v65
	;; [unrolled: 36-line block ×4, first 2 shown]
	s_waitcnt lgkmcnt(0)
	v_mul_f32_e32 v140, v132, v137
	v_fmac_f32_e32 v140, v133, v136
	v_add_f32_e32 v103, v103, v140
	v_mul_f32_e32 v140, v134, v139
	v_fmac_f32_e32 v140, v135, v138
	v_add_f32_e32 v149, v103, v140
	ds_read_b128 v[140:143], v102 offset:880
	scratch_load_dwordx4 v[166:169], off, off offset:416
	scratch_load_dwordx4 v[170:173], off, off offset:432
	;; [unrolled: 1-line block ×4, first 2 shown]
	v_fma_f32 v3, v92, v96, -v3
	v_add_f32_e32 v2, v2, v3
	v_mul_f32_e32 v3, v99, v105
	v_fma_f32 v3, v98, v104, -v3
	v_add_f32_e32 v2, v2, v3
	v_mul_f32_e32 v3, v101, v107
	;; [unrolled: 3-line block ×10, first 2 shown]
	v_fma_f32 v3, v134, v138, -v3
	v_add_f32_e32 v148, v2, v3
	s_waitcnt lgkmcnt(0)
	v_mul_f32_e32 v2, v141, v145
	v_fma_f32 v182, v140, v144, -v2
	v_mul_f32_e32 v2, v143, v147
	v_fma_f32 v184, v142, v146, -v2
	ds_read_b128 v[2:5], v102 offset:896
	ds_read_b128 v[6:9], v102 offset:912
	;; [unrolled: 1-line block ×4, first 2 shown]
	v_mul_f32_e32 v183, v140, v145
	v_fmac_f32_e32 v183, v141, v144
	v_mul_f32_e32 v185, v142, v147
	v_fmac_f32_e32 v185, v143, v146
	v_pk_add_f32 v[18:19], v[148:149], v[182:183]
	s_waitcnt vmcnt(3) lgkmcnt(3)
	v_pk_mul_f32 v[20:21], v[2:3], v[166:167] op_sel:[1,1] op_sel_hi:[0,1]
	v_pk_fma_f32 v[22:23], v[2:3], v[166:167], v[20:21] neg_lo:[0,0,1] neg_hi:[0,0,1]
	v_pk_fma_f32 v[2:3], v[2:3], v[166:167], v[20:21] op_sel_hi:[1,0,1]
	v_pk_add_f32 v[18:19], v[18:19], v[184:185]
	v_mov_b32_e32 v23, v3
	v_pk_add_f32 v[2:3], v[18:19], v[22:23]
	v_mov_b32_e32 v18, v169
	v_pk_mul_f32 v[18:19], v[4:5], v[18:19] op_sel:[1,0] op_sel_hi:[0,0]
	v_pk_fma_f32 v[20:21], v[4:5], v[168:169], v[18:19] neg_lo:[0,0,1] neg_hi:[0,0,1]
	v_pk_fma_f32 v[4:5], v[4:5], v[168:169], v[18:19] op_sel_hi:[1,0,1]
	s_nop 0
	v_mov_b32_e32 v21, v5
	s_waitcnt vmcnt(2) lgkmcnt(2)
	v_pk_mul_f32 v[4:5], v[6:7], v[170:171] op_sel:[1,1] op_sel_hi:[0,1]
	v_pk_fma_f32 v[18:19], v[6:7], v[170:171], v[4:5] neg_lo:[0,0,1] neg_hi:[0,0,1]
	v_pk_fma_f32 v[4:5], v[6:7], v[170:171], v[4:5] op_sel_hi:[1,0,1]
	v_pk_add_f32 v[2:3], v[2:3], v[20:21]
	v_mov_b32_e32 v4, v173
	v_mov_b32_e32 v19, v5
	v_pk_mul_f32 v[4:5], v[8:9], v[4:5] op_sel:[1,0] op_sel_hi:[0,0]
	v_pk_fma_f32 v[6:7], v[8:9], v[172:173], v[4:5] neg_lo:[0,0,1] neg_hi:[0,0,1]
	v_pk_fma_f32 v[4:5], v[8:9], v[172:173], v[4:5] op_sel_hi:[1,0,1]
	v_pk_add_f32 v[2:3], v[2:3], v[18:19]
	v_mov_b32_e32 v7, v5
	s_waitcnt vmcnt(1) lgkmcnt(1)
	v_pk_mul_f32 v[4:5], v[10:11], v[174:175] op_sel:[1,1] op_sel_hi:[0,1]
	v_pk_add_f32 v[2:3], v[2:3], v[6:7]
	v_pk_fma_f32 v[6:7], v[10:11], v[174:175], v[4:5] neg_lo:[0,0,1] neg_hi:[0,0,1]
	v_pk_fma_f32 v[4:5], v[10:11], v[174:175], v[4:5] op_sel_hi:[1,0,1]
	s_nop 0
	v_mov_b32_e32 v4, v177
	v_mov_b32_e32 v7, v5
	v_pk_mul_f32 v[4:5], v[12:13], v[4:5] op_sel:[1,0] op_sel_hi:[0,0]
	v_pk_add_f32 v[2:3], v[2:3], v[6:7]
	v_pk_fma_f32 v[6:7], v[12:13], v[176:177], v[4:5] neg_lo:[0,0,1] neg_hi:[0,0,1]
	v_pk_fma_f32 v[4:5], v[12:13], v[176:177], v[4:5] op_sel_hi:[1,0,1]
	s_nop 0
	v_mov_b32_e32 v7, v5
	s_waitcnt vmcnt(0) lgkmcnt(0)
	v_pk_mul_f32 v[4:5], v[14:15], v[178:179] op_sel:[1,1] op_sel_hi:[0,1]
	v_pk_add_f32 v[2:3], v[2:3], v[6:7]
	v_pk_fma_f32 v[6:7], v[14:15], v[178:179], v[4:5] neg_lo:[0,0,1] neg_hi:[0,0,1]
	v_pk_fma_f32 v[4:5], v[14:15], v[178:179], v[4:5] op_sel_hi:[1,0,1]
	s_nop 0
	v_mov_b32_e32 v4, v181
	v_mov_b32_e32 v7, v5
	v_pk_mul_f32 v[4:5], v[16:17], v[4:5] op_sel:[1,0] op_sel_hi:[0,0]
	v_pk_add_f32 v[2:3], v[2:3], v[6:7]
	v_pk_fma_f32 v[6:7], v[16:17], v[180:181], v[4:5] neg_lo:[0,0,1] neg_hi:[0,0,1]
	v_pk_fma_f32 v[4:5], v[16:17], v[180:181], v[4:5] op_sel_hi:[1,0,1]
	s_nop 0
	v_mov_b32_e32 v7, v5
	scratch_load_dwordx2 v[4:5], off, off offset:120
	v_pk_add_f32 v[2:3], v[2:3], v[6:7]
	s_waitcnt vmcnt(0)
	v_pk_add_f32 v[2:3], v[4:5], v[2:3] neg_lo:[0,1] neg_hi:[0,1]
	scratch_store_dwordx2 off, v[2:3], off offset:120
	s_and_saveexec_b64 s[0:1], vcc
	s_cbranch_execz .LBB123_345
; %bb.344:
	scratch_load_dwordx2 v[2:3], off, off offset:112
	v_mov_b32_e32 v4, 0
	v_mov_b32_e32 v5, v4
	scratch_store_dwordx2 off, v[4:5], off offset:112
	s_waitcnt vmcnt(1)
	ds_write_b64 v1, v[2:3]
.LBB123_345:
	s_or_b64 exec, exec, s[0:1]
	s_waitcnt lgkmcnt(0)
	; wave barrier
	scratch_load_dwordx4 v[6:9], off, off offset:120
	scratch_load_dwordx4 v[14:17], off, off offset:136
	scratch_load_dwordx4 v[22:25], off, off offset:152
	scratch_load_dwordx4 v[30:33], off, off offset:168
	scratch_load_dwordx4 v[38:41], off, off offset:184
	scratch_load_dwordx4 v[46:49], off, off offset:200
	scratch_load_dwordx4 v[54:57], off, off offset:216
	scratch_load_dwordx4 v[62:65], off, off offset:232
	scratch_load_dwordx4 v[70:73], off, off offset:248
	scratch_load_dwordx4 v[78:81], off, off offset:264
	v_mov_b32_e32 v110, 0
	ds_read2_b64 v[2:5], v110 offset0:75 offset1:76
	ds_read2_b64 v[166:169], v110 offset0:111 offset1:112
	scratch_load_dwordx4 v[86:89], off, off offset:280
	scratch_load_dwordx4 v[94:97], off, off offset:296
	;; [unrolled: 1-line block ×9, first 2 shown]
	v_cmp_lt_u32_e32 vcc, 13, v0
	s_waitcnt vmcnt(18) lgkmcnt(1)
	v_mul_f32_e32 v10, v2, v7
	v_fmac_f32_e32 v10, v3, v6
	v_mul_f32_e32 v11, v4, v9
	v_add_f32_e32 v10, 0, v10
	v_fmac_f32_e32 v11, v5, v8
	v_add_f32_e32 v18, v10, v11
	ds_read2_b64 v[10:13], v110 offset0:77 offset1:78
	v_mul_f32_e32 v3, v3, v7
	v_fma_f32 v2, v2, v6, -v3
	v_mul_f32_e32 v3, v5, v9
	v_add_f32_e32 v2, 0, v2
	s_waitcnt vmcnt(17) lgkmcnt(0)
	v_mul_f32_e32 v19, v10, v15
	v_fmac_f32_e32 v19, v11, v14
	v_add_f32_e32 v18, v18, v19
	v_mul_f32_e32 v19, v12, v17
	v_fmac_f32_e32 v19, v13, v16
	v_add_f32_e32 v26, v18, v19
	ds_read2_b64 v[18:21], v110 offset0:79 offset1:80
	v_fma_f32 v3, v4, v8, -v3
	v_add_f32_e32 v2, v2, v3
	v_mul_f32_e32 v3, v11, v15
	v_fma_f32 v3, v10, v14, -v3
	s_waitcnt vmcnt(16) lgkmcnt(0)
	v_mul_f32_e32 v27, v18, v23
	v_fmac_f32_e32 v27, v19, v22
	v_add_f32_e32 v26, v26, v27
	v_mul_f32_e32 v27, v20, v25
	v_fmac_f32_e32 v27, v21, v24
	v_add_f32_e32 v34, v26, v27
	ds_read2_b64 v[26:29], v110 offset0:81 offset1:82
	v_add_f32_e32 v2, v2, v3
	v_mul_f32_e32 v3, v13, v17
	v_fma_f32 v3, v12, v16, -v3
	v_add_f32_e32 v2, v2, v3
	s_waitcnt vmcnt(15) lgkmcnt(0)
	v_mul_f32_e32 v35, v26, v31
	v_fmac_f32_e32 v35, v27, v30
	v_add_f32_e32 v34, v34, v35
	v_mul_f32_e32 v35, v28, v33
	v_fmac_f32_e32 v35, v29, v32
	v_add_f32_e32 v42, v34, v35
	ds_read2_b64 v[34:37], v110 offset0:83 offset1:84
	v_mul_f32_e32 v3, v19, v23
	v_fma_f32 v3, v18, v22, -v3
	v_add_f32_e32 v2, v2, v3
	v_mul_f32_e32 v3, v21, v25
	s_waitcnt vmcnt(14) lgkmcnt(0)
	v_mul_f32_e32 v43, v34, v39
	v_fmac_f32_e32 v43, v35, v38
	v_add_f32_e32 v42, v42, v43
	v_mul_f32_e32 v43, v36, v41
	v_fmac_f32_e32 v43, v37, v40
	v_add_f32_e32 v50, v42, v43
	ds_read2_b64 v[42:45], v110 offset0:85 offset1:86
	v_fma_f32 v3, v20, v24, -v3
	v_add_f32_e32 v2, v2, v3
	v_mul_f32_e32 v3, v27, v31
	v_fma_f32 v3, v26, v30, -v3
	s_waitcnt vmcnt(13) lgkmcnt(0)
	v_mul_f32_e32 v51, v42, v47
	v_fmac_f32_e32 v51, v43, v46
	v_add_f32_e32 v50, v50, v51
	v_mul_f32_e32 v51, v44, v49
	v_fmac_f32_e32 v51, v45, v48
	v_add_f32_e32 v58, v50, v51
	ds_read2_b64 v[50:53], v110 offset0:87 offset1:88
	v_add_f32_e32 v2, v2, v3
	v_mul_f32_e32 v3, v29, v33
	v_fma_f32 v3, v28, v32, -v3
	v_add_f32_e32 v2, v2, v3
	s_waitcnt vmcnt(12) lgkmcnt(0)
	v_mul_f32_e32 v59, v50, v55
	v_fmac_f32_e32 v59, v51, v54
	v_add_f32_e32 v58, v58, v59
	v_mul_f32_e32 v59, v52, v57
	v_fmac_f32_e32 v59, v53, v56
	v_add_f32_e32 v66, v58, v59
	ds_read2_b64 v[58:61], v110 offset0:89 offset1:90
	v_mul_f32_e32 v3, v35, v39
	v_fma_f32 v3, v34, v38, -v3
	v_add_f32_e32 v2, v2, v3
	v_mul_f32_e32 v3, v37, v41
	;; [unrolled: 36-line block ×5, first 2 shown]
	s_waitcnt vmcnt(2) lgkmcnt(0)
	v_mul_f32_e32 v140, v132, v137
	v_fmac_f32_e32 v140, v133, v136
	v_add_f32_e32 v111, v111, v140
	v_mul_f32_e32 v140, v134, v139
	v_fmac_f32_e32 v140, v135, v138
	v_add_f32_e32 v111, v111, v140
	ds_read2_b64 v[140:143], v110 offset0:109 offset1:110
	scratch_load_dwordx4 v[174:177], off, off offset:424
	scratch_load_dwordx4 v[178:181], off, off offset:440
	;; [unrolled: 1-line block ×3, first 2 shown]
	scratch_load_dwordx2 v[190:191], off, off offset:472
	v_fma_f32 v3, v84, v88, -v3
	v_add_f32_e32 v2, v2, v3
	v_mul_f32_e32 v3, v91, v95
	v_fma_f32 v3, v90, v94, -v3
	v_add_f32_e32 v2, v2, v3
	v_mul_f32_e32 v3, v93, v97
	;; [unrolled: 3-line block ×12, first 2 shown]
	v_fma_f32 v3, v134, v138, -v3
	s_waitcnt vmcnt(5) lgkmcnt(0)
	v_mul_f32_e32 v148, v140, v145
	v_add_f32_e32 v2, v2, v3
	v_mul_f32_e32 v3, v141, v145
	v_fmac_f32_e32 v148, v141, v144
	v_fma_f32 v3, v140, v144, -v3
	v_add_f32_e32 v149, v111, v148
	v_add_f32_e32 v148, v2, v3
	v_mul_f32_e32 v2, v143, v147
	v_mul_f32_e32 v187, v142, v147
	v_fma_f32 v186, v142, v146, -v2
	s_waitcnt vmcnt(4)
	v_mul_f32_e32 v2, v167, v171
	v_mov_b32_e32 v18, v173
	v_fmac_f32_e32 v187, v143, v146
	v_mul_f32_e32 v189, v166, v171
	v_fma_f32 v188, v166, v170, -v2
	ds_read2_b64 v[2:5], v110 offset0:113 offset1:114
	ds_read2_b64 v[6:9], v110 offset0:115 offset1:116
	;; [unrolled: 1-line block ×3, first 2 shown]
	ds_read_b64 v[14:15], v110 offset:952
	v_pk_mul_f32 v[18:19], v[168:169], v[18:19] op_sel:[1,0] op_sel_hi:[0,0]
	v_fmac_f32_e32 v189, v167, v170
	v_pk_add_f32 v[16:17], v[148:149], v[186:187]
	v_pk_fma_f32 v[20:21], v[168:169], v[172:173], v[18:19] neg_lo:[0,0,1] neg_hi:[0,0,1]
	v_pk_fma_f32 v[18:19], v[168:169], v[172:173], v[18:19] op_sel_hi:[1,0,1]
	v_pk_add_f32 v[16:17], v[16:17], v[188:189]
	v_mov_b32_e32 v21, v19
	v_pk_add_f32 v[16:17], v[16:17], v[20:21]
	s_waitcnt vmcnt(3) lgkmcnt(3)
	v_pk_mul_f32 v[18:19], v[2:3], v[174:175] op_sel:[1,1] op_sel_hi:[0,1]
	v_pk_fma_f32 v[20:21], v[2:3], v[174:175], v[18:19] neg_lo:[0,0,1] neg_hi:[0,0,1]
	v_pk_fma_f32 v[2:3], v[2:3], v[174:175], v[18:19] op_sel_hi:[1,0,1]
	s_nop 0
	v_mov_b32_e32 v21, v3
	v_pk_add_f32 v[2:3], v[16:17], v[20:21]
	v_mov_b32_e32 v16, v177
	v_pk_mul_f32 v[16:17], v[4:5], v[16:17] op_sel:[1,0] op_sel_hi:[0,0]
	v_pk_fma_f32 v[18:19], v[4:5], v[176:177], v[16:17] neg_lo:[0,0,1] neg_hi:[0,0,1]
	v_pk_fma_f32 v[4:5], v[4:5], v[176:177], v[16:17] op_sel_hi:[1,0,1]
	s_nop 0
	v_mov_b32_e32 v19, v5
	s_waitcnt vmcnt(2) lgkmcnt(2)
	v_pk_mul_f32 v[4:5], v[6:7], v[178:179] op_sel:[1,1] op_sel_hi:[0,1]
	v_pk_fma_f32 v[16:17], v[6:7], v[178:179], v[4:5] neg_lo:[0,0,1] neg_hi:[0,0,1]
	v_pk_fma_f32 v[4:5], v[6:7], v[178:179], v[4:5] op_sel_hi:[1,0,1]
	v_pk_add_f32 v[2:3], v[2:3], v[18:19]
	v_mov_b32_e32 v4, v181
	v_mov_b32_e32 v17, v5
	v_pk_mul_f32 v[4:5], v[8:9], v[4:5] op_sel:[1,0] op_sel_hi:[0,0]
	v_pk_fma_f32 v[6:7], v[8:9], v[180:181], v[4:5] neg_lo:[0,0,1] neg_hi:[0,0,1]
	v_pk_fma_f32 v[4:5], v[8:9], v[180:181], v[4:5] op_sel_hi:[1,0,1]
	v_pk_add_f32 v[2:3], v[2:3], v[16:17]
	v_mov_b32_e32 v7, v5
	s_waitcnt vmcnt(1) lgkmcnt(1)
	v_pk_mul_f32 v[4:5], v[10:11], v[182:183] op_sel:[1,1] op_sel_hi:[0,1]
	v_pk_add_f32 v[2:3], v[2:3], v[6:7]
	v_pk_fma_f32 v[6:7], v[10:11], v[182:183], v[4:5] neg_lo:[0,0,1] neg_hi:[0,0,1]
	v_pk_fma_f32 v[4:5], v[10:11], v[182:183], v[4:5] op_sel_hi:[1,0,1]
	s_nop 0
	v_mov_b32_e32 v4, v185
	v_mov_b32_e32 v7, v5
	v_pk_mul_f32 v[4:5], v[12:13], v[4:5] op_sel:[1,0] op_sel_hi:[0,0]
	v_pk_add_f32 v[2:3], v[2:3], v[6:7]
	v_pk_fma_f32 v[6:7], v[12:13], v[184:185], v[4:5] neg_lo:[0,0,1] neg_hi:[0,0,1]
	v_pk_fma_f32 v[4:5], v[12:13], v[184:185], v[4:5] op_sel_hi:[1,0,1]
	s_nop 0
	v_mov_b32_e32 v7, v5
	s_waitcnt vmcnt(0) lgkmcnt(0)
	v_pk_mul_f32 v[4:5], v[14:15], v[190:191] op_sel:[1,1] op_sel_hi:[0,1]
	v_pk_add_f32 v[2:3], v[2:3], v[6:7]
	v_pk_fma_f32 v[6:7], v[14:15], v[190:191], v[4:5] neg_lo:[0,0,1] neg_hi:[0,0,1]
	v_pk_fma_f32 v[4:5], v[14:15], v[190:191], v[4:5] op_sel_hi:[1,0,1]
	s_nop 0
	v_mov_b32_e32 v7, v5
	scratch_load_dwordx2 v[4:5], off, off offset:112
	v_pk_add_f32 v[2:3], v[2:3], v[6:7]
	s_waitcnt vmcnt(0)
	v_pk_add_f32 v[2:3], v[4:5], v[2:3] neg_lo:[0,1] neg_hi:[0,1]
	scratch_store_dwordx2 off, v[2:3], off offset:112
	s_and_saveexec_b64 s[0:1], vcc
	s_cbranch_execz .LBB123_347
; %bb.346:
	scratch_load_dwordx2 v[2:3], off, off offset:104
	v_mov_b32_e32 v111, v110
	scratch_store_dwordx2 off, v[110:111], off offset:104
	s_waitcnt vmcnt(1)
	ds_write_b64 v1, v[2:3]
.LBB123_347:
	s_or_b64 exec, exec, s[0:1]
	s_waitcnt lgkmcnt(0)
	; wave barrier
	ds_read_b128 v[14:17], v110 offset:592
	ds_read_b128 v[10:13], v110 offset:608
	;; [unrolled: 1-line block ×4, first 2 shown]
	scratch_load_dwordx4 v[18:21], off, off offset:112
	scratch_load_dwordx4 v[38:41], off, off offset:176
	;; [unrolled: 1-line block ×13, first 2 shown]
	v_cmp_lt_u32_e32 vcc, 12, v0
	scratch_load_dwordx4 v[46:49], off, off offset:192
	scratch_load_dwordx4 v[54:57], off, off offset:208
	;; [unrolled: 1-line block ×3, first 2 shown]
	ds_read_b128 v[166:169], v110 offset:880
	s_waitcnt vmcnt(15) lgkmcnt(4)
	v_mul_f32_e32 v22, v14, v19
	v_fmac_f32_e32 v22, v15, v18
	v_mul_f32_e32 v23, v16, v21
	v_add_f32_e32 v22, 0, v22
	v_fmac_f32_e32 v23, v17, v20
	v_add_f32_e32 v26, v22, v23
	scratch_load_dwordx4 v[22:25], off, off offset:128
	v_mul_f32_e32 v15, v15, v19
	v_fma_f32 v14, v14, v18, -v15
	v_mul_f32_e32 v15, v17, v21
	v_add_f32_e32 v14, 0, v14
	v_fma_f32 v15, v16, v20, -v15
	v_add_f32_e32 v14, v14, v15
	s_waitcnt vmcnt(4) lgkmcnt(0)
	v_mul_f32_e32 v191, v166, v171
	v_mul_f32_e32 v193, v168, v173
	v_fmac_f32_e32 v191, v167, v170
	v_fmac_f32_e32 v193, v169, v172
	s_waitcnt vmcnt(0)
	v_mul_f32_e32 v27, v10, v23
	v_fmac_f32_e32 v27, v11, v22
	v_add_f32_e32 v26, v26, v27
	v_mul_f32_e32 v27, v12, v25
	v_fmac_f32_e32 v27, v13, v24
	v_add_f32_e32 v30, v26, v27
	scratch_load_dwordx4 v[26:29], off, off offset:144
	v_mul_f32_e32 v11, v11, v23
	v_fma_f32 v10, v10, v22, -v11
	v_mul_f32_e32 v11, v13, v25
	v_add_f32_e32 v10, v14, v10
	v_fma_f32 v11, v12, v24, -v11
	v_add_f32_e32 v10, v10, v11
	s_waitcnt vmcnt(0)
	v_mul_f32_e32 v31, v6, v27
	v_fmac_f32_e32 v31, v7, v26
	v_add_f32_e32 v30, v30, v31
	v_mul_f32_e32 v31, v8, v29
	v_fmac_f32_e32 v31, v9, v28
	v_add_f32_e32 v34, v30, v31
	scratch_load_dwordx4 v[30:33], off, off offset:160
	v_mul_f32_e32 v7, v7, v27
	v_fma_f32 v6, v6, v26, -v7
	v_mul_f32_e32 v7, v9, v29
	v_add_f32_e32 v6, v10, v6
	v_fma_f32 v7, v8, v28, -v7
	v_add_f32_e32 v6, v6, v7
	s_waitcnt vmcnt(0)
	v_mul_f32_e32 v35, v2, v31
	v_fmac_f32_e32 v35, v3, v30
	v_add_f32_e32 v34, v34, v35
	v_mul_f32_e32 v35, v4, v33
	v_fmac_f32_e32 v35, v5, v32
	v_add_f32_e32 v42, v34, v35
	ds_read_b128 v[34:37], v110 offset:656
	v_mul_f32_e32 v3, v3, v31
	v_fma_f32 v2, v2, v30, -v3
	v_mul_f32_e32 v3, v5, v33
	v_add_f32_e32 v2, v6, v2
	s_waitcnt lgkmcnt(0)
	v_mul_f32_e32 v43, v34, v39
	v_fmac_f32_e32 v43, v35, v38
	v_add_f32_e32 v42, v42, v43
	v_mul_f32_e32 v43, v36, v41
	v_fmac_f32_e32 v43, v37, v40
	v_add_f32_e32 v50, v42, v43
	ds_read_b128 v[42:45], v110 offset:672
	v_fma_f32 v3, v4, v32, -v3
	v_add_f32_e32 v2, v2, v3
	v_mul_f32_e32 v3, v35, v39
	v_fma_f32 v3, v34, v38, -v3
	s_waitcnt lgkmcnt(0)
	v_mul_f32_e32 v51, v42, v47
	v_fmac_f32_e32 v51, v43, v46
	v_add_f32_e32 v50, v50, v51
	v_mul_f32_e32 v51, v44, v49
	v_fmac_f32_e32 v51, v45, v48
	v_add_f32_e32 v58, v50, v51
	ds_read_b128 v[50:53], v110 offset:688
	v_add_f32_e32 v2, v2, v3
	v_mul_f32_e32 v3, v37, v41
	v_fma_f32 v3, v36, v40, -v3
	v_add_f32_e32 v2, v2, v3
	s_waitcnt lgkmcnt(0)
	v_mul_f32_e32 v59, v50, v55
	v_fmac_f32_e32 v59, v51, v54
	v_add_f32_e32 v58, v58, v59
	v_mul_f32_e32 v59, v52, v57
	v_fmac_f32_e32 v59, v53, v56
	v_add_f32_e32 v66, v58, v59
	ds_read_b128 v[58:61], v110 offset:704
	v_mul_f32_e32 v3, v43, v47
	v_fma_f32 v3, v42, v46, -v3
	v_add_f32_e32 v2, v2, v3
	v_mul_f32_e32 v3, v45, v49
	s_waitcnt lgkmcnt(0)
	v_mul_f32_e32 v67, v58, v63
	v_fmac_f32_e32 v67, v59, v62
	v_add_f32_e32 v66, v66, v67
	v_mul_f32_e32 v67, v60, v65
	v_fmac_f32_e32 v67, v61, v64
	v_add_f32_e32 v74, v66, v67
	ds_read_b128 v[66:69], v110 offset:720
	v_fma_f32 v3, v44, v48, -v3
	v_add_f32_e32 v2, v2, v3
	v_mul_f32_e32 v3, v51, v55
	v_fma_f32 v3, v50, v54, -v3
	s_waitcnt lgkmcnt(0)
	v_mul_f32_e32 v75, v66, v71
	v_fmac_f32_e32 v75, v67, v70
	v_add_f32_e32 v74, v74, v75
	v_mul_f32_e32 v75, v68, v73
	v_fmac_f32_e32 v75, v69, v72
	v_add_f32_e32 v82, v74, v75
	ds_read_b128 v[74:77], v110 offset:736
	v_add_f32_e32 v2, v2, v3
	v_mul_f32_e32 v3, v53, v57
	v_fma_f32 v3, v52, v56, -v3
	v_add_f32_e32 v2, v2, v3
	s_waitcnt lgkmcnt(0)
	v_mul_f32_e32 v83, v74, v79
	v_fmac_f32_e32 v83, v75, v78
	v_add_f32_e32 v82, v82, v83
	v_mul_f32_e32 v83, v76, v81
	v_fmac_f32_e32 v83, v77, v80
	v_add_f32_e32 v90, v82, v83
	ds_read_b128 v[82:85], v110 offset:752
	v_mul_f32_e32 v3, v59, v63
	v_fma_f32 v3, v58, v62, -v3
	v_add_f32_e32 v2, v2, v3
	v_mul_f32_e32 v3, v61, v65
	;; [unrolled: 36-line block ×4, first 2 shown]
	s_waitcnt lgkmcnt(0)
	v_mul_f32_e32 v140, v132, v137
	v_fmac_f32_e32 v140, v133, v136
	v_add_f32_e32 v111, v111, v140
	v_mul_f32_e32 v140, v134, v139
	v_fmac_f32_e32 v140, v135, v138
	v_add_f32_e32 v111, v111, v140
	ds_read_b128 v[140:143], v110 offset:864
	scratch_load_dwordx4 v[174:177], off, off offset:416
	scratch_load_dwordx4 v[178:181], off, off offset:432
	;; [unrolled: 1-line block ×4, first 2 shown]
	v_fma_f32 v3, v92, v96, -v3
	v_add_f32_e32 v2, v2, v3
	v_mul_f32_e32 v3, v99, v103
	v_fma_f32 v3, v98, v102, -v3
	v_add_f32_e32 v2, v2, v3
	v_mul_f32_e32 v3, v101, v105
	v_fma_f32 v3, v100, v104, -v3
	v_add_f32_e32 v2, v2, v3
	v_mul_f32_e32 v3, v107, v113
	v_fma_f32 v3, v106, v112, -v3
	v_add_f32_e32 v2, v2, v3
	v_mul_f32_e32 v3, v109, v115
	v_fma_f32 v3, v108, v114, -v3
	v_add_f32_e32 v2, v2, v3
	v_mul_f32_e32 v3, v117, v121
	v_fma_f32 v3, v116, v120, -v3
	v_add_f32_e32 v2, v2, v3
	v_mul_f32_e32 v3, v119, v123
	v_fma_f32 v3, v118, v122, -v3
	v_add_f32_e32 v2, v2, v3
	v_mul_f32_e32 v3, v125, v129
	v_fma_f32 v3, v124, v128, -v3
	v_add_f32_e32 v2, v2, v3
	v_mul_f32_e32 v3, v127, v131
	v_fma_f32 v3, v126, v130, -v3
	v_add_f32_e32 v2, v2, v3
	v_mul_f32_e32 v3, v133, v137
	v_fma_f32 v3, v132, v136, -v3
	v_add_f32_e32 v2, v2, v3
	v_mul_f32_e32 v3, v135, v139
	v_fma_f32 v3, v134, v138, -v3
	s_waitcnt lgkmcnt(0)
	v_mul_f32_e32 v148, v140, v145
	v_add_f32_e32 v2, v2, v3
	v_mul_f32_e32 v3, v141, v145
	v_fmac_f32_e32 v148, v141, v144
	v_fma_f32 v3, v140, v144, -v3
	v_add_f32_e32 v111, v111, v148
	v_mul_f32_e32 v148, v142, v147
	v_add_f32_e32 v2, v2, v3
	v_mul_f32_e32 v3, v143, v147
	v_fmac_f32_e32 v148, v143, v146
	v_fma_f32 v3, v142, v146, -v3
	v_add_f32_e32 v149, v111, v148
	v_add_f32_e32 v148, v2, v3
	v_mul_f32_e32 v2, v167, v171
	v_fma_f32 v190, v166, v170, -v2
	v_mul_f32_e32 v2, v169, v173
	v_fma_f32 v192, v168, v172, -v2
	ds_read_b128 v[2:5], v110 offset:896
	ds_read_b128 v[6:9], v110 offset:912
	;; [unrolled: 1-line block ×4, first 2 shown]
	v_pk_add_f32 v[18:19], v[148:149], v[190:191]
	s_waitcnt vmcnt(3) lgkmcnt(3)
	v_pk_mul_f32 v[20:21], v[2:3], v[174:175] op_sel:[1,1] op_sel_hi:[0,1]
	v_pk_fma_f32 v[22:23], v[2:3], v[174:175], v[20:21] neg_lo:[0,0,1] neg_hi:[0,0,1]
	v_pk_fma_f32 v[2:3], v[2:3], v[174:175], v[20:21] op_sel_hi:[1,0,1]
	v_pk_add_f32 v[18:19], v[18:19], v[192:193]
	v_mov_b32_e32 v23, v3
	v_pk_add_f32 v[2:3], v[18:19], v[22:23]
	v_mov_b32_e32 v18, v177
	v_pk_mul_f32 v[18:19], v[4:5], v[18:19] op_sel:[1,0] op_sel_hi:[0,0]
	v_pk_fma_f32 v[20:21], v[4:5], v[176:177], v[18:19] neg_lo:[0,0,1] neg_hi:[0,0,1]
	v_pk_fma_f32 v[4:5], v[4:5], v[176:177], v[18:19] op_sel_hi:[1,0,1]
	s_nop 0
	v_mov_b32_e32 v21, v5
	s_waitcnt vmcnt(2) lgkmcnt(2)
	v_pk_mul_f32 v[4:5], v[6:7], v[178:179] op_sel:[1,1] op_sel_hi:[0,1]
	v_pk_fma_f32 v[18:19], v[6:7], v[178:179], v[4:5] neg_lo:[0,0,1] neg_hi:[0,0,1]
	v_pk_fma_f32 v[4:5], v[6:7], v[178:179], v[4:5] op_sel_hi:[1,0,1]
	v_pk_add_f32 v[2:3], v[2:3], v[20:21]
	v_mov_b32_e32 v4, v181
	v_mov_b32_e32 v19, v5
	v_pk_mul_f32 v[4:5], v[8:9], v[4:5] op_sel:[1,0] op_sel_hi:[0,0]
	v_pk_fma_f32 v[6:7], v[8:9], v[180:181], v[4:5] neg_lo:[0,0,1] neg_hi:[0,0,1]
	v_pk_fma_f32 v[4:5], v[8:9], v[180:181], v[4:5] op_sel_hi:[1,0,1]
	v_pk_add_f32 v[2:3], v[2:3], v[18:19]
	v_mov_b32_e32 v7, v5
	s_waitcnt vmcnt(1) lgkmcnt(1)
	v_pk_mul_f32 v[4:5], v[10:11], v[182:183] op_sel:[1,1] op_sel_hi:[0,1]
	v_pk_add_f32 v[2:3], v[2:3], v[6:7]
	v_pk_fma_f32 v[6:7], v[10:11], v[182:183], v[4:5] neg_lo:[0,0,1] neg_hi:[0,0,1]
	v_pk_fma_f32 v[4:5], v[10:11], v[182:183], v[4:5] op_sel_hi:[1,0,1]
	s_nop 0
	v_mov_b32_e32 v4, v185
	v_mov_b32_e32 v7, v5
	v_pk_mul_f32 v[4:5], v[12:13], v[4:5] op_sel:[1,0] op_sel_hi:[0,0]
	v_pk_add_f32 v[2:3], v[2:3], v[6:7]
	v_pk_fma_f32 v[6:7], v[12:13], v[184:185], v[4:5] neg_lo:[0,0,1] neg_hi:[0,0,1]
	v_pk_fma_f32 v[4:5], v[12:13], v[184:185], v[4:5] op_sel_hi:[1,0,1]
	s_nop 0
	v_mov_b32_e32 v7, v5
	s_waitcnt vmcnt(0) lgkmcnt(0)
	v_pk_mul_f32 v[4:5], v[14:15], v[186:187] op_sel:[1,1] op_sel_hi:[0,1]
	v_pk_add_f32 v[2:3], v[2:3], v[6:7]
	v_pk_fma_f32 v[6:7], v[14:15], v[186:187], v[4:5] neg_lo:[0,0,1] neg_hi:[0,0,1]
	v_pk_fma_f32 v[4:5], v[14:15], v[186:187], v[4:5] op_sel_hi:[1,0,1]
	s_nop 0
	v_mov_b32_e32 v4, v189
	v_mov_b32_e32 v7, v5
	v_pk_mul_f32 v[4:5], v[16:17], v[4:5] op_sel:[1,0] op_sel_hi:[0,0]
	v_pk_add_f32 v[2:3], v[2:3], v[6:7]
	v_pk_fma_f32 v[6:7], v[16:17], v[188:189], v[4:5] neg_lo:[0,0,1] neg_hi:[0,0,1]
	v_pk_fma_f32 v[4:5], v[16:17], v[188:189], v[4:5] op_sel_hi:[1,0,1]
	s_nop 0
	v_mov_b32_e32 v7, v5
	scratch_load_dwordx2 v[4:5], off, off offset:104
	v_pk_add_f32 v[2:3], v[2:3], v[6:7]
	s_waitcnt vmcnt(0)
	v_pk_add_f32 v[2:3], v[4:5], v[2:3] neg_lo:[0,1] neg_hi:[0,1]
	scratch_store_dwordx2 off, v[2:3], off offset:104
	s_and_saveexec_b64 s[0:1], vcc
	s_cbranch_execz .LBB123_349
; %bb.348:
	scratch_load_dwordx2 v[2:3], off, off offset:96
	v_mov_b32_e32 v4, 0
	v_mov_b32_e32 v5, v4
	scratch_store_dwordx2 off, v[4:5], off offset:96
	s_waitcnt vmcnt(1)
	ds_write_b64 v1, v[2:3]
.LBB123_349:
	s_or_b64 exec, exec, s[0:1]
	s_waitcnt lgkmcnt(0)
	; wave barrier
	scratch_load_dwordx4 v[6:9], off, off offset:104
	scratch_load_dwordx4 v[14:17], off, off offset:120
	;; [unrolled: 1-line block ×10, first 2 shown]
	v_mov_b32_e32 v118, 0
	ds_read2_b64 v[2:5], v118 offset0:73 offset1:74
	ds_read2_b64 v[166:169], v118 offset0:109 offset1:110
	scratch_load_dwordx4 v[86:89], off, off offset:264
	scratch_load_dwordx4 v[94:97], off, off offset:280
	;; [unrolled: 1-line block ×10, first 2 shown]
	v_cmp_lt_u32_e32 vcc, 11, v0
	ds_read2_b64 v[174:177], v118 offset0:111 offset1:112
	s_waitcnt vmcnt(19) lgkmcnt(2)
	v_mul_f32_e32 v10, v2, v7
	v_fmac_f32_e32 v10, v3, v6
	v_mul_f32_e32 v11, v4, v9
	v_add_f32_e32 v10, 0, v10
	v_fmac_f32_e32 v11, v5, v8
	v_add_f32_e32 v18, v10, v11
	ds_read2_b64 v[10:13], v118 offset0:75 offset1:76
	v_mul_f32_e32 v3, v3, v7
	v_fma_f32 v2, v2, v6, -v3
	v_mul_f32_e32 v3, v5, v9
	v_add_f32_e32 v2, 0, v2
	s_waitcnt vmcnt(18) lgkmcnt(0)
	v_mul_f32_e32 v19, v10, v15
	v_fmac_f32_e32 v19, v11, v14
	v_add_f32_e32 v18, v18, v19
	v_mul_f32_e32 v19, v12, v17
	v_fmac_f32_e32 v19, v13, v16
	v_add_f32_e32 v26, v18, v19
	ds_read2_b64 v[18:21], v118 offset0:77 offset1:78
	v_fma_f32 v3, v4, v8, -v3
	v_add_f32_e32 v2, v2, v3
	v_mul_f32_e32 v3, v11, v15
	v_fma_f32 v3, v10, v14, -v3
	s_waitcnt vmcnt(17) lgkmcnt(0)
	v_mul_f32_e32 v27, v18, v23
	v_fmac_f32_e32 v27, v19, v22
	v_add_f32_e32 v26, v26, v27
	v_mul_f32_e32 v27, v20, v25
	v_fmac_f32_e32 v27, v21, v24
	v_add_f32_e32 v34, v26, v27
	ds_read2_b64 v[26:29], v118 offset0:79 offset1:80
	v_add_f32_e32 v2, v2, v3
	v_mul_f32_e32 v3, v13, v17
	v_fma_f32 v3, v12, v16, -v3
	v_add_f32_e32 v2, v2, v3
	s_waitcnt vmcnt(16) lgkmcnt(0)
	v_mul_f32_e32 v35, v26, v31
	v_fmac_f32_e32 v35, v27, v30
	v_add_f32_e32 v34, v34, v35
	v_mul_f32_e32 v35, v28, v33
	v_fmac_f32_e32 v35, v29, v32
	v_add_f32_e32 v42, v34, v35
	ds_read2_b64 v[34:37], v118 offset0:81 offset1:82
	v_mul_f32_e32 v3, v19, v23
	v_fma_f32 v3, v18, v22, -v3
	v_add_f32_e32 v2, v2, v3
	v_mul_f32_e32 v3, v21, v25
	s_waitcnt vmcnt(15) lgkmcnt(0)
	v_mul_f32_e32 v43, v34, v39
	v_fmac_f32_e32 v43, v35, v38
	v_add_f32_e32 v42, v42, v43
	v_mul_f32_e32 v43, v36, v41
	v_fmac_f32_e32 v43, v37, v40
	v_add_f32_e32 v50, v42, v43
	ds_read2_b64 v[42:45], v118 offset0:83 offset1:84
	v_fma_f32 v3, v20, v24, -v3
	v_add_f32_e32 v2, v2, v3
	v_mul_f32_e32 v3, v27, v31
	v_fma_f32 v3, v26, v30, -v3
	s_waitcnt vmcnt(14) lgkmcnt(0)
	v_mul_f32_e32 v51, v42, v47
	v_fmac_f32_e32 v51, v43, v46
	v_add_f32_e32 v50, v50, v51
	v_mul_f32_e32 v51, v44, v49
	v_fmac_f32_e32 v51, v45, v48
	v_add_f32_e32 v58, v50, v51
	ds_read2_b64 v[50:53], v118 offset0:85 offset1:86
	v_add_f32_e32 v2, v2, v3
	v_mul_f32_e32 v3, v29, v33
	v_fma_f32 v3, v28, v32, -v3
	v_add_f32_e32 v2, v2, v3
	s_waitcnt vmcnt(13) lgkmcnt(0)
	v_mul_f32_e32 v59, v50, v55
	v_fmac_f32_e32 v59, v51, v54
	v_add_f32_e32 v58, v58, v59
	v_mul_f32_e32 v59, v52, v57
	v_fmac_f32_e32 v59, v53, v56
	v_add_f32_e32 v66, v58, v59
	ds_read2_b64 v[58:61], v118 offset0:87 offset1:88
	v_mul_f32_e32 v3, v35, v39
	v_fma_f32 v3, v34, v38, -v3
	v_add_f32_e32 v2, v2, v3
	v_mul_f32_e32 v3, v37, v41
	;; [unrolled: 36-line block ×5, first 2 shown]
	s_waitcnt vmcnt(3) lgkmcnt(0)
	v_mul_f32_e32 v140, v132, v137
	v_fmac_f32_e32 v140, v133, v136
	v_add_f32_e32 v119, v119, v140
	v_mul_f32_e32 v140, v134, v139
	v_fmac_f32_e32 v140, v135, v138
	v_add_f32_e32 v119, v119, v140
	ds_read2_b64 v[140:143], v118 offset0:107 offset1:108
	scratch_load_dwordx4 v[182:185], off, off offset:424
	scratch_load_dwordx4 v[186:189], off, off offset:440
	;; [unrolled: 1-line block ×3, first 2 shown]
	scratch_load_dwordx2 v[198:199], off, off offset:472
	v_fma_f32 v3, v84, v88, -v3
	v_add_f32_e32 v2, v2, v3
	v_mul_f32_e32 v3, v91, v95
	v_fma_f32 v3, v90, v94, -v3
	v_add_f32_e32 v2, v2, v3
	v_mul_f32_e32 v3, v93, v97
	;; [unrolled: 3-line block ×12, first 2 shown]
	v_fma_f32 v3, v134, v138, -v3
	s_waitcnt vmcnt(6) lgkmcnt(0)
	v_mul_f32_e32 v148, v140, v145
	v_add_f32_e32 v2, v2, v3
	v_mul_f32_e32 v3, v141, v145
	v_fmac_f32_e32 v148, v141, v144
	v_fma_f32 v3, v140, v144, -v3
	v_add_f32_e32 v119, v119, v148
	v_mul_f32_e32 v148, v142, v147
	v_add_f32_e32 v2, v2, v3
	v_mul_f32_e32 v3, v143, v147
	v_fmac_f32_e32 v148, v143, v146
	v_fma_f32 v3, v142, v146, -v3
	v_add_f32_e32 v119, v119, v148
	s_waitcnt vmcnt(5)
	v_mul_f32_e32 v148, v166, v171
	v_add_f32_e32 v2, v2, v3
	v_mul_f32_e32 v3, v167, v171
	v_fmac_f32_e32 v148, v167, v170
	v_fma_f32 v3, v166, v170, -v3
	v_add_f32_e32 v149, v119, v148
	v_add_f32_e32 v148, v2, v3
	v_mul_f32_e32 v2, v169, v173
	v_mul_f32_e32 v195, v168, v173
	v_fma_f32 v194, v168, v172, -v2
	s_waitcnt vmcnt(4)
	v_mul_f32_e32 v2, v175, v179
	v_mov_b32_e32 v18, v181
	v_fmac_f32_e32 v195, v169, v172
	v_mul_f32_e32 v197, v174, v179
	v_fma_f32 v196, v174, v178, -v2
	ds_read2_b64 v[2:5], v118 offset0:113 offset1:114
	ds_read2_b64 v[6:9], v118 offset0:115 offset1:116
	;; [unrolled: 1-line block ×3, first 2 shown]
	ds_read_b64 v[14:15], v118 offset:952
	v_pk_mul_f32 v[18:19], v[176:177], v[18:19] op_sel:[1,0] op_sel_hi:[0,0]
	v_fmac_f32_e32 v197, v175, v178
	v_pk_add_f32 v[16:17], v[148:149], v[194:195]
	v_pk_fma_f32 v[20:21], v[176:177], v[180:181], v[18:19] neg_lo:[0,0,1] neg_hi:[0,0,1]
	v_pk_fma_f32 v[18:19], v[176:177], v[180:181], v[18:19] op_sel_hi:[1,0,1]
	v_pk_add_f32 v[16:17], v[16:17], v[196:197]
	v_mov_b32_e32 v21, v19
	v_pk_add_f32 v[16:17], v[16:17], v[20:21]
	s_waitcnt vmcnt(3) lgkmcnt(3)
	v_pk_mul_f32 v[18:19], v[2:3], v[182:183] op_sel:[1,1] op_sel_hi:[0,1]
	v_pk_fma_f32 v[20:21], v[2:3], v[182:183], v[18:19] neg_lo:[0,0,1] neg_hi:[0,0,1]
	v_pk_fma_f32 v[2:3], v[2:3], v[182:183], v[18:19] op_sel_hi:[1,0,1]
	s_nop 0
	v_mov_b32_e32 v21, v3
	v_pk_add_f32 v[2:3], v[16:17], v[20:21]
	v_mov_b32_e32 v16, v185
	v_pk_mul_f32 v[16:17], v[4:5], v[16:17] op_sel:[1,0] op_sel_hi:[0,0]
	v_pk_fma_f32 v[18:19], v[4:5], v[184:185], v[16:17] neg_lo:[0,0,1] neg_hi:[0,0,1]
	v_pk_fma_f32 v[4:5], v[4:5], v[184:185], v[16:17] op_sel_hi:[1,0,1]
	s_nop 0
	v_mov_b32_e32 v19, v5
	s_waitcnt vmcnt(2) lgkmcnt(2)
	v_pk_mul_f32 v[4:5], v[6:7], v[186:187] op_sel:[1,1] op_sel_hi:[0,1]
	v_pk_fma_f32 v[16:17], v[6:7], v[186:187], v[4:5] neg_lo:[0,0,1] neg_hi:[0,0,1]
	v_pk_fma_f32 v[4:5], v[6:7], v[186:187], v[4:5] op_sel_hi:[1,0,1]
	v_pk_add_f32 v[2:3], v[2:3], v[18:19]
	v_mov_b32_e32 v4, v189
	v_mov_b32_e32 v17, v5
	v_pk_mul_f32 v[4:5], v[8:9], v[4:5] op_sel:[1,0] op_sel_hi:[0,0]
	v_pk_fma_f32 v[6:7], v[8:9], v[188:189], v[4:5] neg_lo:[0,0,1] neg_hi:[0,0,1]
	v_pk_fma_f32 v[4:5], v[8:9], v[188:189], v[4:5] op_sel_hi:[1,0,1]
	v_pk_add_f32 v[2:3], v[2:3], v[16:17]
	v_mov_b32_e32 v7, v5
	s_waitcnt vmcnt(1) lgkmcnt(1)
	v_pk_mul_f32 v[4:5], v[10:11], v[190:191] op_sel:[1,1] op_sel_hi:[0,1]
	v_pk_add_f32 v[2:3], v[2:3], v[6:7]
	v_pk_fma_f32 v[6:7], v[10:11], v[190:191], v[4:5] neg_lo:[0,0,1] neg_hi:[0,0,1]
	v_pk_fma_f32 v[4:5], v[10:11], v[190:191], v[4:5] op_sel_hi:[1,0,1]
	s_nop 0
	v_mov_b32_e32 v4, v193
	v_mov_b32_e32 v7, v5
	v_pk_mul_f32 v[4:5], v[12:13], v[4:5] op_sel:[1,0] op_sel_hi:[0,0]
	v_pk_add_f32 v[2:3], v[2:3], v[6:7]
	v_pk_fma_f32 v[6:7], v[12:13], v[192:193], v[4:5] neg_lo:[0,0,1] neg_hi:[0,0,1]
	v_pk_fma_f32 v[4:5], v[12:13], v[192:193], v[4:5] op_sel_hi:[1,0,1]
	s_nop 0
	v_mov_b32_e32 v7, v5
	s_waitcnt vmcnt(0) lgkmcnt(0)
	v_pk_mul_f32 v[4:5], v[14:15], v[198:199] op_sel:[1,1] op_sel_hi:[0,1]
	v_pk_add_f32 v[2:3], v[2:3], v[6:7]
	v_pk_fma_f32 v[6:7], v[14:15], v[198:199], v[4:5] neg_lo:[0,0,1] neg_hi:[0,0,1]
	v_pk_fma_f32 v[4:5], v[14:15], v[198:199], v[4:5] op_sel_hi:[1,0,1]
	s_nop 0
	v_mov_b32_e32 v7, v5
	scratch_load_dwordx2 v[4:5], off, off offset:96
	v_pk_add_f32 v[2:3], v[2:3], v[6:7]
	s_waitcnt vmcnt(0)
	v_pk_add_f32 v[2:3], v[4:5], v[2:3] neg_lo:[0,1] neg_hi:[0,1]
	scratch_store_dwordx2 off, v[2:3], off offset:96
	s_and_saveexec_b64 s[0:1], vcc
	s_cbranch_execz .LBB123_351
; %bb.350:
	scratch_load_dwordx2 v[2:3], off, off offset:88
	v_mov_b32_e32 v119, v118
	scratch_store_dwordx2 off, v[118:119], off offset:88
	s_waitcnt vmcnt(1)
	ds_write_b64 v1, v[2:3]
.LBB123_351:
	s_or_b64 exec, exec, s[0:1]
	s_waitcnt lgkmcnt(0)
	; wave barrier
	ds_read_b128 v[14:17], v118 offset:576
	ds_read_b128 v[10:13], v118 offset:592
	;; [unrolled: 1-line block ×4, first 2 shown]
	scratch_load_dwordx4 v[18:21], off, off offset:96
	scratch_load_dwordx4 v[38:41], off, off offset:160
	scratch_load_dwordx4 v[70:73], off, off offset:224
	scratch_load_dwordx4 v[78:81], off, off offset:240
	scratch_load_dwordx4 v[86:89], off, off offset:256
	scratch_load_dwordx4 v[94:97], off, off offset:272
	scratch_load_dwordx4 v[102:105], off, off offset:288
	scratch_load_dwordx4 v[110:113], off, off offset:304
	scratch_load_dwordx4 v[120:123], off, off offset:320
	scratch_load_dwordx4 v[128:131], off, off offset:336
	scratch_load_dwordx4 v[136:139], off, off offset:352
	scratch_load_dwordx4 v[144:147], off, off offset:368
	scratch_load_dwordx4 v[170:173], off, off offset:384
	scratch_load_dwordx4 v[178:181], off, off offset:400
	v_cmp_lt_u32_e32 vcc, 10, v0
	scratch_load_dwordx4 v[46:49], off, off offset:176
	scratch_load_dwordx4 v[54:57], off, off offset:192
	scratch_load_dwordx4 v[62:65], off, off offset:208
	ds_read_b128 v[166:169], v118 offset:864
	ds_read_b128 v[174:177], v118 offset:880
	s_waitcnt vmcnt(16) lgkmcnt(5)
	v_mul_f32_e32 v22, v14, v19
	v_fmac_f32_e32 v22, v15, v18
	v_mul_f32_e32 v23, v16, v21
	v_add_f32_e32 v22, 0, v22
	v_fmac_f32_e32 v23, v17, v20
	v_add_f32_e32 v26, v22, v23
	scratch_load_dwordx4 v[22:25], off, off offset:112
	v_mul_f32_e32 v15, v15, v19
	v_fma_f32 v14, v14, v18, -v15
	v_mul_f32_e32 v15, v17, v21
	v_add_f32_e32 v14, 0, v14
	v_fma_f32 v15, v16, v20, -v15
	v_add_f32_e32 v14, v14, v15
	s_waitcnt vmcnt(4) lgkmcnt(0)
	v_mul_f32_e32 v199, v174, v179
	v_mul_f32_e32 v201, v176, v181
	v_fmac_f32_e32 v199, v175, v178
	v_fmac_f32_e32 v201, v177, v180
	s_waitcnt vmcnt(0)
	v_mul_f32_e32 v27, v10, v23
	v_fmac_f32_e32 v27, v11, v22
	v_add_f32_e32 v26, v26, v27
	v_mul_f32_e32 v27, v12, v25
	v_fmac_f32_e32 v27, v13, v24
	v_add_f32_e32 v30, v26, v27
	scratch_load_dwordx4 v[26:29], off, off offset:128
	v_mul_f32_e32 v11, v11, v23
	v_fma_f32 v10, v10, v22, -v11
	v_mul_f32_e32 v11, v13, v25
	v_add_f32_e32 v10, v14, v10
	v_fma_f32 v11, v12, v24, -v11
	v_add_f32_e32 v10, v10, v11
	s_waitcnt vmcnt(0)
	v_mul_f32_e32 v31, v6, v27
	v_fmac_f32_e32 v31, v7, v26
	v_add_f32_e32 v30, v30, v31
	v_mul_f32_e32 v31, v8, v29
	v_fmac_f32_e32 v31, v9, v28
	v_add_f32_e32 v34, v30, v31
	scratch_load_dwordx4 v[30:33], off, off offset:144
	v_mul_f32_e32 v7, v7, v27
	v_fma_f32 v6, v6, v26, -v7
	v_mul_f32_e32 v7, v9, v29
	v_add_f32_e32 v6, v10, v6
	v_fma_f32 v7, v8, v28, -v7
	v_add_f32_e32 v6, v6, v7
	s_waitcnt vmcnt(0)
	v_mul_f32_e32 v35, v2, v31
	v_fmac_f32_e32 v35, v3, v30
	v_add_f32_e32 v34, v34, v35
	v_mul_f32_e32 v35, v4, v33
	v_fmac_f32_e32 v35, v5, v32
	v_add_f32_e32 v42, v34, v35
	ds_read_b128 v[34:37], v118 offset:640
	v_mul_f32_e32 v3, v3, v31
	v_fma_f32 v2, v2, v30, -v3
	v_mul_f32_e32 v3, v5, v33
	v_add_f32_e32 v2, v6, v2
	s_waitcnt lgkmcnt(0)
	v_mul_f32_e32 v43, v34, v39
	v_fmac_f32_e32 v43, v35, v38
	v_add_f32_e32 v42, v42, v43
	v_mul_f32_e32 v43, v36, v41
	v_fmac_f32_e32 v43, v37, v40
	v_add_f32_e32 v50, v42, v43
	ds_read_b128 v[42:45], v118 offset:656
	v_fma_f32 v3, v4, v32, -v3
	v_add_f32_e32 v2, v2, v3
	v_mul_f32_e32 v3, v35, v39
	v_fma_f32 v3, v34, v38, -v3
	s_waitcnt lgkmcnt(0)
	v_mul_f32_e32 v51, v42, v47
	v_fmac_f32_e32 v51, v43, v46
	v_add_f32_e32 v50, v50, v51
	v_mul_f32_e32 v51, v44, v49
	v_fmac_f32_e32 v51, v45, v48
	v_add_f32_e32 v58, v50, v51
	ds_read_b128 v[50:53], v118 offset:672
	v_add_f32_e32 v2, v2, v3
	v_mul_f32_e32 v3, v37, v41
	v_fma_f32 v3, v36, v40, -v3
	v_add_f32_e32 v2, v2, v3
	s_waitcnt lgkmcnt(0)
	v_mul_f32_e32 v59, v50, v55
	v_fmac_f32_e32 v59, v51, v54
	v_add_f32_e32 v58, v58, v59
	v_mul_f32_e32 v59, v52, v57
	v_fmac_f32_e32 v59, v53, v56
	v_add_f32_e32 v66, v58, v59
	ds_read_b128 v[58:61], v118 offset:688
	v_mul_f32_e32 v3, v43, v47
	v_fma_f32 v3, v42, v46, -v3
	v_add_f32_e32 v2, v2, v3
	v_mul_f32_e32 v3, v45, v49
	s_waitcnt lgkmcnt(0)
	v_mul_f32_e32 v67, v58, v63
	v_fmac_f32_e32 v67, v59, v62
	v_add_f32_e32 v66, v66, v67
	v_mul_f32_e32 v67, v60, v65
	v_fmac_f32_e32 v67, v61, v64
	v_add_f32_e32 v74, v66, v67
	ds_read_b128 v[66:69], v118 offset:704
	v_fma_f32 v3, v44, v48, -v3
	v_add_f32_e32 v2, v2, v3
	v_mul_f32_e32 v3, v51, v55
	v_fma_f32 v3, v50, v54, -v3
	s_waitcnt lgkmcnt(0)
	v_mul_f32_e32 v75, v66, v71
	v_fmac_f32_e32 v75, v67, v70
	v_add_f32_e32 v74, v74, v75
	v_mul_f32_e32 v75, v68, v73
	v_fmac_f32_e32 v75, v69, v72
	v_add_f32_e32 v82, v74, v75
	ds_read_b128 v[74:77], v118 offset:720
	v_add_f32_e32 v2, v2, v3
	v_mul_f32_e32 v3, v53, v57
	v_fma_f32 v3, v52, v56, -v3
	v_add_f32_e32 v2, v2, v3
	s_waitcnt lgkmcnt(0)
	v_mul_f32_e32 v83, v74, v79
	v_fmac_f32_e32 v83, v75, v78
	v_add_f32_e32 v82, v82, v83
	v_mul_f32_e32 v83, v76, v81
	v_fmac_f32_e32 v83, v77, v80
	v_add_f32_e32 v90, v82, v83
	ds_read_b128 v[82:85], v118 offset:736
	v_mul_f32_e32 v3, v59, v63
	v_fma_f32 v3, v58, v62, -v3
	v_add_f32_e32 v2, v2, v3
	v_mul_f32_e32 v3, v61, v65
	;; [unrolled: 36-line block ×4, first 2 shown]
	s_waitcnt lgkmcnt(0)
	v_mul_f32_e32 v140, v132, v137
	v_fmac_f32_e32 v140, v133, v136
	v_add_f32_e32 v119, v119, v140
	v_mul_f32_e32 v140, v134, v139
	v_fmac_f32_e32 v140, v135, v138
	v_add_f32_e32 v119, v119, v140
	ds_read_b128 v[140:143], v118 offset:848
	scratch_load_dwordx4 v[182:185], off, off offset:416
	scratch_load_dwordx4 v[186:189], off, off offset:432
	;; [unrolled: 1-line block ×4, first 2 shown]
	v_fma_f32 v3, v92, v96, -v3
	v_add_f32_e32 v2, v2, v3
	v_mul_f32_e32 v3, v99, v103
	v_fma_f32 v3, v98, v102, -v3
	v_add_f32_e32 v2, v2, v3
	v_mul_f32_e32 v3, v101, v105
	;; [unrolled: 3-line block ×10, first 2 shown]
	v_fma_f32 v3, v134, v138, -v3
	s_waitcnt lgkmcnt(0)
	v_mul_f32_e32 v148, v140, v145
	v_add_f32_e32 v2, v2, v3
	v_mul_f32_e32 v3, v141, v145
	v_fmac_f32_e32 v148, v141, v144
	v_fma_f32 v3, v140, v144, -v3
	v_add_f32_e32 v119, v119, v148
	v_mul_f32_e32 v148, v142, v147
	v_add_f32_e32 v2, v2, v3
	v_mul_f32_e32 v3, v143, v147
	v_fmac_f32_e32 v148, v143, v146
	v_fma_f32 v3, v142, v146, -v3
	v_add_f32_e32 v119, v119, v148
	;; [unrolled: 6-line block ×4, first 2 shown]
	v_add_f32_e32 v148, v2, v3
	v_mul_f32_e32 v2, v175, v179
	v_fma_f32 v198, v174, v178, -v2
	v_mul_f32_e32 v2, v177, v181
	v_fma_f32 v200, v176, v180, -v2
	ds_read_b128 v[2:5], v118 offset:896
	ds_read_b128 v[6:9], v118 offset:912
	;; [unrolled: 1-line block ×4, first 2 shown]
	v_pk_add_f32 v[18:19], v[148:149], v[198:199]
	s_waitcnt vmcnt(3) lgkmcnt(3)
	v_pk_mul_f32 v[20:21], v[2:3], v[182:183] op_sel:[1,1] op_sel_hi:[0,1]
	v_pk_fma_f32 v[22:23], v[2:3], v[182:183], v[20:21] neg_lo:[0,0,1] neg_hi:[0,0,1]
	v_pk_fma_f32 v[2:3], v[2:3], v[182:183], v[20:21] op_sel_hi:[1,0,1]
	v_pk_add_f32 v[18:19], v[18:19], v[200:201]
	v_mov_b32_e32 v23, v3
	v_pk_add_f32 v[2:3], v[18:19], v[22:23]
	v_mov_b32_e32 v18, v185
	v_pk_mul_f32 v[18:19], v[4:5], v[18:19] op_sel:[1,0] op_sel_hi:[0,0]
	v_pk_fma_f32 v[20:21], v[4:5], v[184:185], v[18:19] neg_lo:[0,0,1] neg_hi:[0,0,1]
	v_pk_fma_f32 v[4:5], v[4:5], v[184:185], v[18:19] op_sel_hi:[1,0,1]
	s_nop 0
	v_mov_b32_e32 v21, v5
	s_waitcnt vmcnt(2) lgkmcnt(2)
	v_pk_mul_f32 v[4:5], v[6:7], v[186:187] op_sel:[1,1] op_sel_hi:[0,1]
	v_pk_fma_f32 v[18:19], v[6:7], v[186:187], v[4:5] neg_lo:[0,0,1] neg_hi:[0,0,1]
	v_pk_fma_f32 v[4:5], v[6:7], v[186:187], v[4:5] op_sel_hi:[1,0,1]
	v_pk_add_f32 v[2:3], v[2:3], v[20:21]
	v_mov_b32_e32 v4, v189
	v_mov_b32_e32 v19, v5
	v_pk_mul_f32 v[4:5], v[8:9], v[4:5] op_sel:[1,0] op_sel_hi:[0,0]
	v_pk_fma_f32 v[6:7], v[8:9], v[188:189], v[4:5] neg_lo:[0,0,1] neg_hi:[0,0,1]
	v_pk_fma_f32 v[4:5], v[8:9], v[188:189], v[4:5] op_sel_hi:[1,0,1]
	v_pk_add_f32 v[2:3], v[2:3], v[18:19]
	v_mov_b32_e32 v7, v5
	s_waitcnt vmcnt(1) lgkmcnt(1)
	v_pk_mul_f32 v[4:5], v[10:11], v[190:191] op_sel:[1,1] op_sel_hi:[0,1]
	v_pk_add_f32 v[2:3], v[2:3], v[6:7]
	v_pk_fma_f32 v[6:7], v[10:11], v[190:191], v[4:5] neg_lo:[0,0,1] neg_hi:[0,0,1]
	v_pk_fma_f32 v[4:5], v[10:11], v[190:191], v[4:5] op_sel_hi:[1,0,1]
	s_nop 0
	v_mov_b32_e32 v4, v193
	v_mov_b32_e32 v7, v5
	v_pk_mul_f32 v[4:5], v[12:13], v[4:5] op_sel:[1,0] op_sel_hi:[0,0]
	v_pk_add_f32 v[2:3], v[2:3], v[6:7]
	v_pk_fma_f32 v[6:7], v[12:13], v[192:193], v[4:5] neg_lo:[0,0,1] neg_hi:[0,0,1]
	v_pk_fma_f32 v[4:5], v[12:13], v[192:193], v[4:5] op_sel_hi:[1,0,1]
	s_nop 0
	v_mov_b32_e32 v7, v5
	s_waitcnt vmcnt(0) lgkmcnt(0)
	v_pk_mul_f32 v[4:5], v[14:15], v[194:195] op_sel:[1,1] op_sel_hi:[0,1]
	v_pk_add_f32 v[2:3], v[2:3], v[6:7]
	v_pk_fma_f32 v[6:7], v[14:15], v[194:195], v[4:5] neg_lo:[0,0,1] neg_hi:[0,0,1]
	v_pk_fma_f32 v[4:5], v[14:15], v[194:195], v[4:5] op_sel_hi:[1,0,1]
	s_nop 0
	v_mov_b32_e32 v4, v197
	v_mov_b32_e32 v7, v5
	v_pk_mul_f32 v[4:5], v[16:17], v[4:5] op_sel:[1,0] op_sel_hi:[0,0]
	v_pk_add_f32 v[2:3], v[2:3], v[6:7]
	v_pk_fma_f32 v[6:7], v[16:17], v[196:197], v[4:5] neg_lo:[0,0,1] neg_hi:[0,0,1]
	v_pk_fma_f32 v[4:5], v[16:17], v[196:197], v[4:5] op_sel_hi:[1,0,1]
	s_nop 0
	v_mov_b32_e32 v7, v5
	scratch_load_dwordx2 v[4:5], off, off offset:88
	v_pk_add_f32 v[2:3], v[2:3], v[6:7]
	s_waitcnt vmcnt(0)
	v_pk_add_f32 v[2:3], v[4:5], v[2:3] neg_lo:[0,1] neg_hi:[0,1]
	scratch_store_dwordx2 off, v[2:3], off offset:88
	s_and_saveexec_b64 s[0:1], vcc
	s_cbranch_execz .LBB123_353
; %bb.352:
	scratch_load_dwordx2 v[2:3], off, off offset:80
	v_mov_b32_e32 v4, 0
	v_mov_b32_e32 v5, v4
	scratch_store_dwordx2 off, v[4:5], off offset:80
	s_waitcnt vmcnt(1)
	ds_write_b64 v1, v[2:3]
.LBB123_353:
	s_or_b64 exec, exec, s[0:1]
	s_waitcnt lgkmcnt(0)
	; wave barrier
	scratch_load_dwordx4 v[6:9], off, off offset:88
	scratch_load_dwordx4 v[14:17], off, off offset:104
	;; [unrolled: 1-line block ×10, first 2 shown]
	v_mov_b32_e32 v134, 0
	ds_read2_b64 v[2:5], v134 offset0:71 offset1:72
	ds_read2_b64 v[166:169], v134 offset0:107 offset1:108
	scratch_load_dwordx4 v[86:89], off, off offset:248
	scratch_load_dwordx4 v[94:97], off, off offset:264
	scratch_load_dwordx4 v[102:105], off, off offset:280
	scratch_load_dwordx4 v[110:113], off, off offset:296
	scratch_load_dwordx4 v[118:121], off, off offset:312
	scratch_load_dwordx4 v[126:129], off, off offset:328
	scratch_load_dwordx4 v[136:139], off, off offset:344
	scratch_load_dwordx4 v[144:147], off, off offset:360
	scratch_load_dwordx4 v[170:173], off, off offset:376
	scratch_load_dwordx4 v[178:181], off, off offset:392
	scratch_load_dwordx4 v[186:189], off, off offset:408
	v_cmp_lt_u32_e32 vcc, 9, v0
	ds_read2_b64 v[174:177], v134 offset0:109 offset1:110
	ds_read2_b64 v[182:185], v134 offset0:111 offset1:112
	s_waitcnt vmcnt(20) lgkmcnt(3)
	v_mul_f32_e32 v10, v2, v7
	v_fmac_f32_e32 v10, v3, v6
	v_mul_f32_e32 v11, v4, v9
	v_add_f32_e32 v10, 0, v10
	v_fmac_f32_e32 v11, v5, v8
	v_add_f32_e32 v18, v10, v11
	ds_read2_b64 v[10:13], v134 offset0:73 offset1:74
	v_mul_f32_e32 v3, v3, v7
	v_fma_f32 v2, v2, v6, -v3
	v_mul_f32_e32 v3, v5, v9
	v_add_f32_e32 v2, 0, v2
	s_waitcnt vmcnt(19) lgkmcnt(0)
	v_mul_f32_e32 v19, v10, v15
	v_fmac_f32_e32 v19, v11, v14
	v_add_f32_e32 v18, v18, v19
	v_mul_f32_e32 v19, v12, v17
	v_fmac_f32_e32 v19, v13, v16
	v_add_f32_e32 v26, v18, v19
	ds_read2_b64 v[18:21], v134 offset0:75 offset1:76
	v_fma_f32 v3, v4, v8, -v3
	v_add_f32_e32 v2, v2, v3
	v_mul_f32_e32 v3, v11, v15
	v_fma_f32 v3, v10, v14, -v3
	s_waitcnt vmcnt(18) lgkmcnt(0)
	v_mul_f32_e32 v27, v18, v23
	v_fmac_f32_e32 v27, v19, v22
	v_add_f32_e32 v26, v26, v27
	v_mul_f32_e32 v27, v20, v25
	v_fmac_f32_e32 v27, v21, v24
	v_add_f32_e32 v34, v26, v27
	ds_read2_b64 v[26:29], v134 offset0:77 offset1:78
	v_add_f32_e32 v2, v2, v3
	v_mul_f32_e32 v3, v13, v17
	v_fma_f32 v3, v12, v16, -v3
	v_add_f32_e32 v2, v2, v3
	s_waitcnt vmcnt(17) lgkmcnt(0)
	v_mul_f32_e32 v35, v26, v31
	v_fmac_f32_e32 v35, v27, v30
	v_add_f32_e32 v34, v34, v35
	v_mul_f32_e32 v35, v28, v33
	v_fmac_f32_e32 v35, v29, v32
	v_add_f32_e32 v42, v34, v35
	ds_read2_b64 v[34:37], v134 offset0:79 offset1:80
	v_mul_f32_e32 v3, v19, v23
	v_fma_f32 v3, v18, v22, -v3
	v_add_f32_e32 v2, v2, v3
	v_mul_f32_e32 v3, v21, v25
	s_waitcnt vmcnt(16) lgkmcnt(0)
	v_mul_f32_e32 v43, v34, v39
	v_fmac_f32_e32 v43, v35, v38
	v_add_f32_e32 v42, v42, v43
	v_mul_f32_e32 v43, v36, v41
	v_fmac_f32_e32 v43, v37, v40
	v_add_f32_e32 v50, v42, v43
	ds_read2_b64 v[42:45], v134 offset0:81 offset1:82
	v_fma_f32 v3, v20, v24, -v3
	v_add_f32_e32 v2, v2, v3
	v_mul_f32_e32 v3, v27, v31
	v_fma_f32 v3, v26, v30, -v3
	s_waitcnt vmcnt(15) lgkmcnt(0)
	v_mul_f32_e32 v51, v42, v47
	v_fmac_f32_e32 v51, v43, v46
	v_add_f32_e32 v50, v50, v51
	v_mul_f32_e32 v51, v44, v49
	v_fmac_f32_e32 v51, v45, v48
	v_add_f32_e32 v58, v50, v51
	ds_read2_b64 v[50:53], v134 offset0:83 offset1:84
	v_add_f32_e32 v2, v2, v3
	v_mul_f32_e32 v3, v29, v33
	v_fma_f32 v3, v28, v32, -v3
	v_add_f32_e32 v2, v2, v3
	s_waitcnt vmcnt(14) lgkmcnt(0)
	v_mul_f32_e32 v59, v50, v55
	v_fmac_f32_e32 v59, v51, v54
	v_add_f32_e32 v58, v58, v59
	v_mul_f32_e32 v59, v52, v57
	v_fmac_f32_e32 v59, v53, v56
	v_add_f32_e32 v66, v58, v59
	ds_read2_b64 v[58:61], v134 offset0:85 offset1:86
	v_mul_f32_e32 v3, v35, v39
	v_fma_f32 v3, v34, v38, -v3
	v_add_f32_e32 v2, v2, v3
	v_mul_f32_e32 v3, v37, v41
	;; [unrolled: 36-line block ×5, first 2 shown]
	s_waitcnt vmcnt(4) lgkmcnt(0)
	v_mul_f32_e32 v140, v130, v137
	v_fmac_f32_e32 v140, v131, v136
	v_add_f32_e32 v135, v135, v140
	v_mul_f32_e32 v140, v132, v139
	v_fmac_f32_e32 v140, v133, v138
	v_add_f32_e32 v135, v135, v140
	ds_read2_b64 v[140:143], v134 offset0:105 offset1:106
	scratch_load_dwordx4 v[190:193], off, off offset:424
	scratch_load_dwordx4 v[194:197], off, off offset:440
	;; [unrolled: 1-line block ×3, first 2 shown]
	scratch_load_dwordx2 v[206:207], off, off offset:472
	v_fma_f32 v3, v84, v88, -v3
	v_add_f32_e32 v2, v2, v3
	v_mul_f32_e32 v3, v91, v95
	v_fma_f32 v3, v90, v94, -v3
	v_add_f32_e32 v2, v2, v3
	v_mul_f32_e32 v3, v93, v97
	v_fma_f32 v3, v92, v96, -v3
	v_add_f32_e32 v2, v2, v3
	v_mul_f32_e32 v3, v99, v103
	v_fma_f32 v3, v98, v102, -v3
	v_add_f32_e32 v2, v2, v3
	v_mul_f32_e32 v3, v101, v105
	v_fma_f32 v3, v100, v104, -v3
	v_add_f32_e32 v2, v2, v3
	v_mul_f32_e32 v3, v107, v111
	v_fma_f32 v3, v106, v110, -v3
	v_add_f32_e32 v2, v2, v3
	v_mul_f32_e32 v3, v109, v113
	v_fma_f32 v3, v108, v112, -v3
	v_add_f32_e32 v2, v2, v3
	v_mul_f32_e32 v3, v115, v119
	v_fma_f32 v3, v114, v118, -v3
	v_add_f32_e32 v2, v2, v3
	v_mul_f32_e32 v3, v117, v121
	v_fma_f32 v3, v116, v120, -v3
	v_add_f32_e32 v2, v2, v3
	v_mul_f32_e32 v3, v123, v127
	v_fma_f32 v3, v122, v126, -v3
	v_add_f32_e32 v2, v2, v3
	v_mul_f32_e32 v3, v125, v129
	v_fma_f32 v3, v124, v128, -v3
	v_add_f32_e32 v2, v2, v3
	v_mul_f32_e32 v3, v131, v137
	v_fma_f32 v3, v130, v136, -v3
	v_add_f32_e32 v2, v2, v3
	v_mul_f32_e32 v3, v133, v139
	v_fma_f32 v3, v132, v138, -v3
	s_waitcnt vmcnt(7) lgkmcnt(0)
	v_mul_f32_e32 v148, v140, v145
	v_add_f32_e32 v2, v2, v3
	v_mul_f32_e32 v3, v141, v145
	v_fmac_f32_e32 v148, v141, v144
	v_fma_f32 v3, v140, v144, -v3
	v_add_f32_e32 v135, v135, v148
	v_mul_f32_e32 v148, v142, v147
	v_add_f32_e32 v2, v2, v3
	v_mul_f32_e32 v3, v143, v147
	v_fmac_f32_e32 v148, v143, v146
	v_fma_f32 v3, v142, v146, -v3
	v_add_f32_e32 v135, v135, v148
	s_waitcnt vmcnt(6)
	v_mul_f32_e32 v148, v166, v171
	v_add_f32_e32 v2, v2, v3
	v_mul_f32_e32 v3, v167, v171
	v_fmac_f32_e32 v148, v167, v170
	v_fma_f32 v3, v166, v170, -v3
	v_add_f32_e32 v135, v135, v148
	v_mul_f32_e32 v148, v168, v173
	v_add_f32_e32 v2, v2, v3
	v_mul_f32_e32 v3, v169, v173
	v_fmac_f32_e32 v148, v169, v172
	v_fma_f32 v3, v168, v172, -v3
	v_add_f32_e32 v135, v135, v148
	s_waitcnt vmcnt(5)
	v_mul_f32_e32 v148, v174, v179
	v_add_f32_e32 v2, v2, v3
	v_mul_f32_e32 v3, v175, v179
	v_fmac_f32_e32 v148, v175, v178
	v_fma_f32 v3, v174, v178, -v3
	v_add_f32_e32 v149, v135, v148
	v_add_f32_e32 v148, v2, v3
	v_mul_f32_e32 v2, v177, v181
	v_mul_f32_e32 v203, v176, v181
	v_fma_f32 v202, v176, v180, -v2
	s_waitcnt vmcnt(4)
	v_mul_f32_e32 v2, v183, v187
	v_mov_b32_e32 v18, v189
	v_fmac_f32_e32 v203, v177, v180
	v_mul_f32_e32 v205, v182, v187
	v_fma_f32 v204, v182, v186, -v2
	ds_read2_b64 v[2:5], v134 offset0:113 offset1:114
	ds_read2_b64 v[6:9], v134 offset0:115 offset1:116
	;; [unrolled: 1-line block ×3, first 2 shown]
	ds_read_b64 v[14:15], v134 offset:952
	v_pk_mul_f32 v[18:19], v[184:185], v[18:19] op_sel:[1,0] op_sel_hi:[0,0]
	v_fmac_f32_e32 v205, v183, v186
	v_pk_add_f32 v[16:17], v[148:149], v[202:203]
	v_pk_fma_f32 v[20:21], v[184:185], v[188:189], v[18:19] neg_lo:[0,0,1] neg_hi:[0,0,1]
	v_pk_fma_f32 v[18:19], v[184:185], v[188:189], v[18:19] op_sel_hi:[1,0,1]
	v_pk_add_f32 v[16:17], v[16:17], v[204:205]
	v_mov_b32_e32 v21, v19
	s_waitcnt vmcnt(3) lgkmcnt(3)
	v_pk_mul_f32 v[18:19], v[2:3], v[190:191] op_sel:[1,1] op_sel_hi:[0,1]
	v_pk_add_f32 v[16:17], v[16:17], v[20:21]
	v_pk_fma_f32 v[20:21], v[2:3], v[190:191], v[18:19] neg_lo:[0,0,1] neg_hi:[0,0,1]
	v_pk_fma_f32 v[2:3], v[2:3], v[190:191], v[18:19] op_sel_hi:[1,0,1]
	s_nop 0
	v_mov_b32_e32 v21, v3
	v_pk_add_f32 v[2:3], v[16:17], v[20:21]
	v_mov_b32_e32 v16, v193
	v_pk_mul_f32 v[16:17], v[4:5], v[16:17] op_sel:[1,0] op_sel_hi:[0,0]
	v_pk_fma_f32 v[18:19], v[4:5], v[192:193], v[16:17] neg_lo:[0,0,1] neg_hi:[0,0,1]
	v_pk_fma_f32 v[4:5], v[4:5], v[192:193], v[16:17] op_sel_hi:[1,0,1]
	s_nop 0
	v_mov_b32_e32 v19, v5
	s_waitcnt vmcnt(2) lgkmcnt(2)
	v_pk_mul_f32 v[4:5], v[6:7], v[194:195] op_sel:[1,1] op_sel_hi:[0,1]
	v_pk_fma_f32 v[16:17], v[6:7], v[194:195], v[4:5] neg_lo:[0,0,1] neg_hi:[0,0,1]
	v_pk_fma_f32 v[4:5], v[6:7], v[194:195], v[4:5] op_sel_hi:[1,0,1]
	v_pk_add_f32 v[2:3], v[2:3], v[18:19]
	v_mov_b32_e32 v4, v197
	v_mov_b32_e32 v17, v5
	v_pk_mul_f32 v[4:5], v[8:9], v[4:5] op_sel:[1,0] op_sel_hi:[0,0]
	v_pk_fma_f32 v[6:7], v[8:9], v[196:197], v[4:5] neg_lo:[0,0,1] neg_hi:[0,0,1]
	v_pk_fma_f32 v[4:5], v[8:9], v[196:197], v[4:5] op_sel_hi:[1,0,1]
	v_pk_add_f32 v[2:3], v[2:3], v[16:17]
	v_mov_b32_e32 v7, v5
	s_waitcnt vmcnt(1) lgkmcnt(1)
	v_pk_mul_f32 v[4:5], v[10:11], v[198:199] op_sel:[1,1] op_sel_hi:[0,1]
	v_pk_add_f32 v[2:3], v[2:3], v[6:7]
	v_pk_fma_f32 v[6:7], v[10:11], v[198:199], v[4:5] neg_lo:[0,0,1] neg_hi:[0,0,1]
	v_pk_fma_f32 v[4:5], v[10:11], v[198:199], v[4:5] op_sel_hi:[1,0,1]
	s_nop 0
	v_mov_b32_e32 v4, v201
	v_mov_b32_e32 v7, v5
	v_pk_mul_f32 v[4:5], v[12:13], v[4:5] op_sel:[1,0] op_sel_hi:[0,0]
	v_pk_add_f32 v[2:3], v[2:3], v[6:7]
	v_pk_fma_f32 v[6:7], v[12:13], v[200:201], v[4:5] neg_lo:[0,0,1] neg_hi:[0,0,1]
	v_pk_fma_f32 v[4:5], v[12:13], v[200:201], v[4:5] op_sel_hi:[1,0,1]
	s_nop 0
	v_mov_b32_e32 v7, v5
	s_waitcnt vmcnt(0) lgkmcnt(0)
	v_pk_mul_f32 v[4:5], v[14:15], v[206:207] op_sel:[1,1] op_sel_hi:[0,1]
	v_pk_add_f32 v[2:3], v[2:3], v[6:7]
	v_pk_fma_f32 v[6:7], v[14:15], v[206:207], v[4:5] neg_lo:[0,0,1] neg_hi:[0,0,1]
	v_pk_fma_f32 v[4:5], v[14:15], v[206:207], v[4:5] op_sel_hi:[1,0,1]
	s_nop 0
	v_mov_b32_e32 v7, v5
	scratch_load_dwordx2 v[4:5], off, off offset:80
	v_pk_add_f32 v[2:3], v[2:3], v[6:7]
	s_waitcnt vmcnt(0)
	v_pk_add_f32 v[2:3], v[4:5], v[2:3] neg_lo:[0,1] neg_hi:[0,1]
	scratch_store_dwordx2 off, v[2:3], off offset:80
	s_and_saveexec_b64 s[0:1], vcc
	s_cbranch_execz .LBB123_355
; %bb.354:
	scratch_load_dwordx2 v[2:3], off, off offset:72
	v_mov_b32_e32 v135, v134
	scratch_store_dwordx2 off, v[134:135], off offset:72
	s_waitcnt vmcnt(1)
	ds_write_b64 v1, v[2:3]
.LBB123_355:
	s_or_b64 exec, exec, s[0:1]
	s_waitcnt lgkmcnt(0)
	; wave barrier
	ds_read_b128 v[14:17], v134 offset:560
	ds_read_b128 v[10:13], v134 offset:576
	;; [unrolled: 1-line block ×4, first 2 shown]
	scratch_load_dwordx4 v[18:21], off, off offset:80
	scratch_load_dwordx4 v[38:41], off, off offset:144
	;; [unrolled: 1-line block ×15, first 2 shown]
	v_cmp_lt_u32_e32 vcc, 8, v0
	scratch_load_dwordx4 v[46:49], off, off offset:160
	scratch_load_dwordx4 v[54:57], off, off offset:176
	;; [unrolled: 1-line block ×3, first 2 shown]
	ds_read_b128 v[166:169], v134 offset:848
	ds_read_b128 v[174:177], v134 offset:864
	;; [unrolled: 1-line block ×3, first 2 shown]
	s_waitcnt vmcnt(17) lgkmcnt(6)
	v_mul_f32_e32 v22, v14, v19
	v_fmac_f32_e32 v22, v15, v18
	v_mul_f32_e32 v23, v16, v21
	v_add_f32_e32 v22, 0, v22
	v_fmac_f32_e32 v23, v17, v20
	v_add_f32_e32 v26, v22, v23
	scratch_load_dwordx4 v[22:25], off, off offset:96
	v_mul_f32_e32 v15, v15, v19
	v_fma_f32 v14, v14, v18, -v15
	v_mul_f32_e32 v15, v17, v21
	v_add_f32_e32 v14, 0, v14
	v_fma_f32 v15, v16, v20, -v15
	v_add_f32_e32 v14, v14, v15
	s_waitcnt vmcnt(4) lgkmcnt(0)
	v_mul_f32_e32 v207, v182, v187
	v_mul_f32_e32 v209, v184, v189
	v_fmac_f32_e32 v207, v183, v186
	v_fmac_f32_e32 v209, v185, v188
	s_waitcnt vmcnt(0)
	v_mul_f32_e32 v27, v10, v23
	v_fmac_f32_e32 v27, v11, v22
	v_add_f32_e32 v26, v26, v27
	v_mul_f32_e32 v27, v12, v25
	v_fmac_f32_e32 v27, v13, v24
	v_add_f32_e32 v30, v26, v27
	scratch_load_dwordx4 v[26:29], off, off offset:112
	v_mul_f32_e32 v11, v11, v23
	v_fma_f32 v10, v10, v22, -v11
	v_mul_f32_e32 v11, v13, v25
	v_add_f32_e32 v10, v14, v10
	v_fma_f32 v11, v12, v24, -v11
	v_add_f32_e32 v10, v10, v11
	s_waitcnt vmcnt(0)
	v_mul_f32_e32 v31, v6, v27
	v_fmac_f32_e32 v31, v7, v26
	v_add_f32_e32 v30, v30, v31
	v_mul_f32_e32 v31, v8, v29
	v_fmac_f32_e32 v31, v9, v28
	v_add_f32_e32 v34, v30, v31
	scratch_load_dwordx4 v[30:33], off, off offset:128
	v_mul_f32_e32 v7, v7, v27
	v_fma_f32 v6, v6, v26, -v7
	v_mul_f32_e32 v7, v9, v29
	v_add_f32_e32 v6, v10, v6
	v_fma_f32 v7, v8, v28, -v7
	v_add_f32_e32 v6, v6, v7
	s_waitcnt vmcnt(0)
	v_mul_f32_e32 v35, v2, v31
	v_fmac_f32_e32 v35, v3, v30
	v_add_f32_e32 v34, v34, v35
	v_mul_f32_e32 v35, v4, v33
	v_fmac_f32_e32 v35, v5, v32
	v_add_f32_e32 v42, v34, v35
	ds_read_b128 v[34:37], v134 offset:624
	v_mul_f32_e32 v3, v3, v31
	v_fma_f32 v2, v2, v30, -v3
	v_mul_f32_e32 v3, v5, v33
	v_add_f32_e32 v2, v6, v2
	s_waitcnt lgkmcnt(0)
	v_mul_f32_e32 v43, v34, v39
	v_fmac_f32_e32 v43, v35, v38
	v_add_f32_e32 v42, v42, v43
	v_mul_f32_e32 v43, v36, v41
	v_fmac_f32_e32 v43, v37, v40
	v_add_f32_e32 v50, v42, v43
	ds_read_b128 v[42:45], v134 offset:640
	v_fma_f32 v3, v4, v32, -v3
	v_add_f32_e32 v2, v2, v3
	v_mul_f32_e32 v3, v35, v39
	v_fma_f32 v3, v34, v38, -v3
	s_waitcnt lgkmcnt(0)
	v_mul_f32_e32 v51, v42, v47
	v_fmac_f32_e32 v51, v43, v46
	v_add_f32_e32 v50, v50, v51
	v_mul_f32_e32 v51, v44, v49
	v_fmac_f32_e32 v51, v45, v48
	v_add_f32_e32 v58, v50, v51
	ds_read_b128 v[50:53], v134 offset:656
	v_add_f32_e32 v2, v2, v3
	v_mul_f32_e32 v3, v37, v41
	v_fma_f32 v3, v36, v40, -v3
	v_add_f32_e32 v2, v2, v3
	s_waitcnt lgkmcnt(0)
	v_mul_f32_e32 v59, v50, v55
	v_fmac_f32_e32 v59, v51, v54
	v_add_f32_e32 v58, v58, v59
	v_mul_f32_e32 v59, v52, v57
	v_fmac_f32_e32 v59, v53, v56
	v_add_f32_e32 v66, v58, v59
	ds_read_b128 v[58:61], v134 offset:672
	v_mul_f32_e32 v3, v43, v47
	v_fma_f32 v3, v42, v46, -v3
	v_add_f32_e32 v2, v2, v3
	v_mul_f32_e32 v3, v45, v49
	s_waitcnt lgkmcnt(0)
	v_mul_f32_e32 v67, v58, v63
	v_fmac_f32_e32 v67, v59, v62
	v_add_f32_e32 v66, v66, v67
	v_mul_f32_e32 v67, v60, v65
	v_fmac_f32_e32 v67, v61, v64
	v_add_f32_e32 v74, v66, v67
	ds_read_b128 v[66:69], v134 offset:688
	v_fma_f32 v3, v44, v48, -v3
	v_add_f32_e32 v2, v2, v3
	v_mul_f32_e32 v3, v51, v55
	v_fma_f32 v3, v50, v54, -v3
	s_waitcnt lgkmcnt(0)
	v_mul_f32_e32 v75, v66, v71
	v_fmac_f32_e32 v75, v67, v70
	v_add_f32_e32 v74, v74, v75
	v_mul_f32_e32 v75, v68, v73
	v_fmac_f32_e32 v75, v69, v72
	v_add_f32_e32 v82, v74, v75
	ds_read_b128 v[74:77], v134 offset:704
	v_add_f32_e32 v2, v2, v3
	v_mul_f32_e32 v3, v53, v57
	v_fma_f32 v3, v52, v56, -v3
	v_add_f32_e32 v2, v2, v3
	s_waitcnt lgkmcnt(0)
	v_mul_f32_e32 v83, v74, v79
	v_fmac_f32_e32 v83, v75, v78
	v_add_f32_e32 v82, v82, v83
	v_mul_f32_e32 v83, v76, v81
	v_fmac_f32_e32 v83, v77, v80
	v_add_f32_e32 v90, v82, v83
	ds_read_b128 v[82:85], v134 offset:720
	v_mul_f32_e32 v3, v59, v63
	v_fma_f32 v3, v58, v62, -v3
	v_add_f32_e32 v2, v2, v3
	v_mul_f32_e32 v3, v61, v65
	;; [unrolled: 36-line block ×4, first 2 shown]
	s_waitcnt lgkmcnt(0)
	v_mul_f32_e32 v140, v130, v137
	v_fmac_f32_e32 v140, v131, v136
	v_add_f32_e32 v135, v135, v140
	v_mul_f32_e32 v140, v132, v139
	v_fmac_f32_e32 v140, v133, v138
	v_add_f32_e32 v135, v135, v140
	ds_read_b128 v[140:143], v134 offset:832
	scratch_load_dwordx4 v[190:193], off, off offset:416
	scratch_load_dwordx4 v[194:197], off, off offset:432
	;; [unrolled: 1-line block ×4, first 2 shown]
	v_fma_f32 v3, v92, v96, -v3
	v_add_f32_e32 v2, v2, v3
	v_mul_f32_e32 v3, v99, v103
	v_fma_f32 v3, v98, v102, -v3
	v_add_f32_e32 v2, v2, v3
	v_mul_f32_e32 v3, v101, v105
	;; [unrolled: 3-line block ×10, first 2 shown]
	v_fma_f32 v3, v132, v138, -v3
	s_waitcnt lgkmcnt(0)
	v_mul_f32_e32 v148, v140, v145
	v_add_f32_e32 v2, v2, v3
	v_mul_f32_e32 v3, v141, v145
	v_fmac_f32_e32 v148, v141, v144
	v_fma_f32 v3, v140, v144, -v3
	v_add_f32_e32 v135, v135, v148
	v_mul_f32_e32 v148, v142, v147
	v_add_f32_e32 v2, v2, v3
	v_mul_f32_e32 v3, v143, v147
	v_fmac_f32_e32 v148, v143, v146
	v_fma_f32 v3, v142, v146, -v3
	v_add_f32_e32 v135, v135, v148
	;; [unrolled: 6-line block ×6, first 2 shown]
	v_add_f32_e32 v148, v2, v3
	v_mul_f32_e32 v2, v183, v187
	v_fma_f32 v206, v182, v186, -v2
	v_mul_f32_e32 v2, v185, v189
	v_fma_f32 v208, v184, v188, -v2
	ds_read_b128 v[2:5], v134 offset:896
	ds_read_b128 v[6:9], v134 offset:912
	;; [unrolled: 1-line block ×4, first 2 shown]
	v_pk_add_f32 v[18:19], v[148:149], v[206:207]
	s_waitcnt vmcnt(3) lgkmcnt(3)
	v_pk_mul_f32 v[20:21], v[2:3], v[190:191] op_sel:[1,1] op_sel_hi:[0,1]
	v_pk_fma_f32 v[22:23], v[2:3], v[190:191], v[20:21] neg_lo:[0,0,1] neg_hi:[0,0,1]
	v_pk_fma_f32 v[2:3], v[2:3], v[190:191], v[20:21] op_sel_hi:[1,0,1]
	v_pk_add_f32 v[18:19], v[18:19], v[208:209]
	v_mov_b32_e32 v23, v3
	v_pk_add_f32 v[2:3], v[18:19], v[22:23]
	v_mov_b32_e32 v18, v193
	v_pk_mul_f32 v[18:19], v[4:5], v[18:19] op_sel:[1,0] op_sel_hi:[0,0]
	v_pk_fma_f32 v[20:21], v[4:5], v[192:193], v[18:19] neg_lo:[0,0,1] neg_hi:[0,0,1]
	v_pk_fma_f32 v[4:5], v[4:5], v[192:193], v[18:19] op_sel_hi:[1,0,1]
	s_nop 0
	v_mov_b32_e32 v21, v5
	s_waitcnt vmcnt(2) lgkmcnt(2)
	v_pk_mul_f32 v[4:5], v[6:7], v[194:195] op_sel:[1,1] op_sel_hi:[0,1]
	v_pk_fma_f32 v[18:19], v[6:7], v[194:195], v[4:5] neg_lo:[0,0,1] neg_hi:[0,0,1]
	v_pk_fma_f32 v[4:5], v[6:7], v[194:195], v[4:5] op_sel_hi:[1,0,1]
	v_pk_add_f32 v[2:3], v[2:3], v[20:21]
	v_mov_b32_e32 v4, v197
	v_mov_b32_e32 v19, v5
	v_pk_mul_f32 v[4:5], v[8:9], v[4:5] op_sel:[1,0] op_sel_hi:[0,0]
	v_pk_fma_f32 v[6:7], v[8:9], v[196:197], v[4:5] neg_lo:[0,0,1] neg_hi:[0,0,1]
	v_pk_fma_f32 v[4:5], v[8:9], v[196:197], v[4:5] op_sel_hi:[1,0,1]
	v_pk_add_f32 v[2:3], v[2:3], v[18:19]
	v_mov_b32_e32 v7, v5
	s_waitcnt vmcnt(1) lgkmcnt(1)
	v_pk_mul_f32 v[4:5], v[10:11], v[198:199] op_sel:[1,1] op_sel_hi:[0,1]
	v_pk_add_f32 v[2:3], v[2:3], v[6:7]
	v_pk_fma_f32 v[6:7], v[10:11], v[198:199], v[4:5] neg_lo:[0,0,1] neg_hi:[0,0,1]
	v_pk_fma_f32 v[4:5], v[10:11], v[198:199], v[4:5] op_sel_hi:[1,0,1]
	s_nop 0
	v_mov_b32_e32 v4, v201
	v_mov_b32_e32 v7, v5
	v_pk_mul_f32 v[4:5], v[12:13], v[4:5] op_sel:[1,0] op_sel_hi:[0,0]
	v_pk_add_f32 v[2:3], v[2:3], v[6:7]
	v_pk_fma_f32 v[6:7], v[12:13], v[200:201], v[4:5] neg_lo:[0,0,1] neg_hi:[0,0,1]
	v_pk_fma_f32 v[4:5], v[12:13], v[200:201], v[4:5] op_sel_hi:[1,0,1]
	s_nop 0
	v_mov_b32_e32 v7, v5
	s_waitcnt vmcnt(0) lgkmcnt(0)
	v_pk_mul_f32 v[4:5], v[14:15], v[202:203] op_sel:[1,1] op_sel_hi:[0,1]
	v_pk_add_f32 v[2:3], v[2:3], v[6:7]
	v_pk_fma_f32 v[6:7], v[14:15], v[202:203], v[4:5] neg_lo:[0,0,1] neg_hi:[0,0,1]
	v_pk_fma_f32 v[4:5], v[14:15], v[202:203], v[4:5] op_sel_hi:[1,0,1]
	s_nop 0
	v_mov_b32_e32 v4, v205
	v_mov_b32_e32 v7, v5
	v_pk_mul_f32 v[4:5], v[16:17], v[4:5] op_sel:[1,0] op_sel_hi:[0,0]
	v_pk_add_f32 v[2:3], v[2:3], v[6:7]
	v_pk_fma_f32 v[6:7], v[16:17], v[204:205], v[4:5] neg_lo:[0,0,1] neg_hi:[0,0,1]
	v_pk_fma_f32 v[4:5], v[16:17], v[204:205], v[4:5] op_sel_hi:[1,0,1]
	s_nop 0
	v_mov_b32_e32 v7, v5
	scratch_load_dwordx2 v[4:5], off, off offset:72
	v_pk_add_f32 v[2:3], v[2:3], v[6:7]
	s_waitcnt vmcnt(0)
	v_pk_add_f32 v[2:3], v[4:5], v[2:3] neg_lo:[0,1] neg_hi:[0,1]
	scratch_store_dwordx2 off, v[2:3], off offset:72
	s_and_saveexec_b64 s[0:1], vcc
	s_cbranch_execz .LBB123_357
; %bb.356:
	scratch_load_dwordx2 v[2:3], off, off offset:64
	v_mov_b32_e32 v4, 0
	v_mov_b32_e32 v5, v4
	scratch_store_dwordx2 off, v[4:5], off offset:64
	s_waitcnt vmcnt(1)
	ds_write_b64 v1, v[2:3]
.LBB123_357:
	s_or_b64 exec, exec, s[0:1]
	s_waitcnt lgkmcnt(0)
	; wave barrier
	scratch_load_dwordx4 v[6:9], off, off offset:72
	scratch_load_dwordx4 v[14:17], off, off offset:88
	;; [unrolled: 1-line block ×10, first 2 shown]
	v_mov_b32_e32 v142, 0
	ds_read2_b64 v[2:5], v142 offset0:69 offset1:70
	ds_read2_b64 v[166:169], v142 offset0:105 offset1:106
	scratch_load_dwordx4 v[86:89], off, off offset:232
	scratch_load_dwordx4 v[94:97], off, off offset:248
	;; [unrolled: 1-line block ×12, first 2 shown]
	v_cmp_lt_u32_e32 vcc, 7, v0
	ds_read2_b64 v[174:177], v142 offset0:107 offset1:108
	ds_read2_b64 v[182:185], v142 offset0:109 offset1:110
	;; [unrolled: 1-line block ×3, first 2 shown]
	s_waitcnt vmcnt(21) lgkmcnt(4)
	v_mul_f32_e32 v10, v2, v7
	v_fmac_f32_e32 v10, v3, v6
	v_mul_f32_e32 v11, v4, v9
	v_add_f32_e32 v10, 0, v10
	v_fmac_f32_e32 v11, v5, v8
	v_add_f32_e32 v18, v10, v11
	ds_read2_b64 v[10:13], v142 offset0:71 offset1:72
	v_mul_f32_e32 v3, v3, v7
	v_fma_f32 v2, v2, v6, -v3
	v_mul_f32_e32 v3, v5, v9
	v_add_f32_e32 v2, 0, v2
	s_waitcnt vmcnt(20) lgkmcnt(0)
	v_mul_f32_e32 v19, v10, v15
	v_fmac_f32_e32 v19, v11, v14
	v_add_f32_e32 v18, v18, v19
	v_mul_f32_e32 v19, v12, v17
	v_fmac_f32_e32 v19, v13, v16
	v_add_f32_e32 v26, v18, v19
	ds_read2_b64 v[18:21], v142 offset0:73 offset1:74
	v_fma_f32 v3, v4, v8, -v3
	v_add_f32_e32 v2, v2, v3
	v_mul_f32_e32 v3, v11, v15
	v_fma_f32 v3, v10, v14, -v3
	s_waitcnt vmcnt(19) lgkmcnt(0)
	v_mul_f32_e32 v27, v18, v23
	v_fmac_f32_e32 v27, v19, v22
	v_add_f32_e32 v26, v26, v27
	v_mul_f32_e32 v27, v20, v25
	v_fmac_f32_e32 v27, v21, v24
	v_add_f32_e32 v34, v26, v27
	ds_read2_b64 v[26:29], v142 offset0:75 offset1:76
	v_add_f32_e32 v2, v2, v3
	v_mul_f32_e32 v3, v13, v17
	v_fma_f32 v3, v12, v16, -v3
	v_add_f32_e32 v2, v2, v3
	s_waitcnt vmcnt(18) lgkmcnt(0)
	v_mul_f32_e32 v35, v26, v31
	v_fmac_f32_e32 v35, v27, v30
	v_add_f32_e32 v34, v34, v35
	v_mul_f32_e32 v35, v28, v33
	v_fmac_f32_e32 v35, v29, v32
	v_add_f32_e32 v42, v34, v35
	ds_read2_b64 v[34:37], v142 offset0:77 offset1:78
	v_mul_f32_e32 v3, v19, v23
	v_fma_f32 v3, v18, v22, -v3
	v_add_f32_e32 v2, v2, v3
	v_mul_f32_e32 v3, v21, v25
	s_waitcnt vmcnt(17) lgkmcnt(0)
	v_mul_f32_e32 v43, v34, v39
	v_fmac_f32_e32 v43, v35, v38
	v_add_f32_e32 v42, v42, v43
	v_mul_f32_e32 v43, v36, v41
	v_fmac_f32_e32 v43, v37, v40
	v_add_f32_e32 v50, v42, v43
	ds_read2_b64 v[42:45], v142 offset0:79 offset1:80
	v_fma_f32 v3, v20, v24, -v3
	v_add_f32_e32 v2, v2, v3
	v_mul_f32_e32 v3, v27, v31
	v_fma_f32 v3, v26, v30, -v3
	s_waitcnt vmcnt(16) lgkmcnt(0)
	v_mul_f32_e32 v51, v42, v47
	v_fmac_f32_e32 v51, v43, v46
	v_add_f32_e32 v50, v50, v51
	v_mul_f32_e32 v51, v44, v49
	v_fmac_f32_e32 v51, v45, v48
	v_add_f32_e32 v58, v50, v51
	ds_read2_b64 v[50:53], v142 offset0:81 offset1:82
	v_add_f32_e32 v2, v2, v3
	v_mul_f32_e32 v3, v29, v33
	v_fma_f32 v3, v28, v32, -v3
	v_add_f32_e32 v2, v2, v3
	s_waitcnt vmcnt(15) lgkmcnt(0)
	v_mul_f32_e32 v59, v50, v55
	v_fmac_f32_e32 v59, v51, v54
	v_add_f32_e32 v58, v58, v59
	v_mul_f32_e32 v59, v52, v57
	v_fmac_f32_e32 v59, v53, v56
	v_add_f32_e32 v66, v58, v59
	ds_read2_b64 v[58:61], v142 offset0:83 offset1:84
	v_mul_f32_e32 v3, v35, v39
	v_fma_f32 v3, v34, v38, -v3
	v_add_f32_e32 v2, v2, v3
	v_mul_f32_e32 v3, v37, v41
	;; [unrolled: 36-line block ×5, first 2 shown]
	s_waitcnt vmcnt(5) lgkmcnt(0)
	v_mul_f32_e32 v139, v130, v135
	v_fmac_f32_e32 v139, v131, v134
	v_add_f32_e32 v138, v138, v139
	v_mul_f32_e32 v139, v132, v137
	v_fmac_f32_e32 v139, v133, v136
	v_add_f32_e32 v143, v138, v139
	ds_read2_b64 v[138:141], v142 offset0:103 offset1:104
	scratch_load_dwordx4 v[198:201], off, off offset:424
	scratch_load_dwordx4 v[202:205], off, off offset:440
	;; [unrolled: 1-line block ×3, first 2 shown]
	scratch_load_dwordx2 v[214:215], off, off offset:472
	v_fma_f32 v3, v84, v88, -v3
	v_add_f32_e32 v2, v2, v3
	v_mul_f32_e32 v3, v91, v95
	v_fma_f32 v3, v90, v94, -v3
	v_add_f32_e32 v2, v2, v3
	v_mul_f32_e32 v3, v93, v97
	v_fma_f32 v3, v92, v96, -v3
	v_add_f32_e32 v2, v2, v3
	v_mul_f32_e32 v3, v99, v103
	v_fma_f32 v3, v98, v102, -v3
	v_add_f32_e32 v2, v2, v3
	v_mul_f32_e32 v3, v101, v105
	v_fma_f32 v3, v100, v104, -v3
	v_add_f32_e32 v2, v2, v3
	v_mul_f32_e32 v3, v107, v111
	v_fma_f32 v3, v106, v110, -v3
	v_add_f32_e32 v2, v2, v3
	v_mul_f32_e32 v3, v109, v113
	v_fma_f32 v3, v108, v112, -v3
	v_add_f32_e32 v2, v2, v3
	v_mul_f32_e32 v3, v115, v119
	v_fma_f32 v3, v114, v118, -v3
	v_add_f32_e32 v2, v2, v3
	v_mul_f32_e32 v3, v117, v121
	v_fma_f32 v3, v116, v120, -v3
	v_add_f32_e32 v2, v2, v3
	v_mul_f32_e32 v3, v123, v127
	v_fma_f32 v3, v122, v126, -v3
	v_add_f32_e32 v2, v2, v3
	v_mul_f32_e32 v3, v125, v129
	v_fma_f32 v3, v124, v128, -v3
	v_add_f32_e32 v2, v2, v3
	v_mul_f32_e32 v3, v131, v135
	v_fma_f32 v3, v130, v134, -v3
	v_add_f32_e32 v2, v2, v3
	v_mul_f32_e32 v3, v133, v137
	v_fma_f32 v3, v132, v136, -v3
	s_waitcnt vmcnt(8) lgkmcnt(0)
	v_mul_f32_e32 v148, v138, v145
	v_add_f32_e32 v2, v2, v3
	v_mul_f32_e32 v3, v139, v145
	v_fmac_f32_e32 v148, v139, v144
	v_fma_f32 v3, v138, v144, -v3
	v_add_f32_e32 v143, v143, v148
	v_mul_f32_e32 v148, v140, v147
	v_add_f32_e32 v2, v2, v3
	v_mul_f32_e32 v3, v141, v147
	v_fmac_f32_e32 v148, v141, v146
	v_fma_f32 v3, v140, v146, -v3
	v_add_f32_e32 v143, v143, v148
	s_waitcnt vmcnt(7)
	v_mul_f32_e32 v148, v166, v171
	v_add_f32_e32 v2, v2, v3
	v_mul_f32_e32 v3, v167, v171
	v_fmac_f32_e32 v148, v167, v170
	v_fma_f32 v3, v166, v170, -v3
	v_add_f32_e32 v143, v143, v148
	v_mul_f32_e32 v148, v168, v173
	v_add_f32_e32 v2, v2, v3
	v_mul_f32_e32 v3, v169, v173
	v_fmac_f32_e32 v148, v169, v172
	v_fma_f32 v3, v168, v172, -v3
	v_add_f32_e32 v143, v143, v148
	s_waitcnt vmcnt(6)
	;; [unrolled: 13-line block ×3, first 2 shown]
	v_mul_f32_e32 v148, v182, v187
	v_add_f32_e32 v2, v2, v3
	v_mul_f32_e32 v3, v183, v187
	v_fmac_f32_e32 v148, v183, v186
	v_fma_f32 v3, v182, v186, -v3
	v_add_f32_e32 v149, v143, v148
	v_add_f32_e32 v148, v2, v3
	v_mul_f32_e32 v2, v185, v189
	v_mul_f32_e32 v211, v184, v189
	v_fma_f32 v210, v184, v188, -v2
	s_waitcnt vmcnt(4)
	v_mul_f32_e32 v2, v191, v195
	v_mov_b32_e32 v18, v197
	v_fmac_f32_e32 v211, v185, v188
	v_mul_f32_e32 v213, v190, v195
	v_fma_f32 v212, v190, v194, -v2
	ds_read2_b64 v[2:5], v142 offset0:113 offset1:114
	ds_read2_b64 v[6:9], v142 offset0:115 offset1:116
	;; [unrolled: 1-line block ×3, first 2 shown]
	ds_read_b64 v[14:15], v142 offset:952
	v_pk_mul_f32 v[18:19], v[192:193], v[18:19] op_sel:[1,0] op_sel_hi:[0,0]
	v_fmac_f32_e32 v213, v191, v194
	v_pk_add_f32 v[16:17], v[148:149], v[210:211]
	v_pk_fma_f32 v[20:21], v[192:193], v[196:197], v[18:19] neg_lo:[0,0,1] neg_hi:[0,0,1]
	v_pk_fma_f32 v[18:19], v[192:193], v[196:197], v[18:19] op_sel_hi:[1,0,1]
	v_pk_add_f32 v[16:17], v[16:17], v[212:213]
	v_mov_b32_e32 v21, v19
	s_waitcnt vmcnt(3) lgkmcnt(3)
	v_pk_mul_f32 v[18:19], v[2:3], v[198:199] op_sel:[1,1] op_sel_hi:[0,1]
	v_pk_add_f32 v[16:17], v[16:17], v[20:21]
	v_pk_fma_f32 v[20:21], v[2:3], v[198:199], v[18:19] neg_lo:[0,0,1] neg_hi:[0,0,1]
	v_pk_fma_f32 v[2:3], v[2:3], v[198:199], v[18:19] op_sel_hi:[1,0,1]
	s_nop 0
	v_mov_b32_e32 v21, v3
	v_pk_add_f32 v[2:3], v[16:17], v[20:21]
	v_mov_b32_e32 v16, v201
	v_pk_mul_f32 v[16:17], v[4:5], v[16:17] op_sel:[1,0] op_sel_hi:[0,0]
	v_pk_fma_f32 v[18:19], v[4:5], v[200:201], v[16:17] neg_lo:[0,0,1] neg_hi:[0,0,1]
	v_pk_fma_f32 v[4:5], v[4:5], v[200:201], v[16:17] op_sel_hi:[1,0,1]
	s_nop 0
	v_mov_b32_e32 v19, v5
	s_waitcnt vmcnt(2) lgkmcnt(2)
	v_pk_mul_f32 v[4:5], v[6:7], v[202:203] op_sel:[1,1] op_sel_hi:[0,1]
	v_pk_fma_f32 v[16:17], v[6:7], v[202:203], v[4:5] neg_lo:[0,0,1] neg_hi:[0,0,1]
	v_pk_fma_f32 v[4:5], v[6:7], v[202:203], v[4:5] op_sel_hi:[1,0,1]
	v_pk_add_f32 v[2:3], v[2:3], v[18:19]
	v_mov_b32_e32 v4, v205
	v_mov_b32_e32 v17, v5
	v_pk_mul_f32 v[4:5], v[8:9], v[4:5] op_sel:[1,0] op_sel_hi:[0,0]
	v_pk_fma_f32 v[6:7], v[8:9], v[204:205], v[4:5] neg_lo:[0,0,1] neg_hi:[0,0,1]
	v_pk_fma_f32 v[4:5], v[8:9], v[204:205], v[4:5] op_sel_hi:[1,0,1]
	v_pk_add_f32 v[2:3], v[2:3], v[16:17]
	v_mov_b32_e32 v7, v5
	s_waitcnt vmcnt(1) lgkmcnt(1)
	v_pk_mul_f32 v[4:5], v[10:11], v[206:207] op_sel:[1,1] op_sel_hi:[0,1]
	v_pk_add_f32 v[2:3], v[2:3], v[6:7]
	v_pk_fma_f32 v[6:7], v[10:11], v[206:207], v[4:5] neg_lo:[0,0,1] neg_hi:[0,0,1]
	v_pk_fma_f32 v[4:5], v[10:11], v[206:207], v[4:5] op_sel_hi:[1,0,1]
	s_nop 0
	v_mov_b32_e32 v4, v209
	v_mov_b32_e32 v7, v5
	v_pk_mul_f32 v[4:5], v[12:13], v[4:5] op_sel:[1,0] op_sel_hi:[0,0]
	v_pk_add_f32 v[2:3], v[2:3], v[6:7]
	v_pk_fma_f32 v[6:7], v[12:13], v[208:209], v[4:5] neg_lo:[0,0,1] neg_hi:[0,0,1]
	v_pk_fma_f32 v[4:5], v[12:13], v[208:209], v[4:5] op_sel_hi:[1,0,1]
	s_nop 0
	v_mov_b32_e32 v7, v5
	s_waitcnt vmcnt(0) lgkmcnt(0)
	v_pk_mul_f32 v[4:5], v[14:15], v[214:215] op_sel:[1,1] op_sel_hi:[0,1]
	v_pk_add_f32 v[2:3], v[2:3], v[6:7]
	v_pk_fma_f32 v[6:7], v[14:15], v[214:215], v[4:5] neg_lo:[0,0,1] neg_hi:[0,0,1]
	v_pk_fma_f32 v[4:5], v[14:15], v[214:215], v[4:5] op_sel_hi:[1,0,1]
	s_nop 0
	v_mov_b32_e32 v7, v5
	scratch_load_dwordx2 v[4:5], off, off offset:64
	v_pk_add_f32 v[2:3], v[2:3], v[6:7]
	s_waitcnt vmcnt(0)
	v_pk_add_f32 v[2:3], v[4:5], v[2:3] neg_lo:[0,1] neg_hi:[0,1]
	scratch_store_dwordx2 off, v[2:3], off offset:64
	s_and_saveexec_b64 s[0:1], vcc
	s_cbranch_execz .LBB123_359
; %bb.358:
	scratch_load_dwordx2 v[2:3], off, off offset:56
	v_mov_b32_e32 v143, v142
	scratch_store_dwordx2 off, v[142:143], off offset:56
	s_waitcnt vmcnt(1)
	ds_write_b64 v1, v[2:3]
.LBB123_359:
	s_or_b64 exec, exec, s[0:1]
	s_waitcnt lgkmcnt(0)
	; wave barrier
	ds_read_b128 v[14:17], v142 offset:544
	ds_read_b128 v[10:13], v142 offset:560
	;; [unrolled: 1-line block ×4, first 2 shown]
	scratch_load_dwordx4 v[18:21], off, off offset:64
	scratch_load_dwordx4 v[38:41], off, off offset:128
	;; [unrolled: 1-line block ×16, first 2 shown]
	v_cmp_lt_u32_e32 vcc, 6, v0
	scratch_load_dwordx4 v[46:49], off, off offset:144
	scratch_load_dwordx4 v[54:57], off, off offset:160
	;; [unrolled: 1-line block ×3, first 2 shown]
	ds_read_b128 v[166:169], v142 offset:832
	ds_read_b128 v[174:177], v142 offset:848
	;; [unrolled: 1-line block ×4, first 2 shown]
	s_waitcnt vmcnt(18) lgkmcnt(7)
	v_mul_f32_e32 v22, v14, v19
	v_fmac_f32_e32 v22, v15, v18
	v_mul_f32_e32 v23, v16, v21
	v_add_f32_e32 v22, 0, v22
	v_fmac_f32_e32 v23, v17, v20
	v_add_f32_e32 v26, v22, v23
	scratch_load_dwordx4 v[22:25], off, off offset:80
	v_mul_f32_e32 v15, v15, v19
	v_fma_f32 v14, v14, v18, -v15
	v_mul_f32_e32 v15, v17, v21
	v_add_f32_e32 v14, 0, v14
	v_fma_f32 v15, v16, v20, -v15
	v_add_f32_e32 v14, v14, v15
	s_waitcnt vmcnt(4) lgkmcnt(0)
	v_mul_f32_e32 v215, v190, v195
	v_mul_f32_e32 v217, v192, v197
	v_fmac_f32_e32 v215, v191, v194
	v_fmac_f32_e32 v217, v193, v196
	s_waitcnt vmcnt(0)
	v_mul_f32_e32 v27, v10, v23
	v_fmac_f32_e32 v27, v11, v22
	v_add_f32_e32 v26, v26, v27
	v_mul_f32_e32 v27, v12, v25
	v_fmac_f32_e32 v27, v13, v24
	v_add_f32_e32 v30, v26, v27
	scratch_load_dwordx4 v[26:29], off, off offset:96
	v_mul_f32_e32 v11, v11, v23
	v_fma_f32 v10, v10, v22, -v11
	v_mul_f32_e32 v11, v13, v25
	v_add_f32_e32 v10, v14, v10
	v_fma_f32 v11, v12, v24, -v11
	v_add_f32_e32 v10, v10, v11
	s_waitcnt vmcnt(0)
	v_mul_f32_e32 v31, v6, v27
	v_fmac_f32_e32 v31, v7, v26
	v_add_f32_e32 v30, v30, v31
	v_mul_f32_e32 v31, v8, v29
	v_fmac_f32_e32 v31, v9, v28
	v_add_f32_e32 v34, v30, v31
	scratch_load_dwordx4 v[30:33], off, off offset:112
	v_mul_f32_e32 v7, v7, v27
	v_fma_f32 v6, v6, v26, -v7
	v_mul_f32_e32 v7, v9, v29
	v_add_f32_e32 v6, v10, v6
	v_fma_f32 v7, v8, v28, -v7
	v_add_f32_e32 v6, v6, v7
	s_waitcnt vmcnt(0)
	v_mul_f32_e32 v35, v2, v31
	v_fmac_f32_e32 v35, v3, v30
	v_add_f32_e32 v34, v34, v35
	v_mul_f32_e32 v35, v4, v33
	v_fmac_f32_e32 v35, v5, v32
	v_add_f32_e32 v42, v34, v35
	ds_read_b128 v[34:37], v142 offset:608
	v_mul_f32_e32 v3, v3, v31
	v_fma_f32 v2, v2, v30, -v3
	v_mul_f32_e32 v3, v5, v33
	v_add_f32_e32 v2, v6, v2
	s_waitcnt lgkmcnt(0)
	v_mul_f32_e32 v43, v34, v39
	v_fmac_f32_e32 v43, v35, v38
	v_add_f32_e32 v42, v42, v43
	v_mul_f32_e32 v43, v36, v41
	v_fmac_f32_e32 v43, v37, v40
	v_add_f32_e32 v50, v42, v43
	ds_read_b128 v[42:45], v142 offset:624
	v_fma_f32 v3, v4, v32, -v3
	v_add_f32_e32 v2, v2, v3
	v_mul_f32_e32 v3, v35, v39
	v_fma_f32 v3, v34, v38, -v3
	s_waitcnt lgkmcnt(0)
	v_mul_f32_e32 v51, v42, v47
	v_fmac_f32_e32 v51, v43, v46
	v_add_f32_e32 v50, v50, v51
	v_mul_f32_e32 v51, v44, v49
	v_fmac_f32_e32 v51, v45, v48
	v_add_f32_e32 v58, v50, v51
	ds_read_b128 v[50:53], v142 offset:640
	v_add_f32_e32 v2, v2, v3
	v_mul_f32_e32 v3, v37, v41
	v_fma_f32 v3, v36, v40, -v3
	v_add_f32_e32 v2, v2, v3
	s_waitcnt lgkmcnt(0)
	v_mul_f32_e32 v59, v50, v55
	v_fmac_f32_e32 v59, v51, v54
	v_add_f32_e32 v58, v58, v59
	v_mul_f32_e32 v59, v52, v57
	v_fmac_f32_e32 v59, v53, v56
	v_add_f32_e32 v66, v58, v59
	ds_read_b128 v[58:61], v142 offset:656
	v_mul_f32_e32 v3, v43, v47
	v_fma_f32 v3, v42, v46, -v3
	v_add_f32_e32 v2, v2, v3
	v_mul_f32_e32 v3, v45, v49
	s_waitcnt lgkmcnt(0)
	v_mul_f32_e32 v67, v58, v63
	v_fmac_f32_e32 v67, v59, v62
	v_add_f32_e32 v66, v66, v67
	v_mul_f32_e32 v67, v60, v65
	v_fmac_f32_e32 v67, v61, v64
	v_add_f32_e32 v74, v66, v67
	ds_read_b128 v[66:69], v142 offset:672
	v_fma_f32 v3, v44, v48, -v3
	v_add_f32_e32 v2, v2, v3
	v_mul_f32_e32 v3, v51, v55
	v_fma_f32 v3, v50, v54, -v3
	s_waitcnt lgkmcnt(0)
	v_mul_f32_e32 v75, v66, v71
	v_fmac_f32_e32 v75, v67, v70
	v_add_f32_e32 v74, v74, v75
	v_mul_f32_e32 v75, v68, v73
	v_fmac_f32_e32 v75, v69, v72
	v_add_f32_e32 v82, v74, v75
	ds_read_b128 v[74:77], v142 offset:688
	v_add_f32_e32 v2, v2, v3
	v_mul_f32_e32 v3, v53, v57
	v_fma_f32 v3, v52, v56, -v3
	v_add_f32_e32 v2, v2, v3
	s_waitcnt lgkmcnt(0)
	v_mul_f32_e32 v83, v74, v79
	v_fmac_f32_e32 v83, v75, v78
	v_add_f32_e32 v82, v82, v83
	v_mul_f32_e32 v83, v76, v81
	v_fmac_f32_e32 v83, v77, v80
	v_add_f32_e32 v90, v82, v83
	ds_read_b128 v[82:85], v142 offset:704
	v_mul_f32_e32 v3, v59, v63
	v_fma_f32 v3, v58, v62, -v3
	v_add_f32_e32 v2, v2, v3
	v_mul_f32_e32 v3, v61, v65
	s_waitcnt lgkmcnt(0)
	v_mul_f32_e32 v91, v82, v87
	v_fmac_f32_e32 v91, v83, v86
	v_add_f32_e32 v90, v90, v91
	v_mul_f32_e32 v91, v84, v89
	v_fmac_f32_e32 v91, v85, v88
	v_add_f32_e32 v98, v90, v91
	ds_read_b128 v[90:93], v142 offset:720
	v_fma_f32 v3, v60, v64, -v3
	v_add_f32_e32 v2, v2, v3
	v_mul_f32_e32 v3, v67, v71
	v_fma_f32 v3, v66, v70, -v3
	s_waitcnt lgkmcnt(0)
	v_mul_f32_e32 v99, v90, v95
	v_fmac_f32_e32 v99, v91, v94
	v_add_f32_e32 v98, v98, v99
	v_mul_f32_e32 v99, v92, v97
	v_fmac_f32_e32 v99, v93, v96
	v_add_f32_e32 v106, v98, v99
	ds_read_b128 v[98:101], v142 offset:736
	v_add_f32_e32 v2, v2, v3
	v_mul_f32_e32 v3, v69, v73
	v_fma_f32 v3, v68, v72, -v3
	v_add_f32_e32 v2, v2, v3
	s_waitcnt lgkmcnt(0)
	v_mul_f32_e32 v107, v98, v103
	v_fmac_f32_e32 v107, v99, v102
	v_add_f32_e32 v106, v106, v107
	v_mul_f32_e32 v107, v100, v105
	v_fmac_f32_e32 v107, v101, v104
	v_add_f32_e32 v114, v106, v107
	ds_read_b128 v[106:109], v142 offset:752
	v_mul_f32_e32 v3, v75, v79
	v_fma_f32 v3, v74, v78, -v3
	v_add_f32_e32 v2, v2, v3
	v_mul_f32_e32 v3, v77, v81
	s_waitcnt lgkmcnt(0)
	v_mul_f32_e32 v115, v106, v111
	v_fmac_f32_e32 v115, v107, v110
	v_add_f32_e32 v114, v114, v115
	v_mul_f32_e32 v115, v108, v113
	v_fmac_f32_e32 v115, v109, v112
	v_add_f32_e32 v122, v114, v115
	ds_read_b128 v[114:117], v142 offset:768
	v_fma_f32 v3, v76, v80, -v3
	v_add_f32_e32 v2, v2, v3
	v_mul_f32_e32 v3, v83, v87
	v_fma_f32 v3, v82, v86, -v3
	s_waitcnt lgkmcnt(0)
	v_mul_f32_e32 v123, v114, v119
	v_fmac_f32_e32 v123, v115, v118
	v_add_f32_e32 v122, v122, v123
	v_mul_f32_e32 v123, v116, v121
	v_fmac_f32_e32 v123, v117, v120
	v_add_f32_e32 v130, v122, v123
	ds_read_b128 v[122:125], v142 offset:784
	v_add_f32_e32 v2, v2, v3
	v_mul_f32_e32 v3, v85, v89
	v_fma_f32 v3, v84, v88, -v3
	v_add_f32_e32 v2, v2, v3
	s_waitcnt lgkmcnt(0)
	v_mul_f32_e32 v131, v122, v127
	v_fmac_f32_e32 v131, v123, v126
	v_add_f32_e32 v130, v130, v131
	v_mul_f32_e32 v131, v124, v129
	v_fmac_f32_e32 v131, v125, v128
	v_add_f32_e32 v138, v130, v131
	ds_read_b128 v[130:133], v142 offset:800
	v_mul_f32_e32 v3, v91, v95
	v_fma_f32 v3, v90, v94, -v3
	v_add_f32_e32 v2, v2, v3
	v_mul_f32_e32 v3, v93, v97
	s_waitcnt lgkmcnt(0)
	v_mul_f32_e32 v139, v130, v135
	v_fmac_f32_e32 v139, v131, v134
	v_add_f32_e32 v138, v138, v139
	v_mul_f32_e32 v139, v132, v137
	v_fmac_f32_e32 v139, v133, v136
	v_add_f32_e32 v143, v138, v139
	ds_read_b128 v[138:141], v142 offset:816
	scratch_load_dwordx4 v[198:201], off, off offset:416
	scratch_load_dwordx4 v[202:205], off, off offset:432
	;; [unrolled: 1-line block ×4, first 2 shown]
	v_fma_f32 v3, v92, v96, -v3
	v_add_f32_e32 v2, v2, v3
	v_mul_f32_e32 v3, v99, v103
	v_fma_f32 v3, v98, v102, -v3
	v_add_f32_e32 v2, v2, v3
	v_mul_f32_e32 v3, v101, v105
	;; [unrolled: 3-line block ×10, first 2 shown]
	v_fma_f32 v3, v132, v136, -v3
	s_waitcnt lgkmcnt(0)
	v_mul_f32_e32 v148, v138, v145
	v_add_f32_e32 v2, v2, v3
	v_mul_f32_e32 v3, v139, v145
	v_fmac_f32_e32 v148, v139, v144
	v_fma_f32 v3, v138, v144, -v3
	v_add_f32_e32 v143, v143, v148
	v_mul_f32_e32 v148, v140, v147
	v_add_f32_e32 v2, v2, v3
	v_mul_f32_e32 v3, v141, v147
	v_fmac_f32_e32 v148, v141, v146
	v_fma_f32 v3, v140, v146, -v3
	v_add_f32_e32 v143, v143, v148
	;; [unrolled: 6-line block ×8, first 2 shown]
	v_add_f32_e32 v148, v2, v3
	v_mul_f32_e32 v2, v191, v195
	v_fma_f32 v214, v190, v194, -v2
	v_mul_f32_e32 v2, v193, v197
	v_fma_f32 v216, v192, v196, -v2
	ds_read_b128 v[2:5], v142 offset:896
	ds_read_b128 v[6:9], v142 offset:912
	;; [unrolled: 1-line block ×4, first 2 shown]
	v_pk_add_f32 v[18:19], v[148:149], v[214:215]
	s_waitcnt vmcnt(3) lgkmcnt(3)
	v_pk_mul_f32 v[20:21], v[2:3], v[198:199] op_sel:[1,1] op_sel_hi:[0,1]
	v_pk_fma_f32 v[22:23], v[2:3], v[198:199], v[20:21] neg_lo:[0,0,1] neg_hi:[0,0,1]
	v_pk_fma_f32 v[2:3], v[2:3], v[198:199], v[20:21] op_sel_hi:[1,0,1]
	v_pk_add_f32 v[18:19], v[18:19], v[216:217]
	v_mov_b32_e32 v23, v3
	v_pk_add_f32 v[2:3], v[18:19], v[22:23]
	v_mov_b32_e32 v18, v201
	v_pk_mul_f32 v[18:19], v[4:5], v[18:19] op_sel:[1,0] op_sel_hi:[0,0]
	v_pk_fma_f32 v[20:21], v[4:5], v[200:201], v[18:19] neg_lo:[0,0,1] neg_hi:[0,0,1]
	v_pk_fma_f32 v[4:5], v[4:5], v[200:201], v[18:19] op_sel_hi:[1,0,1]
	s_nop 0
	v_mov_b32_e32 v21, v5
	s_waitcnt vmcnt(2) lgkmcnt(2)
	v_pk_mul_f32 v[4:5], v[6:7], v[202:203] op_sel:[1,1] op_sel_hi:[0,1]
	v_pk_fma_f32 v[18:19], v[6:7], v[202:203], v[4:5] neg_lo:[0,0,1] neg_hi:[0,0,1]
	v_pk_fma_f32 v[4:5], v[6:7], v[202:203], v[4:5] op_sel_hi:[1,0,1]
	v_pk_add_f32 v[2:3], v[2:3], v[20:21]
	v_mov_b32_e32 v4, v205
	v_mov_b32_e32 v19, v5
	v_pk_mul_f32 v[4:5], v[8:9], v[4:5] op_sel:[1,0] op_sel_hi:[0,0]
	v_pk_fma_f32 v[6:7], v[8:9], v[204:205], v[4:5] neg_lo:[0,0,1] neg_hi:[0,0,1]
	v_pk_fma_f32 v[4:5], v[8:9], v[204:205], v[4:5] op_sel_hi:[1,0,1]
	v_pk_add_f32 v[2:3], v[2:3], v[18:19]
	v_mov_b32_e32 v7, v5
	s_waitcnt vmcnt(1) lgkmcnt(1)
	v_pk_mul_f32 v[4:5], v[10:11], v[206:207] op_sel:[1,1] op_sel_hi:[0,1]
	v_pk_add_f32 v[2:3], v[2:3], v[6:7]
	v_pk_fma_f32 v[6:7], v[10:11], v[206:207], v[4:5] neg_lo:[0,0,1] neg_hi:[0,0,1]
	v_pk_fma_f32 v[4:5], v[10:11], v[206:207], v[4:5] op_sel_hi:[1,0,1]
	s_nop 0
	v_mov_b32_e32 v4, v209
	v_mov_b32_e32 v7, v5
	v_pk_mul_f32 v[4:5], v[12:13], v[4:5] op_sel:[1,0] op_sel_hi:[0,0]
	v_pk_add_f32 v[2:3], v[2:3], v[6:7]
	v_pk_fma_f32 v[6:7], v[12:13], v[208:209], v[4:5] neg_lo:[0,0,1] neg_hi:[0,0,1]
	v_pk_fma_f32 v[4:5], v[12:13], v[208:209], v[4:5] op_sel_hi:[1,0,1]
	s_nop 0
	v_mov_b32_e32 v7, v5
	s_waitcnt vmcnt(0) lgkmcnt(0)
	v_pk_mul_f32 v[4:5], v[14:15], v[210:211] op_sel:[1,1] op_sel_hi:[0,1]
	v_pk_add_f32 v[2:3], v[2:3], v[6:7]
	v_pk_fma_f32 v[6:7], v[14:15], v[210:211], v[4:5] neg_lo:[0,0,1] neg_hi:[0,0,1]
	v_pk_fma_f32 v[4:5], v[14:15], v[210:211], v[4:5] op_sel_hi:[1,0,1]
	s_nop 0
	v_mov_b32_e32 v4, v213
	v_mov_b32_e32 v7, v5
	v_pk_mul_f32 v[4:5], v[16:17], v[4:5] op_sel:[1,0] op_sel_hi:[0,0]
	v_pk_add_f32 v[2:3], v[2:3], v[6:7]
	v_pk_fma_f32 v[6:7], v[16:17], v[212:213], v[4:5] neg_lo:[0,0,1] neg_hi:[0,0,1]
	v_pk_fma_f32 v[4:5], v[16:17], v[212:213], v[4:5] op_sel_hi:[1,0,1]
	s_nop 0
	v_mov_b32_e32 v7, v5
	scratch_load_dwordx2 v[4:5], off, off offset:56
	v_pk_add_f32 v[2:3], v[2:3], v[6:7]
	s_waitcnt vmcnt(0)
	v_pk_add_f32 v[2:3], v[4:5], v[2:3] neg_lo:[0,1] neg_hi:[0,1]
	scratch_store_dwordx2 off, v[2:3], off offset:56
	s_and_saveexec_b64 s[0:1], vcc
	s_cbranch_execz .LBB123_361
; %bb.360:
	scratch_load_dwordx2 v[2:3], off, off offset:48
	v_mov_b32_e32 v4, 0
	v_mov_b32_e32 v5, v4
	scratch_store_dwordx2 off, v[4:5], off offset:48
	s_waitcnt vmcnt(1)
	ds_write_b64 v1, v[2:3]
.LBB123_361:
	s_or_b64 exec, exec, s[0:1]
	s_waitcnt lgkmcnt(0)
	; wave barrier
	scratch_load_dwordx4 v[6:9], off, off offset:56
	scratch_load_dwordx4 v[14:17], off, off offset:72
	;; [unrolled: 1-line block ×10, first 2 shown]
	v_mov_b32_e32 v166, 0
	ds_read2_b64 v[2:5], v166 offset0:67 offset1:68
	scratch_load_dwordx4 v[86:89], off, off offset:216
	scratch_load_dwordx4 v[94:97], off, off offset:232
	;; [unrolled: 1-line block ×13, first 2 shown]
	v_cmp_lt_u32_e32 vcc, 5, v0
	s_waitcnt vmcnt(22) lgkmcnt(0)
	v_mul_f32_e32 v10, v2, v7
	v_fmac_f32_e32 v10, v3, v6
	v_mul_f32_e32 v11, v4, v9
	v_add_f32_e32 v10, 0, v10
	v_fmac_f32_e32 v11, v5, v8
	v_add_f32_e32 v18, v10, v11
	ds_read2_b64 v[10:13], v166 offset0:69 offset1:70
	v_mul_f32_e32 v3, v3, v7
	v_fma_f32 v2, v2, v6, -v3
	v_mul_f32_e32 v3, v5, v9
	v_add_f32_e32 v2, 0, v2
	s_waitcnt vmcnt(21) lgkmcnt(0)
	v_mul_f32_e32 v19, v10, v15
	v_fmac_f32_e32 v19, v11, v14
	v_add_f32_e32 v18, v18, v19
	v_mul_f32_e32 v19, v12, v17
	v_fmac_f32_e32 v19, v13, v16
	v_add_f32_e32 v26, v18, v19
	ds_read2_b64 v[18:21], v166 offset0:71 offset1:72
	v_fma_f32 v3, v4, v8, -v3
	v_add_f32_e32 v2, v2, v3
	v_mul_f32_e32 v3, v11, v15
	v_fma_f32 v3, v10, v14, -v3
	s_waitcnt vmcnt(20) lgkmcnt(0)
	v_mul_f32_e32 v27, v18, v23
	v_fmac_f32_e32 v27, v19, v22
	v_add_f32_e32 v26, v26, v27
	v_mul_f32_e32 v27, v20, v25
	v_fmac_f32_e32 v27, v21, v24
	v_add_f32_e32 v34, v26, v27
	ds_read2_b64 v[26:29], v166 offset0:73 offset1:74
	v_add_f32_e32 v2, v2, v3
	v_mul_f32_e32 v3, v13, v17
	v_fma_f32 v3, v12, v16, -v3
	v_add_f32_e32 v2, v2, v3
	s_waitcnt vmcnt(19) lgkmcnt(0)
	v_mul_f32_e32 v35, v26, v31
	v_fmac_f32_e32 v35, v27, v30
	v_add_f32_e32 v34, v34, v35
	v_mul_f32_e32 v35, v28, v33
	v_fmac_f32_e32 v35, v29, v32
	v_add_f32_e32 v42, v34, v35
	ds_read2_b64 v[34:37], v166 offset0:75 offset1:76
	v_mul_f32_e32 v3, v19, v23
	v_fma_f32 v3, v18, v22, -v3
	v_add_f32_e32 v2, v2, v3
	v_mul_f32_e32 v3, v21, v25
	s_waitcnt vmcnt(18) lgkmcnt(0)
	v_mul_f32_e32 v43, v34, v39
	v_fmac_f32_e32 v43, v35, v38
	v_add_f32_e32 v42, v42, v43
	v_mul_f32_e32 v43, v36, v41
	v_fmac_f32_e32 v43, v37, v40
	v_add_f32_e32 v50, v42, v43
	ds_read2_b64 v[42:45], v166 offset0:77 offset1:78
	v_fma_f32 v3, v20, v24, -v3
	v_add_f32_e32 v2, v2, v3
	v_mul_f32_e32 v3, v27, v31
	v_fma_f32 v3, v26, v30, -v3
	s_waitcnt vmcnt(17) lgkmcnt(0)
	v_mul_f32_e32 v51, v42, v47
	v_fmac_f32_e32 v51, v43, v46
	v_add_f32_e32 v50, v50, v51
	v_mul_f32_e32 v51, v44, v49
	v_fmac_f32_e32 v51, v45, v48
	v_add_f32_e32 v58, v50, v51
	ds_read2_b64 v[50:53], v166 offset0:79 offset1:80
	v_add_f32_e32 v2, v2, v3
	v_mul_f32_e32 v3, v29, v33
	v_fma_f32 v3, v28, v32, -v3
	v_add_f32_e32 v2, v2, v3
	s_waitcnt vmcnt(16) lgkmcnt(0)
	v_mul_f32_e32 v59, v50, v55
	v_fmac_f32_e32 v59, v51, v54
	v_add_f32_e32 v58, v58, v59
	v_mul_f32_e32 v59, v52, v57
	v_fmac_f32_e32 v59, v53, v56
	v_add_f32_e32 v66, v58, v59
	ds_read2_b64 v[58:61], v166 offset0:81 offset1:82
	v_mul_f32_e32 v3, v35, v39
	v_fma_f32 v3, v34, v38, -v3
	v_add_f32_e32 v2, v2, v3
	v_mul_f32_e32 v3, v37, v41
	;; [unrolled: 36-line block ×6, first 2 shown]
	s_waitcnt vmcnt(3) lgkmcnt(0)
	v_mul_f32_e32 v180, v172, v177
	v_fmac_f32_e32 v180, v173, v176
	v_add_f32_e32 v167, v167, v180
	v_mul_f32_e32 v180, v174, v179
	v_fmac_f32_e32 v180, v175, v178
	v_add_f32_e32 v167, v167, v180
	ds_read2_b64 v[180:183], v166 offset0:107 offset1:108
	v_fma_f32 v3, v100, v104, -v3
	v_add_f32_e32 v2, v2, v3
	v_mul_f32_e32 v3, v107, v111
	v_fma_f32 v3, v106, v110, -v3
	s_waitcnt vmcnt(2) lgkmcnt(0)
	v_mul_f32_e32 v188, v180, v185
	v_fmac_f32_e32 v188, v181, v184
	v_add_f32_e32 v167, v167, v188
	v_mul_f32_e32 v188, v182, v187
	v_fmac_f32_e32 v188, v183, v186
	v_add_f32_e32 v167, v167, v188
	ds_read2_b64 v[188:191], v166 offset0:109 offset1:110
	v_add_f32_e32 v2, v2, v3
	v_mul_f32_e32 v3, v109, v113
	v_fma_f32 v3, v108, v112, -v3
	v_add_f32_e32 v2, v2, v3
	s_waitcnt vmcnt(1) lgkmcnt(0)
	v_mul_f32_e32 v196, v188, v193
	v_fmac_f32_e32 v196, v189, v192
	v_add_f32_e32 v217, v167, v196
	ds_read2_b64 v[196:199], v166 offset0:111 offset1:112
	scratch_load_dwordx4 v[204:207], off, off offset:424
	scratch_load_dwordx4 v[208:211], off, off offset:440
	;; [unrolled: 1-line block ×3, first 2 shown]
	scratch_load_dwordx2 v[222:223], off, off offset:472
	v_mul_f32_e32 v3, v115, v119
	v_fma_f32 v3, v114, v118, -v3
	v_add_f32_e32 v2, v2, v3
	v_mul_f32_e32 v3, v117, v121
	v_fma_f32 v3, v116, v120, -v3
	v_add_f32_e32 v2, v2, v3
	;; [unrolled: 3-line block ×15, first 2 shown]
	v_mul_f32_e32 v2, v191, v195
	v_mul_f32_e32 v219, v190, v195
	v_fma_f32 v218, v190, v194, -v2
	s_waitcnt vmcnt(4) lgkmcnt(0)
	v_mul_f32_e32 v2, v197, v201
	v_mov_b32_e32 v18, v203
	v_fmac_f32_e32 v219, v191, v194
	v_mul_f32_e32 v221, v196, v201
	v_fma_f32 v220, v196, v200, -v2
	ds_read2_b64 v[2:5], v166 offset0:113 offset1:114
	ds_read2_b64 v[6:9], v166 offset0:115 offset1:116
	;; [unrolled: 1-line block ×3, first 2 shown]
	ds_read_b64 v[14:15], v166 offset:952
	v_pk_mul_f32 v[18:19], v[198:199], v[18:19] op_sel:[1,0] op_sel_hi:[0,0]
	v_fmac_f32_e32 v221, v197, v200
	v_pk_add_f32 v[16:17], v[216:217], v[218:219]
	v_pk_fma_f32 v[20:21], v[198:199], v[202:203], v[18:19] neg_lo:[0,0,1] neg_hi:[0,0,1]
	v_pk_fma_f32 v[18:19], v[198:199], v[202:203], v[18:19] op_sel_hi:[1,0,1]
	v_pk_add_f32 v[16:17], v[16:17], v[220:221]
	v_mov_b32_e32 v21, v19
	v_pk_add_f32 v[16:17], v[16:17], v[20:21]
	s_waitcnt vmcnt(3) lgkmcnt(3)
	v_pk_mul_f32 v[18:19], v[2:3], v[204:205] op_sel:[1,1] op_sel_hi:[0,1]
	v_pk_fma_f32 v[20:21], v[2:3], v[204:205], v[18:19] neg_lo:[0,0,1] neg_hi:[0,0,1]
	v_pk_fma_f32 v[2:3], v[2:3], v[204:205], v[18:19] op_sel_hi:[1,0,1]
	s_nop 0
	v_mov_b32_e32 v21, v3
	v_pk_add_f32 v[2:3], v[16:17], v[20:21]
	v_mov_b32_e32 v16, v207
	v_pk_mul_f32 v[16:17], v[4:5], v[16:17] op_sel:[1,0] op_sel_hi:[0,0]
	v_pk_fma_f32 v[18:19], v[4:5], v[206:207], v[16:17] neg_lo:[0,0,1] neg_hi:[0,0,1]
	v_pk_fma_f32 v[4:5], v[4:5], v[206:207], v[16:17] op_sel_hi:[1,0,1]
	s_nop 0
	v_mov_b32_e32 v19, v5
	s_waitcnt vmcnt(2) lgkmcnt(2)
	v_pk_mul_f32 v[4:5], v[6:7], v[208:209] op_sel:[1,1] op_sel_hi:[0,1]
	v_pk_fma_f32 v[16:17], v[6:7], v[208:209], v[4:5] neg_lo:[0,0,1] neg_hi:[0,0,1]
	v_pk_fma_f32 v[4:5], v[6:7], v[208:209], v[4:5] op_sel_hi:[1,0,1]
	v_pk_add_f32 v[2:3], v[2:3], v[18:19]
	v_mov_b32_e32 v4, v211
	v_mov_b32_e32 v17, v5
	v_pk_mul_f32 v[4:5], v[8:9], v[4:5] op_sel:[1,0] op_sel_hi:[0,0]
	v_pk_fma_f32 v[6:7], v[8:9], v[210:211], v[4:5] neg_lo:[0,0,1] neg_hi:[0,0,1]
	v_pk_fma_f32 v[4:5], v[8:9], v[210:211], v[4:5] op_sel_hi:[1,0,1]
	v_pk_add_f32 v[2:3], v[2:3], v[16:17]
	v_mov_b32_e32 v7, v5
	s_waitcnt vmcnt(1) lgkmcnt(1)
	v_pk_mul_f32 v[4:5], v[10:11], v[212:213] op_sel:[1,1] op_sel_hi:[0,1]
	v_pk_add_f32 v[2:3], v[2:3], v[6:7]
	v_pk_fma_f32 v[6:7], v[10:11], v[212:213], v[4:5] neg_lo:[0,0,1] neg_hi:[0,0,1]
	v_pk_fma_f32 v[4:5], v[10:11], v[212:213], v[4:5] op_sel_hi:[1,0,1]
	s_nop 0
	v_mov_b32_e32 v4, v215
	v_mov_b32_e32 v7, v5
	v_pk_mul_f32 v[4:5], v[12:13], v[4:5] op_sel:[1,0] op_sel_hi:[0,0]
	v_pk_add_f32 v[2:3], v[2:3], v[6:7]
	v_pk_fma_f32 v[6:7], v[12:13], v[214:215], v[4:5] neg_lo:[0,0,1] neg_hi:[0,0,1]
	v_pk_fma_f32 v[4:5], v[12:13], v[214:215], v[4:5] op_sel_hi:[1,0,1]
	s_nop 0
	v_mov_b32_e32 v7, v5
	s_waitcnt vmcnt(0) lgkmcnt(0)
	v_pk_mul_f32 v[4:5], v[14:15], v[222:223] op_sel:[1,1] op_sel_hi:[0,1]
	v_pk_add_f32 v[2:3], v[2:3], v[6:7]
	v_pk_fma_f32 v[6:7], v[14:15], v[222:223], v[4:5] neg_lo:[0,0,1] neg_hi:[0,0,1]
	v_pk_fma_f32 v[4:5], v[14:15], v[222:223], v[4:5] op_sel_hi:[1,0,1]
	s_nop 0
	v_mov_b32_e32 v7, v5
	scratch_load_dwordx2 v[4:5], off, off offset:48
	v_pk_add_f32 v[2:3], v[2:3], v[6:7]
	s_waitcnt vmcnt(0)
	v_pk_add_f32 v[2:3], v[4:5], v[2:3] neg_lo:[0,1] neg_hi:[0,1]
	scratch_store_dwordx2 off, v[2:3], off offset:48
	s_and_saveexec_b64 s[0:1], vcc
	s_cbranch_execz .LBB123_363
; %bb.362:
	scratch_load_dwordx2 v[2:3], off, off offset:40
	v_mov_b32_e32 v167, v166
	scratch_store_dwordx2 off, v[166:167], off offset:40
	s_waitcnt vmcnt(1)
	ds_write_b64 v1, v[2:3]
.LBB123_363:
	s_or_b64 exec, exec, s[0:1]
	s_waitcnt lgkmcnt(0)
	; wave barrier
	ds_read_b128 v[14:17], v166 offset:528
	ds_read_b128 v[10:13], v166 offset:544
	;; [unrolled: 1-line block ×4, first 2 shown]
	scratch_load_dwordx4 v[18:21], off, off offset:48
	scratch_load_dwordx4 v[38:41], off, off offset:112
	;; [unrolled: 1-line block ×17, first 2 shown]
	v_cmp_lt_u32_e32 vcc, 4, v0
	scratch_load_dwordx4 v[46:49], off, off offset:128
	scratch_load_dwordx4 v[54:57], off, off offset:144
	;; [unrolled: 1-line block ×3, first 2 shown]
	s_waitcnt vmcnt(19) lgkmcnt(3)
	v_mul_f32_e32 v22, v14, v19
	v_fmac_f32_e32 v22, v15, v18
	v_mul_f32_e32 v23, v16, v21
	v_add_f32_e32 v22, 0, v22
	v_fmac_f32_e32 v23, v17, v20
	v_add_f32_e32 v26, v22, v23
	scratch_load_dwordx4 v[22:25], off, off offset:64
	v_mul_f32_e32 v15, v15, v19
	v_fma_f32 v14, v14, v18, -v15
	v_mul_f32_e32 v15, v17, v21
	v_add_f32_e32 v14, 0, v14
	v_fma_f32 v15, v16, v20, -v15
	v_add_f32_e32 v14, v14, v15
	s_waitcnt vmcnt(0) lgkmcnt(2)
	v_mul_f32_e32 v27, v10, v23
	v_fmac_f32_e32 v27, v11, v22
	v_add_f32_e32 v26, v26, v27
	v_mul_f32_e32 v27, v12, v25
	v_fmac_f32_e32 v27, v13, v24
	v_add_f32_e32 v30, v26, v27
	scratch_load_dwordx4 v[26:29], off, off offset:80
	v_mul_f32_e32 v11, v11, v23
	v_fma_f32 v10, v10, v22, -v11
	v_mul_f32_e32 v11, v13, v25
	v_add_f32_e32 v10, v14, v10
	v_fma_f32 v11, v12, v24, -v11
	v_add_f32_e32 v10, v10, v11
	s_waitcnt vmcnt(0) lgkmcnt(1)
	v_mul_f32_e32 v31, v6, v27
	v_fmac_f32_e32 v31, v7, v26
	v_add_f32_e32 v30, v30, v31
	v_mul_f32_e32 v31, v8, v29
	;; [unrolled: 14-line block ×3, first 2 shown]
	v_fmac_f32_e32 v35, v5, v32
	v_add_f32_e32 v42, v34, v35
	ds_read_b128 v[34:37], v166 offset:592
	v_mul_f32_e32 v3, v3, v31
	v_fma_f32 v2, v2, v30, -v3
	v_mul_f32_e32 v3, v5, v33
	v_add_f32_e32 v2, v6, v2
	s_waitcnt lgkmcnt(0)
	v_mul_f32_e32 v43, v34, v39
	v_fmac_f32_e32 v43, v35, v38
	v_add_f32_e32 v42, v42, v43
	v_mul_f32_e32 v43, v36, v41
	v_fmac_f32_e32 v43, v37, v40
	v_add_f32_e32 v50, v42, v43
	ds_read_b128 v[42:45], v166 offset:608
	v_fma_f32 v3, v4, v32, -v3
	v_add_f32_e32 v2, v2, v3
	v_mul_f32_e32 v3, v35, v39
	v_fma_f32 v3, v34, v38, -v3
	s_waitcnt lgkmcnt(0)
	v_mul_f32_e32 v51, v42, v47
	v_fmac_f32_e32 v51, v43, v46
	v_add_f32_e32 v50, v50, v51
	v_mul_f32_e32 v51, v44, v49
	v_fmac_f32_e32 v51, v45, v48
	v_add_f32_e32 v58, v50, v51
	ds_read_b128 v[50:53], v166 offset:624
	v_add_f32_e32 v2, v2, v3
	v_mul_f32_e32 v3, v37, v41
	v_fma_f32 v3, v36, v40, -v3
	v_add_f32_e32 v2, v2, v3
	s_waitcnt lgkmcnt(0)
	v_mul_f32_e32 v59, v50, v55
	v_fmac_f32_e32 v59, v51, v54
	v_add_f32_e32 v58, v58, v59
	v_mul_f32_e32 v59, v52, v57
	v_fmac_f32_e32 v59, v53, v56
	v_add_f32_e32 v66, v58, v59
	ds_read_b128 v[58:61], v166 offset:640
	v_mul_f32_e32 v3, v43, v47
	v_fma_f32 v3, v42, v46, -v3
	v_add_f32_e32 v2, v2, v3
	v_mul_f32_e32 v3, v45, v49
	s_waitcnt lgkmcnt(0)
	v_mul_f32_e32 v67, v58, v63
	v_fmac_f32_e32 v67, v59, v62
	v_add_f32_e32 v66, v66, v67
	v_mul_f32_e32 v67, v60, v65
	v_fmac_f32_e32 v67, v61, v64
	v_add_f32_e32 v74, v66, v67
	ds_read_b128 v[66:69], v166 offset:656
	v_fma_f32 v3, v44, v48, -v3
	v_add_f32_e32 v2, v2, v3
	v_mul_f32_e32 v3, v51, v55
	v_fma_f32 v3, v50, v54, -v3
	s_waitcnt lgkmcnt(0)
	v_mul_f32_e32 v75, v66, v71
	v_fmac_f32_e32 v75, v67, v70
	v_add_f32_e32 v74, v74, v75
	v_mul_f32_e32 v75, v68, v73
	v_fmac_f32_e32 v75, v69, v72
	v_add_f32_e32 v82, v74, v75
	ds_read_b128 v[74:77], v166 offset:672
	v_add_f32_e32 v2, v2, v3
	v_mul_f32_e32 v3, v53, v57
	v_fma_f32 v3, v52, v56, -v3
	v_add_f32_e32 v2, v2, v3
	s_waitcnt lgkmcnt(0)
	v_mul_f32_e32 v83, v74, v79
	v_fmac_f32_e32 v83, v75, v78
	v_add_f32_e32 v82, v82, v83
	v_mul_f32_e32 v83, v76, v81
	v_fmac_f32_e32 v83, v77, v80
	v_add_f32_e32 v90, v82, v83
	ds_read_b128 v[82:85], v166 offset:688
	v_mul_f32_e32 v3, v59, v63
	v_fma_f32 v3, v58, v62, -v3
	v_add_f32_e32 v2, v2, v3
	v_mul_f32_e32 v3, v61, v65
	;; [unrolled: 36-line block ×5, first 2 shown]
	s_waitcnt lgkmcnt(0)
	v_mul_f32_e32 v180, v172, v177
	v_fmac_f32_e32 v180, v173, v176
	v_add_f32_e32 v167, v167, v180
	v_mul_f32_e32 v180, v174, v179
	v_fmac_f32_e32 v180, v175, v178
	v_add_f32_e32 v167, v167, v180
	ds_read_b128 v[180:183], v166 offset:848
	v_fma_f32 v3, v108, v112, -v3
	v_add_f32_e32 v2, v2, v3
	v_mul_f32_e32 v3, v115, v119
	v_fma_f32 v3, v114, v118, -v3
	s_waitcnt lgkmcnt(0)
	v_mul_f32_e32 v188, v180, v185
	v_fmac_f32_e32 v188, v181, v184
	v_add_f32_e32 v167, v167, v188
	v_mul_f32_e32 v188, v182, v187
	v_fmac_f32_e32 v188, v183, v186
	v_add_f32_e32 v167, v167, v188
	ds_read_b128 v[188:191], v166 offset:864
	v_add_f32_e32 v2, v2, v3
	v_mul_f32_e32 v3, v117, v121
	v_fma_f32 v3, v116, v120, -v3
	v_add_f32_e32 v2, v2, v3
	s_waitcnt lgkmcnt(0)
	v_mul_f32_e32 v196, v188, v193
	v_fmac_f32_e32 v196, v189, v192
	v_add_f32_e32 v167, v167, v196
	v_mul_f32_e32 v196, v190, v195
	v_fmac_f32_e32 v196, v191, v194
	v_add_f32_e32 v221, v167, v196
	ds_read_b128 v[196:199], v166 offset:880
	scratch_load_dwordx4 v[204:207], off, off offset:416
	scratch_load_dwordx4 v[208:211], off, off offset:432
	;; [unrolled: 1-line block ×4, first 2 shown]
	v_mul_f32_e32 v3, v123, v127
	v_fma_f32 v3, v122, v126, -v3
	v_add_f32_e32 v2, v2, v3
	v_mul_f32_e32 v3, v125, v129
	v_fma_f32 v3, v124, v128, -v3
	v_add_f32_e32 v2, v2, v3
	;; [unrolled: 3-line block ×14, first 2 shown]
	s_waitcnt lgkmcnt(0)
	v_mul_f32_e32 v2, v197, v201
	v_fma_f32 v222, v196, v200, -v2
	v_mul_f32_e32 v2, v199, v203
	v_fma_f32 v224, v198, v202, -v2
	ds_read_b128 v[2:5], v166 offset:896
	ds_read_b128 v[6:9], v166 offset:912
	ds_read_b128 v[10:13], v166 offset:928
	ds_read_b128 v[14:17], v166 offset:944
	v_mul_f32_e32 v223, v196, v201
	v_fmac_f32_e32 v223, v197, v200
	v_mul_f32_e32 v225, v198, v203
	v_fmac_f32_e32 v225, v199, v202
	v_pk_add_f32 v[18:19], v[220:221], v[222:223]
	s_waitcnt vmcnt(3) lgkmcnt(3)
	v_pk_mul_f32 v[20:21], v[2:3], v[204:205] op_sel:[1,1] op_sel_hi:[0,1]
	v_pk_fma_f32 v[22:23], v[2:3], v[204:205], v[20:21] neg_lo:[0,0,1] neg_hi:[0,0,1]
	v_pk_fma_f32 v[2:3], v[2:3], v[204:205], v[20:21] op_sel_hi:[1,0,1]
	v_pk_add_f32 v[18:19], v[18:19], v[224:225]
	v_mov_b32_e32 v23, v3
	v_pk_add_f32 v[2:3], v[18:19], v[22:23]
	v_mov_b32_e32 v18, v207
	v_pk_mul_f32 v[18:19], v[4:5], v[18:19] op_sel:[1,0] op_sel_hi:[0,0]
	v_pk_fma_f32 v[20:21], v[4:5], v[206:207], v[18:19] neg_lo:[0,0,1] neg_hi:[0,0,1]
	v_pk_fma_f32 v[4:5], v[4:5], v[206:207], v[18:19] op_sel_hi:[1,0,1]
	s_nop 0
	v_mov_b32_e32 v21, v5
	s_waitcnt vmcnt(2) lgkmcnt(2)
	v_pk_mul_f32 v[4:5], v[6:7], v[208:209] op_sel:[1,1] op_sel_hi:[0,1]
	v_pk_fma_f32 v[18:19], v[6:7], v[208:209], v[4:5] neg_lo:[0,0,1] neg_hi:[0,0,1]
	v_pk_fma_f32 v[4:5], v[6:7], v[208:209], v[4:5] op_sel_hi:[1,0,1]
	v_pk_add_f32 v[2:3], v[2:3], v[20:21]
	v_mov_b32_e32 v4, v211
	v_mov_b32_e32 v19, v5
	v_pk_mul_f32 v[4:5], v[8:9], v[4:5] op_sel:[1,0] op_sel_hi:[0,0]
	v_pk_fma_f32 v[6:7], v[8:9], v[210:211], v[4:5] neg_lo:[0,0,1] neg_hi:[0,0,1]
	v_pk_fma_f32 v[4:5], v[8:9], v[210:211], v[4:5] op_sel_hi:[1,0,1]
	v_pk_add_f32 v[2:3], v[2:3], v[18:19]
	v_mov_b32_e32 v7, v5
	s_waitcnt vmcnt(1) lgkmcnt(1)
	v_pk_mul_f32 v[4:5], v[10:11], v[212:213] op_sel:[1,1] op_sel_hi:[0,1]
	v_pk_add_f32 v[2:3], v[2:3], v[6:7]
	v_pk_fma_f32 v[6:7], v[10:11], v[212:213], v[4:5] neg_lo:[0,0,1] neg_hi:[0,0,1]
	v_pk_fma_f32 v[4:5], v[10:11], v[212:213], v[4:5] op_sel_hi:[1,0,1]
	s_nop 0
	v_mov_b32_e32 v4, v215
	v_mov_b32_e32 v7, v5
	v_pk_mul_f32 v[4:5], v[12:13], v[4:5] op_sel:[1,0] op_sel_hi:[0,0]
	v_pk_add_f32 v[2:3], v[2:3], v[6:7]
	v_pk_fma_f32 v[6:7], v[12:13], v[214:215], v[4:5] neg_lo:[0,0,1] neg_hi:[0,0,1]
	v_pk_fma_f32 v[4:5], v[12:13], v[214:215], v[4:5] op_sel_hi:[1,0,1]
	s_nop 0
	v_mov_b32_e32 v7, v5
	s_waitcnt vmcnt(0) lgkmcnt(0)
	v_pk_mul_f32 v[4:5], v[14:15], v[216:217] op_sel:[1,1] op_sel_hi:[0,1]
	v_pk_add_f32 v[2:3], v[2:3], v[6:7]
	v_pk_fma_f32 v[6:7], v[14:15], v[216:217], v[4:5] neg_lo:[0,0,1] neg_hi:[0,0,1]
	v_pk_fma_f32 v[4:5], v[14:15], v[216:217], v[4:5] op_sel_hi:[1,0,1]
	s_nop 0
	v_mov_b32_e32 v4, v219
	v_mov_b32_e32 v7, v5
	v_pk_mul_f32 v[4:5], v[16:17], v[4:5] op_sel:[1,0] op_sel_hi:[0,0]
	v_pk_add_f32 v[2:3], v[2:3], v[6:7]
	v_pk_fma_f32 v[6:7], v[16:17], v[218:219], v[4:5] neg_lo:[0,0,1] neg_hi:[0,0,1]
	v_pk_fma_f32 v[4:5], v[16:17], v[218:219], v[4:5] op_sel_hi:[1,0,1]
	s_nop 0
	v_mov_b32_e32 v7, v5
	scratch_load_dwordx2 v[4:5], off, off offset:40
	v_pk_add_f32 v[2:3], v[2:3], v[6:7]
	s_waitcnt vmcnt(0)
	v_pk_add_f32 v[2:3], v[4:5], v[2:3] neg_lo:[0,1] neg_hi:[0,1]
	scratch_store_dwordx2 off, v[2:3], off offset:40
	s_and_saveexec_b64 s[0:1], vcc
	s_cbranch_execz .LBB123_365
; %bb.364:
	scratch_load_dwordx2 v[2:3], off, off offset:32
	v_mov_b32_e32 v4, 0
	v_mov_b32_e32 v5, v4
	scratch_store_dwordx2 off, v[4:5], off offset:32
	s_waitcnt vmcnt(1)
	ds_write_b64 v1, v[2:3]
.LBB123_365:
	s_or_b64 exec, exec, s[0:1]
	s_waitcnt lgkmcnt(0)
	; wave barrier
	scratch_load_dwordx4 v[6:9], off, off offset:40
	scratch_load_dwordx4 v[14:17], off, off offset:56
	;; [unrolled: 1-line block ×10, first 2 shown]
	v_mov_b32_e32 v166, 0
	ds_read2_b64 v[2:5], v166 offset0:65 offset1:66
	scratch_load_dwordx4 v[86:89], off, off offset:200
	scratch_load_dwordx4 v[94:97], off, off offset:216
	;; [unrolled: 1-line block ×14, first 2 shown]
	v_cmp_lt_u32_e32 vcc, 3, v0
	s_waitcnt vmcnt(23) lgkmcnt(0)
	v_mul_f32_e32 v10, v2, v7
	v_fmac_f32_e32 v10, v3, v6
	v_mul_f32_e32 v11, v4, v9
	v_add_f32_e32 v10, 0, v10
	v_fmac_f32_e32 v11, v5, v8
	v_add_f32_e32 v18, v10, v11
	ds_read2_b64 v[10:13], v166 offset0:67 offset1:68
	v_mul_f32_e32 v3, v3, v7
	v_fma_f32 v2, v2, v6, -v3
	v_mul_f32_e32 v3, v5, v9
	v_add_f32_e32 v2, 0, v2
	s_waitcnt vmcnt(22) lgkmcnt(0)
	v_mul_f32_e32 v19, v10, v15
	v_fmac_f32_e32 v19, v11, v14
	v_add_f32_e32 v18, v18, v19
	v_mul_f32_e32 v19, v12, v17
	v_fmac_f32_e32 v19, v13, v16
	v_add_f32_e32 v26, v18, v19
	ds_read2_b64 v[18:21], v166 offset0:69 offset1:70
	v_fma_f32 v3, v4, v8, -v3
	v_add_f32_e32 v2, v2, v3
	v_mul_f32_e32 v3, v11, v15
	v_fma_f32 v3, v10, v14, -v3
	s_waitcnt vmcnt(21) lgkmcnt(0)
	v_mul_f32_e32 v27, v18, v23
	v_fmac_f32_e32 v27, v19, v22
	v_add_f32_e32 v26, v26, v27
	v_mul_f32_e32 v27, v20, v25
	v_fmac_f32_e32 v27, v21, v24
	v_add_f32_e32 v34, v26, v27
	ds_read2_b64 v[26:29], v166 offset0:71 offset1:72
	v_add_f32_e32 v2, v2, v3
	v_mul_f32_e32 v3, v13, v17
	v_fma_f32 v3, v12, v16, -v3
	v_add_f32_e32 v2, v2, v3
	s_waitcnt vmcnt(20) lgkmcnt(0)
	v_mul_f32_e32 v35, v26, v31
	v_fmac_f32_e32 v35, v27, v30
	v_add_f32_e32 v34, v34, v35
	v_mul_f32_e32 v35, v28, v33
	v_fmac_f32_e32 v35, v29, v32
	v_add_f32_e32 v42, v34, v35
	ds_read2_b64 v[34:37], v166 offset0:73 offset1:74
	v_mul_f32_e32 v3, v19, v23
	v_fma_f32 v3, v18, v22, -v3
	v_add_f32_e32 v2, v2, v3
	v_mul_f32_e32 v3, v21, v25
	s_waitcnt vmcnt(19) lgkmcnt(0)
	v_mul_f32_e32 v43, v34, v39
	v_fmac_f32_e32 v43, v35, v38
	v_add_f32_e32 v42, v42, v43
	v_mul_f32_e32 v43, v36, v41
	v_fmac_f32_e32 v43, v37, v40
	v_add_f32_e32 v50, v42, v43
	ds_read2_b64 v[42:45], v166 offset0:75 offset1:76
	v_fma_f32 v3, v20, v24, -v3
	v_add_f32_e32 v2, v2, v3
	v_mul_f32_e32 v3, v27, v31
	v_fma_f32 v3, v26, v30, -v3
	s_waitcnt vmcnt(18) lgkmcnt(0)
	v_mul_f32_e32 v51, v42, v47
	v_fmac_f32_e32 v51, v43, v46
	v_add_f32_e32 v50, v50, v51
	v_mul_f32_e32 v51, v44, v49
	v_fmac_f32_e32 v51, v45, v48
	v_add_f32_e32 v58, v50, v51
	ds_read2_b64 v[50:53], v166 offset0:77 offset1:78
	v_add_f32_e32 v2, v2, v3
	v_mul_f32_e32 v3, v29, v33
	v_fma_f32 v3, v28, v32, -v3
	v_add_f32_e32 v2, v2, v3
	s_waitcnt vmcnt(17) lgkmcnt(0)
	v_mul_f32_e32 v59, v50, v55
	v_fmac_f32_e32 v59, v51, v54
	v_add_f32_e32 v58, v58, v59
	v_mul_f32_e32 v59, v52, v57
	v_fmac_f32_e32 v59, v53, v56
	v_add_f32_e32 v66, v58, v59
	ds_read2_b64 v[58:61], v166 offset0:79 offset1:80
	v_mul_f32_e32 v3, v35, v39
	v_fma_f32 v3, v34, v38, -v3
	v_add_f32_e32 v2, v2, v3
	v_mul_f32_e32 v3, v37, v41
	;; [unrolled: 36-line block ×7, first 2 shown]
	s_waitcnt vmcnt(1) lgkmcnt(0)
	v_mul_f32_e32 v204, v196, v201
	v_fmac_f32_e32 v204, v197, v200
	v_add_f32_e32 v225, v167, v204
	ds_read2_b64 v[204:207], v166 offset0:111 offset1:112
	scratch_load_dwordx4 v[212:215], off, off offset:424
	scratch_load_dwordx4 v[216:219], off, off offset:440
	;; [unrolled: 1-line block ×3, first 2 shown]
	scratch_load_dwordx2 v[230:231], off, off offset:472
	v_fma_f32 v3, v116, v120, -v3
	v_add_f32_e32 v2, v2, v3
	v_mul_f32_e32 v3, v123, v127
	v_fma_f32 v3, v122, v126, -v3
	v_add_f32_e32 v2, v2, v3
	v_mul_f32_e32 v3, v125, v129
	;; [unrolled: 3-line block ×16, first 2 shown]
	v_mul_f32_e32 v227, v198, v203
	v_fma_f32 v226, v198, v202, -v2
	s_waitcnt vmcnt(4) lgkmcnt(0)
	v_mul_f32_e32 v2, v205, v209
	v_mov_b32_e32 v18, v211
	v_fmac_f32_e32 v227, v199, v202
	v_mul_f32_e32 v229, v204, v209
	v_fma_f32 v228, v204, v208, -v2
	ds_read2_b64 v[2:5], v166 offset0:113 offset1:114
	ds_read2_b64 v[6:9], v166 offset0:115 offset1:116
	;; [unrolled: 1-line block ×3, first 2 shown]
	ds_read_b64 v[14:15], v166 offset:952
	v_pk_mul_f32 v[18:19], v[206:207], v[18:19] op_sel:[1,0] op_sel_hi:[0,0]
	v_fmac_f32_e32 v229, v205, v208
	v_pk_add_f32 v[16:17], v[224:225], v[226:227]
	v_pk_fma_f32 v[20:21], v[206:207], v[210:211], v[18:19] neg_lo:[0,0,1] neg_hi:[0,0,1]
	v_pk_fma_f32 v[18:19], v[206:207], v[210:211], v[18:19] op_sel_hi:[1,0,1]
	v_pk_add_f32 v[16:17], v[16:17], v[228:229]
	v_mov_b32_e32 v21, v19
	v_pk_add_f32 v[16:17], v[16:17], v[20:21]
	s_waitcnt vmcnt(3) lgkmcnt(3)
	v_pk_mul_f32 v[18:19], v[2:3], v[212:213] op_sel:[1,1] op_sel_hi:[0,1]
	v_pk_fma_f32 v[20:21], v[2:3], v[212:213], v[18:19] neg_lo:[0,0,1] neg_hi:[0,0,1]
	v_pk_fma_f32 v[2:3], v[2:3], v[212:213], v[18:19] op_sel_hi:[1,0,1]
	s_nop 0
	v_mov_b32_e32 v21, v3
	v_pk_add_f32 v[2:3], v[16:17], v[20:21]
	v_mov_b32_e32 v16, v215
	v_pk_mul_f32 v[16:17], v[4:5], v[16:17] op_sel:[1,0] op_sel_hi:[0,0]
	v_pk_fma_f32 v[18:19], v[4:5], v[214:215], v[16:17] neg_lo:[0,0,1] neg_hi:[0,0,1]
	v_pk_fma_f32 v[4:5], v[4:5], v[214:215], v[16:17] op_sel_hi:[1,0,1]
	s_nop 0
	v_mov_b32_e32 v19, v5
	s_waitcnt vmcnt(2) lgkmcnt(2)
	v_pk_mul_f32 v[4:5], v[6:7], v[216:217] op_sel:[1,1] op_sel_hi:[0,1]
	v_pk_fma_f32 v[16:17], v[6:7], v[216:217], v[4:5] neg_lo:[0,0,1] neg_hi:[0,0,1]
	v_pk_fma_f32 v[4:5], v[6:7], v[216:217], v[4:5] op_sel_hi:[1,0,1]
	v_pk_add_f32 v[2:3], v[2:3], v[18:19]
	v_mov_b32_e32 v4, v219
	v_mov_b32_e32 v17, v5
	v_pk_mul_f32 v[4:5], v[8:9], v[4:5] op_sel:[1,0] op_sel_hi:[0,0]
	v_pk_fma_f32 v[6:7], v[8:9], v[218:219], v[4:5] neg_lo:[0,0,1] neg_hi:[0,0,1]
	v_pk_fma_f32 v[4:5], v[8:9], v[218:219], v[4:5] op_sel_hi:[1,0,1]
	v_pk_add_f32 v[2:3], v[2:3], v[16:17]
	v_mov_b32_e32 v7, v5
	s_waitcnt vmcnt(1) lgkmcnt(1)
	v_pk_mul_f32 v[4:5], v[10:11], v[220:221] op_sel:[1,1] op_sel_hi:[0,1]
	v_pk_add_f32 v[2:3], v[2:3], v[6:7]
	v_pk_fma_f32 v[6:7], v[10:11], v[220:221], v[4:5] neg_lo:[0,0,1] neg_hi:[0,0,1]
	v_pk_fma_f32 v[4:5], v[10:11], v[220:221], v[4:5] op_sel_hi:[1,0,1]
	s_nop 0
	v_mov_b32_e32 v4, v223
	v_mov_b32_e32 v7, v5
	v_pk_mul_f32 v[4:5], v[12:13], v[4:5] op_sel:[1,0] op_sel_hi:[0,0]
	v_pk_add_f32 v[2:3], v[2:3], v[6:7]
	v_pk_fma_f32 v[6:7], v[12:13], v[222:223], v[4:5] neg_lo:[0,0,1] neg_hi:[0,0,1]
	v_pk_fma_f32 v[4:5], v[12:13], v[222:223], v[4:5] op_sel_hi:[1,0,1]
	s_nop 0
	v_mov_b32_e32 v7, v5
	s_waitcnt vmcnt(0) lgkmcnt(0)
	v_pk_mul_f32 v[4:5], v[14:15], v[230:231] op_sel:[1,1] op_sel_hi:[0,1]
	v_pk_add_f32 v[2:3], v[2:3], v[6:7]
	v_pk_fma_f32 v[6:7], v[14:15], v[230:231], v[4:5] neg_lo:[0,0,1] neg_hi:[0,0,1]
	v_pk_fma_f32 v[4:5], v[14:15], v[230:231], v[4:5] op_sel_hi:[1,0,1]
	s_nop 0
	v_mov_b32_e32 v7, v5
	scratch_load_dwordx2 v[4:5], off, off offset:32
	v_pk_add_f32 v[2:3], v[2:3], v[6:7]
	s_waitcnt vmcnt(0)
	v_pk_add_f32 v[2:3], v[4:5], v[2:3] neg_lo:[0,1] neg_hi:[0,1]
	scratch_store_dwordx2 off, v[2:3], off offset:32
	s_and_saveexec_b64 s[0:1], vcc
	s_cbranch_execz .LBB123_367
; %bb.366:
	scratch_load_dwordx2 v[2:3], off, off offset:24
	v_mov_b32_e32 v167, v166
	scratch_store_dwordx2 off, v[166:167], off offset:24
	s_waitcnt vmcnt(1)
	ds_write_b64 v1, v[2:3]
.LBB123_367:
	s_or_b64 exec, exec, s[0:1]
	s_waitcnt lgkmcnt(0)
	; wave barrier
	ds_read_b128 v[14:17], v166 offset:512
	ds_read_b128 v[10:13], v166 offset:528
	;; [unrolled: 1-line block ×4, first 2 shown]
	scratch_load_dwordx4 v[18:21], off, off offset:32
	scratch_load_dwordx4 v[38:41], off, off offset:96
	;; [unrolled: 1-line block ×18, first 2 shown]
	v_cmp_lt_u32_e32 vcc, 2, v0
	scratch_load_dwordx4 v[46:49], off, off offset:112
	scratch_load_dwordx4 v[54:57], off, off offset:128
	;; [unrolled: 1-line block ×3, first 2 shown]
	s_waitcnt vmcnt(20) lgkmcnt(3)
	v_mul_f32_e32 v22, v14, v19
	v_fmac_f32_e32 v22, v15, v18
	v_mul_f32_e32 v23, v16, v21
	v_add_f32_e32 v22, 0, v22
	v_fmac_f32_e32 v23, v17, v20
	v_add_f32_e32 v26, v22, v23
	scratch_load_dwordx4 v[22:25], off, off offset:48
	v_mul_f32_e32 v15, v15, v19
	v_fma_f32 v14, v14, v18, -v15
	v_mul_f32_e32 v15, v17, v21
	v_add_f32_e32 v14, 0, v14
	v_fma_f32 v15, v16, v20, -v15
	v_add_f32_e32 v14, v14, v15
	s_waitcnt vmcnt(0) lgkmcnt(2)
	v_mul_f32_e32 v27, v10, v23
	v_fmac_f32_e32 v27, v11, v22
	v_add_f32_e32 v26, v26, v27
	v_mul_f32_e32 v27, v12, v25
	v_fmac_f32_e32 v27, v13, v24
	v_add_f32_e32 v30, v26, v27
	scratch_load_dwordx4 v[26:29], off, off offset:64
	v_mul_f32_e32 v11, v11, v23
	v_fma_f32 v10, v10, v22, -v11
	v_mul_f32_e32 v11, v13, v25
	v_add_f32_e32 v10, v14, v10
	v_fma_f32 v11, v12, v24, -v11
	v_add_f32_e32 v10, v10, v11
	s_waitcnt vmcnt(0) lgkmcnt(1)
	v_mul_f32_e32 v31, v6, v27
	v_fmac_f32_e32 v31, v7, v26
	v_add_f32_e32 v30, v30, v31
	v_mul_f32_e32 v31, v8, v29
	v_fmac_f32_e32 v31, v9, v28
	v_add_f32_e32 v34, v30, v31
	scratch_load_dwordx4 v[30:33], off, off offset:80
	v_mul_f32_e32 v7, v7, v27
	v_fma_f32 v6, v6, v26, -v7
	v_mul_f32_e32 v7, v9, v29
	v_add_f32_e32 v6, v10, v6
	v_fma_f32 v7, v8, v28, -v7
	v_add_f32_e32 v6, v6, v7
	s_waitcnt vmcnt(0) lgkmcnt(0)
	v_mul_f32_e32 v35, v2, v31
	v_fmac_f32_e32 v35, v3, v30
	v_add_f32_e32 v34, v34, v35
	v_mul_f32_e32 v35, v4, v33
	v_fmac_f32_e32 v35, v5, v32
	v_add_f32_e32 v42, v34, v35
	ds_read_b128 v[34:37], v166 offset:576
	v_mul_f32_e32 v3, v3, v31
	v_fma_f32 v2, v2, v30, -v3
	v_mul_f32_e32 v3, v5, v33
	v_add_f32_e32 v2, v6, v2
	s_waitcnt lgkmcnt(0)
	v_mul_f32_e32 v43, v34, v39
	v_fmac_f32_e32 v43, v35, v38
	v_add_f32_e32 v42, v42, v43
	v_mul_f32_e32 v43, v36, v41
	v_fmac_f32_e32 v43, v37, v40
	v_add_f32_e32 v50, v42, v43
	ds_read_b128 v[42:45], v166 offset:592
	v_fma_f32 v3, v4, v32, -v3
	v_add_f32_e32 v2, v2, v3
	v_mul_f32_e32 v3, v35, v39
	v_fma_f32 v3, v34, v38, -v3
	s_waitcnt lgkmcnt(0)
	v_mul_f32_e32 v51, v42, v47
	v_fmac_f32_e32 v51, v43, v46
	v_add_f32_e32 v50, v50, v51
	v_mul_f32_e32 v51, v44, v49
	v_fmac_f32_e32 v51, v45, v48
	v_add_f32_e32 v58, v50, v51
	ds_read_b128 v[50:53], v166 offset:608
	v_add_f32_e32 v2, v2, v3
	v_mul_f32_e32 v3, v37, v41
	v_fma_f32 v3, v36, v40, -v3
	v_add_f32_e32 v2, v2, v3
	s_waitcnt lgkmcnt(0)
	v_mul_f32_e32 v59, v50, v55
	v_fmac_f32_e32 v59, v51, v54
	v_add_f32_e32 v58, v58, v59
	v_mul_f32_e32 v59, v52, v57
	v_fmac_f32_e32 v59, v53, v56
	v_add_f32_e32 v66, v58, v59
	ds_read_b128 v[58:61], v166 offset:624
	v_mul_f32_e32 v3, v43, v47
	v_fma_f32 v3, v42, v46, -v3
	v_add_f32_e32 v2, v2, v3
	v_mul_f32_e32 v3, v45, v49
	s_waitcnt lgkmcnt(0)
	v_mul_f32_e32 v67, v58, v63
	v_fmac_f32_e32 v67, v59, v62
	v_add_f32_e32 v66, v66, v67
	v_mul_f32_e32 v67, v60, v65
	v_fmac_f32_e32 v67, v61, v64
	v_add_f32_e32 v74, v66, v67
	ds_read_b128 v[66:69], v166 offset:640
	v_fma_f32 v3, v44, v48, -v3
	v_add_f32_e32 v2, v2, v3
	v_mul_f32_e32 v3, v51, v55
	v_fma_f32 v3, v50, v54, -v3
	s_waitcnt lgkmcnt(0)
	v_mul_f32_e32 v75, v66, v71
	v_fmac_f32_e32 v75, v67, v70
	v_add_f32_e32 v74, v74, v75
	v_mul_f32_e32 v75, v68, v73
	v_fmac_f32_e32 v75, v69, v72
	v_add_f32_e32 v82, v74, v75
	ds_read_b128 v[74:77], v166 offset:656
	v_add_f32_e32 v2, v2, v3
	v_mul_f32_e32 v3, v53, v57
	v_fma_f32 v3, v52, v56, -v3
	v_add_f32_e32 v2, v2, v3
	s_waitcnt lgkmcnt(0)
	v_mul_f32_e32 v83, v74, v79
	v_fmac_f32_e32 v83, v75, v78
	v_add_f32_e32 v82, v82, v83
	v_mul_f32_e32 v83, v76, v81
	v_fmac_f32_e32 v83, v77, v80
	v_add_f32_e32 v90, v82, v83
	ds_read_b128 v[82:85], v166 offset:672
	v_mul_f32_e32 v3, v59, v63
	v_fma_f32 v3, v58, v62, -v3
	v_add_f32_e32 v2, v2, v3
	v_mul_f32_e32 v3, v61, v65
	;; [unrolled: 36-line block ×6, first 2 shown]
	s_waitcnt lgkmcnt(0)
	v_mul_f32_e32 v204, v196, v201
	v_fmac_f32_e32 v204, v197, v200
	v_add_f32_e32 v167, v167, v204
	v_mul_f32_e32 v204, v198, v203
	v_fmac_f32_e32 v204, v199, v202
	v_add_f32_e32 v229, v167, v204
	ds_read_b128 v[204:207], v166 offset:880
	scratch_load_dwordx4 v[212:215], off, off offset:416
	scratch_load_dwordx4 v[216:219], off, off offset:432
	;; [unrolled: 1-line block ×4, first 2 shown]
	v_fma_f32 v3, v124, v128, -v3
	v_add_f32_e32 v2, v2, v3
	v_mul_f32_e32 v3, v131, v135
	v_fma_f32 v3, v130, v134, -v3
	v_add_f32_e32 v2, v2, v3
	v_mul_f32_e32 v3, v133, v137
	;; [unrolled: 3-line block ×14, first 2 shown]
	v_fma_f32 v3, v198, v202, -v3
	v_add_f32_e32 v228, v2, v3
	s_waitcnt lgkmcnt(0)
	v_mul_f32_e32 v2, v205, v209
	v_fma_f32 v230, v204, v208, -v2
	v_mul_f32_e32 v2, v207, v211
	v_fma_f32 v232, v206, v210, -v2
	ds_read_b128 v[2:5], v166 offset:896
	ds_read_b128 v[6:9], v166 offset:912
	;; [unrolled: 1-line block ×4, first 2 shown]
	v_mul_f32_e32 v231, v204, v209
	v_fmac_f32_e32 v231, v205, v208
	v_mul_f32_e32 v233, v206, v211
	v_fmac_f32_e32 v233, v207, v210
	v_pk_add_f32 v[18:19], v[228:229], v[230:231]
	s_waitcnt vmcnt(3) lgkmcnt(3)
	v_pk_mul_f32 v[20:21], v[2:3], v[212:213] op_sel:[1,1] op_sel_hi:[0,1]
	v_pk_fma_f32 v[22:23], v[2:3], v[212:213], v[20:21] neg_lo:[0,0,1] neg_hi:[0,0,1]
	v_pk_fma_f32 v[2:3], v[2:3], v[212:213], v[20:21] op_sel_hi:[1,0,1]
	v_pk_add_f32 v[18:19], v[18:19], v[232:233]
	v_mov_b32_e32 v23, v3
	v_pk_add_f32 v[2:3], v[18:19], v[22:23]
	v_mov_b32_e32 v18, v215
	v_pk_mul_f32 v[18:19], v[4:5], v[18:19] op_sel:[1,0] op_sel_hi:[0,0]
	v_pk_fma_f32 v[20:21], v[4:5], v[214:215], v[18:19] neg_lo:[0,0,1] neg_hi:[0,0,1]
	v_pk_fma_f32 v[4:5], v[4:5], v[214:215], v[18:19] op_sel_hi:[1,0,1]
	s_nop 0
	v_mov_b32_e32 v21, v5
	s_waitcnt vmcnt(2) lgkmcnt(2)
	v_pk_mul_f32 v[4:5], v[6:7], v[216:217] op_sel:[1,1] op_sel_hi:[0,1]
	v_pk_fma_f32 v[18:19], v[6:7], v[216:217], v[4:5] neg_lo:[0,0,1] neg_hi:[0,0,1]
	v_pk_fma_f32 v[4:5], v[6:7], v[216:217], v[4:5] op_sel_hi:[1,0,1]
	v_pk_add_f32 v[2:3], v[2:3], v[20:21]
	v_mov_b32_e32 v4, v219
	v_mov_b32_e32 v19, v5
	v_pk_mul_f32 v[4:5], v[8:9], v[4:5] op_sel:[1,0] op_sel_hi:[0,0]
	v_pk_fma_f32 v[6:7], v[8:9], v[218:219], v[4:5] neg_lo:[0,0,1] neg_hi:[0,0,1]
	v_pk_fma_f32 v[4:5], v[8:9], v[218:219], v[4:5] op_sel_hi:[1,0,1]
	v_pk_add_f32 v[2:3], v[2:3], v[18:19]
	v_mov_b32_e32 v7, v5
	s_waitcnt vmcnt(1) lgkmcnt(1)
	v_pk_mul_f32 v[4:5], v[10:11], v[220:221] op_sel:[1,1] op_sel_hi:[0,1]
	v_pk_add_f32 v[2:3], v[2:3], v[6:7]
	v_pk_fma_f32 v[6:7], v[10:11], v[220:221], v[4:5] neg_lo:[0,0,1] neg_hi:[0,0,1]
	v_pk_fma_f32 v[4:5], v[10:11], v[220:221], v[4:5] op_sel_hi:[1,0,1]
	s_nop 0
	v_mov_b32_e32 v4, v223
	v_mov_b32_e32 v7, v5
	v_pk_mul_f32 v[4:5], v[12:13], v[4:5] op_sel:[1,0] op_sel_hi:[0,0]
	v_pk_add_f32 v[2:3], v[2:3], v[6:7]
	v_pk_fma_f32 v[6:7], v[12:13], v[222:223], v[4:5] neg_lo:[0,0,1] neg_hi:[0,0,1]
	v_pk_fma_f32 v[4:5], v[12:13], v[222:223], v[4:5] op_sel_hi:[1,0,1]
	s_nop 0
	v_mov_b32_e32 v7, v5
	s_waitcnt vmcnt(0) lgkmcnt(0)
	v_pk_mul_f32 v[4:5], v[14:15], v[224:225] op_sel:[1,1] op_sel_hi:[0,1]
	v_pk_add_f32 v[2:3], v[2:3], v[6:7]
	v_pk_fma_f32 v[6:7], v[14:15], v[224:225], v[4:5] neg_lo:[0,0,1] neg_hi:[0,0,1]
	v_pk_fma_f32 v[4:5], v[14:15], v[224:225], v[4:5] op_sel_hi:[1,0,1]
	s_nop 0
	v_mov_b32_e32 v4, v227
	v_mov_b32_e32 v7, v5
	v_pk_mul_f32 v[4:5], v[16:17], v[4:5] op_sel:[1,0] op_sel_hi:[0,0]
	v_pk_add_f32 v[2:3], v[2:3], v[6:7]
	v_pk_fma_f32 v[6:7], v[16:17], v[226:227], v[4:5] neg_lo:[0,0,1] neg_hi:[0,0,1]
	v_pk_fma_f32 v[4:5], v[16:17], v[226:227], v[4:5] op_sel_hi:[1,0,1]
	s_nop 0
	v_mov_b32_e32 v7, v5
	scratch_load_dwordx2 v[4:5], off, off offset:24
	v_pk_add_f32 v[2:3], v[2:3], v[6:7]
	s_waitcnt vmcnt(0)
	v_pk_add_f32 v[2:3], v[4:5], v[2:3] neg_lo:[0,1] neg_hi:[0,1]
	scratch_store_dwordx2 off, v[2:3], off offset:24
	s_and_saveexec_b64 s[0:1], vcc
	s_cbranch_execz .LBB123_369
; %bb.368:
	scratch_load_dwordx2 v[2:3], off, off offset:16
	v_mov_b32_e32 v4, 0
	v_mov_b32_e32 v5, v4
	scratch_store_dwordx2 off, v[4:5], off offset:16
	s_waitcnt vmcnt(1)
	ds_write_b64 v1, v[2:3]
.LBB123_369:
	s_or_b64 exec, exec, s[0:1]
	s_waitcnt lgkmcnt(0)
	; wave barrier
	scratch_load_dwordx4 v[6:9], off, off offset:24
	scratch_load_dwordx4 v[14:17], off, off offset:40
	;; [unrolled: 1-line block ×10, first 2 shown]
	v_mov_b32_e32 v166, 0
	ds_read2_b64 v[2:5], v166 offset0:63 offset1:64
	scratch_load_dwordx4 v[86:89], off, off offset:184
	scratch_load_dwordx4 v[94:97], off, off offset:200
	;; [unrolled: 1-line block ×15, first 2 shown]
	v_cmp_lt_u32_e32 vcc, 1, v0
	s_waitcnt vmcnt(24) lgkmcnt(0)
	v_mul_f32_e32 v10, v2, v7
	v_fmac_f32_e32 v10, v3, v6
	v_mul_f32_e32 v11, v4, v9
	v_add_f32_e32 v10, 0, v10
	v_fmac_f32_e32 v11, v5, v8
	v_add_f32_e32 v18, v10, v11
	ds_read2_b64 v[10:13], v166 offset0:65 offset1:66
	v_mul_f32_e32 v3, v3, v7
	v_fma_f32 v2, v2, v6, -v3
	v_mul_f32_e32 v3, v5, v9
	v_add_f32_e32 v2, 0, v2
	s_waitcnt vmcnt(23) lgkmcnt(0)
	v_mul_f32_e32 v19, v10, v15
	v_fmac_f32_e32 v19, v11, v14
	v_add_f32_e32 v18, v18, v19
	v_mul_f32_e32 v19, v12, v17
	v_fmac_f32_e32 v19, v13, v16
	v_add_f32_e32 v26, v18, v19
	ds_read2_b64 v[18:21], v166 offset0:67 offset1:68
	v_fma_f32 v3, v4, v8, -v3
	v_add_f32_e32 v2, v2, v3
	v_mul_f32_e32 v3, v11, v15
	v_fma_f32 v3, v10, v14, -v3
	s_waitcnt vmcnt(22) lgkmcnt(0)
	v_mul_f32_e32 v27, v18, v23
	v_fmac_f32_e32 v27, v19, v22
	v_add_f32_e32 v26, v26, v27
	v_mul_f32_e32 v27, v20, v25
	v_fmac_f32_e32 v27, v21, v24
	v_add_f32_e32 v34, v26, v27
	ds_read2_b64 v[26:29], v166 offset0:69 offset1:70
	v_add_f32_e32 v2, v2, v3
	v_mul_f32_e32 v3, v13, v17
	v_fma_f32 v3, v12, v16, -v3
	v_add_f32_e32 v2, v2, v3
	s_waitcnt vmcnt(21) lgkmcnt(0)
	v_mul_f32_e32 v35, v26, v31
	v_fmac_f32_e32 v35, v27, v30
	v_add_f32_e32 v34, v34, v35
	v_mul_f32_e32 v35, v28, v33
	v_fmac_f32_e32 v35, v29, v32
	v_add_f32_e32 v42, v34, v35
	ds_read2_b64 v[34:37], v166 offset0:71 offset1:72
	v_mul_f32_e32 v3, v19, v23
	v_fma_f32 v3, v18, v22, -v3
	v_add_f32_e32 v2, v2, v3
	v_mul_f32_e32 v3, v21, v25
	s_waitcnt vmcnt(20) lgkmcnt(0)
	v_mul_f32_e32 v43, v34, v39
	v_fmac_f32_e32 v43, v35, v38
	v_add_f32_e32 v42, v42, v43
	v_mul_f32_e32 v43, v36, v41
	v_fmac_f32_e32 v43, v37, v40
	v_add_f32_e32 v50, v42, v43
	ds_read2_b64 v[42:45], v166 offset0:73 offset1:74
	v_fma_f32 v3, v20, v24, -v3
	v_add_f32_e32 v2, v2, v3
	v_mul_f32_e32 v3, v27, v31
	v_fma_f32 v3, v26, v30, -v3
	s_waitcnt vmcnt(19) lgkmcnt(0)
	v_mul_f32_e32 v51, v42, v47
	v_fmac_f32_e32 v51, v43, v46
	v_add_f32_e32 v50, v50, v51
	v_mul_f32_e32 v51, v44, v49
	v_fmac_f32_e32 v51, v45, v48
	v_add_f32_e32 v58, v50, v51
	ds_read2_b64 v[50:53], v166 offset0:75 offset1:76
	v_add_f32_e32 v2, v2, v3
	v_mul_f32_e32 v3, v29, v33
	v_fma_f32 v3, v28, v32, -v3
	v_add_f32_e32 v2, v2, v3
	s_waitcnt vmcnt(18) lgkmcnt(0)
	v_mul_f32_e32 v59, v50, v55
	v_fmac_f32_e32 v59, v51, v54
	v_add_f32_e32 v58, v58, v59
	v_mul_f32_e32 v59, v52, v57
	v_fmac_f32_e32 v59, v53, v56
	v_add_f32_e32 v66, v58, v59
	ds_read2_b64 v[58:61], v166 offset0:77 offset1:78
	v_mul_f32_e32 v3, v35, v39
	v_fma_f32 v3, v34, v38, -v3
	v_add_f32_e32 v2, v2, v3
	v_mul_f32_e32 v3, v37, v41
	;; [unrolled: 36-line block ×7, first 2 shown]
	s_waitcnt vmcnt(2) lgkmcnt(0)
	v_mul_f32_e32 v204, v196, v201
	v_fmac_f32_e32 v204, v197, v200
	v_add_f32_e32 v167, v167, v204
	v_mul_f32_e32 v204, v198, v203
	v_fmac_f32_e32 v204, v199, v202
	v_add_f32_e32 v167, v167, v204
	ds_read2_b64 v[204:207], v166 offset0:109 offset1:110
	v_fma_f32 v3, v116, v120, -v3
	v_add_f32_e32 v2, v2, v3
	v_mul_f32_e32 v3, v123, v127
	v_fma_f32 v3, v122, v126, -v3
	s_waitcnt vmcnt(1) lgkmcnt(0)
	v_mul_f32_e32 v212, v204, v209
	v_fmac_f32_e32 v212, v205, v208
	v_add_f32_e32 v233, v167, v212
	ds_read2_b64 v[212:215], v166 offset0:111 offset1:112
	scratch_load_dwordx4 v[220:223], off, off offset:424
	scratch_load_dwordx4 v[224:227], off, off offset:440
	;; [unrolled: 1-line block ×3, first 2 shown]
	scratch_load_dwordx2 v[238:239], off, off offset:472
	v_add_f32_e32 v2, v2, v3
	v_mul_f32_e32 v3, v125, v129
	v_fma_f32 v3, v124, v128, -v3
	v_add_f32_e32 v2, v2, v3
	v_mul_f32_e32 v3, v131, v135
	v_fma_f32 v3, v130, v134, -v3
	;; [unrolled: 3-line block ×16, first 2 shown]
	v_add_f32_e32 v232, v2, v3
	v_mul_f32_e32 v2, v207, v211
	v_mul_f32_e32 v235, v206, v211
	v_fma_f32 v234, v206, v210, -v2
	s_waitcnt vmcnt(4) lgkmcnt(0)
	v_mul_f32_e32 v2, v213, v217
	v_mov_b32_e32 v18, v219
	v_fmac_f32_e32 v235, v207, v210
	v_mul_f32_e32 v237, v212, v217
	v_fma_f32 v236, v212, v216, -v2
	ds_read2_b64 v[2:5], v166 offset0:113 offset1:114
	ds_read2_b64 v[6:9], v166 offset0:115 offset1:116
	;; [unrolled: 1-line block ×3, first 2 shown]
	ds_read_b64 v[14:15], v166 offset:952
	v_pk_mul_f32 v[18:19], v[214:215], v[18:19] op_sel:[1,0] op_sel_hi:[0,0]
	v_fmac_f32_e32 v237, v213, v216
	v_pk_add_f32 v[16:17], v[232:233], v[234:235]
	v_pk_fma_f32 v[20:21], v[214:215], v[218:219], v[18:19] neg_lo:[0,0,1] neg_hi:[0,0,1]
	v_pk_fma_f32 v[18:19], v[214:215], v[218:219], v[18:19] op_sel_hi:[1,0,1]
	v_pk_add_f32 v[16:17], v[16:17], v[236:237]
	v_mov_b32_e32 v21, v19
	v_pk_add_f32 v[16:17], v[16:17], v[20:21]
	s_waitcnt vmcnt(3) lgkmcnt(3)
	v_pk_mul_f32 v[18:19], v[2:3], v[220:221] op_sel:[1,1] op_sel_hi:[0,1]
	v_pk_fma_f32 v[20:21], v[2:3], v[220:221], v[18:19] neg_lo:[0,0,1] neg_hi:[0,0,1]
	v_pk_fma_f32 v[2:3], v[2:3], v[220:221], v[18:19] op_sel_hi:[1,0,1]
	s_nop 0
	v_mov_b32_e32 v21, v3
	v_pk_add_f32 v[2:3], v[16:17], v[20:21]
	v_mov_b32_e32 v16, v223
	v_pk_mul_f32 v[16:17], v[4:5], v[16:17] op_sel:[1,0] op_sel_hi:[0,0]
	v_pk_fma_f32 v[18:19], v[4:5], v[222:223], v[16:17] neg_lo:[0,0,1] neg_hi:[0,0,1]
	v_pk_fma_f32 v[4:5], v[4:5], v[222:223], v[16:17] op_sel_hi:[1,0,1]
	s_nop 0
	v_mov_b32_e32 v19, v5
	s_waitcnt vmcnt(2) lgkmcnt(2)
	v_pk_mul_f32 v[4:5], v[6:7], v[224:225] op_sel:[1,1] op_sel_hi:[0,1]
	v_pk_fma_f32 v[16:17], v[6:7], v[224:225], v[4:5] neg_lo:[0,0,1] neg_hi:[0,0,1]
	v_pk_fma_f32 v[4:5], v[6:7], v[224:225], v[4:5] op_sel_hi:[1,0,1]
	v_pk_add_f32 v[2:3], v[2:3], v[18:19]
	v_mov_b32_e32 v4, v227
	v_mov_b32_e32 v17, v5
	v_pk_mul_f32 v[4:5], v[8:9], v[4:5] op_sel:[1,0] op_sel_hi:[0,0]
	v_pk_fma_f32 v[6:7], v[8:9], v[226:227], v[4:5] neg_lo:[0,0,1] neg_hi:[0,0,1]
	v_pk_fma_f32 v[4:5], v[8:9], v[226:227], v[4:5] op_sel_hi:[1,0,1]
	v_pk_add_f32 v[2:3], v[2:3], v[16:17]
	v_mov_b32_e32 v7, v5
	s_waitcnt vmcnt(1) lgkmcnt(1)
	v_pk_mul_f32 v[4:5], v[10:11], v[228:229] op_sel:[1,1] op_sel_hi:[0,1]
	v_pk_add_f32 v[2:3], v[2:3], v[6:7]
	v_pk_fma_f32 v[6:7], v[10:11], v[228:229], v[4:5] neg_lo:[0,0,1] neg_hi:[0,0,1]
	v_pk_fma_f32 v[4:5], v[10:11], v[228:229], v[4:5] op_sel_hi:[1,0,1]
	s_nop 0
	v_mov_b32_e32 v4, v231
	v_mov_b32_e32 v7, v5
	v_pk_mul_f32 v[4:5], v[12:13], v[4:5] op_sel:[1,0] op_sel_hi:[0,0]
	v_pk_add_f32 v[2:3], v[2:3], v[6:7]
	v_pk_fma_f32 v[6:7], v[12:13], v[230:231], v[4:5] neg_lo:[0,0,1] neg_hi:[0,0,1]
	v_pk_fma_f32 v[4:5], v[12:13], v[230:231], v[4:5] op_sel_hi:[1,0,1]
	s_nop 0
	v_mov_b32_e32 v7, v5
	s_waitcnt vmcnt(0) lgkmcnt(0)
	v_pk_mul_f32 v[4:5], v[14:15], v[238:239] op_sel:[1,1] op_sel_hi:[0,1]
	v_pk_add_f32 v[2:3], v[2:3], v[6:7]
	v_pk_fma_f32 v[6:7], v[14:15], v[238:239], v[4:5] neg_lo:[0,0,1] neg_hi:[0,0,1]
	v_pk_fma_f32 v[4:5], v[14:15], v[238:239], v[4:5] op_sel_hi:[1,0,1]
	s_nop 0
	v_mov_b32_e32 v7, v5
	scratch_load_dwordx2 v[4:5], off, off offset:16
	v_pk_add_f32 v[2:3], v[2:3], v[6:7]
	s_waitcnt vmcnt(0)
	v_pk_add_f32 v[2:3], v[4:5], v[2:3] neg_lo:[0,1] neg_hi:[0,1]
	scratch_store_dwordx2 off, v[2:3], off offset:16
	s_and_saveexec_b64 s[0:1], vcc
	s_cbranch_execz .LBB123_371
; %bb.370:
	scratch_load_dwordx2 v[2:3], off, off offset:8
	v_mov_b32_e32 v167, v166
	scratch_store_dwordx2 off, v[166:167], off offset:8
	s_waitcnt vmcnt(1)
	ds_write_b64 v1, v[2:3]
.LBB123_371:
	s_or_b64 exec, exec, s[0:1]
	s_waitcnt lgkmcnt(0)
	; wave barrier
	ds_read_b128 v[14:17], v166 offset:496
	ds_read_b128 v[10:13], v166 offset:512
	;; [unrolled: 1-line block ×4, first 2 shown]
	scratch_load_dwordx4 v[18:21], off, off offset:16
	scratch_load_dwordx4 v[38:41], off, off offset:80
	;; [unrolled: 1-line block ×19, first 2 shown]
	v_cmp_ne_u32_e32 vcc, 0, v0
	scratch_load_dwordx4 v[46:49], off, off offset:96
	scratch_load_dwordx4 v[54:57], off, off offset:112
	;; [unrolled: 1-line block ×3, first 2 shown]
	s_waitcnt vmcnt(21) lgkmcnt(3)
	v_mul_f32_e32 v22, v14, v19
	v_fmac_f32_e32 v22, v15, v18
	v_mul_f32_e32 v23, v16, v21
	v_add_f32_e32 v22, 0, v22
	v_fmac_f32_e32 v23, v17, v20
	v_add_f32_e32 v26, v22, v23
	scratch_load_dwordx4 v[22:25], off, off offset:32
	v_mul_f32_e32 v15, v15, v19
	v_fma_f32 v14, v14, v18, -v15
	v_mul_f32_e32 v15, v17, v21
	v_add_f32_e32 v14, 0, v14
	v_fma_f32 v15, v16, v20, -v15
	v_add_f32_e32 v14, v14, v15
	s_waitcnt vmcnt(0) lgkmcnt(2)
	v_mul_f32_e32 v27, v10, v23
	v_fmac_f32_e32 v27, v11, v22
	v_add_f32_e32 v26, v26, v27
	v_mul_f32_e32 v27, v12, v25
	v_fmac_f32_e32 v27, v13, v24
	v_add_f32_e32 v30, v26, v27
	scratch_load_dwordx4 v[26:29], off, off offset:48
	v_mul_f32_e32 v11, v11, v23
	v_fma_f32 v10, v10, v22, -v11
	v_mul_f32_e32 v11, v13, v25
	v_add_f32_e32 v10, v14, v10
	v_fma_f32 v11, v12, v24, -v11
	v_add_f32_e32 v10, v10, v11
	s_waitcnt vmcnt(0) lgkmcnt(1)
	v_mul_f32_e32 v31, v6, v27
	v_fmac_f32_e32 v31, v7, v26
	v_add_f32_e32 v30, v30, v31
	v_mul_f32_e32 v31, v8, v29
	;; [unrolled: 14-line block ×3, first 2 shown]
	v_fmac_f32_e32 v35, v5, v32
	v_add_f32_e32 v42, v34, v35
	ds_read_b128 v[34:37], v166 offset:560
	v_mul_f32_e32 v3, v3, v31
	v_fma_f32 v2, v2, v30, -v3
	v_mul_f32_e32 v3, v5, v33
	v_add_f32_e32 v2, v6, v2
	s_waitcnt lgkmcnt(0)
	v_mul_f32_e32 v43, v34, v39
	v_fmac_f32_e32 v43, v35, v38
	v_add_f32_e32 v42, v42, v43
	v_mul_f32_e32 v43, v36, v41
	v_fmac_f32_e32 v43, v37, v40
	v_add_f32_e32 v50, v42, v43
	ds_read_b128 v[42:45], v166 offset:576
	v_fma_f32 v3, v4, v32, -v3
	v_add_f32_e32 v2, v2, v3
	v_mul_f32_e32 v3, v35, v39
	v_fma_f32 v3, v34, v38, -v3
	s_waitcnt lgkmcnt(0)
	v_mul_f32_e32 v51, v42, v47
	v_fmac_f32_e32 v51, v43, v46
	v_add_f32_e32 v50, v50, v51
	v_mul_f32_e32 v51, v44, v49
	v_fmac_f32_e32 v51, v45, v48
	v_add_f32_e32 v58, v50, v51
	ds_read_b128 v[50:53], v166 offset:592
	v_add_f32_e32 v2, v2, v3
	v_mul_f32_e32 v3, v37, v41
	v_fma_f32 v3, v36, v40, -v3
	v_add_f32_e32 v2, v2, v3
	s_waitcnt lgkmcnt(0)
	v_mul_f32_e32 v59, v50, v55
	v_fmac_f32_e32 v59, v51, v54
	v_add_f32_e32 v58, v58, v59
	v_mul_f32_e32 v59, v52, v57
	v_fmac_f32_e32 v59, v53, v56
	v_add_f32_e32 v66, v58, v59
	ds_read_b128 v[58:61], v166 offset:608
	v_mul_f32_e32 v3, v43, v47
	v_fma_f32 v3, v42, v46, -v3
	v_add_f32_e32 v2, v2, v3
	v_mul_f32_e32 v3, v45, v49
	s_waitcnt lgkmcnt(0)
	v_mul_f32_e32 v67, v58, v63
	v_fmac_f32_e32 v67, v59, v62
	v_add_f32_e32 v66, v66, v67
	v_mul_f32_e32 v67, v60, v65
	v_fmac_f32_e32 v67, v61, v64
	v_add_f32_e32 v74, v66, v67
	ds_read_b128 v[66:69], v166 offset:624
	v_fma_f32 v3, v44, v48, -v3
	v_add_f32_e32 v2, v2, v3
	v_mul_f32_e32 v3, v51, v55
	v_fma_f32 v3, v50, v54, -v3
	s_waitcnt lgkmcnt(0)
	v_mul_f32_e32 v75, v66, v71
	v_fmac_f32_e32 v75, v67, v70
	v_add_f32_e32 v74, v74, v75
	v_mul_f32_e32 v75, v68, v73
	v_fmac_f32_e32 v75, v69, v72
	v_add_f32_e32 v82, v74, v75
	ds_read_b128 v[74:77], v166 offset:640
	v_add_f32_e32 v2, v2, v3
	v_mul_f32_e32 v3, v53, v57
	v_fma_f32 v3, v52, v56, -v3
	v_add_f32_e32 v2, v2, v3
	s_waitcnt lgkmcnt(0)
	v_mul_f32_e32 v83, v74, v79
	v_fmac_f32_e32 v83, v75, v78
	v_add_f32_e32 v82, v82, v83
	v_mul_f32_e32 v83, v76, v81
	v_fmac_f32_e32 v83, v77, v80
	v_add_f32_e32 v90, v82, v83
	ds_read_b128 v[82:85], v166 offset:656
	v_mul_f32_e32 v3, v59, v63
	v_fma_f32 v3, v58, v62, -v3
	v_add_f32_e32 v2, v2, v3
	v_mul_f32_e32 v3, v61, v65
	;; [unrolled: 36-line block ×6, first 2 shown]
	s_waitcnt lgkmcnt(0)
	v_mul_f32_e32 v204, v196, v201
	v_fmac_f32_e32 v204, v197, v200
	v_add_f32_e32 v167, v167, v204
	v_mul_f32_e32 v204, v198, v203
	v_fmac_f32_e32 v204, v199, v202
	v_add_f32_e32 v167, v167, v204
	ds_read_b128 v[204:207], v166 offset:864
	v_fma_f32 v3, v124, v128, -v3
	v_add_f32_e32 v2, v2, v3
	v_mul_f32_e32 v3, v131, v135
	v_fma_f32 v3, v130, v134, -v3
	s_waitcnt lgkmcnt(0)
	v_mul_f32_e32 v212, v204, v209
	v_fmac_f32_e32 v212, v205, v208
	v_add_f32_e32 v167, v167, v212
	v_mul_f32_e32 v212, v206, v211
	v_fmac_f32_e32 v212, v207, v210
	v_add_f32_e32 v237, v167, v212
	ds_read_b128 v[212:215], v166 offset:880
	scratch_load_dwordx4 v[220:223], off, off offset:416
	scratch_load_dwordx4 v[224:227], off, off offset:432
	;; [unrolled: 1-line block ×4, first 2 shown]
	v_add_f32_e32 v2, v2, v3
	v_mul_f32_e32 v3, v133, v137
	v_fma_f32 v3, v132, v136, -v3
	v_add_f32_e32 v2, v2, v3
	v_mul_f32_e32 v3, v139, v143
	v_fma_f32 v3, v138, v142, -v3
	;; [unrolled: 3-line block ×15, first 2 shown]
	v_add_f32_e32 v236, v2, v3
	s_waitcnt lgkmcnt(0)
	v_mul_f32_e32 v2, v213, v217
	v_fma_f32 v238, v212, v216, -v2
	v_mul_f32_e32 v2, v215, v219
	v_fma_f32 v240, v214, v218, -v2
	ds_read_b128 v[2:5], v166 offset:896
	ds_read_b128 v[6:9], v166 offset:912
	;; [unrolled: 1-line block ×4, first 2 shown]
	v_mul_f32_e32 v239, v212, v217
	v_fmac_f32_e32 v239, v213, v216
	v_mul_f32_e32 v241, v214, v219
	v_fmac_f32_e32 v241, v215, v218
	v_pk_add_f32 v[18:19], v[236:237], v[238:239]
	s_waitcnt vmcnt(3) lgkmcnt(3)
	v_pk_mul_f32 v[20:21], v[2:3], v[220:221] op_sel:[1,1] op_sel_hi:[0,1]
	v_pk_fma_f32 v[22:23], v[2:3], v[220:221], v[20:21] neg_lo:[0,0,1] neg_hi:[0,0,1]
	v_pk_fma_f32 v[2:3], v[2:3], v[220:221], v[20:21] op_sel_hi:[1,0,1]
	v_pk_add_f32 v[18:19], v[18:19], v[240:241]
	v_mov_b32_e32 v23, v3
	v_pk_add_f32 v[2:3], v[18:19], v[22:23]
	v_mov_b32_e32 v18, v223
	v_pk_mul_f32 v[18:19], v[4:5], v[18:19] op_sel:[1,0] op_sel_hi:[0,0]
	v_pk_fma_f32 v[20:21], v[4:5], v[222:223], v[18:19] neg_lo:[0,0,1] neg_hi:[0,0,1]
	v_pk_fma_f32 v[4:5], v[4:5], v[222:223], v[18:19] op_sel_hi:[1,0,1]
	s_nop 0
	v_mov_b32_e32 v21, v5
	s_waitcnt vmcnt(2) lgkmcnt(2)
	v_pk_mul_f32 v[4:5], v[6:7], v[224:225] op_sel:[1,1] op_sel_hi:[0,1]
	v_pk_fma_f32 v[18:19], v[6:7], v[224:225], v[4:5] neg_lo:[0,0,1] neg_hi:[0,0,1]
	v_pk_fma_f32 v[4:5], v[6:7], v[224:225], v[4:5] op_sel_hi:[1,0,1]
	v_pk_add_f32 v[2:3], v[2:3], v[20:21]
	v_mov_b32_e32 v4, v227
	v_mov_b32_e32 v19, v5
	v_pk_mul_f32 v[4:5], v[8:9], v[4:5] op_sel:[1,0] op_sel_hi:[0,0]
	v_pk_fma_f32 v[6:7], v[8:9], v[226:227], v[4:5] neg_lo:[0,0,1] neg_hi:[0,0,1]
	v_pk_fma_f32 v[4:5], v[8:9], v[226:227], v[4:5] op_sel_hi:[1,0,1]
	v_pk_add_f32 v[2:3], v[2:3], v[18:19]
	v_mov_b32_e32 v7, v5
	s_waitcnt vmcnt(1) lgkmcnt(1)
	v_pk_mul_f32 v[4:5], v[10:11], v[228:229] op_sel:[1,1] op_sel_hi:[0,1]
	v_pk_add_f32 v[2:3], v[2:3], v[6:7]
	v_pk_fma_f32 v[6:7], v[10:11], v[228:229], v[4:5] neg_lo:[0,0,1] neg_hi:[0,0,1]
	v_pk_fma_f32 v[4:5], v[10:11], v[228:229], v[4:5] op_sel_hi:[1,0,1]
	s_nop 0
	v_mov_b32_e32 v4, v231
	v_mov_b32_e32 v7, v5
	v_pk_mul_f32 v[4:5], v[12:13], v[4:5] op_sel:[1,0] op_sel_hi:[0,0]
	v_pk_add_f32 v[2:3], v[2:3], v[6:7]
	v_pk_fma_f32 v[6:7], v[12:13], v[230:231], v[4:5] neg_lo:[0,0,1] neg_hi:[0,0,1]
	v_pk_fma_f32 v[4:5], v[12:13], v[230:231], v[4:5] op_sel_hi:[1,0,1]
	s_nop 0
	v_mov_b32_e32 v7, v5
	s_waitcnt vmcnt(0) lgkmcnt(0)
	v_pk_mul_f32 v[4:5], v[14:15], v[232:233] op_sel:[1,1] op_sel_hi:[0,1]
	v_pk_add_f32 v[2:3], v[2:3], v[6:7]
	v_pk_fma_f32 v[6:7], v[14:15], v[232:233], v[4:5] neg_lo:[0,0,1] neg_hi:[0,0,1]
	v_pk_fma_f32 v[4:5], v[14:15], v[232:233], v[4:5] op_sel_hi:[1,0,1]
	s_nop 0
	v_mov_b32_e32 v4, v235
	v_mov_b32_e32 v7, v5
	v_pk_mul_f32 v[4:5], v[16:17], v[4:5] op_sel:[1,0] op_sel_hi:[0,0]
	v_pk_add_f32 v[2:3], v[2:3], v[6:7]
	v_pk_fma_f32 v[6:7], v[16:17], v[234:235], v[4:5] neg_lo:[0,0,1] neg_hi:[0,0,1]
	v_pk_fma_f32 v[4:5], v[16:17], v[234:235], v[4:5] op_sel_hi:[1,0,1]
	s_nop 0
	v_mov_b32_e32 v7, v5
	scratch_load_dwordx2 v[4:5], off, off offset:8
	v_pk_add_f32 v[2:3], v[2:3], v[6:7]
	s_waitcnt vmcnt(0)
	v_pk_add_f32 v[2:3], v[4:5], v[2:3] neg_lo:[0,1] neg_hi:[0,1]
	scratch_store_dwordx2 off, v[2:3], off offset:8
	s_and_saveexec_b64 s[0:1], vcc
	s_cbranch_execz .LBB123_373
; %bb.372:
	scratch_load_dwordx2 v[2:3], off, off
	v_mov_b32_e32 v4, 0
	v_mov_b32_e32 v5, v4
	scratch_store_dwordx2 off, v[4:5], off
	s_waitcnt vmcnt(1)
	ds_write_b64 v1, v[2:3]
.LBB123_373:
	s_or_b64 exec, exec, s[0:1]
	s_waitcnt lgkmcnt(0)
	; wave barrier
	scratch_load_dwordx4 v[4:7], off, off offset:8
	scratch_load_dwordx4 v[12:15], off, off offset:24
	;; [unrolled: 1-line block ×10, first 2 shown]
	v_mov_b32_e32 v148, 0
	ds_read2_b64 v[0:3], v148 offset0:61 offset1:62
	scratch_load_dwordx4 v[84:87], off, off offset:168
	scratch_load_dwordx4 v[92:95], off, off offset:184
	;; [unrolled: 1-line block ×16, first 2 shown]
	s_and_b64 vcc, exec, s[10:11]
	s_waitcnt vmcnt(25) lgkmcnt(0)
	v_mul_f32_e32 v8, v0, v5
	v_fmac_f32_e32 v8, v1, v4
	v_mul_f32_e32 v9, v2, v7
	v_add_f32_e32 v8, 0, v8
	v_fmac_f32_e32 v9, v3, v6
	v_add_f32_e32 v16, v8, v9
	ds_read2_b64 v[8:11], v148 offset0:63 offset1:64
	v_mul_f32_e32 v1, v1, v5
	v_fma_f32 v0, v0, v4, -v1
	v_mul_f32_e32 v1, v3, v7
	v_add_f32_e32 v0, 0, v0
	s_waitcnt vmcnt(24) lgkmcnt(0)
	v_mul_f32_e32 v17, v8, v13
	v_fmac_f32_e32 v17, v9, v12
	v_add_f32_e32 v16, v16, v17
	v_mul_f32_e32 v17, v10, v15
	v_fmac_f32_e32 v17, v11, v14
	v_add_f32_e32 v24, v16, v17
	ds_read2_b64 v[16:19], v148 offset0:65 offset1:66
	v_fma_f32 v1, v2, v6, -v1
	v_add_f32_e32 v0, v0, v1
	v_mul_f32_e32 v1, v9, v13
	v_fma_f32 v1, v8, v12, -v1
	s_waitcnt vmcnt(23) lgkmcnt(0)
	v_mul_f32_e32 v25, v16, v21
	v_fmac_f32_e32 v25, v17, v20
	v_add_f32_e32 v24, v24, v25
	v_mul_f32_e32 v25, v18, v23
	v_fmac_f32_e32 v25, v19, v22
	v_add_f32_e32 v32, v24, v25
	ds_read2_b64 v[24:27], v148 offset0:67 offset1:68
	v_add_f32_e32 v0, v0, v1
	v_mul_f32_e32 v1, v11, v15
	v_fma_f32 v1, v10, v14, -v1
	v_add_f32_e32 v0, v0, v1
	s_waitcnt vmcnt(22) lgkmcnt(0)
	v_mul_f32_e32 v33, v24, v29
	v_fmac_f32_e32 v33, v25, v28
	v_add_f32_e32 v32, v32, v33
	v_mul_f32_e32 v33, v26, v31
	v_fmac_f32_e32 v33, v27, v30
	v_add_f32_e32 v40, v32, v33
	ds_read2_b64 v[32:35], v148 offset0:69 offset1:70
	v_mul_f32_e32 v1, v17, v21
	v_fma_f32 v1, v16, v20, -v1
	v_add_f32_e32 v0, v0, v1
	v_mul_f32_e32 v1, v19, v23
	s_waitcnt vmcnt(21) lgkmcnt(0)
	v_mul_f32_e32 v41, v32, v37
	v_fmac_f32_e32 v41, v33, v36
	v_add_f32_e32 v40, v40, v41
	v_mul_f32_e32 v41, v34, v39
	v_fmac_f32_e32 v41, v35, v38
	v_add_f32_e32 v48, v40, v41
	ds_read2_b64 v[40:43], v148 offset0:71 offset1:72
	v_fma_f32 v1, v18, v22, -v1
	v_add_f32_e32 v0, v0, v1
	v_mul_f32_e32 v1, v25, v29
	v_fma_f32 v1, v24, v28, -v1
	s_waitcnt vmcnt(20) lgkmcnt(0)
	v_mul_f32_e32 v49, v40, v45
	v_fmac_f32_e32 v49, v41, v44
	v_add_f32_e32 v48, v48, v49
	v_mul_f32_e32 v49, v42, v47
	v_fmac_f32_e32 v49, v43, v46
	v_add_f32_e32 v56, v48, v49
	ds_read2_b64 v[48:51], v148 offset0:73 offset1:74
	v_add_f32_e32 v0, v0, v1
	v_mul_f32_e32 v1, v27, v31
	v_fma_f32 v1, v26, v30, -v1
	v_add_f32_e32 v0, v0, v1
	s_waitcnt vmcnt(19) lgkmcnt(0)
	v_mul_f32_e32 v57, v48, v53
	v_fmac_f32_e32 v57, v49, v52
	v_add_f32_e32 v56, v56, v57
	v_mul_f32_e32 v57, v50, v55
	v_fmac_f32_e32 v57, v51, v54
	v_add_f32_e32 v64, v56, v57
	ds_read2_b64 v[56:59], v148 offset0:75 offset1:76
	v_mul_f32_e32 v1, v33, v37
	v_fma_f32 v1, v32, v36, -v1
	v_add_f32_e32 v0, v0, v1
	v_mul_f32_e32 v1, v35, v39
	;; [unrolled: 36-line block ×7, first 2 shown]
	s_waitcnt vmcnt(3) lgkmcnt(0)
	v_mul_f32_e32 v202, v194, v199
	v_fmac_f32_e32 v202, v195, v198
	v_add_f32_e32 v149, v149, v202
	v_mul_f32_e32 v202, v196, v201
	v_fmac_f32_e32 v202, v197, v200
	v_add_f32_e32 v149, v149, v202
	ds_read2_b64 v[202:205], v148 offset0:107 offset1:108
	v_fma_f32 v1, v114, v118, -v1
	v_add_f32_e32 v0, v0, v1
	v_mul_f32_e32 v1, v121, v125
	v_fma_f32 v1, v120, v124, -v1
	s_waitcnt vmcnt(2) lgkmcnt(0)
	v_mul_f32_e32 v210, v202, v207
	v_fmac_f32_e32 v210, v203, v206
	v_add_f32_e32 v149, v149, v210
	v_mul_f32_e32 v210, v204, v209
	v_fmac_f32_e32 v210, v205, v208
	v_add_f32_e32 v149, v149, v210
	ds_read2_b64 v[210:213], v148 offset0:109 offset1:110
	v_add_f32_e32 v0, v0, v1
	v_mul_f32_e32 v1, v123, v127
	v_fma_f32 v1, v122, v126, -v1
	v_add_f32_e32 v0, v0, v1
	s_waitcnt vmcnt(1) lgkmcnt(0)
	v_mul_f32_e32 v218, v210, v215
	v_fmac_f32_e32 v218, v211, v214
	v_add_f32_e32 v239, v149, v218
	ds_read2_b64 v[218:221], v148 offset0:111 offset1:112
	scratch_load_dwordx4 v[226:229], off, off offset:424
	scratch_load_dwordx4 v[230:233], off, off offset:440
	;; [unrolled: 1-line block ×3, first 2 shown]
	scratch_load_dwordx2 v[244:245], off, off offset:472
	v_mul_f32_e32 v1, v129, v133
	v_fma_f32 v1, v128, v132, -v1
	v_add_f32_e32 v0, v0, v1
	v_mul_f32_e32 v1, v131, v135
	v_fma_f32 v1, v130, v134, -v1
	v_add_f32_e32 v0, v0, v1
	;; [unrolled: 3-line block ×17, first 2 shown]
	v_mul_f32_e32 v0, v213, v217
	v_mul_f32_e32 v241, v212, v217
	v_fma_f32 v240, v212, v216, -v0
	s_waitcnt vmcnt(4) lgkmcnt(0)
	v_mul_f32_e32 v0, v219, v223
	v_mov_b32_e32 v16, v225
	v_fmac_f32_e32 v241, v213, v216
	v_mul_f32_e32 v243, v218, v223
	v_fma_f32 v242, v218, v222, -v0
	ds_read2_b64 v[0:3], v148 offset0:113 offset1:114
	ds_read2_b64 v[4:7], v148 offset0:115 offset1:116
	;; [unrolled: 1-line block ×3, first 2 shown]
	ds_read_b64 v[12:13], v148 offset:952
	v_pk_mul_f32 v[16:17], v[220:221], v[16:17] op_sel:[1,0] op_sel_hi:[0,0]
	v_fmac_f32_e32 v243, v219, v222
	v_pk_add_f32 v[14:15], v[238:239], v[240:241]
	v_pk_fma_f32 v[18:19], v[220:221], v[224:225], v[16:17] neg_lo:[0,0,1] neg_hi:[0,0,1]
	v_pk_fma_f32 v[16:17], v[220:221], v[224:225], v[16:17] op_sel_hi:[1,0,1]
	v_pk_add_f32 v[14:15], v[14:15], v[242:243]
	v_mov_b32_e32 v19, v17
	v_pk_add_f32 v[14:15], v[14:15], v[18:19]
	s_waitcnt vmcnt(3) lgkmcnt(3)
	v_pk_mul_f32 v[16:17], v[0:1], v[226:227] op_sel:[1,1] op_sel_hi:[0,1]
	v_pk_fma_f32 v[18:19], v[0:1], v[226:227], v[16:17] neg_lo:[0,0,1] neg_hi:[0,0,1]
	v_pk_fma_f32 v[0:1], v[0:1], v[226:227], v[16:17] op_sel_hi:[1,0,1]
	s_nop 0
	v_mov_b32_e32 v19, v1
	v_pk_add_f32 v[0:1], v[14:15], v[18:19]
	v_mov_b32_e32 v14, v229
	v_pk_mul_f32 v[14:15], v[2:3], v[14:15] op_sel:[1,0] op_sel_hi:[0,0]
	v_pk_fma_f32 v[16:17], v[2:3], v[228:229], v[14:15] neg_lo:[0,0,1] neg_hi:[0,0,1]
	v_pk_fma_f32 v[2:3], v[2:3], v[228:229], v[14:15] op_sel_hi:[1,0,1]
	s_nop 0
	v_mov_b32_e32 v17, v3
	s_waitcnt vmcnt(2) lgkmcnt(2)
	v_pk_mul_f32 v[2:3], v[4:5], v[230:231] op_sel:[1,1] op_sel_hi:[0,1]
	v_pk_fma_f32 v[14:15], v[4:5], v[230:231], v[2:3] neg_lo:[0,0,1] neg_hi:[0,0,1]
	v_pk_fma_f32 v[2:3], v[4:5], v[230:231], v[2:3] op_sel_hi:[1,0,1]
	v_pk_add_f32 v[0:1], v[0:1], v[16:17]
	v_mov_b32_e32 v2, v233
	v_mov_b32_e32 v15, v3
	v_pk_mul_f32 v[2:3], v[6:7], v[2:3] op_sel:[1,0] op_sel_hi:[0,0]
	v_pk_fma_f32 v[4:5], v[6:7], v[232:233], v[2:3] neg_lo:[0,0,1] neg_hi:[0,0,1]
	v_pk_fma_f32 v[2:3], v[6:7], v[232:233], v[2:3] op_sel_hi:[1,0,1]
	v_pk_add_f32 v[0:1], v[0:1], v[14:15]
	v_mov_b32_e32 v5, v3
	s_waitcnt vmcnt(1) lgkmcnt(1)
	v_pk_mul_f32 v[2:3], v[8:9], v[234:235] op_sel:[1,1] op_sel_hi:[0,1]
	v_pk_add_f32 v[0:1], v[0:1], v[4:5]
	v_pk_fma_f32 v[4:5], v[8:9], v[234:235], v[2:3] neg_lo:[0,0,1] neg_hi:[0,0,1]
	v_pk_fma_f32 v[2:3], v[8:9], v[234:235], v[2:3] op_sel_hi:[1,0,1]
	s_nop 0
	v_mov_b32_e32 v2, v237
	v_mov_b32_e32 v5, v3
	v_pk_mul_f32 v[2:3], v[10:11], v[2:3] op_sel:[1,0] op_sel_hi:[0,0]
	v_pk_add_f32 v[0:1], v[0:1], v[4:5]
	v_pk_fma_f32 v[4:5], v[10:11], v[236:237], v[2:3] neg_lo:[0,0,1] neg_hi:[0,0,1]
	v_pk_fma_f32 v[2:3], v[10:11], v[236:237], v[2:3] op_sel_hi:[1,0,1]
	s_nop 0
	v_mov_b32_e32 v5, v3
	s_waitcnt vmcnt(0) lgkmcnt(0)
	v_pk_mul_f32 v[2:3], v[12:13], v[244:245] op_sel:[1,1] op_sel_hi:[0,1]
	v_pk_add_f32 v[0:1], v[0:1], v[4:5]
	v_pk_fma_f32 v[4:5], v[12:13], v[244:245], v[2:3] neg_lo:[0,0,1] neg_hi:[0,0,1]
	v_pk_fma_f32 v[2:3], v[12:13], v[244:245], v[2:3] op_sel_hi:[1,0,1]
	s_nop 0
	v_mov_b32_e32 v5, v3
	scratch_load_dwordx2 v[2:3], off, off
	v_pk_add_f32 v[0:1], v[0:1], v[4:5]
	s_waitcnt vmcnt(0)
	v_pk_add_f32 v[0:1], v[2:3], v[0:1] neg_lo:[0,1] neg_hi:[0,1]
	scratch_store_dwordx2 off, v[0:1], off
	s_cbranch_vccz .LBB123_492
; %bb.374:
	global_load_dword v0, v148, s[8:9] offset:232
	s_waitcnt vmcnt(0)
	v_readfirstlane_b32 s0, v0
	s_add_i32 s0, s0, -1
	s_cmp_lg_u32 s0, 58
	s_cbranch_scc0 .LBB123_376
; %bb.375:
	s_lshl_b32 s0, s0, 3
	s_nop 0
	scratch_load_dwordx2 v[0:1], off, s0
	scratch_load_dwordx2 v[2:3], off, off offset:464
	s_waitcnt vmcnt(1)
	scratch_store_dwordx2 off, v[0:1], off offset:464
	s_waitcnt vmcnt(1)
	scratch_store_dwordx2 off, v[2:3], s0
.LBB123_376:
	v_mov_b32_e32 v0, 0
	global_load_dword v1, v0, s[8:9] offset:228
	s_waitcnt vmcnt(0)
	v_readfirstlane_b32 s0, v1
	s_add_i32 s0, s0, -1
	s_cmp_eq_u32 s0, 57
	s_cbranch_scc1 .LBB123_378
; %bb.377:
	s_lshl_b32 s0, s0, 3
	s_nop 0
	scratch_load_dwordx2 v[2:3], off, s0
	scratch_load_dwordx2 v[4:5], off, off offset:456
	s_waitcnt vmcnt(1)
	scratch_store_dwordx2 off, v[2:3], off offset:456
	s_waitcnt vmcnt(1)
	scratch_store_dwordx2 off, v[4:5], s0
.LBB123_378:
	global_load_dword v0, v0, s[8:9] offset:224
	s_waitcnt vmcnt(0)
	v_readfirstlane_b32 s0, v0
	s_add_i32 s0, s0, -1
	s_cmp_eq_u32 s0, 56
	s_cbranch_scc1 .LBB123_380
; %bb.379:
	s_lshl_b32 s0, s0, 3
	s_nop 0
	scratch_load_dwordx2 v[0:1], off, s0
	scratch_load_dwordx2 v[2:3], off, off offset:448
	s_waitcnt vmcnt(1)
	scratch_store_dwordx2 off, v[0:1], off offset:448
	s_waitcnt vmcnt(1)
	scratch_store_dwordx2 off, v[2:3], s0
.LBB123_380:
	v_mov_b32_e32 v0, 0
	global_load_dword v1, v0, s[8:9] offset:220
	s_waitcnt vmcnt(0)
	v_readfirstlane_b32 s0, v1
	s_add_i32 s0, s0, -1
	s_cmp_eq_u32 s0, 55
	s_cbranch_scc1 .LBB123_382
; %bb.381:
	s_lshl_b32 s0, s0, 3
	s_nop 0
	scratch_load_dwordx2 v[2:3], off, s0
	scratch_load_dwordx2 v[4:5], off, off offset:440
	s_waitcnt vmcnt(1)
	scratch_store_dwordx2 off, v[2:3], off offset:440
	s_waitcnt vmcnt(1)
	scratch_store_dwordx2 off, v[4:5], s0
.LBB123_382:
	global_load_dword v0, v0, s[8:9] offset:216
	s_waitcnt vmcnt(0)
	v_readfirstlane_b32 s0, v0
	s_add_i32 s0, s0, -1
	s_cmp_eq_u32 s0, 54
	s_cbranch_scc1 .LBB123_384
; %bb.383:
	s_lshl_b32 s0, s0, 3
	s_nop 0
	scratch_load_dwordx2 v[0:1], off, s0
	scratch_load_dwordx2 v[2:3], off, off offset:432
	s_waitcnt vmcnt(1)
	scratch_store_dwordx2 off, v[0:1], off offset:432
	s_waitcnt vmcnt(1)
	scratch_store_dwordx2 off, v[2:3], s0
.LBB123_384:
	;; [unrolled: 33-line block ×28, first 2 shown]
	v_mov_b32_e32 v0, 0
	global_load_dword v1, v0, s[8:9] offset:4
	s_waitcnt vmcnt(0)
	v_readfirstlane_b32 s0, v1
	s_add_i32 s0, s0, -1
	s_cmp_eq_u32 s0, 1
	s_cbranch_scc1 .LBB123_490
; %bb.489:
	s_lshl_b32 s0, s0, 3
	s_nop 0
	scratch_load_dwordx2 v[2:3], off, s0
	scratch_load_dwordx2 v[4:5], off, off offset:8
	s_waitcnt vmcnt(1)
	scratch_store_dwordx2 off, v[2:3], off offset:8
	s_waitcnt vmcnt(1)
	scratch_store_dwordx2 off, v[4:5], s0
.LBB123_490:
	global_load_dword v2, v0, s[8:9]
	s_nop 0
	scratch_load_dwordx2 v[0:1], off, off
	s_waitcnt vmcnt(1)
	v_readfirstlane_b32 s0, v2
	s_add_i32 s0, s0, -1
	s_cmp_eq_u32 s0, 0
	s_cbranch_scc1 .LBB123_492
; %bb.491:
	s_lshl_b32 s0, s0, 3
	s_nop 0
	scratch_load_dwordx2 v[2:3], off, s0
	s_waitcnt vmcnt(0)
	scratch_store_dwordx2 off, v[2:3], off
	scratch_store_dwordx2 off, v[0:1], s0
	scratch_load_dwordx2 v[0:1], off, off
.LBB123_492:
	s_waitcnt vmcnt(0)
	flat_store_dwordx2 v[150:151], v[0:1]
	scratch_load_dwordx2 v[0:1], off, off offset:8
	v_accvgpr_read_b32 v3, a1
	v_accvgpr_read_b32 v2, a0
	s_waitcnt vmcnt(0)
	flat_store_dwordx2 v[2:3], v[0:1]
	scratch_load_dwordx2 v[0:1], off, off offset:16
	v_accvgpr_read_b32 v2, a2
	v_accvgpr_read_b32 v3, a3
	;; [unrolled: 5-line block ×47, first 2 shown]
	s_waitcnt vmcnt(0)
	flat_store_dwordx2 v[2:3], v[0:1]
	scratch_load_dwordx2 v[0:1], off, off offset:384
	s_waitcnt vmcnt(0)
	flat_store_dwordx2 v[246:247], v[0:1]
	scratch_load_dwordx2 v[0:1], off, off offset:392
	;; [unrolled: 3-line block ×12, first 2 shown]
	s_waitcnt vmcnt(0)
	flat_store_dwordx2 v[164:165], v[0:1]
	s_endpgm
	.section	.rodata,"a",@progbits
	.p2align	6, 0x0
	.amdhsa_kernel _ZN9rocsolver6v33100L18getri_kernel_smallILi60E19rocblas_complex_numIfEPKPS3_EEvT1_iilPiilS8_bb
		.amdhsa_group_segment_fixed_size 964
		.amdhsa_private_segment_fixed_size 496
		.amdhsa_kernarg_size 60
		.amdhsa_user_sgpr_count 2
		.amdhsa_user_sgpr_dispatch_ptr 0
		.amdhsa_user_sgpr_queue_ptr 0
		.amdhsa_user_sgpr_kernarg_segment_ptr 1
		.amdhsa_user_sgpr_dispatch_id 0
		.amdhsa_user_sgpr_kernarg_preload_length 0
		.amdhsa_user_sgpr_kernarg_preload_offset 0
		.amdhsa_user_sgpr_private_segment_size 0
		.amdhsa_uses_dynamic_stack 0
		.amdhsa_enable_private_segment 1
		.amdhsa_system_sgpr_workgroup_id_x 1
		.amdhsa_system_sgpr_workgroup_id_y 0
		.amdhsa_system_sgpr_workgroup_id_z 0
		.amdhsa_system_sgpr_workgroup_info 0
		.amdhsa_system_vgpr_workitem_id 0
		.amdhsa_next_free_vgpr 350
		.amdhsa_next_free_sgpr 17
		.amdhsa_accum_offset 256
		.amdhsa_reserve_vcc 1
		.amdhsa_float_round_mode_32 0
		.amdhsa_float_round_mode_16_64 0
		.amdhsa_float_denorm_mode_32 3
		.amdhsa_float_denorm_mode_16_64 3
		.amdhsa_dx10_clamp 1
		.amdhsa_ieee_mode 1
		.amdhsa_fp16_overflow 0
		.amdhsa_tg_split 0
		.amdhsa_exception_fp_ieee_invalid_op 0
		.amdhsa_exception_fp_denorm_src 0
		.amdhsa_exception_fp_ieee_div_zero 0
		.amdhsa_exception_fp_ieee_overflow 0
		.amdhsa_exception_fp_ieee_underflow 0
		.amdhsa_exception_fp_ieee_inexact 0
		.amdhsa_exception_int_div_zero 0
	.end_amdhsa_kernel
	.section	.text._ZN9rocsolver6v33100L18getri_kernel_smallILi60E19rocblas_complex_numIfEPKPS3_EEvT1_iilPiilS8_bb,"axG",@progbits,_ZN9rocsolver6v33100L18getri_kernel_smallILi60E19rocblas_complex_numIfEPKPS3_EEvT1_iilPiilS8_bb,comdat
.Lfunc_end123:
	.size	_ZN9rocsolver6v33100L18getri_kernel_smallILi60E19rocblas_complex_numIfEPKPS3_EEvT1_iilPiilS8_bb, .Lfunc_end123-_ZN9rocsolver6v33100L18getri_kernel_smallILi60E19rocblas_complex_numIfEPKPS3_EEvT1_iilPiilS8_bb
                                        ; -- End function
	.set _ZN9rocsolver6v33100L18getri_kernel_smallILi60E19rocblas_complex_numIfEPKPS3_EEvT1_iilPiilS8_bb.num_vgpr, 256
	.set _ZN9rocsolver6v33100L18getri_kernel_smallILi60E19rocblas_complex_numIfEPKPS3_EEvT1_iilPiilS8_bb.num_agpr, 94
	.set _ZN9rocsolver6v33100L18getri_kernel_smallILi60E19rocblas_complex_numIfEPKPS3_EEvT1_iilPiilS8_bb.numbered_sgpr, 17
	.set _ZN9rocsolver6v33100L18getri_kernel_smallILi60E19rocblas_complex_numIfEPKPS3_EEvT1_iilPiilS8_bb.num_named_barrier, 0
	.set _ZN9rocsolver6v33100L18getri_kernel_smallILi60E19rocblas_complex_numIfEPKPS3_EEvT1_iilPiilS8_bb.private_seg_size, 496
	.set _ZN9rocsolver6v33100L18getri_kernel_smallILi60E19rocblas_complex_numIfEPKPS3_EEvT1_iilPiilS8_bb.uses_vcc, 1
	.set _ZN9rocsolver6v33100L18getri_kernel_smallILi60E19rocblas_complex_numIfEPKPS3_EEvT1_iilPiilS8_bb.uses_flat_scratch, 0
	.set _ZN9rocsolver6v33100L18getri_kernel_smallILi60E19rocblas_complex_numIfEPKPS3_EEvT1_iilPiilS8_bb.has_dyn_sized_stack, 0
	.set _ZN9rocsolver6v33100L18getri_kernel_smallILi60E19rocblas_complex_numIfEPKPS3_EEvT1_iilPiilS8_bb.has_recursion, 0
	.set _ZN9rocsolver6v33100L18getri_kernel_smallILi60E19rocblas_complex_numIfEPKPS3_EEvT1_iilPiilS8_bb.has_indirect_call, 0
	.section	.AMDGPU.csdata,"",@progbits
; Kernel info:
; codeLenInByte = 100924
; TotalNumSgprs: 23
; NumVgprs: 256
; NumAgprs: 94
; TotalNumVgprs: 350
; ScratchSize: 496
; MemoryBound: 0
; FloatMode: 240
; IeeeMode: 1
; LDSByteSize: 964 bytes/workgroup (compile time only)
; SGPRBlocks: 2
; VGPRBlocks: 43
; NumSGPRsForWavesPerEU: 23
; NumVGPRsForWavesPerEU: 350
; AccumOffset: 256
; Occupancy: 1
; WaveLimiterHint : 1
; COMPUTE_PGM_RSRC2:SCRATCH_EN: 1
; COMPUTE_PGM_RSRC2:USER_SGPR: 2
; COMPUTE_PGM_RSRC2:TRAP_HANDLER: 0
; COMPUTE_PGM_RSRC2:TGID_X_EN: 1
; COMPUTE_PGM_RSRC2:TGID_Y_EN: 0
; COMPUTE_PGM_RSRC2:TGID_Z_EN: 0
; COMPUTE_PGM_RSRC2:TIDIG_COMP_CNT: 0
; COMPUTE_PGM_RSRC3_GFX90A:ACCUM_OFFSET: 63
; COMPUTE_PGM_RSRC3_GFX90A:TG_SPLIT: 0
	.section	.text._ZN9rocsolver6v33100L18getri_kernel_smallILi61E19rocblas_complex_numIfEPKPS3_EEvT1_iilPiilS8_bb,"axG",@progbits,_ZN9rocsolver6v33100L18getri_kernel_smallILi61E19rocblas_complex_numIfEPKPS3_EEvT1_iilPiilS8_bb,comdat
	.globl	_ZN9rocsolver6v33100L18getri_kernel_smallILi61E19rocblas_complex_numIfEPKPS3_EEvT1_iilPiilS8_bb ; -- Begin function _ZN9rocsolver6v33100L18getri_kernel_smallILi61E19rocblas_complex_numIfEPKPS3_EEvT1_iilPiilS8_bb
	.p2align	8
	.type	_ZN9rocsolver6v33100L18getri_kernel_smallILi61E19rocblas_complex_numIfEPKPS3_EEvT1_iilPiilS8_bb,@function
_ZN9rocsolver6v33100L18getri_kernel_smallILi61E19rocblas_complex_numIfEPKPS3_EEvT1_iilPiilS8_bb: ; @_ZN9rocsolver6v33100L18getri_kernel_smallILi61E19rocblas_complex_numIfEPKPS3_EEvT1_iilPiilS8_bb
; %bb.0:
	v_cmp_gt_u32_e32 vcc, 61, v0
	s_and_saveexec_b64 s[4:5], vcc
	s_cbranch_execz .LBB124_258
; %bb.1:
	s_load_dword s14, s[0:1], 0x38
	s_load_dwordx2 s[8:9], s[0:1], 0x0
	s_load_dwordx4 s[4:7], s[0:1], 0x28
	s_waitcnt lgkmcnt(0)
	s_bitcmp1_b32 s14, 8
	s_cselect_b64 s[10:11], -1, 0
	s_ashr_i32 s3, s2, 31
	s_lshl_b64 s[12:13], s[2:3], 3
	s_add_u32 s8, s8, s12
	s_addc_u32 s9, s9, s13
	s_load_dwordx2 s[12:13], s[8:9], 0x0
	s_bfe_u32 s8, s14, 0x10008
	s_cmp_eq_u32 s8, 0
                                        ; implicit-def: $sgpr8_sgpr9
	s_cbranch_scc1 .LBB124_3
; %bb.2:
	s_load_dword s8, s[0:1], 0x20
	s_load_dwordx2 s[14:15], s[0:1], 0x18
	s_mul_i32 s9, s4, s3
	s_mul_hi_u32 s16, s4, s2
	s_add_i32 s16, s16, s9
	s_mul_i32 s5, s5, s2
	s_add_i32 s5, s16, s5
	s_mul_i32 s4, s4, s2
	s_waitcnt lgkmcnt(0)
	s_ashr_i32 s9, s8, 31
	s_lshl_b64 s[4:5], s[4:5], 2
	s_add_u32 s14, s14, s4
	s_addc_u32 s15, s15, s5
	s_lshl_b64 s[4:5], s[8:9], 2
	s_add_u32 s8, s14, s4
	s_addc_u32 s9, s15, s5
.LBB124_3:
	s_load_dwordx2 s[4:5], s[0:1], 0x8
	s_load_dword s14, s[0:1], 0x38
	v_lshlrev_b32_e32 v2, 3, v0
	v_mov_b32_e32 v3, 0
	s_waitcnt lgkmcnt(0)
	s_ashr_i32 s1, s4, 31
	s_mov_b32 s0, s4
	s_lshl_b64 s[0:1], s[0:1], 3
	s_add_u32 s0, s12, s0
	s_addc_u32 s1, s13, s1
	v_lshl_add_u64 v[150:151], s[0:1], 0, v[2:3]
	flat_load_dwordx2 v[4:5], v[150:151]
	s_mov_b32 s12, s5
	s_ashr_i32 s13, s5, 31
	v_lshl_add_u64 v[6:7], s[12:13], 3, v[150:151]
	v_accvgpr_write_b32 a0, v6
	s_add_i32 s4, s5, s5
	v_accvgpr_write_b32 a1, v7
	s_bitcmp0_b32 s14, 0
	s_waitcnt vmcnt(0) lgkmcnt(0)
	scratch_store_dwordx2 off, v[4:5], off
	flat_load_dwordx2 v[4:5], v[6:7]
	v_add_u32_e32 v6, s4, v0
	v_ashrrev_i32_e32 v7, 31, v6
	v_lshl_add_u64 v[8:9], v[6:7], 3, s[0:1]
	v_add_u32_e32 v6, s5, v6
	v_accvgpr_write_b32 a2, v8
	v_ashrrev_i32_e32 v7, 31, v6
	v_accvgpr_write_b32 a3, v9
	s_waitcnt vmcnt(0) lgkmcnt(0)
	scratch_store_dwordx2 off, v[4:5], off offset:8
	flat_load_dwordx2 v[4:5], v[8:9]
	v_lshl_add_u64 v[8:9], v[6:7], 3, s[0:1]
	v_add_u32_e32 v6, s5, v6
	v_accvgpr_write_b32 a4, v8
	v_ashrrev_i32_e32 v7, 31, v6
	v_accvgpr_write_b32 a5, v9
	s_waitcnt vmcnt(0) lgkmcnt(0)
	scratch_store_dwordx2 off, v[4:5], off offset:16
	flat_load_dwordx2 v[4:5], v[8:9]
	v_lshl_add_u64 v[8:9], v[6:7], 3, s[0:1]
	v_add_u32_e32 v6, s5, v6
	v_accvgpr_write_b32 a6, v8
	v_ashrrev_i32_e32 v7, 31, v6
	v_accvgpr_write_b32 a7, v9
	s_waitcnt vmcnt(0) lgkmcnt(0)
	scratch_store_dwordx2 off, v[4:5], off offset:24
	flat_load_dwordx2 v[4:5], v[8:9]
	v_lshl_add_u64 v[8:9], v[6:7], 3, s[0:1]
	v_add_u32_e32 v6, s5, v6
	v_accvgpr_write_b32 a8, v8
	v_ashrrev_i32_e32 v7, 31, v6
	v_accvgpr_write_b32 a9, v9
	s_waitcnt vmcnt(0) lgkmcnt(0)
	scratch_store_dwordx2 off, v[4:5], off offset:32
	flat_load_dwordx2 v[4:5], v[8:9]
	v_lshl_add_u64 v[8:9], v[6:7], 3, s[0:1]
	v_add_u32_e32 v6, s5, v6
	v_accvgpr_write_b32 a11, v9
	v_ashrrev_i32_e32 v7, 31, v6
	v_accvgpr_write_b32 a10, v8
	s_waitcnt vmcnt(0) lgkmcnt(0)
	scratch_store_dwordx2 off, v[4:5], off offset:40
	flat_load_dwordx2 v[4:5], v[8:9]
	v_lshl_add_u64 v[8:9], v[6:7], 3, s[0:1]
	v_add_u32_e32 v6, s5, v6
	v_accvgpr_write_b32 a13, v9
	v_ashrrev_i32_e32 v7, 31, v6
	v_accvgpr_write_b32 a12, v8
	s_waitcnt vmcnt(0) lgkmcnt(0)
	scratch_store_dwordx2 off, v[4:5], off offset:48
	flat_load_dwordx2 v[4:5], v[8:9]
	v_lshl_add_u64 v[8:9], v[6:7], 3, s[0:1]
	v_add_u32_e32 v6, s5, v6
	v_accvgpr_write_b32 a15, v9
	v_ashrrev_i32_e32 v7, 31, v6
	v_accvgpr_write_b32 a14, v8
	s_waitcnt vmcnt(0) lgkmcnt(0)
	scratch_store_dwordx2 off, v[4:5], off offset:56
	flat_load_dwordx2 v[4:5], v[8:9]
	v_lshl_add_u64 v[8:9], v[6:7], 3, s[0:1]
	v_add_u32_e32 v6, s5, v6
	v_accvgpr_write_b32 a17, v9
	v_ashrrev_i32_e32 v7, 31, v6
	v_accvgpr_write_b32 a16, v8
	s_waitcnt vmcnt(0) lgkmcnt(0)
	scratch_store_dwordx2 off, v[4:5], off offset:64
	flat_load_dwordx2 v[4:5], v[8:9]
	v_lshl_add_u64 v[8:9], v[6:7], 3, s[0:1]
	v_add_u32_e32 v6, s5, v6
	v_accvgpr_write_b32 a19, v9
	v_ashrrev_i32_e32 v7, 31, v6
	v_accvgpr_write_b32 a18, v8
	s_waitcnt vmcnt(0) lgkmcnt(0)
	scratch_store_dwordx2 off, v[4:5], off offset:72
	flat_load_dwordx2 v[4:5], v[8:9]
	v_lshl_add_u64 v[8:9], v[6:7], 3, s[0:1]
	v_add_u32_e32 v6, s5, v6
	v_accvgpr_write_b32 a21, v9
	v_ashrrev_i32_e32 v7, 31, v6
	v_accvgpr_write_b32 a20, v8
	s_waitcnt vmcnt(0) lgkmcnt(0)
	scratch_store_dwordx2 off, v[4:5], off offset:80
	flat_load_dwordx2 v[4:5], v[8:9]
	v_lshl_add_u64 v[8:9], v[6:7], 3, s[0:1]
	v_add_u32_e32 v6, s5, v6
	v_accvgpr_write_b32 a23, v9
	v_ashrrev_i32_e32 v7, 31, v6
	v_accvgpr_write_b32 a22, v8
	s_waitcnt vmcnt(0) lgkmcnt(0)
	scratch_store_dwordx2 off, v[4:5], off offset:88
	flat_load_dwordx2 v[4:5], v[8:9]
	v_lshl_add_u64 v[8:9], v[6:7], 3, s[0:1]
	v_add_u32_e32 v6, s5, v6
	v_accvgpr_write_b32 a25, v9
	v_ashrrev_i32_e32 v7, 31, v6
	v_accvgpr_write_b32 a24, v8
	s_waitcnt vmcnt(0) lgkmcnt(0)
	scratch_store_dwordx2 off, v[4:5], off offset:96
	flat_load_dwordx2 v[4:5], v[8:9]
	v_lshl_add_u64 v[8:9], v[6:7], 3, s[0:1]
	v_add_u32_e32 v6, s5, v6
	v_accvgpr_write_b32 a27, v9
	v_ashrrev_i32_e32 v7, 31, v6
	v_accvgpr_write_b32 a26, v8
	s_waitcnt vmcnt(0) lgkmcnt(0)
	scratch_store_dwordx2 off, v[4:5], off offset:104
	flat_load_dwordx2 v[4:5], v[8:9]
	v_lshl_add_u64 v[8:9], v[6:7], 3, s[0:1]
	v_add_u32_e32 v6, s5, v6
	v_accvgpr_write_b32 a29, v9
	v_ashrrev_i32_e32 v7, 31, v6
	v_accvgpr_write_b32 a28, v8
	s_waitcnt vmcnt(0) lgkmcnt(0)
	scratch_store_dwordx2 off, v[4:5], off offset:112
	flat_load_dwordx2 v[4:5], v[8:9]
	v_lshl_add_u64 v[8:9], v[6:7], 3, s[0:1]
	v_add_u32_e32 v6, s5, v6
	v_accvgpr_write_b32 a31, v9
	v_ashrrev_i32_e32 v7, 31, v6
	v_accvgpr_write_b32 a30, v8
	s_waitcnt vmcnt(0) lgkmcnt(0)
	scratch_store_dwordx2 off, v[4:5], off offset:120
	flat_load_dwordx2 v[4:5], v[8:9]
	v_lshl_add_u64 v[8:9], v[6:7], 3, s[0:1]
	v_add_u32_e32 v6, s5, v6
	v_accvgpr_write_b32 a33, v9
	v_ashrrev_i32_e32 v7, 31, v6
	v_accvgpr_write_b32 a32, v8
	s_waitcnt vmcnt(0) lgkmcnt(0)
	scratch_store_dwordx2 off, v[4:5], off offset:128
	flat_load_dwordx2 v[4:5], v[8:9]
	v_lshl_add_u64 v[8:9], v[6:7], 3, s[0:1]
	v_add_u32_e32 v6, s5, v6
	v_accvgpr_write_b32 a35, v9
	v_ashrrev_i32_e32 v7, 31, v6
	v_accvgpr_write_b32 a34, v8
	s_waitcnt vmcnt(0) lgkmcnt(0)
	scratch_store_dwordx2 off, v[4:5], off offset:136
	flat_load_dwordx2 v[4:5], v[8:9]
	v_lshl_add_u64 v[8:9], v[6:7], 3, s[0:1]
	v_add_u32_e32 v6, s5, v6
	v_accvgpr_write_b32 a37, v9
	v_ashrrev_i32_e32 v7, 31, v6
	v_accvgpr_write_b32 a36, v8
	s_waitcnt vmcnt(0) lgkmcnt(0)
	scratch_store_dwordx2 off, v[4:5], off offset:144
	flat_load_dwordx2 v[4:5], v[8:9]
	v_lshl_add_u64 v[8:9], v[6:7], 3, s[0:1]
	v_add_u32_e32 v6, s5, v6
	v_accvgpr_write_b32 a39, v9
	v_ashrrev_i32_e32 v7, 31, v6
	v_accvgpr_write_b32 a38, v8
	s_waitcnt vmcnt(0) lgkmcnt(0)
	scratch_store_dwordx2 off, v[4:5], off offset:152
	flat_load_dwordx2 v[4:5], v[8:9]
	v_lshl_add_u64 v[8:9], v[6:7], 3, s[0:1]
	v_add_u32_e32 v6, s5, v6
	v_accvgpr_write_b32 a41, v9
	v_ashrrev_i32_e32 v7, 31, v6
	v_accvgpr_write_b32 a40, v8
	s_waitcnt vmcnt(0) lgkmcnt(0)
	scratch_store_dwordx2 off, v[4:5], off offset:160
	flat_load_dwordx2 v[4:5], v[8:9]
	v_lshl_add_u64 v[8:9], v[6:7], 3, s[0:1]
	v_add_u32_e32 v6, s5, v6
	v_accvgpr_write_b32 a43, v9
	v_ashrrev_i32_e32 v7, 31, v6
	v_accvgpr_write_b32 a42, v8
	s_waitcnt vmcnt(0) lgkmcnt(0)
	scratch_store_dwordx2 off, v[4:5], off offset:168
	flat_load_dwordx2 v[4:5], v[8:9]
	v_lshl_add_u64 v[8:9], v[6:7], 3, s[0:1]
	v_add_u32_e32 v6, s5, v6
	v_accvgpr_write_b32 a45, v9
	v_ashrrev_i32_e32 v7, 31, v6
	v_accvgpr_write_b32 a44, v8
	s_waitcnt vmcnt(0) lgkmcnt(0)
	scratch_store_dwordx2 off, v[4:5], off offset:176
	flat_load_dwordx2 v[4:5], v[8:9]
	v_lshl_add_u64 v[8:9], v[6:7], 3, s[0:1]
	v_add_u32_e32 v6, s5, v6
	v_accvgpr_write_b32 a47, v9
	v_ashrrev_i32_e32 v7, 31, v6
	v_accvgpr_write_b32 a46, v8
	s_waitcnt vmcnt(0) lgkmcnt(0)
	scratch_store_dwordx2 off, v[4:5], off offset:184
	flat_load_dwordx2 v[4:5], v[8:9]
	v_lshl_add_u64 v[8:9], v[6:7], 3, s[0:1]
	v_add_u32_e32 v6, s5, v6
	v_accvgpr_write_b32 a49, v9
	v_ashrrev_i32_e32 v7, 31, v6
	v_accvgpr_write_b32 a48, v8
	s_waitcnt vmcnt(0) lgkmcnt(0)
	scratch_store_dwordx2 off, v[4:5], off offset:192
	flat_load_dwordx2 v[4:5], v[8:9]
	v_lshl_add_u64 v[8:9], v[6:7], 3, s[0:1]
	v_add_u32_e32 v6, s5, v6
	v_accvgpr_write_b32 a51, v9
	v_ashrrev_i32_e32 v7, 31, v6
	v_accvgpr_write_b32 a50, v8
	s_waitcnt vmcnt(0) lgkmcnt(0)
	scratch_store_dwordx2 off, v[4:5], off offset:200
	flat_load_dwordx2 v[4:5], v[8:9]
	v_lshl_add_u64 v[8:9], v[6:7], 3, s[0:1]
	v_add_u32_e32 v6, s5, v6
	v_accvgpr_write_b32 a53, v9
	v_ashrrev_i32_e32 v7, 31, v6
	v_accvgpr_write_b32 a52, v8
	s_waitcnt vmcnt(0) lgkmcnt(0)
	scratch_store_dwordx2 off, v[4:5], off offset:208
	flat_load_dwordx2 v[4:5], v[8:9]
	v_lshl_add_u64 v[8:9], v[6:7], 3, s[0:1]
	v_add_u32_e32 v6, s5, v6
	v_accvgpr_write_b32 a55, v9
	v_ashrrev_i32_e32 v7, 31, v6
	v_accvgpr_write_b32 a54, v8
	s_waitcnt vmcnt(0) lgkmcnt(0)
	scratch_store_dwordx2 off, v[4:5], off offset:216
	flat_load_dwordx2 v[4:5], v[8:9]
	v_lshl_add_u64 v[8:9], v[6:7], 3, s[0:1]
	v_add_u32_e32 v6, s5, v6
	v_accvgpr_write_b32 a57, v9
	v_ashrrev_i32_e32 v7, 31, v6
	v_accvgpr_write_b32 a56, v8
	s_waitcnt vmcnt(0) lgkmcnt(0)
	scratch_store_dwordx2 off, v[4:5], off offset:224
	flat_load_dwordx2 v[4:5], v[8:9]
	v_lshl_add_u64 v[8:9], v[6:7], 3, s[0:1]
	v_add_u32_e32 v6, s5, v6
	v_accvgpr_write_b32 a59, v9
	v_ashrrev_i32_e32 v7, 31, v6
	v_accvgpr_write_b32 a58, v8
	s_waitcnt vmcnt(0) lgkmcnt(0)
	scratch_store_dwordx2 off, v[4:5], off offset:232
	flat_load_dwordx2 v[4:5], v[8:9]
	v_lshl_add_u64 v[8:9], v[6:7], 3, s[0:1]
	v_add_u32_e32 v6, s5, v6
	v_accvgpr_write_b32 a61, v9
	v_ashrrev_i32_e32 v7, 31, v6
	v_accvgpr_write_b32 a60, v8
	s_waitcnt vmcnt(0) lgkmcnt(0)
	scratch_store_dwordx2 off, v[4:5], off offset:240
	flat_load_dwordx2 v[4:5], v[8:9]
	v_lshl_add_u64 v[8:9], v[6:7], 3, s[0:1]
	v_add_u32_e32 v6, s5, v6
	v_accvgpr_write_b32 a63, v9
	v_ashrrev_i32_e32 v7, 31, v6
	v_accvgpr_write_b32 a62, v8
	s_waitcnt vmcnt(0) lgkmcnt(0)
	scratch_store_dwordx2 off, v[4:5], off offset:248
	flat_load_dwordx2 v[4:5], v[8:9]
	v_lshl_add_u64 v[8:9], v[6:7], 3, s[0:1]
	v_add_u32_e32 v6, s5, v6
	v_accvgpr_write_b32 a65, v9
	v_ashrrev_i32_e32 v7, 31, v6
	v_accvgpr_write_b32 a64, v8
	s_waitcnt vmcnt(0) lgkmcnt(0)
	scratch_store_dwordx2 off, v[4:5], off offset:256
	flat_load_dwordx2 v[4:5], v[8:9]
	v_lshl_add_u64 v[8:9], v[6:7], 3, s[0:1]
	v_add_u32_e32 v6, s5, v6
	v_accvgpr_write_b32 a67, v9
	v_ashrrev_i32_e32 v7, 31, v6
	v_accvgpr_write_b32 a66, v8
	s_waitcnt vmcnt(0) lgkmcnt(0)
	scratch_store_dwordx2 off, v[4:5], off offset:264
	flat_load_dwordx2 v[4:5], v[8:9]
	v_lshl_add_u64 v[8:9], v[6:7], 3, s[0:1]
	v_add_u32_e32 v6, s5, v6
	v_accvgpr_write_b32 a69, v9
	v_ashrrev_i32_e32 v7, 31, v6
	v_accvgpr_write_b32 a68, v8
	s_waitcnt vmcnt(0) lgkmcnt(0)
	scratch_store_dwordx2 off, v[4:5], off offset:272
	flat_load_dwordx2 v[4:5], v[8:9]
	v_lshl_add_u64 v[8:9], v[6:7], 3, s[0:1]
	v_add_u32_e32 v6, s5, v6
	v_accvgpr_write_b32 a71, v9
	v_ashrrev_i32_e32 v7, 31, v6
	v_accvgpr_write_b32 a70, v8
	s_waitcnt vmcnt(0) lgkmcnt(0)
	scratch_store_dwordx2 off, v[4:5], off offset:280
	flat_load_dwordx2 v[4:5], v[8:9]
	v_lshl_add_u64 v[8:9], v[6:7], 3, s[0:1]
	v_add_u32_e32 v6, s5, v6
	v_accvgpr_write_b32 a73, v9
	v_ashrrev_i32_e32 v7, 31, v6
	v_accvgpr_write_b32 a72, v8
	s_waitcnt vmcnt(0) lgkmcnt(0)
	scratch_store_dwordx2 off, v[4:5], off offset:288
	flat_load_dwordx2 v[4:5], v[8:9]
	v_lshl_add_u64 v[8:9], v[6:7], 3, s[0:1]
	v_add_u32_e32 v6, s5, v6
	v_accvgpr_write_b32 a75, v9
	v_ashrrev_i32_e32 v7, 31, v6
	v_accvgpr_write_b32 a74, v8
	s_waitcnt vmcnt(0) lgkmcnt(0)
	scratch_store_dwordx2 off, v[4:5], off offset:296
	flat_load_dwordx2 v[4:5], v[8:9]
	v_lshl_add_u64 v[8:9], v[6:7], 3, s[0:1]
	v_add_u32_e32 v6, s5, v6
	v_accvgpr_write_b32 a77, v9
	v_ashrrev_i32_e32 v7, 31, v6
	v_accvgpr_write_b32 a76, v8
	s_waitcnt vmcnt(0) lgkmcnt(0)
	scratch_store_dwordx2 off, v[4:5], off offset:304
	flat_load_dwordx2 v[4:5], v[8:9]
	v_lshl_add_u64 v[8:9], v[6:7], 3, s[0:1]
	v_add_u32_e32 v6, s5, v6
	v_accvgpr_write_b32 a79, v9
	v_ashrrev_i32_e32 v7, 31, v6
	v_accvgpr_write_b32 a78, v8
	s_waitcnt vmcnt(0) lgkmcnt(0)
	scratch_store_dwordx2 off, v[4:5], off offset:312
	flat_load_dwordx2 v[4:5], v[8:9]
	v_lshl_add_u64 v[8:9], v[6:7], 3, s[0:1]
	v_add_u32_e32 v6, s5, v6
	v_accvgpr_write_b32 a81, v9
	v_ashrrev_i32_e32 v7, 31, v6
	v_accvgpr_write_b32 a80, v8
	s_waitcnt vmcnt(0) lgkmcnt(0)
	scratch_store_dwordx2 off, v[4:5], off offset:320
	flat_load_dwordx2 v[4:5], v[8:9]
	v_lshl_add_u64 v[8:9], v[6:7], 3, s[0:1]
	v_add_u32_e32 v6, s5, v6
	v_accvgpr_write_b32 a83, v9
	v_ashrrev_i32_e32 v7, 31, v6
	v_accvgpr_write_b32 a82, v8
	s_waitcnt vmcnt(0) lgkmcnt(0)
	scratch_store_dwordx2 off, v[4:5], off offset:328
	flat_load_dwordx2 v[4:5], v[8:9]
	v_lshl_add_u64 v[8:9], v[6:7], 3, s[0:1]
	v_add_u32_e32 v6, s5, v6
	v_accvgpr_write_b32 a85, v9
	v_ashrrev_i32_e32 v7, 31, v6
	v_accvgpr_write_b32 a84, v8
	s_waitcnt vmcnt(0) lgkmcnt(0)
	scratch_store_dwordx2 off, v[4:5], off offset:336
	flat_load_dwordx2 v[4:5], v[8:9]
	v_lshl_add_u64 v[8:9], v[6:7], 3, s[0:1]
	v_add_u32_e32 v6, s5, v6
	v_accvgpr_write_b32 a87, v9
	v_ashrrev_i32_e32 v7, 31, v6
	v_accvgpr_write_b32 a86, v8
	s_waitcnt vmcnt(0) lgkmcnt(0)
	scratch_store_dwordx2 off, v[4:5], off offset:344
	flat_load_dwordx2 v[4:5], v[8:9]
	v_lshl_add_u64 v[8:9], v[6:7], 3, s[0:1]
	v_add_u32_e32 v6, s5, v6
	v_accvgpr_write_b32 a89, v9
	v_ashrrev_i32_e32 v7, 31, v6
	v_accvgpr_write_b32 a88, v8
	s_waitcnt vmcnt(0) lgkmcnt(0)
	scratch_store_dwordx2 off, v[4:5], off offset:352
	flat_load_dwordx2 v[4:5], v[8:9]
	v_lshl_add_u64 v[8:9], v[6:7], 3, s[0:1]
	v_add_u32_e32 v6, s5, v6
	v_accvgpr_write_b32 a91, v9
	v_ashrrev_i32_e32 v7, 31, v6
	v_accvgpr_write_b32 a90, v8
	s_waitcnt vmcnt(0) lgkmcnt(0)
	scratch_store_dwordx2 off, v[4:5], off offset:360
	flat_load_dwordx2 v[4:5], v[8:9]
	v_lshl_add_u64 v[8:9], v[6:7], 3, s[0:1]
	v_add_u32_e32 v6, s5, v6
	v_accvgpr_write_b32 a93, v9
	v_ashrrev_i32_e32 v7, 31, v6
	v_accvgpr_write_b32 a92, v8
	s_waitcnt vmcnt(0) lgkmcnt(0)
	scratch_store_dwordx2 off, v[4:5], off offset:368
	flat_load_dwordx2 v[4:5], v[8:9]
	v_lshl_add_u64 v[8:9], v[6:7], 3, s[0:1]
	v_add_u32_e32 v6, s5, v6
	v_accvgpr_write_b32 a95, v9
	v_ashrrev_i32_e32 v7, 31, v6
	v_accvgpr_write_b32 a94, v8
	s_waitcnt vmcnt(0) lgkmcnt(0)
	scratch_store_dwordx2 off, v[4:5], off offset:376
	flat_load_dwordx2 v[4:5], v[8:9]
	v_lshl_add_u64 v[8:9], v[6:7], 3, s[0:1]
	v_add_u32_e32 v6, s5, v6
	v_ashrrev_i32_e32 v7, 31, v6
	v_lshl_add_u64 v[250:251], v[6:7], 3, s[0:1]
	v_add_u32_e32 v6, s5, v6
	v_ashrrev_i32_e32 v7, 31, v6
	;; [unrolled: 3-line block ×11, first 2 shown]
	v_lshl_add_u64 v[166:167], v[6:7], 3, s[0:1]
	v_accvgpr_write_b32 a97, v9
	v_accvgpr_write_b32 a96, v8
	s_mov_b64 s[4:5], -1
	s_waitcnt vmcnt(0) lgkmcnt(0)
	scratch_store_dwordx2 off, v[4:5], off offset:384
	flat_load_dwordx2 v[4:5], v[8:9]
	s_waitcnt vmcnt(0) lgkmcnt(0)
	scratch_store_dwordx2 off, v[4:5], off offset:392
	flat_load_dwordx2 v[4:5], v[250:251]
	;; [unrolled: 3-line block ×12, first 2 shown]
	s_waitcnt vmcnt(0) lgkmcnt(0)
	scratch_store_dwordx2 off, v[4:5], off offset:480
	s_cbranch_scc1 .LBB124_256
; %bb.4:
	v_cmp_eq_u32_e64 s[0:1], 0, v0
	s_and_saveexec_b64 s[4:5], s[0:1]
; %bb.5:
	v_mov_b32_e32 v1, 0
	ds_write_b32 v1, v1 offset:488
; %bb.6:
	s_or_b64 exec, exec, s[4:5]
	s_waitcnt lgkmcnt(0)
	; wave barrier
	scratch_load_dwordx2 v[4:5], v2, off
	s_waitcnt vmcnt(0)
	v_cmp_eq_f32_e32 vcc, 0, v4
	v_cmp_eq_f32_e64 s[4:5], 0, v5
	s_and_b64 s[4:5], vcc, s[4:5]
	s_and_saveexec_b64 s[12:13], s[4:5]
	s_cbranch_execz .LBB124_10
; %bb.7:
	v_mov_b32_e32 v1, 0
	ds_read_b32 v4, v1 offset:488
	v_add_u32_e32 v3, 1, v0
	s_waitcnt lgkmcnt(0)
	v_readfirstlane_b32 s4, v4
	s_cmp_eq_u32 s4, 0
	s_cselect_b64 s[14:15], -1, 0
	v_cmp_gt_i32_e32 vcc, s4, v3
	s_or_b64 s[14:15], s[14:15], vcc
	s_and_b64 exec, exec, s[14:15]
	s_cbranch_execz .LBB124_10
; %bb.8:
	s_mov_b64 s[14:15], 0
	v_mov_b32_e32 v4, s4
.LBB124_9:                              ; =>This Inner Loop Header: Depth=1
	ds_cmpst_rtn_b32 v4, v1, v4, v3 offset:488
	s_waitcnt lgkmcnt(0)
	v_cmp_ne_u32_e32 vcc, 0, v4
	v_cmp_le_i32_e64 s[4:5], v4, v3
	s_and_b64 s[4:5], vcc, s[4:5]
	s_and_b64 s[4:5], exec, s[4:5]
	s_or_b64 s[14:15], s[4:5], s[14:15]
	s_andn2_b64 exec, exec, s[14:15]
	s_cbranch_execnz .LBB124_9
.LBB124_10:
	s_or_b64 exec, exec, s[12:13]
	v_mov_b32_e32 v3, 0
	; wave barrier
	ds_read_b32 v1, v3 offset:488
	s_and_saveexec_b64 s[4:5], s[0:1]
	s_cbranch_execz .LBB124_12
; %bb.11:
	s_lshl_b64 s[12:13], s[2:3], 2
	s_add_u32 s12, s6, s12
	s_addc_u32 s13, s7, s13
	s_waitcnt lgkmcnt(0)
	global_store_dword v3, v1, s[12:13]
.LBB124_12:
	s_or_b64 exec, exec, s[4:5]
	s_waitcnt lgkmcnt(0)
	v_cmp_ne_u32_e32 vcc, 0, v1
	s_mov_b64 s[4:5], 0
	s_cbranch_vccnz .LBB124_256
; %bb.13:
	v_mov_b32_e32 v3, v2
	scratch_load_dwordx2 v[4:5], v3, off
                                        ; implicit-def: $vgpr7
                                        ; implicit-def: $vgpr8
	s_waitcnt vmcnt(0)
	v_cmp_ngt_f32_e64 s[4:5], |v4|, |v5|
	s_and_saveexec_b64 s[12:13], s[4:5]
	s_xor_b64 s[4:5], exec, s[12:13]
	s_cbranch_execz .LBB124_15
; %bb.14:
	v_div_scale_f32 v1, s[12:13], v5, v5, v4
	v_rcp_f32_e32 v6, v1
	v_div_scale_f32 v7, vcc, v4, v5, v4
	v_fma_f32 v8, -v1, v6, 1.0
	v_fmac_f32_e32 v6, v8, v6
	v_mul_f32_e32 v8, v7, v6
	v_fma_f32 v9, -v1, v8, v7
	v_fmac_f32_e32 v8, v9, v6
	v_fma_f32 v1, -v1, v8, v7
	v_div_fmas_f32 v1, v1, v6, v8
	v_div_fixup_f32 v1, v1, v5, v4
	v_fmac_f32_e32 v5, v4, v1
	v_div_scale_f32 v4, s[12:13], v5, v5, -1.0
	v_rcp_f32_e32 v6, v4
	s_nop 0
	v_fma_f32 v7, -v4, v6, 1.0
	v_fmac_f32_e32 v6, v7, v6
	v_div_scale_f32 v7, vcc, -1.0, v5, -1.0
	v_mul_f32_e32 v8, v7, v6
	v_fma_f32 v9, -v4, v8, v7
	v_fmac_f32_e32 v8, v9, v6
	v_fma_f32 v4, -v4, v8, v7
	v_div_fmas_f32 v4, v4, v6, v8
	v_div_fixup_f32 v7, v4, v5, -1.0
	v_mul_f32_e32 v8, v1, v7
	v_xor_b32_e32 v6, 0x80000000, v8
                                        ; implicit-def: $vgpr4_vgpr5
.LBB124_15:
	s_andn2_saveexec_b64 s[4:5], s[4:5]
	s_cbranch_execz .LBB124_17
; %bb.16:
	v_div_scale_f32 v1, s[12:13], v4, v4, v5
	v_rcp_f32_e32 v6, v1
	v_div_scale_f32 v7, vcc, v5, v4, v5
	v_fma_f32 v8, -v1, v6, 1.0
	v_fmac_f32_e32 v6, v8, v6
	v_mul_f32_e32 v8, v7, v6
	v_fma_f32 v9, -v1, v8, v7
	v_fmac_f32_e32 v8, v9, v6
	v_fma_f32 v1, -v1, v8, v7
	v_div_fmas_f32 v1, v1, v6, v8
	v_div_fixup_f32 v1, v1, v4, v5
	v_fmac_f32_e32 v4, v5, v1
	v_div_scale_f32 v5, s[12:13], v4, v4, 1.0
	v_rcp_f32_e32 v6, v5
	s_nop 0
	v_fma_f32 v7, -v5, v6, 1.0
	v_fmac_f32_e32 v6, v7, v6
	v_div_scale_f32 v7, vcc, 1.0, v4, 1.0
	v_mul_f32_e32 v8, v7, v6
	v_fma_f32 v9, -v5, v8, v7
	v_fmac_f32_e32 v8, v9, v6
	v_fma_f32 v5, -v5, v8, v7
	v_div_fmas_f32 v5, v5, v6, v8
	v_div_fixup_f32 v6, v5, v4, 1.0
	v_xor_b32_e32 v8, 0x80000000, v6
	v_mul_f32_e64 v7, v1, -v6
.LBB124_17:
	s_or_b64 exec, exec, s[4:5]
	scratch_store_dwordx2 v3, v[6:7], off
	scratch_load_dwordx2 v[4:5], off, off offset:8
	v_xor_b32_e32 v9, 0x80000000, v7
	v_add_u32_e32 v1, 0x1f0, v2
	s_waitcnt vmcnt(0)
	ds_write2_b64 v2, v[8:9], v[4:5] offset1:62
	s_waitcnt lgkmcnt(0)
	; wave barrier
	s_and_saveexec_b64 s[4:5], s[0:1]
	s_cbranch_execz .LBB124_19
; %bb.18:
	scratch_load_dwordx2 v[4:5], v3, off
	ds_read_b64 v[6:7], v1
	v_mov_b32_e32 v8, 0
	ds_read_b64 v[8:9], v8 offset:8
	s_waitcnt vmcnt(0) lgkmcnt(1)
	v_pk_mul_f32 v[10:11], v[6:7], v[4:5] op_sel:[1,1] op_sel_hi:[0,1]
	v_pk_fma_f32 v[12:13], v[6:7], v[4:5], v[10:11] neg_lo:[0,0,1] neg_hi:[0,0,1]
	v_pk_fma_f32 v[4:5], v[6:7], v[4:5], v[10:11] op_sel_hi:[1,0,1]
	s_nop 0
	v_mov_b32_e32 v13, v5
	v_pk_add_f32 v[4:5], v[12:13], 0 op_sel_hi:[1,0]
	s_waitcnt lgkmcnt(0)
	v_pk_mul_f32 v[6:7], v[4:5], v[8:9] op_sel:[1,1] op_sel_hi:[0,1]
	v_pk_fma_f32 v[10:11], v[4:5], v[8:9], v[6:7] neg_lo:[0,0,1] neg_hi:[0,0,1]
	v_pk_fma_f32 v[4:5], v[4:5], v[8:9], v[6:7] op_sel_hi:[1,0,1]
	s_nop 0
	v_mov_b32_e32 v11, v5
	scratch_store_dwordx2 off, v[10:11], off offset:8
.LBB124_19:
	s_or_b64 exec, exec, s[4:5]
	; wave barrier
	scratch_load_dwordx2 v[4:5], off, off offset:16
	v_cmp_gt_u32_e32 vcc, 2, v0
	s_waitcnt vmcnt(0)
	ds_write_b64 v1, v[4:5]
	s_waitcnt lgkmcnt(0)
	; wave barrier
	s_and_saveexec_b64 s[4:5], vcc
	s_cbranch_execz .LBB124_23
; %bb.20:
	scratch_load_dwordx2 v[4:5], v3, off
	ds_read_b64 v[6:7], v1
	s_waitcnt vmcnt(0) lgkmcnt(0)
	v_pk_mul_f32 v[8:9], v[6:7], v[4:5] op_sel:[1,1] op_sel_hi:[0,1]
	v_pk_fma_f32 v[10:11], v[6:7], v[4:5], v[8:9] neg_lo:[0,0,1] neg_hi:[0,0,1]
	v_pk_fma_f32 v[4:5], v[6:7], v[4:5], v[8:9] op_sel_hi:[1,0,1]
	s_nop 0
	v_mov_b32_e32 v11, v5
	v_pk_add_f32 v[4:5], v[10:11], 0 op_sel_hi:[1,0]
	s_and_saveexec_b64 s[12:13], s[0:1]
	s_cbranch_execz .LBB124_22
; %bb.21:
	scratch_load_dwordx2 v[6:7], off, off offset:8
	v_mov_b32_e32 v3, 0
	ds_read_b64 v[8:9], v3 offset:504
	s_waitcnt vmcnt(0) lgkmcnt(0)
	v_pk_mul_f32 v[10:11], v[8:9], v[6:7] op_sel:[1,1] op_sel_hi:[0,1]
	v_pk_fma_f32 v[12:13], v[8:9], v[6:7], v[10:11] neg_lo:[0,0,1] neg_hi:[0,0,1]
	v_pk_fma_f32 v[6:7], v[8:9], v[6:7], v[10:11] op_sel_hi:[1,0,1]
	s_nop 0
	v_mov_b32_e32 v13, v7
	v_pk_add_f32 v[4:5], v[4:5], v[12:13]
.LBB124_22:
	s_or_b64 exec, exec, s[12:13]
	v_mov_b32_e32 v3, 0
	ds_read_b64 v[6:7], v3 offset:16
	s_waitcnt lgkmcnt(0)
	v_pk_mul_f32 v[8:9], v[4:5], v[6:7] op_sel:[1,1] op_sel_hi:[0,1]
	v_pk_fma_f32 v[10:11], v[4:5], v[6:7], v[8:9] neg_lo:[0,0,1] neg_hi:[0,0,1]
	v_pk_fma_f32 v[4:5], v[4:5], v[6:7], v[8:9] op_sel_hi:[1,0,1]
	s_nop 0
	v_mov_b32_e32 v11, v5
	scratch_store_dwordx2 off, v[10:11], off offset:16
.LBB124_23:
	s_or_b64 exec, exec, s[4:5]
	; wave barrier
	scratch_load_dwordx2 v[4:5], off, off offset:24
	v_cmp_gt_u32_e32 vcc, 3, v0
	v_add_u32_e32 v6, -1, v0
	s_waitcnt vmcnt(0)
	ds_write_b64 v1, v[4:5]
	s_waitcnt lgkmcnt(0)
	; wave barrier
	s_and_saveexec_b64 s[0:1], vcc
	s_cbranch_execz .LBB124_27
; %bb.24:
	v_mov_b32_e32 v4, 0
	v_add_u32_e32 v3, -1, v0
	v_add_u32_e32 v7, 0x1f0, v2
	v_mov_b32_e32 v8, v2
	s_mov_b64 s[4:5], 0
	v_mov_b32_e32 v5, v4
.LBB124_25:                             ; =>This Inner Loop Header: Depth=1
	scratch_load_dwordx2 v[10:11], v8, off
	ds_read_b64 v[12:13], v7
	v_add_u32_e32 v3, 1, v3
	v_cmp_lt_u32_e32 vcc, 1, v3
	v_add_u32_e32 v7, 8, v7
	v_add_u32_e32 v8, 8, v8
	s_or_b64 s[4:5], vcc, s[4:5]
	s_waitcnt vmcnt(0) lgkmcnt(0)
	v_pk_mul_f32 v[14:15], v[12:13], v[10:11] op_sel:[1,1] op_sel_hi:[0,1]
	v_pk_fma_f32 v[16:17], v[12:13], v[10:11], v[14:15] neg_lo:[0,0,1] neg_hi:[0,0,1]
	v_pk_fma_f32 v[10:11], v[12:13], v[10:11], v[14:15] op_sel_hi:[1,0,1]
	s_nop 0
	v_mov_b32_e32 v17, v11
	v_pk_add_f32 v[4:5], v[4:5], v[16:17]
	s_andn2_b64 exec, exec, s[4:5]
	s_cbranch_execnz .LBB124_25
; %bb.26:
	s_or_b64 exec, exec, s[4:5]
	v_mov_b32_e32 v3, 0
	ds_read_b64 v[8:9], v3 offset:24
	s_waitcnt lgkmcnt(0)
	v_pk_mul_f32 v[10:11], v[4:5], v[8:9] op_sel:[1,1] op_sel_hi:[0,1]
	v_pk_fma_f32 v[12:13], v[4:5], v[8:9], v[10:11] neg_lo:[0,0,1] neg_hi:[0,0,1]
	v_pk_fma_f32 v[4:5], v[4:5], v[8:9], v[10:11] op_sel_hi:[1,0,1]
	s_nop 0
	v_mov_b32_e32 v13, v5
	scratch_store_dwordx2 off, v[12:13], off offset:24
.LBB124_27:
	s_or_b64 exec, exec, s[0:1]
	; wave barrier
	scratch_load_dwordx2 v[4:5], off, off offset:32
	v_cmp_gt_u32_e32 vcc, 4, v0
	s_waitcnt vmcnt(0)
	ds_write_b64 v1, v[4:5]
	s_waitcnt lgkmcnt(0)
	; wave barrier
	s_and_saveexec_b64 s[0:1], vcc
	s_cbranch_execz .LBB124_31
; %bb.28:
	v_mov_b32_e32 v4, 0
	v_add_u32_e32 v3, -1, v0
	v_add_u32_e32 v7, 0x1f0, v2
	v_mov_b32_e32 v8, v2
	s_mov_b64 s[4:5], 0
	v_mov_b32_e32 v5, v4
.LBB124_29:                             ; =>This Inner Loop Header: Depth=1
	scratch_load_dwordx2 v[10:11], v8, off
	ds_read_b64 v[12:13], v7
	v_add_u32_e32 v3, 1, v3
	v_cmp_lt_u32_e32 vcc, 2, v3
	v_add_u32_e32 v7, 8, v7
	v_add_u32_e32 v8, 8, v8
	s_or_b64 s[4:5], vcc, s[4:5]
	s_waitcnt vmcnt(0) lgkmcnt(0)
	v_pk_mul_f32 v[14:15], v[12:13], v[10:11] op_sel:[1,1] op_sel_hi:[0,1]
	v_pk_fma_f32 v[16:17], v[12:13], v[10:11], v[14:15] neg_lo:[0,0,1] neg_hi:[0,0,1]
	v_pk_fma_f32 v[10:11], v[12:13], v[10:11], v[14:15] op_sel_hi:[1,0,1]
	s_nop 0
	v_mov_b32_e32 v17, v11
	v_pk_add_f32 v[4:5], v[4:5], v[16:17]
	s_andn2_b64 exec, exec, s[4:5]
	s_cbranch_execnz .LBB124_29
; %bb.30:
	s_or_b64 exec, exec, s[4:5]
	v_mov_b32_e32 v3, 0
	ds_read_b64 v[8:9], v3 offset:32
	s_waitcnt lgkmcnt(0)
	v_pk_mul_f32 v[10:11], v[4:5], v[8:9] op_sel:[1,1] op_sel_hi:[0,1]
	v_pk_fma_f32 v[12:13], v[4:5], v[8:9], v[10:11] neg_lo:[0,0,1] neg_hi:[0,0,1]
	v_pk_fma_f32 v[4:5], v[4:5], v[8:9], v[10:11] op_sel_hi:[1,0,1]
	s_nop 0
	v_mov_b32_e32 v13, v5
	scratch_store_dwordx2 off, v[12:13], off offset:32
.LBB124_31:
	s_or_b64 exec, exec, s[0:1]
	; wave barrier
	scratch_load_dwordx2 v[4:5], off, off offset:40
	v_cmp_gt_u32_e32 vcc, 5, v0
	;; [unrolled: 46-line block ×19, first 2 shown]
	s_waitcnt vmcnt(0)
	ds_write_b64 v1, v[4:5]
	s_waitcnt lgkmcnt(0)
	; wave barrier
	s_and_saveexec_b64 s[0:1], vcc
	s_cbranch_execz .LBB124_103
; %bb.100:
	v_mov_b32_e32 v4, 0
	v_add_u32_e32 v3, -1, v0
	v_add_u32_e32 v7, 0x1f0, v2
	v_mov_b32_e32 v8, v2
	s_mov_b64 s[4:5], 0
	v_mov_b32_e32 v5, v4
.LBB124_101:                            ; =>This Inner Loop Header: Depth=1
	scratch_load_dwordx2 v[10:11], v8, off
	ds_read_b64 v[12:13], v7
	v_add_u32_e32 v3, 1, v3
	v_cmp_lt_u32_e32 vcc, 20, v3
	v_add_u32_e32 v7, 8, v7
	v_add_u32_e32 v8, 8, v8
	s_or_b64 s[4:5], vcc, s[4:5]
	s_waitcnt vmcnt(0) lgkmcnt(0)
	v_pk_mul_f32 v[14:15], v[12:13], v[10:11] op_sel:[1,1] op_sel_hi:[0,1]
	v_pk_fma_f32 v[16:17], v[12:13], v[10:11], v[14:15] neg_lo:[0,0,1] neg_hi:[0,0,1]
	v_pk_fma_f32 v[10:11], v[12:13], v[10:11], v[14:15] op_sel_hi:[1,0,1]
	s_nop 0
	v_mov_b32_e32 v17, v11
	v_pk_add_f32 v[4:5], v[4:5], v[16:17]
	s_andn2_b64 exec, exec, s[4:5]
	s_cbranch_execnz .LBB124_101
; %bb.102:
	s_or_b64 exec, exec, s[4:5]
	v_mov_b32_e32 v3, 0
	ds_read_b64 v[8:9], v3 offset:176
	s_waitcnt lgkmcnt(0)
	v_pk_mul_f32 v[10:11], v[4:5], v[8:9] op_sel:[1,1] op_sel_hi:[0,1]
	v_pk_fma_f32 v[12:13], v[4:5], v[8:9], v[10:11] neg_lo:[0,0,1] neg_hi:[0,0,1]
	v_pk_fma_f32 v[4:5], v[4:5], v[8:9], v[10:11] op_sel_hi:[1,0,1]
	s_nop 0
	v_mov_b32_e32 v13, v5
	scratch_store_dwordx2 off, v[12:13], off offset:176
.LBB124_103:
	s_or_b64 exec, exec, s[0:1]
	; wave barrier
	scratch_load_dwordx2 v[4:5], off, off offset:184
	v_cmp_gt_u32_e32 vcc, 23, v0
	s_waitcnt vmcnt(0)
	ds_write_b64 v1, v[4:5]
	s_waitcnt lgkmcnt(0)
	; wave barrier
	s_and_saveexec_b64 s[0:1], vcc
	s_cbranch_execz .LBB124_107
; %bb.104:
	v_mov_b32_e32 v4, 0
	v_add_u32_e32 v3, -1, v0
	v_add_u32_e32 v7, 0x1f0, v2
	v_mov_b32_e32 v8, v2
	s_mov_b64 s[4:5], 0
	v_mov_b32_e32 v5, v4
.LBB124_105:                            ; =>This Inner Loop Header: Depth=1
	scratch_load_dwordx2 v[10:11], v8, off
	ds_read_b64 v[12:13], v7
	v_add_u32_e32 v3, 1, v3
	v_cmp_lt_u32_e32 vcc, 21, v3
	v_add_u32_e32 v7, 8, v7
	v_add_u32_e32 v8, 8, v8
	s_or_b64 s[4:5], vcc, s[4:5]
	s_waitcnt vmcnt(0) lgkmcnt(0)
	v_pk_mul_f32 v[14:15], v[12:13], v[10:11] op_sel:[1,1] op_sel_hi:[0,1]
	v_pk_fma_f32 v[16:17], v[12:13], v[10:11], v[14:15] neg_lo:[0,0,1] neg_hi:[0,0,1]
	v_pk_fma_f32 v[10:11], v[12:13], v[10:11], v[14:15] op_sel_hi:[1,0,1]
	s_nop 0
	v_mov_b32_e32 v17, v11
	v_pk_add_f32 v[4:5], v[4:5], v[16:17]
	s_andn2_b64 exec, exec, s[4:5]
	s_cbranch_execnz .LBB124_105
; %bb.106:
	s_or_b64 exec, exec, s[4:5]
	v_mov_b32_e32 v3, 0
	ds_read_b64 v[8:9], v3 offset:184
	s_waitcnt lgkmcnt(0)
	v_pk_mul_f32 v[10:11], v[4:5], v[8:9] op_sel:[1,1] op_sel_hi:[0,1]
	v_pk_fma_f32 v[12:13], v[4:5], v[8:9], v[10:11] neg_lo:[0,0,1] neg_hi:[0,0,1]
	v_pk_fma_f32 v[4:5], v[4:5], v[8:9], v[10:11] op_sel_hi:[1,0,1]
	s_nop 0
	v_mov_b32_e32 v13, v5
	scratch_store_dwordx2 off, v[12:13], off offset:184
.LBB124_107:
	s_or_b64 exec, exec, s[0:1]
	; wave barrier
	scratch_load_dwordx2 v[4:5], off, off offset:192
	v_cmp_gt_u32_e32 vcc, 24, v0
	;; [unrolled: 46-line block ×37, first 2 shown]
	s_waitcnt vmcnt(0)
	ds_write_b64 v1, v[4:5]
	s_waitcnt lgkmcnt(0)
	; wave barrier
	s_and_saveexec_b64 s[0:1], vcc
	s_cbranch_execz .LBB124_251
; %bb.248:
	v_mov_b32_e32 v4, 0
	v_add_u32_e32 v3, -1, v0
	v_add_u32_e32 v7, 0x1f0, v2
	v_mov_b32_e32 v8, v2
	s_mov_b64 s[4:5], 0
	v_mov_b32_e32 v5, v4
.LBB124_249:                            ; =>This Inner Loop Header: Depth=1
	scratch_load_dwordx2 v[10:11], v8, off
	ds_read_b64 v[12:13], v7
	v_add_u32_e32 v3, 1, v3
	v_cmp_lt_u32_e32 vcc, 57, v3
	v_add_u32_e32 v7, 8, v7
	v_add_u32_e32 v8, 8, v8
	s_or_b64 s[4:5], vcc, s[4:5]
	s_waitcnt vmcnt(0) lgkmcnt(0)
	v_pk_mul_f32 v[14:15], v[12:13], v[10:11] op_sel:[1,1] op_sel_hi:[0,1]
	v_pk_fma_f32 v[16:17], v[12:13], v[10:11], v[14:15] neg_lo:[0,0,1] neg_hi:[0,0,1]
	v_pk_fma_f32 v[10:11], v[12:13], v[10:11], v[14:15] op_sel_hi:[1,0,1]
	s_nop 0
	v_mov_b32_e32 v17, v11
	v_pk_add_f32 v[4:5], v[4:5], v[16:17]
	s_andn2_b64 exec, exec, s[4:5]
	s_cbranch_execnz .LBB124_249
; %bb.250:
	s_or_b64 exec, exec, s[4:5]
	v_mov_b32_e32 v3, 0
	ds_read_b64 v[8:9], v3 offset:472
	s_waitcnt lgkmcnt(0)
	v_pk_mul_f32 v[10:11], v[4:5], v[8:9] op_sel:[1,1] op_sel_hi:[0,1]
	v_pk_fma_f32 v[12:13], v[4:5], v[8:9], v[10:11] neg_lo:[0,0,1] neg_hi:[0,0,1]
	v_pk_fma_f32 v[4:5], v[4:5], v[8:9], v[10:11] op_sel_hi:[1,0,1]
	s_nop 0
	v_mov_b32_e32 v13, v5
	scratch_store_dwordx2 off, v[12:13], off offset:472
.LBB124_251:
	s_or_b64 exec, exec, s[0:1]
	; wave barrier
	scratch_load_dwordx2 v[4:5], off, off offset:480
	v_cmp_ne_u32_e32 vcc, 60, v0
	s_waitcnt vmcnt(0)
	ds_write_b64 v1, v[4:5]
	s_waitcnt lgkmcnt(0)
	; wave barrier
	s_and_saveexec_b64 s[0:1], vcc
	s_cbranch_execz .LBB124_255
; %bb.252:
	v_add_u32_e32 v1, 0x1f0, v2
	v_mov_b32_e32 v4, v2
	v_mov_b32_e32 v2, 0
	s_mov_b64 s[4:5], 0
	v_mov_b32_e32 v3, v2
.LBB124_253:                            ; =>This Inner Loop Header: Depth=1
	scratch_load_dwordx2 v[8:9], v4, off
	ds_read_b64 v[10:11], v1
	v_add_u32_e32 v6, 1, v6
	v_cmp_lt_u32_e32 vcc, 58, v6
	v_add_u32_e32 v1, 8, v1
	v_add_u32_e32 v4, 8, v4
	s_or_b64 s[4:5], vcc, s[4:5]
	s_waitcnt vmcnt(0) lgkmcnt(0)
	v_pk_mul_f32 v[12:13], v[10:11], v[8:9] op_sel:[1,1] op_sel_hi:[0,1]
	v_pk_fma_f32 v[14:15], v[10:11], v[8:9], v[12:13] neg_lo:[0,0,1] neg_hi:[0,0,1]
	v_pk_fma_f32 v[8:9], v[10:11], v[8:9], v[12:13] op_sel_hi:[1,0,1]
	s_nop 0
	v_mov_b32_e32 v15, v9
	v_pk_add_f32 v[2:3], v[2:3], v[14:15]
	s_andn2_b64 exec, exec, s[4:5]
	s_cbranch_execnz .LBB124_253
; %bb.254:
	s_or_b64 exec, exec, s[4:5]
	v_mov_b32_e32 v1, 0
	ds_read_b64 v[4:5], v1 offset:480
	s_waitcnt lgkmcnt(0)
	v_pk_mul_f32 v[6:7], v[2:3], v[4:5] op_sel:[1,1] op_sel_hi:[0,1]
	v_pk_fma_f32 v[8:9], v[2:3], v[4:5], v[6:7] neg_lo:[0,0,1] neg_hi:[0,0,1]
	v_pk_fma_f32 v[2:3], v[2:3], v[4:5], v[6:7] op_sel_hi:[1,0,1]
	s_nop 0
	v_mov_b32_e32 v9, v3
	scratch_store_dwordx2 off, v[8:9], off offset:480
.LBB124_255:
	s_or_b64 exec, exec, s[0:1]
	s_mov_b64 s[4:5], -1
	; wave barrier
.LBB124_256:
	s_and_b64 vcc, exec, s[4:5]
	s_cbranch_vccz .LBB124_258
; %bb.257:
	s_lshl_b64 s[0:1], s[2:3], 2
	s_add_u32 s0, s6, s0
	s_addc_u32 s1, s7, s1
	v_mov_b32_e32 v1, 0
	global_load_dword v1, v1, s[0:1]
	s_waitcnt vmcnt(0)
	v_cmp_ne_u32_e32 vcc, 0, v1
	s_cbranch_vccz .LBB124_259
.LBB124_258:
	s_endpgm
.LBB124_259:
	v_mov_b32_e32 v1, 0x1f0
	v_lshl_add_u32 v1, v0, 3, v1
	v_cmp_eq_u32_e32 vcc, 60, v0
	s_and_saveexec_b64 s[0:1], vcc
	s_cbranch_execz .LBB124_261
; %bb.260:
	scratch_load_dwordx2 v[2:3], off, off offset:472
	v_mov_b32_e32 v4, 0
	v_mov_b32_e32 v5, v4
	scratch_store_dwordx2 off, v[4:5], off offset:472
	s_waitcnt vmcnt(1)
	ds_write_b64 v1, v[2:3]
.LBB124_261:
	s_or_b64 exec, exec, s[0:1]
	s_waitcnt lgkmcnt(0)
	; wave barrier
	scratch_load_dwordx2 v[4:5], off, off offset:480
	scratch_load_dwordx2 v[6:7], off, off offset:472
	v_mov_b32_e32 v2, 0
	ds_read_b64 v[8:9], v2 offset:976
	v_cmp_lt_u32_e32 vcc, 58, v0
	s_waitcnt vmcnt(1) lgkmcnt(0)
	v_pk_mul_f32 v[10:11], v[8:9], v[4:5] op_sel:[1,1] op_sel_hi:[0,1]
	v_pk_fma_f32 v[12:13], v[8:9], v[4:5], v[10:11] neg_lo:[0,0,1] neg_hi:[0,0,1]
	v_pk_fma_f32 v[4:5], v[8:9], v[4:5], v[10:11] op_sel_hi:[1,0,1]
	s_nop 0
	v_mov_b32_e32 v13, v5
	v_pk_add_f32 v[4:5], v[12:13], 0 op_sel_hi:[1,0]
	s_waitcnt vmcnt(0)
	v_pk_add_f32 v[4:5], v[6:7], v[4:5] neg_lo:[0,1] neg_hi:[0,1]
	scratch_store_dwordx2 off, v[4:5], off offset:472
	s_and_saveexec_b64 s[0:1], vcc
	s_cbranch_execz .LBB124_263
; %bb.262:
	scratch_load_dwordx2 v[4:5], off, off offset:464
	v_mov_b32_e32 v3, v2
	scratch_store_dwordx2 off, v[2:3], off offset:464
	s_waitcnt vmcnt(1)
	ds_write_b64 v1, v[4:5]
.LBB124_263:
	s_or_b64 exec, exec, s[0:1]
	s_waitcnt lgkmcnt(0)
	; wave barrier
	scratch_load_dwordx4 v[4:7], off, off offset:472
	scratch_load_dwordx2 v[12:13], off, off offset:464
	ds_read2_b64 v[8:11], v2 offset0:121 offset1:122
	v_cmp_lt_u32_e32 vcc, 57, v0
	s_waitcnt vmcnt(1) lgkmcnt(0)
	v_pk_mul_f32 v[2:3], v[8:9], v[4:5] op_sel:[1,1] op_sel_hi:[0,1]
	v_mov_b32_e32 v14, v7
	v_pk_fma_f32 v[16:17], v[8:9], v[4:5], v[2:3] neg_lo:[0,0,1] neg_hi:[0,0,1]
	v_pk_fma_f32 v[2:3], v[8:9], v[4:5], v[2:3] op_sel_hi:[1,0,1]
	v_pk_mul_f32 v[4:5], v[10:11], v[14:15] op_sel:[1,0] op_sel_hi:[0,0]
	v_mov_b32_e32 v17, v3
	v_pk_fma_f32 v[2:3], v[10:11], v[6:7], v[4:5] neg_lo:[0,0,1] neg_hi:[0,0,1]
	v_pk_fma_f32 v[4:5], v[10:11], v[6:7], v[4:5] op_sel_hi:[1,0,1]
	v_pk_add_f32 v[6:7], v[16:17], 0 op_sel_hi:[1,0]
	v_mov_b32_e32 v3, v5
	v_pk_add_f32 v[2:3], v[6:7], v[2:3]
	s_waitcnt vmcnt(0)
	v_pk_add_f32 v[2:3], v[12:13], v[2:3] neg_lo:[0,1] neg_hi:[0,1]
	scratch_store_dwordx2 off, v[2:3], off offset:464
	s_and_saveexec_b64 s[0:1], vcc
	s_cbranch_execz .LBB124_265
; %bb.264:
	scratch_load_dwordx2 v[2:3], off, off offset:456
	v_mov_b32_e32 v4, 0
	v_mov_b32_e32 v5, v4
	scratch_store_dwordx2 off, v[4:5], off offset:456
	s_waitcnt vmcnt(1)
	ds_write_b64 v1, v[2:3]
.LBB124_265:
	s_or_b64 exec, exec, s[0:1]
	s_waitcnt lgkmcnt(0)
	; wave barrier
	scratch_load_dwordx4 v[4:7], off, off offset:464
	scratch_load_dwordx2 v[12:13], off, off offset:480
	scratch_load_dwordx2 v[14:15], off, off offset:456
	v_mov_b32_e32 v2, 0
	ds_read_b128 v[8:11], v2 offset:960
	ds_read_b64 v[16:17], v2 offset:976
	v_cmp_lt_u32_e32 vcc, 56, v0
	s_waitcnt vmcnt(2) lgkmcnt(1)
	v_pk_mul_f32 v[18:19], v[8:9], v[4:5] op_sel:[1,1] op_sel_hi:[0,1]
	v_mov_b32_e32 v20, v7
	v_pk_fma_f32 v[24:25], v[8:9], v[4:5], v[18:19] neg_lo:[0,0,1] neg_hi:[0,0,1]
	v_pk_fma_f32 v[4:5], v[8:9], v[4:5], v[18:19] op_sel_hi:[1,0,1]
	v_pk_mul_f32 v[8:9], v[10:11], v[20:21] op_sel:[1,0] op_sel_hi:[0,0]
	s_waitcnt vmcnt(1) lgkmcnt(0)
	v_pk_mul_f32 v[22:23], v[16:17], v[12:13] op_sel:[1,1] op_sel_hi:[0,1]
	v_mov_b32_e32 v25, v5
	v_pk_fma_f32 v[4:5], v[10:11], v[6:7], v[8:9] neg_lo:[0,0,1] neg_hi:[0,0,1]
	v_pk_fma_f32 v[6:7], v[10:11], v[6:7], v[8:9] op_sel_hi:[1,0,1]
	v_pk_fma_f32 v[18:19], v[16:17], v[12:13], v[22:23] neg_lo:[0,0,1] neg_hi:[0,0,1]
	v_pk_fma_f32 v[12:13], v[16:17], v[12:13], v[22:23] op_sel_hi:[1,0,1]
	v_pk_add_f32 v[8:9], v[24:25], 0 op_sel_hi:[1,0]
	v_mov_b32_e32 v5, v7
	v_mov_b32_e32 v19, v13
	v_pk_add_f32 v[4:5], v[8:9], v[4:5]
	s_nop 0
	v_pk_add_f32 v[4:5], v[4:5], v[18:19]
	s_waitcnt vmcnt(0)
	v_pk_add_f32 v[4:5], v[14:15], v[4:5] neg_lo:[0,1] neg_hi:[0,1]
	scratch_store_dwordx2 off, v[4:5], off offset:456
	s_and_saveexec_b64 s[0:1], vcc
	s_cbranch_execz .LBB124_267
; %bb.266:
	scratch_load_dwordx2 v[4:5], off, off offset:448
	v_mov_b32_e32 v3, v2
	scratch_store_dwordx2 off, v[2:3], off offset:448
	s_waitcnt vmcnt(1)
	ds_write_b64 v1, v[4:5]
.LBB124_267:
	s_or_b64 exec, exec, s[0:1]
	s_waitcnt lgkmcnt(0)
	; wave barrier
	scratch_load_dwordx4 v[4:7], off, off offset:456
	scratch_load_dwordx4 v[8:11], off, off offset:472
	scratch_load_dwordx2 v[20:21], off, off offset:448
	ds_read2_b64 v[12:15], v2 offset0:119 offset1:120
	ds_read2_b64 v[16:19], v2 offset0:121 offset1:122
	v_cmp_lt_u32_e32 vcc, 55, v0
	s_waitcnt vmcnt(2) lgkmcnt(1)
	v_pk_mul_f32 v[2:3], v[12:13], v[4:5] op_sel:[1,1] op_sel_hi:[0,1]
	v_mov_b32_e32 v22, v7
	s_waitcnt vmcnt(1) lgkmcnt(0)
	v_pk_mul_f32 v[24:25], v[16:17], v[8:9] op_sel:[1,1] op_sel_hi:[0,1]
	v_mov_b32_e32 v26, v11
	v_pk_fma_f32 v[28:29], v[12:13], v[4:5], v[2:3] neg_lo:[0,0,1] neg_hi:[0,0,1]
	v_pk_fma_f32 v[2:3], v[12:13], v[4:5], v[2:3] op_sel_hi:[1,0,1]
	v_pk_mul_f32 v[4:5], v[14:15], v[22:23] op_sel:[1,0] op_sel_hi:[0,0]
	v_pk_fma_f32 v[12:13], v[16:17], v[8:9], v[24:25] neg_lo:[0,0,1] neg_hi:[0,0,1]
	v_pk_fma_f32 v[8:9], v[16:17], v[8:9], v[24:25] op_sel_hi:[1,0,1]
	v_pk_mul_f32 v[16:17], v[18:19], v[26:27] op_sel:[1,0] op_sel_hi:[0,0]
	v_mov_b32_e32 v29, v3
	v_pk_fma_f32 v[2:3], v[14:15], v[6:7], v[4:5] neg_lo:[0,0,1] neg_hi:[0,0,1]
	v_pk_fma_f32 v[4:5], v[14:15], v[6:7], v[4:5] op_sel_hi:[1,0,1]
	v_mov_b32_e32 v13, v9
	v_pk_fma_f32 v[6:7], v[18:19], v[10:11], v[16:17] neg_lo:[0,0,1] neg_hi:[0,0,1]
	v_pk_fma_f32 v[8:9], v[18:19], v[10:11], v[16:17] op_sel_hi:[1,0,1]
	v_pk_add_f32 v[10:11], v[28:29], 0 op_sel_hi:[1,0]
	v_mov_b32_e32 v3, v5
	v_pk_add_f32 v[2:3], v[10:11], v[2:3]
	v_mov_b32_e32 v7, v9
	v_pk_add_f32 v[2:3], v[2:3], v[12:13]
	s_nop 0
	v_pk_add_f32 v[2:3], v[2:3], v[6:7]
	s_waitcnt vmcnt(0)
	v_pk_add_f32 v[2:3], v[20:21], v[2:3] neg_lo:[0,1] neg_hi:[0,1]
	scratch_store_dwordx2 off, v[2:3], off offset:448
	s_and_saveexec_b64 s[0:1], vcc
	s_cbranch_execz .LBB124_269
; %bb.268:
	scratch_load_dwordx2 v[2:3], off, off offset:440
	v_mov_b32_e32 v4, 0
	v_mov_b32_e32 v5, v4
	scratch_store_dwordx2 off, v[4:5], off offset:440
	s_waitcnt vmcnt(1)
	ds_write_b64 v1, v[2:3]
.LBB124_269:
	s_or_b64 exec, exec, s[0:1]
	s_waitcnt lgkmcnt(0)
	; wave barrier
	scratch_load_dwordx4 v[4:7], off, off offset:448
	scratch_load_dwordx4 v[8:11], off, off offset:464
	scratch_load_dwordx2 v[20:21], off, off offset:480
	scratch_load_dwordx2 v[22:23], off, off offset:440
	v_mov_b32_e32 v2, 0
	ds_read_b128 v[12:15], v2 offset:944
	ds_read_b128 v[16:19], v2 offset:960
	ds_read_b64 v[24:25], v2 offset:976
	v_cmp_lt_u32_e32 vcc, 54, v0
	s_waitcnt vmcnt(3) lgkmcnt(2)
	v_pk_mul_f32 v[26:27], v[12:13], v[4:5] op_sel:[1,1] op_sel_hi:[0,1]
	v_mov_b32_e32 v28, v7
	v_pk_fma_f32 v[36:37], v[12:13], v[4:5], v[26:27] neg_lo:[0,0,1] neg_hi:[0,0,1]
	v_pk_fma_f32 v[4:5], v[12:13], v[4:5], v[26:27] op_sel_hi:[1,0,1]
	v_pk_mul_f32 v[12:13], v[14:15], v[28:29] op_sel:[1,0] op_sel_hi:[0,0]
	s_waitcnt vmcnt(2) lgkmcnt(1)
	v_pk_mul_f32 v[30:31], v[16:17], v[8:9] op_sel:[1,1] op_sel_hi:[0,1]
	v_mov_b32_e32 v32, v11
	v_mov_b32_e32 v37, v5
	v_pk_fma_f32 v[4:5], v[14:15], v[6:7], v[12:13] neg_lo:[0,0,1] neg_hi:[0,0,1]
	v_pk_fma_f32 v[6:7], v[14:15], v[6:7], v[12:13] op_sel_hi:[1,0,1]
	v_pk_fma_f32 v[26:27], v[16:17], v[8:9], v[30:31] neg_lo:[0,0,1] neg_hi:[0,0,1]
	v_pk_fma_f32 v[8:9], v[16:17], v[8:9], v[30:31] op_sel_hi:[1,0,1]
	v_pk_mul_f32 v[16:17], v[18:19], v[32:33] op_sel:[1,0] op_sel_hi:[0,0]
	v_pk_add_f32 v[12:13], v[36:37], 0 op_sel_hi:[1,0]
	v_mov_b32_e32 v5, v7
	s_waitcnt vmcnt(1) lgkmcnt(0)
	v_pk_mul_f32 v[34:35], v[24:25], v[20:21] op_sel:[1,1] op_sel_hi:[0,1]
	v_mov_b32_e32 v27, v9
	v_pk_fma_f32 v[8:9], v[18:19], v[10:11], v[16:17] neg_lo:[0,0,1] neg_hi:[0,0,1]
	v_pk_fma_f32 v[10:11], v[18:19], v[10:11], v[16:17] op_sel_hi:[1,0,1]
	v_pk_add_f32 v[4:5], v[12:13], v[4:5]
	v_pk_fma_f32 v[28:29], v[24:25], v[20:21], v[34:35] neg_lo:[0,0,1] neg_hi:[0,0,1]
	v_pk_fma_f32 v[20:21], v[24:25], v[20:21], v[34:35] op_sel_hi:[1,0,1]
	v_mov_b32_e32 v9, v11
	v_pk_add_f32 v[4:5], v[4:5], v[26:27]
	v_mov_b32_e32 v29, v21
	v_pk_add_f32 v[4:5], v[4:5], v[8:9]
	s_nop 0
	v_pk_add_f32 v[4:5], v[4:5], v[28:29]
	s_waitcnt vmcnt(0)
	v_pk_add_f32 v[4:5], v[22:23], v[4:5] neg_lo:[0,1] neg_hi:[0,1]
	scratch_store_dwordx2 off, v[4:5], off offset:440
	s_and_saveexec_b64 s[0:1], vcc
	s_cbranch_execz .LBB124_271
; %bb.270:
	scratch_load_dwordx2 v[4:5], off, off offset:432
	v_mov_b32_e32 v3, v2
	scratch_store_dwordx2 off, v[2:3], off offset:432
	s_waitcnt vmcnt(1)
	ds_write_b64 v1, v[4:5]
.LBB124_271:
	s_or_b64 exec, exec, s[0:1]
	s_waitcnt lgkmcnt(0)
	; wave barrier
	scratch_load_dwordx4 v[4:7], off, off offset:440
	scratch_load_dwordx4 v[8:11], off, off offset:456
	;; [unrolled: 1-line block ×3, first 2 shown]
	scratch_load_dwordx2 v[28:29], off, off offset:432
	ds_read2_b64 v[16:19], v2 offset0:117 offset1:118
	ds_read2_b64 v[20:23], v2 offset0:119 offset1:120
	;; [unrolled: 1-line block ×3, first 2 shown]
	v_cmp_lt_u32_e32 vcc, 53, v0
	s_waitcnt vmcnt(3) lgkmcnt(2)
	v_pk_mul_f32 v[2:3], v[16:17], v[4:5] op_sel:[1,1] op_sel_hi:[0,1]
	v_mov_b32_e32 v30, v7
	s_waitcnt vmcnt(2) lgkmcnt(1)
	v_pk_mul_f32 v[32:33], v[20:21], v[8:9] op_sel:[1,1] op_sel_hi:[0,1]
	v_mov_b32_e32 v34, v11
	;; [unrolled: 3-line block ×3, first 2 shown]
	v_pk_fma_f32 v[40:41], v[16:17], v[4:5], v[2:3] neg_lo:[0,0,1] neg_hi:[0,0,1]
	v_pk_fma_f32 v[2:3], v[16:17], v[4:5], v[2:3] op_sel_hi:[1,0,1]
	v_pk_mul_f32 v[4:5], v[18:19], v[30:31] op_sel:[1,0] op_sel_hi:[0,0]
	v_pk_fma_f32 v[16:17], v[20:21], v[8:9], v[32:33] neg_lo:[0,0,1] neg_hi:[0,0,1]
	v_pk_fma_f32 v[8:9], v[20:21], v[8:9], v[32:33] op_sel_hi:[1,0,1]
	v_pk_mul_f32 v[20:21], v[22:23], v[34:35] op_sel:[1,0] op_sel_hi:[0,0]
	;; [unrolled: 3-line block ×3, first 2 shown]
	v_mov_b32_e32 v41, v3
	v_pk_fma_f32 v[2:3], v[18:19], v[6:7], v[4:5] neg_lo:[0,0,1] neg_hi:[0,0,1]
	v_pk_fma_f32 v[4:5], v[18:19], v[6:7], v[4:5] op_sel_hi:[1,0,1]
	v_mov_b32_e32 v17, v9
	v_pk_fma_f32 v[6:7], v[22:23], v[10:11], v[20:21] neg_lo:[0,0,1] neg_hi:[0,0,1]
	v_pk_fma_f32 v[8:9], v[22:23], v[10:11], v[20:21] op_sel_hi:[1,0,1]
	;; [unrolled: 3-line block ×3, first 2 shown]
	v_pk_add_f32 v[14:15], v[40:41], 0 op_sel_hi:[1,0]
	v_mov_b32_e32 v3, v5
	v_pk_add_f32 v[2:3], v[14:15], v[2:3]
	v_mov_b32_e32 v7, v9
	v_pk_add_f32 v[2:3], v[2:3], v[16:17]
	;; [unrolled: 2-line block ×3, first 2 shown]
	s_nop 0
	v_pk_add_f32 v[2:3], v[2:3], v[30:31]
	s_nop 0
	v_pk_add_f32 v[2:3], v[2:3], v[10:11]
	s_waitcnt vmcnt(0)
	v_pk_add_f32 v[2:3], v[28:29], v[2:3] neg_lo:[0,1] neg_hi:[0,1]
	scratch_store_dwordx2 off, v[2:3], off offset:432
	s_and_saveexec_b64 s[0:1], vcc
	s_cbranch_execz .LBB124_273
; %bb.272:
	scratch_load_dwordx2 v[2:3], off, off offset:424
	v_mov_b32_e32 v4, 0
	v_mov_b32_e32 v5, v4
	scratch_store_dwordx2 off, v[4:5], off offset:424
	s_waitcnt vmcnt(1)
	ds_write_b64 v1, v[2:3]
.LBB124_273:
	s_or_b64 exec, exec, s[0:1]
	s_waitcnt lgkmcnt(0)
	; wave barrier
	scratch_load_dwordx4 v[4:7], off, off offset:432
	scratch_load_dwordx4 v[8:11], off, off offset:448
	;; [unrolled: 1-line block ×3, first 2 shown]
	scratch_load_dwordx2 v[28:29], off, off offset:480
	v_mov_b32_e32 v2, 0
	ds_read_b128 v[16:19], v2 offset:928
	ds_read_b128 v[20:23], v2 offset:944
	;; [unrolled: 1-line block ×3, first 2 shown]
	ds_read_b64 v[30:31], v2 offset:976
	v_cmp_lt_u32_e32 vcc, 52, v0
	s_waitcnt vmcnt(3) lgkmcnt(3)
	v_pk_mul_f32 v[32:33], v[16:17], v[4:5] op_sel:[1,1] op_sel_hi:[0,1]
	v_pk_fma_f32 v[34:35], v[16:17], v[4:5], v[32:33] neg_lo:[0,0,1] neg_hi:[0,0,1]
	v_pk_fma_f32 v[4:5], v[16:17], v[4:5], v[32:33] op_sel_hi:[1,0,1]
	v_mov_b32_e32 v16, v7
	v_pk_mul_f32 v[16:17], v[18:19], v[16:17] op_sel:[1,0] op_sel_hi:[0,0]
	v_pk_fma_f32 v[32:33], v[18:19], v[6:7], v[16:17] neg_lo:[0,0,1] neg_hi:[0,0,1]
	v_pk_fma_f32 v[6:7], v[18:19], v[6:7], v[16:17] op_sel_hi:[1,0,1]
	v_mov_b32_e32 v35, v5
	v_mov_b32_e32 v33, v7
	s_waitcnt vmcnt(2) lgkmcnt(2)
	v_pk_mul_f32 v[6:7], v[20:21], v[8:9] op_sel:[1,1] op_sel_hi:[0,1]
	v_pk_fma_f32 v[16:17], v[20:21], v[8:9], v[6:7] neg_lo:[0,0,1] neg_hi:[0,0,1]
	v_pk_fma_f32 v[6:7], v[20:21], v[8:9], v[6:7] op_sel_hi:[1,0,1]
	v_pk_add_f32 v[4:5], v[34:35], 0 op_sel_hi:[1,0]
	v_mov_b32_e32 v6, v11
	v_mov_b32_e32 v17, v7
	v_pk_mul_f32 v[6:7], v[22:23], v[6:7] op_sel:[1,0] op_sel_hi:[0,0]
	v_pk_add_f32 v[4:5], v[4:5], v[32:33]
	v_pk_fma_f32 v[8:9], v[22:23], v[10:11], v[6:7] neg_lo:[0,0,1] neg_hi:[0,0,1]
	v_pk_fma_f32 v[6:7], v[22:23], v[10:11], v[6:7] op_sel_hi:[1,0,1]
	v_pk_add_f32 v[4:5], v[4:5], v[16:17]
	v_mov_b32_e32 v9, v7
	s_waitcnt vmcnt(1) lgkmcnt(1)
	v_pk_mul_f32 v[6:7], v[24:25], v[12:13] op_sel:[1,1] op_sel_hi:[0,1]
	v_pk_add_f32 v[4:5], v[4:5], v[8:9]
	v_pk_fma_f32 v[8:9], v[24:25], v[12:13], v[6:7] neg_lo:[0,0,1] neg_hi:[0,0,1]
	v_pk_fma_f32 v[6:7], v[24:25], v[12:13], v[6:7] op_sel_hi:[1,0,1]
	s_nop 0
	v_mov_b32_e32 v6, v15
	v_mov_b32_e32 v9, v7
	v_pk_mul_f32 v[6:7], v[26:27], v[6:7] op_sel:[1,0] op_sel_hi:[0,0]
	v_pk_add_f32 v[4:5], v[4:5], v[8:9]
	v_pk_fma_f32 v[8:9], v[26:27], v[14:15], v[6:7] neg_lo:[0,0,1] neg_hi:[0,0,1]
	v_pk_fma_f32 v[6:7], v[26:27], v[14:15], v[6:7] op_sel_hi:[1,0,1]
	s_nop 0
	v_mov_b32_e32 v9, v7
	s_waitcnt vmcnt(0) lgkmcnt(0)
	v_pk_mul_f32 v[6:7], v[30:31], v[28:29] op_sel:[1,1] op_sel_hi:[0,1]
	v_pk_add_f32 v[4:5], v[4:5], v[8:9]
	v_pk_fma_f32 v[8:9], v[30:31], v[28:29], v[6:7] neg_lo:[0,0,1] neg_hi:[0,0,1]
	v_pk_fma_f32 v[6:7], v[30:31], v[28:29], v[6:7] op_sel_hi:[1,0,1]
	s_nop 0
	v_mov_b32_e32 v9, v7
	scratch_load_dwordx2 v[6:7], off, off offset:424
	v_pk_add_f32 v[4:5], v[4:5], v[8:9]
	s_waitcnt vmcnt(0)
	v_pk_add_f32 v[4:5], v[6:7], v[4:5] neg_lo:[0,1] neg_hi:[0,1]
	scratch_store_dwordx2 off, v[4:5], off offset:424
	s_and_saveexec_b64 s[0:1], vcc
	s_cbranch_execz .LBB124_275
; %bb.274:
	scratch_load_dwordx2 v[4:5], off, off offset:416
	v_mov_b32_e32 v3, v2
	scratch_store_dwordx2 off, v[2:3], off offset:416
	s_waitcnt vmcnt(1)
	ds_write_b64 v1, v[4:5]
.LBB124_275:
	s_or_b64 exec, exec, s[0:1]
	s_waitcnt lgkmcnt(0)
	; wave barrier
	scratch_load_dwordx4 v[4:7], off, off offset:424
	scratch_load_dwordx4 v[8:11], off, off offset:440
	;; [unrolled: 1-line block ×4, first 2 shown]
	ds_read2_b64 v[20:23], v2 offset0:115 offset1:116
	ds_read2_b64 v[24:27], v2 offset0:117 offset1:118
	;; [unrolled: 1-line block ×4, first 2 shown]
	v_cmp_lt_u32_e32 vcc, 51, v0
	s_waitcnt vmcnt(3) lgkmcnt(3)
	v_pk_mul_f32 v[2:3], v[20:21], v[4:5] op_sel:[1,1] op_sel_hi:[0,1]
	v_pk_fma_f32 v[36:37], v[20:21], v[4:5], v[2:3] neg_lo:[0,0,1] neg_hi:[0,0,1]
	v_pk_fma_f32 v[2:3], v[20:21], v[4:5], v[2:3] op_sel_hi:[1,0,1]
	v_mov_b32_e32 v4, v7
	v_pk_mul_f32 v[4:5], v[22:23], v[4:5] op_sel:[1,0] op_sel_hi:[0,0]
	v_pk_fma_f32 v[20:21], v[22:23], v[6:7], v[4:5] neg_lo:[0,0,1] neg_hi:[0,0,1]
	v_pk_fma_f32 v[4:5], v[22:23], v[6:7], v[4:5] op_sel_hi:[1,0,1]
	v_mov_b32_e32 v37, v3
	v_mov_b32_e32 v21, v5
	s_waitcnt vmcnt(2) lgkmcnt(2)
	v_pk_mul_f32 v[4:5], v[24:25], v[8:9] op_sel:[1,1] op_sel_hi:[0,1]
	v_pk_fma_f32 v[6:7], v[24:25], v[8:9], v[4:5] neg_lo:[0,0,1] neg_hi:[0,0,1]
	v_pk_fma_f32 v[4:5], v[24:25], v[8:9], v[4:5] op_sel_hi:[1,0,1]
	v_pk_add_f32 v[2:3], v[36:37], 0 op_sel_hi:[1,0]
	v_mov_b32_e32 v4, v11
	v_pk_add_f32 v[2:3], v[2:3], v[20:21]
	v_mov_b32_e32 v7, v5
	v_pk_mul_f32 v[4:5], v[26:27], v[4:5] op_sel:[1,0] op_sel_hi:[0,0]
	v_pk_add_f32 v[2:3], v[2:3], v[6:7]
	v_pk_fma_f32 v[6:7], v[26:27], v[10:11], v[4:5] neg_lo:[0,0,1] neg_hi:[0,0,1]
	v_pk_fma_f32 v[4:5], v[26:27], v[10:11], v[4:5] op_sel_hi:[1,0,1]
	s_nop 0
	v_mov_b32_e32 v7, v5
	s_waitcnt vmcnt(1) lgkmcnt(1)
	v_pk_mul_f32 v[4:5], v[28:29], v[12:13] op_sel:[1,1] op_sel_hi:[0,1]
	v_pk_add_f32 v[2:3], v[2:3], v[6:7]
	v_pk_fma_f32 v[6:7], v[28:29], v[12:13], v[4:5] neg_lo:[0,0,1] neg_hi:[0,0,1]
	v_pk_fma_f32 v[4:5], v[28:29], v[12:13], v[4:5] op_sel_hi:[1,0,1]
	s_nop 0
	v_mov_b32_e32 v4, v15
	v_mov_b32_e32 v7, v5
	v_pk_mul_f32 v[4:5], v[30:31], v[4:5] op_sel:[1,0] op_sel_hi:[0,0]
	v_pk_add_f32 v[2:3], v[2:3], v[6:7]
	v_pk_fma_f32 v[6:7], v[30:31], v[14:15], v[4:5] neg_lo:[0,0,1] neg_hi:[0,0,1]
	v_pk_fma_f32 v[4:5], v[30:31], v[14:15], v[4:5] op_sel_hi:[1,0,1]
	s_nop 0
	v_mov_b32_e32 v7, v5
	s_waitcnt vmcnt(0) lgkmcnt(0)
	v_pk_mul_f32 v[4:5], v[32:33], v[16:17] op_sel:[1,1] op_sel_hi:[0,1]
	v_pk_add_f32 v[2:3], v[2:3], v[6:7]
	v_pk_fma_f32 v[6:7], v[32:33], v[16:17], v[4:5] neg_lo:[0,0,1] neg_hi:[0,0,1]
	v_pk_fma_f32 v[4:5], v[32:33], v[16:17], v[4:5] op_sel_hi:[1,0,1]
	s_nop 0
	v_mov_b32_e32 v4, v19
	v_mov_b32_e32 v7, v5
	v_pk_mul_f32 v[4:5], v[34:35], v[4:5] op_sel:[1,0] op_sel_hi:[0,0]
	v_pk_add_f32 v[2:3], v[2:3], v[6:7]
	v_pk_fma_f32 v[6:7], v[34:35], v[18:19], v[4:5] neg_lo:[0,0,1] neg_hi:[0,0,1]
	v_pk_fma_f32 v[4:5], v[34:35], v[18:19], v[4:5] op_sel_hi:[1,0,1]
	s_nop 0
	v_mov_b32_e32 v7, v5
	scratch_load_dwordx2 v[4:5], off, off offset:416
	v_pk_add_f32 v[2:3], v[2:3], v[6:7]
	s_waitcnt vmcnt(0)
	v_pk_add_f32 v[2:3], v[4:5], v[2:3] neg_lo:[0,1] neg_hi:[0,1]
	scratch_store_dwordx2 off, v[2:3], off offset:416
	s_and_saveexec_b64 s[0:1], vcc
	s_cbranch_execz .LBB124_277
; %bb.276:
	scratch_load_dwordx2 v[2:3], off, off offset:408
	v_mov_b32_e32 v4, 0
	v_mov_b32_e32 v5, v4
	scratch_store_dwordx2 off, v[4:5], off offset:408
	s_waitcnt vmcnt(1)
	ds_write_b64 v1, v[2:3]
.LBB124_277:
	s_or_b64 exec, exec, s[0:1]
	v_mov_b32_e32 v2, 0
	s_waitcnt lgkmcnt(0)
	; wave barrier
	ds_read_b128 v[4:7], v2 offset:912
	ds_read_b128 v[8:11], v2 offset:928
	;; [unrolled: 1-line block ×4, first 2 shown]
	scratch_load_dwordx4 v[20:23], off, off offset:416
	scratch_load_dwordx4 v[24:27], off, off offset:432
	;; [unrolled: 1-line block ×4, first 2 shown]
	scratch_load_dwordx2 v[38:39], off, off offset:480
	v_cmp_lt_u32_e32 vcc, 50, v0
	s_waitcnt vmcnt(4) lgkmcnt(3)
	v_mul_f32_e32 v37, v4, v21
	v_mul_f32_e32 v3, v5, v21
	v_fmac_f32_e32 v37, v5, v20
	v_fma_f32 v36, v4, v20, -v3
	v_pk_add_f32 v[20:21], v[36:37], 0 op_sel_hi:[1,0]
	v_mov_b32_e32 v36, v23
	v_pk_mul_f32 v[36:37], v[6:7], v[36:37] op_sel:[1,0] op_sel_hi:[0,0]
	v_pk_fma_f32 v[40:41], v[6:7], v[22:23], v[36:37] neg_lo:[0,0,1] neg_hi:[0,0,1]
	v_pk_fma_f32 v[6:7], v[6:7], v[22:23], v[36:37] op_sel_hi:[1,0,1]
	ds_read_b64 v[4:5], v2 offset:976
	v_mov_b32_e32 v41, v7
	v_pk_add_f32 v[6:7], v[20:21], v[40:41]
	s_waitcnt vmcnt(3) lgkmcnt(3)
	v_pk_mul_f32 v[20:21], v[8:9], v[24:25] op_sel:[1,1] op_sel_hi:[0,1]
	v_pk_fma_f32 v[22:23], v[8:9], v[24:25], v[20:21] neg_lo:[0,0,1] neg_hi:[0,0,1]
	v_pk_fma_f32 v[8:9], v[8:9], v[24:25], v[20:21] op_sel_hi:[1,0,1]
	s_nop 0
	v_mov_b32_e32 v8, v27
	v_mov_b32_e32 v23, v9
	v_pk_mul_f32 v[8:9], v[10:11], v[8:9] op_sel:[1,0] op_sel_hi:[0,0]
	v_pk_fma_f32 v[20:21], v[10:11], v[26:27], v[8:9] neg_lo:[0,0,1] neg_hi:[0,0,1]
	v_pk_fma_f32 v[8:9], v[10:11], v[26:27], v[8:9] op_sel_hi:[1,0,1]
	v_pk_add_f32 v[6:7], v[6:7], v[22:23]
	v_mov_b32_e32 v21, v9
	s_waitcnt vmcnt(2) lgkmcnt(2)
	v_pk_mul_f32 v[8:9], v[12:13], v[28:29] op_sel:[1,1] op_sel_hi:[0,1]
	v_pk_fma_f32 v[10:11], v[12:13], v[28:29], v[8:9] neg_lo:[0,0,1] neg_hi:[0,0,1]
	v_pk_fma_f32 v[8:9], v[12:13], v[28:29], v[8:9] op_sel_hi:[1,0,1]
	v_pk_add_f32 v[6:7], v[6:7], v[20:21]
	v_mov_b32_e32 v8, v31
	v_mov_b32_e32 v11, v9
	v_pk_mul_f32 v[8:9], v[14:15], v[8:9] op_sel:[1,0] op_sel_hi:[0,0]
	v_pk_add_f32 v[6:7], v[6:7], v[10:11]
	v_pk_fma_f32 v[10:11], v[14:15], v[30:31], v[8:9] neg_lo:[0,0,1] neg_hi:[0,0,1]
	v_pk_fma_f32 v[8:9], v[14:15], v[30:31], v[8:9] op_sel_hi:[1,0,1]
	s_nop 0
	v_mov_b32_e32 v11, v9
	s_waitcnt vmcnt(1) lgkmcnt(1)
	v_pk_mul_f32 v[8:9], v[16:17], v[32:33] op_sel:[1,1] op_sel_hi:[0,1]
	v_pk_add_f32 v[6:7], v[6:7], v[10:11]
	v_pk_fma_f32 v[10:11], v[16:17], v[32:33], v[8:9] neg_lo:[0,0,1] neg_hi:[0,0,1]
	v_pk_fma_f32 v[8:9], v[16:17], v[32:33], v[8:9] op_sel_hi:[1,0,1]
	s_nop 0
	v_mov_b32_e32 v8, v35
	v_mov_b32_e32 v11, v9
	v_pk_mul_f32 v[8:9], v[18:19], v[8:9] op_sel:[1,0] op_sel_hi:[0,0]
	v_pk_add_f32 v[6:7], v[6:7], v[10:11]
	v_pk_fma_f32 v[10:11], v[18:19], v[34:35], v[8:9] neg_lo:[0,0,1] neg_hi:[0,0,1]
	v_pk_fma_f32 v[8:9], v[18:19], v[34:35], v[8:9] op_sel_hi:[1,0,1]
	s_nop 0
	v_mov_b32_e32 v11, v9
	s_waitcnt vmcnt(0) lgkmcnt(0)
	v_pk_mul_f32 v[8:9], v[4:5], v[38:39] op_sel:[1,1] op_sel_hi:[0,1]
	v_pk_add_f32 v[6:7], v[6:7], v[10:11]
	v_pk_fma_f32 v[10:11], v[4:5], v[38:39], v[8:9] neg_lo:[0,0,1] neg_hi:[0,0,1]
	v_pk_fma_f32 v[4:5], v[4:5], v[38:39], v[8:9] op_sel_hi:[1,0,1]
	s_nop 0
	v_mov_b32_e32 v11, v5
	v_pk_add_f32 v[4:5], v[6:7], v[10:11]
	scratch_load_dwordx2 v[6:7], off, off offset:408
	s_waitcnt vmcnt(0)
	v_pk_add_f32 v[4:5], v[6:7], v[4:5] neg_lo:[0,1] neg_hi:[0,1]
	scratch_store_dwordx2 off, v[4:5], off offset:408
	s_and_saveexec_b64 s[0:1], vcc
	s_cbranch_execz .LBB124_279
; %bb.278:
	scratch_load_dwordx2 v[4:5], off, off offset:400
	v_mov_b32_e32 v3, v2
	scratch_store_dwordx2 off, v[2:3], off offset:400
	s_waitcnt vmcnt(1)
	ds_write_b64 v1, v[4:5]
.LBB124_279:
	s_or_b64 exec, exec, s[0:1]
	s_waitcnt lgkmcnt(0)
	; wave barrier
	scratch_load_dwordx4 v[8:11], off, off offset:408
	ds_read2_b64 v[4:7], v2 offset0:113 offset1:114
	scratch_load_dwordx4 v[12:15], off, off offset:424
	scratch_load_dwordx4 v[16:19], off, off offset:440
	;; [unrolled: 1-line block ×4, first 2 shown]
	v_cmp_lt_u32_e32 vcc, 49, v0
	s_waitcnt vmcnt(4) lgkmcnt(0)
	v_mul_f32_e32 v3, v5, v9
	v_mul_f32_e32 v37, v4, v9
	;; [unrolled: 1-line block ×3, first 2 shown]
	v_fma_f32 v36, v4, v8, -v3
	v_mul_f32_e32 v3, v7, v11
	v_fmac_f32_e32 v37, v5, v8
	v_fmac_f32_e32 v39, v7, v10
	v_fma_f32 v38, v6, v10, -v3
	ds_read2_b64 v[4:7], v2 offset0:115 offset1:116
	ds_read2_b64 v[8:11], v2 offset0:117 offset1:118
	;; [unrolled: 1-line block ×4, first 2 shown]
	v_pk_add_f32 v[2:3], v[36:37], 0 op_sel_hi:[1,0]
	s_waitcnt vmcnt(3) lgkmcnt(3)
	v_pk_mul_f32 v[36:37], v[4:5], v[12:13] op_sel:[1,1] op_sel_hi:[0,1]
	v_pk_add_f32 v[2:3], v[2:3], v[38:39]
	v_pk_fma_f32 v[38:39], v[4:5], v[12:13], v[36:37] neg_lo:[0,0,1] neg_hi:[0,0,1]
	v_pk_fma_f32 v[4:5], v[4:5], v[12:13], v[36:37] op_sel_hi:[1,0,1]
	s_nop 0
	v_mov_b32_e32 v4, v15
	v_mov_b32_e32 v39, v5
	v_pk_mul_f32 v[4:5], v[6:7], v[4:5] op_sel:[1,0] op_sel_hi:[0,0]
	v_pk_fma_f32 v[12:13], v[6:7], v[14:15], v[4:5] neg_lo:[0,0,1] neg_hi:[0,0,1]
	v_pk_fma_f32 v[4:5], v[6:7], v[14:15], v[4:5] op_sel_hi:[1,0,1]
	v_pk_add_f32 v[2:3], v[2:3], v[38:39]
	v_mov_b32_e32 v13, v5
	s_waitcnt vmcnt(2) lgkmcnt(2)
	v_pk_mul_f32 v[4:5], v[8:9], v[16:17] op_sel:[1,1] op_sel_hi:[0,1]
	v_pk_fma_f32 v[6:7], v[8:9], v[16:17], v[4:5] neg_lo:[0,0,1] neg_hi:[0,0,1]
	v_pk_fma_f32 v[4:5], v[8:9], v[16:17], v[4:5] op_sel_hi:[1,0,1]
	v_pk_add_f32 v[2:3], v[2:3], v[12:13]
	v_mov_b32_e32 v4, v19
	v_mov_b32_e32 v7, v5
	v_pk_mul_f32 v[4:5], v[10:11], v[4:5] op_sel:[1,0] op_sel_hi:[0,0]
	v_pk_add_f32 v[2:3], v[2:3], v[6:7]
	v_pk_fma_f32 v[6:7], v[10:11], v[18:19], v[4:5] neg_lo:[0,0,1] neg_hi:[0,0,1]
	v_pk_fma_f32 v[4:5], v[10:11], v[18:19], v[4:5] op_sel_hi:[1,0,1]
	s_nop 0
	v_mov_b32_e32 v7, v5
	s_waitcnt vmcnt(1) lgkmcnt(1)
	v_pk_mul_f32 v[4:5], v[28:29], v[20:21] op_sel:[1,1] op_sel_hi:[0,1]
	v_pk_add_f32 v[2:3], v[2:3], v[6:7]
	v_pk_fma_f32 v[6:7], v[28:29], v[20:21], v[4:5] neg_lo:[0,0,1] neg_hi:[0,0,1]
	v_pk_fma_f32 v[4:5], v[28:29], v[20:21], v[4:5] op_sel_hi:[1,0,1]
	s_nop 0
	v_mov_b32_e32 v4, v23
	v_mov_b32_e32 v7, v5
	v_pk_mul_f32 v[4:5], v[30:31], v[4:5] op_sel:[1,0] op_sel_hi:[0,0]
	v_pk_add_f32 v[2:3], v[2:3], v[6:7]
	v_pk_fma_f32 v[6:7], v[30:31], v[22:23], v[4:5] neg_lo:[0,0,1] neg_hi:[0,0,1]
	v_pk_fma_f32 v[4:5], v[30:31], v[22:23], v[4:5] op_sel_hi:[1,0,1]
	s_nop 0
	v_mov_b32_e32 v7, v5
	s_waitcnt vmcnt(0) lgkmcnt(0)
	v_pk_mul_f32 v[4:5], v[32:33], v[24:25] op_sel:[1,1] op_sel_hi:[0,1]
	v_pk_add_f32 v[2:3], v[2:3], v[6:7]
	v_pk_fma_f32 v[6:7], v[32:33], v[24:25], v[4:5] neg_lo:[0,0,1] neg_hi:[0,0,1]
	v_pk_fma_f32 v[4:5], v[32:33], v[24:25], v[4:5] op_sel_hi:[1,0,1]
	s_nop 0
	v_mov_b32_e32 v4, v27
	v_mov_b32_e32 v7, v5
	v_pk_mul_f32 v[4:5], v[34:35], v[4:5] op_sel:[1,0] op_sel_hi:[0,0]
	v_pk_add_f32 v[2:3], v[2:3], v[6:7]
	v_pk_fma_f32 v[6:7], v[34:35], v[26:27], v[4:5] neg_lo:[0,0,1] neg_hi:[0,0,1]
	v_pk_fma_f32 v[4:5], v[34:35], v[26:27], v[4:5] op_sel_hi:[1,0,1]
	s_nop 0
	v_mov_b32_e32 v7, v5
	scratch_load_dwordx2 v[4:5], off, off offset:400
	v_pk_add_f32 v[2:3], v[2:3], v[6:7]
	s_waitcnt vmcnt(0)
	v_pk_add_f32 v[2:3], v[4:5], v[2:3] neg_lo:[0,1] neg_hi:[0,1]
	scratch_store_dwordx2 off, v[2:3], off offset:400
	s_and_saveexec_b64 s[0:1], vcc
	s_cbranch_execz .LBB124_281
; %bb.280:
	scratch_load_dwordx2 v[2:3], off, off offset:392
	v_mov_b32_e32 v4, 0
	v_mov_b32_e32 v5, v4
	scratch_store_dwordx2 off, v[4:5], off offset:392
	s_waitcnt vmcnt(1)
	ds_write_b64 v1, v[2:3]
.LBB124_281:
	s_or_b64 exec, exec, s[0:1]
	v_mov_b32_e32 v2, 0
	s_waitcnt lgkmcnt(0)
	; wave barrier
	ds_read_b128 v[4:7], v2 offset:896
	ds_read_b128 v[8:11], v2 offset:912
	;; [unrolled: 1-line block ×4, first 2 shown]
	scratch_load_dwordx4 v[20:23], off, off offset:400
	scratch_load_dwordx4 v[24:27], off, off offset:416
	scratch_load_dwordx4 v[28:31], off, off offset:432
	scratch_load_dwordx4 v[32:35], off, off offset:448
	scratch_load_dwordx4 v[36:39], off, off offset:464
	scratch_load_dwordx2 v[46:47], off, off offset:480
	v_cmp_lt_u32_e32 vcc, 48, v0
	s_waitcnt vmcnt(5) lgkmcnt(3)
	v_mul_f32_e32 v3, v4, v21
	v_fmac_f32_e32 v3, v5, v20
	v_add_f32_e32 v41, 0, v3
	v_mul_f32_e32 v3, v5, v21
	v_fma_f32 v3, v4, v20, -v3
	v_mul_f32_e32 v43, v6, v23
	v_add_f32_e32 v40, 0, v3
	v_mul_f32_e32 v3, v7, v23
	v_fmac_f32_e32 v43, v7, v22
	v_fma_f32 v42, v6, v22, -v3
	s_waitcnt vmcnt(4)
	v_mov_b32_e32 v22, v27
	s_waitcnt lgkmcnt(2)
	v_mul_f32_e32 v45, v8, v25
	v_mul_f32_e32 v3, v9, v25
	v_pk_mul_f32 v[22:23], v[10:11], v[22:23] op_sel:[1,0] op_sel_hi:[0,0]
	v_fmac_f32_e32 v45, v9, v24
	v_fma_f32 v44, v8, v24, -v3
	v_pk_add_f32 v[20:21], v[40:41], v[42:43]
	v_pk_fma_f32 v[24:25], v[10:11], v[26:27], v[22:23] neg_lo:[0,0,1] neg_hi:[0,0,1]
	v_pk_fma_f32 v[10:11], v[10:11], v[26:27], v[22:23] op_sel_hi:[1,0,1]
	v_pk_add_f32 v[20:21], v[20:21], v[44:45]
	v_mov_b32_e32 v25, v11
	v_pk_add_f32 v[10:11], v[20:21], v[24:25]
	s_waitcnt vmcnt(3) lgkmcnt(1)
	v_pk_mul_f32 v[20:21], v[12:13], v[28:29] op_sel:[1,1] op_sel_hi:[0,1]
	v_pk_fma_f32 v[22:23], v[12:13], v[28:29], v[20:21] neg_lo:[0,0,1] neg_hi:[0,0,1]
	v_pk_fma_f32 v[12:13], v[12:13], v[28:29], v[20:21] op_sel_hi:[1,0,1]
	ds_read_b128 v[4:7], v2 offset:960
	ds_read_b64 v[8:9], v2 offset:976
	v_mov_b32_e32 v12, v31
	v_mov_b32_e32 v23, v13
	v_pk_mul_f32 v[12:13], v[14:15], v[12:13] op_sel:[1,0] op_sel_hi:[0,0]
	v_pk_fma_f32 v[20:21], v[14:15], v[30:31], v[12:13] neg_lo:[0,0,1] neg_hi:[0,0,1]
	v_pk_fma_f32 v[12:13], v[14:15], v[30:31], v[12:13] op_sel_hi:[1,0,1]
	v_pk_add_f32 v[10:11], v[10:11], v[22:23]
	v_mov_b32_e32 v21, v13
	s_waitcnt vmcnt(2) lgkmcnt(2)
	v_pk_mul_f32 v[12:13], v[16:17], v[32:33] op_sel:[1,1] op_sel_hi:[0,1]
	v_pk_fma_f32 v[14:15], v[16:17], v[32:33], v[12:13] neg_lo:[0,0,1] neg_hi:[0,0,1]
	v_pk_fma_f32 v[12:13], v[16:17], v[32:33], v[12:13] op_sel_hi:[1,0,1]
	v_pk_add_f32 v[10:11], v[10:11], v[20:21]
	v_mov_b32_e32 v12, v35
	v_mov_b32_e32 v15, v13
	v_pk_mul_f32 v[12:13], v[18:19], v[12:13] op_sel:[1,0] op_sel_hi:[0,0]
	v_pk_add_f32 v[10:11], v[10:11], v[14:15]
	v_pk_fma_f32 v[14:15], v[18:19], v[34:35], v[12:13] neg_lo:[0,0,1] neg_hi:[0,0,1]
	v_pk_fma_f32 v[12:13], v[18:19], v[34:35], v[12:13] op_sel_hi:[1,0,1]
	s_nop 0
	v_mov_b32_e32 v15, v13
	s_waitcnt vmcnt(1) lgkmcnt(1)
	v_pk_mul_f32 v[12:13], v[4:5], v[36:37] op_sel:[1,1] op_sel_hi:[0,1]
	v_pk_add_f32 v[10:11], v[10:11], v[14:15]
	v_pk_fma_f32 v[14:15], v[4:5], v[36:37], v[12:13] neg_lo:[0,0,1] neg_hi:[0,0,1]
	v_pk_fma_f32 v[4:5], v[4:5], v[36:37], v[12:13] op_sel_hi:[1,0,1]
	s_nop 0
	v_mov_b32_e32 v15, v5
	v_pk_add_f32 v[4:5], v[10:11], v[14:15]
	v_mov_b32_e32 v10, v39
	v_pk_mul_f32 v[10:11], v[6:7], v[10:11] op_sel:[1,0] op_sel_hi:[0,0]
	v_pk_fma_f32 v[12:13], v[6:7], v[38:39], v[10:11] neg_lo:[0,0,1] neg_hi:[0,0,1]
	v_pk_fma_f32 v[6:7], v[6:7], v[38:39], v[10:11] op_sel_hi:[1,0,1]
	s_nop 0
	v_mov_b32_e32 v13, v7
	s_waitcnt vmcnt(0) lgkmcnt(0)
	v_pk_mul_f32 v[6:7], v[8:9], v[46:47] op_sel:[1,1] op_sel_hi:[0,1]
	v_pk_fma_f32 v[10:11], v[8:9], v[46:47], v[6:7] neg_lo:[0,0,1] neg_hi:[0,0,1]
	v_pk_fma_f32 v[6:7], v[8:9], v[46:47], v[6:7] op_sel_hi:[1,0,1]
	v_pk_add_f32 v[4:5], v[4:5], v[12:13]
	v_mov_b32_e32 v11, v7
	scratch_load_dwordx2 v[6:7], off, off offset:392
	v_pk_add_f32 v[4:5], v[4:5], v[10:11]
	s_waitcnt vmcnt(0)
	v_pk_add_f32 v[4:5], v[6:7], v[4:5] neg_lo:[0,1] neg_hi:[0,1]
	scratch_store_dwordx2 off, v[4:5], off offset:392
	s_and_saveexec_b64 s[0:1], vcc
	s_cbranch_execz .LBB124_283
; %bb.282:
	scratch_load_dwordx2 v[4:5], off, off offset:384
	v_mov_b32_e32 v3, v2
	scratch_store_dwordx2 off, v[2:3], off offset:384
	s_waitcnt vmcnt(1)
	ds_write_b64 v1, v[4:5]
.LBB124_283:
	s_or_b64 exec, exec, s[0:1]
	s_waitcnt lgkmcnt(0)
	; wave barrier
	scratch_load_dwordx4 v[8:11], off, off offset:392
	scratch_load_dwordx4 v[16:19], off, off offset:408
	ds_read2_b64 v[4:7], v2 offset0:111 offset1:112
	v_cmp_lt_u32_e32 vcc, 47, v0
	s_waitcnt vmcnt(1) lgkmcnt(0)
	v_mul_f32_e32 v3, v4, v9
	v_fmac_f32_e32 v3, v5, v8
	v_mul_f32_e32 v12, v6, v11
	v_add_f32_e32 v3, 0, v3
	v_fmac_f32_e32 v12, v7, v10
	v_add_f32_e32 v37, v3, v12
	ds_read2_b64 v[12:15], v2 offset0:113 offset1:114
	scratch_load_dwordx4 v[20:23], off, off offset:424
	scratch_load_dwordx4 v[24:27], off, off offset:440
	;; [unrolled: 1-line block ×4, first 2 shown]
	v_mul_f32_e32 v3, v5, v9
	v_fma_f32 v3, v4, v8, -v3
	v_mul_f32_e32 v4, v7, v11
	v_add_f32_e32 v3, 0, v3
	v_fma_f32 v4, v6, v10, -v4
	v_add_f32_e32 v36, v3, v4
	s_waitcnt vmcnt(4) lgkmcnt(0)
	v_mul_f32_e32 v3, v13, v17
	v_mul_f32_e32 v39, v12, v17
	;; [unrolled: 1-line block ×3, first 2 shown]
	v_fma_f32 v38, v12, v16, -v3
	v_mul_f32_e32 v3, v15, v19
	v_fmac_f32_e32 v39, v13, v16
	v_fmac_f32_e32 v41, v15, v18
	v_fma_f32 v40, v14, v18, -v3
	ds_read2_b64 v[4:7], v2 offset0:115 offset1:116
	ds_read2_b64 v[8:11], v2 offset0:117 offset1:118
	;; [unrolled: 1-line block ×4, first 2 shown]
	v_pk_add_f32 v[2:3], v[36:37], v[38:39]
	s_waitcnt vmcnt(3) lgkmcnt(3)
	v_pk_mul_f32 v[36:37], v[4:5], v[20:21] op_sel:[1,1] op_sel_hi:[0,1]
	v_pk_fma_f32 v[38:39], v[4:5], v[20:21], v[36:37] neg_lo:[0,0,1] neg_hi:[0,0,1]
	v_pk_fma_f32 v[4:5], v[4:5], v[20:21], v[36:37] op_sel_hi:[1,0,1]
	v_pk_add_f32 v[2:3], v[2:3], v[40:41]
	v_mov_b32_e32 v4, v23
	v_mov_b32_e32 v39, v5
	v_pk_mul_f32 v[4:5], v[6:7], v[4:5] op_sel:[1,0] op_sel_hi:[0,0]
	v_pk_fma_f32 v[20:21], v[6:7], v[22:23], v[4:5] neg_lo:[0,0,1] neg_hi:[0,0,1]
	v_pk_fma_f32 v[4:5], v[6:7], v[22:23], v[4:5] op_sel_hi:[1,0,1]
	v_pk_add_f32 v[2:3], v[2:3], v[38:39]
	v_mov_b32_e32 v21, v5
	s_waitcnt vmcnt(2) lgkmcnt(2)
	v_pk_mul_f32 v[4:5], v[8:9], v[24:25] op_sel:[1,1] op_sel_hi:[0,1]
	v_pk_fma_f32 v[6:7], v[8:9], v[24:25], v[4:5] neg_lo:[0,0,1] neg_hi:[0,0,1]
	v_pk_fma_f32 v[4:5], v[8:9], v[24:25], v[4:5] op_sel_hi:[1,0,1]
	v_pk_add_f32 v[2:3], v[2:3], v[20:21]
	v_mov_b32_e32 v4, v27
	v_mov_b32_e32 v7, v5
	v_pk_mul_f32 v[4:5], v[10:11], v[4:5] op_sel:[1,0] op_sel_hi:[0,0]
	v_pk_add_f32 v[2:3], v[2:3], v[6:7]
	v_pk_fma_f32 v[6:7], v[10:11], v[26:27], v[4:5] neg_lo:[0,0,1] neg_hi:[0,0,1]
	v_pk_fma_f32 v[4:5], v[10:11], v[26:27], v[4:5] op_sel_hi:[1,0,1]
	s_nop 0
	v_mov_b32_e32 v7, v5
	s_waitcnt vmcnt(1) lgkmcnt(1)
	v_pk_mul_f32 v[4:5], v[12:13], v[28:29] op_sel:[1,1] op_sel_hi:[0,1]
	v_pk_add_f32 v[2:3], v[2:3], v[6:7]
	v_pk_fma_f32 v[6:7], v[12:13], v[28:29], v[4:5] neg_lo:[0,0,1] neg_hi:[0,0,1]
	v_pk_fma_f32 v[4:5], v[12:13], v[28:29], v[4:5] op_sel_hi:[1,0,1]
	s_nop 0
	v_mov_b32_e32 v4, v31
	v_mov_b32_e32 v7, v5
	v_pk_mul_f32 v[4:5], v[14:15], v[4:5] op_sel:[1,0] op_sel_hi:[0,0]
	v_pk_add_f32 v[2:3], v[2:3], v[6:7]
	v_pk_fma_f32 v[6:7], v[14:15], v[30:31], v[4:5] neg_lo:[0,0,1] neg_hi:[0,0,1]
	v_pk_fma_f32 v[4:5], v[14:15], v[30:31], v[4:5] op_sel_hi:[1,0,1]
	s_nop 0
	v_mov_b32_e32 v7, v5
	s_waitcnt vmcnt(0) lgkmcnt(0)
	v_pk_mul_f32 v[4:5], v[16:17], v[32:33] op_sel:[1,1] op_sel_hi:[0,1]
	v_pk_add_f32 v[2:3], v[2:3], v[6:7]
	v_pk_fma_f32 v[6:7], v[16:17], v[32:33], v[4:5] neg_lo:[0,0,1] neg_hi:[0,0,1]
	v_pk_fma_f32 v[4:5], v[16:17], v[32:33], v[4:5] op_sel_hi:[1,0,1]
	s_nop 0
	v_mov_b32_e32 v4, v35
	v_mov_b32_e32 v7, v5
	v_pk_mul_f32 v[4:5], v[18:19], v[4:5] op_sel:[1,0] op_sel_hi:[0,0]
	v_pk_add_f32 v[2:3], v[2:3], v[6:7]
	v_pk_fma_f32 v[6:7], v[18:19], v[34:35], v[4:5] neg_lo:[0,0,1] neg_hi:[0,0,1]
	v_pk_fma_f32 v[4:5], v[18:19], v[34:35], v[4:5] op_sel_hi:[1,0,1]
	s_nop 0
	v_mov_b32_e32 v7, v5
	scratch_load_dwordx2 v[4:5], off, off offset:384
	v_pk_add_f32 v[2:3], v[2:3], v[6:7]
	s_waitcnt vmcnt(0)
	v_pk_add_f32 v[2:3], v[4:5], v[2:3] neg_lo:[0,1] neg_hi:[0,1]
	scratch_store_dwordx2 off, v[2:3], off offset:384
	s_and_saveexec_b64 s[0:1], vcc
	s_cbranch_execz .LBB124_285
; %bb.284:
	scratch_load_dwordx2 v[2:3], off, off offset:376
	v_mov_b32_e32 v4, 0
	v_mov_b32_e32 v5, v4
	scratch_store_dwordx2 off, v[4:5], off offset:376
	s_waitcnt vmcnt(1)
	ds_write_b64 v1, v[2:3]
.LBB124_285:
	s_or_b64 exec, exec, s[0:1]
	s_waitcnt lgkmcnt(0)
	; wave barrier
	scratch_load_dwordx4 v[4:7], off, off offset:384
	scratch_load_dwordx4 v[8:11], off, off offset:400
	;; [unrolled: 1-line block ×6, first 2 shown]
	scratch_load_dwordx2 v[52:53], off, off offset:480
	scratch_load_dwordx2 v[54:55], off, off offset:376
	v_mov_b32_e32 v2, 0
	ds_read_b128 v[28:31], v2 offset:880
	ds_read_b128 v[32:35], v2 offset:896
	;; [unrolled: 1-line block ×6, first 2 shown]
	ds_read_b64 v[56:57], v2 offset:976
	v_cmp_lt_u32_e32 vcc, 46, v0
	s_waitcnt vmcnt(7) lgkmcnt(6)
	v_mul_f32_e32 v63, v30, v7
	v_mul_f32_e32 v3, v28, v5
	s_waitcnt vmcnt(5) lgkmcnt(4)
	v_mul_f32_e32 v61, v36, v13
	v_mul_f32_e32 v5, v29, v5
	v_mov_b32_e32 v62, v15
	s_waitcnt vmcnt(2) lgkmcnt(1)
	v_pk_mul_f32 v[72:73], v[48:49], v[24:25] op_sel:[1,1] op_sel_hi:[0,1]
	v_fmac_f32_e32 v63, v31, v6
	v_mul_f32_e32 v7, v31, v7
	v_mul_f32_e32 v13, v37, v13
	v_fmac_f32_e32 v3, v29, v4
	v_fmac_f32_e32 v61, v37, v12
	v_fma_f32 v37, v28, v4, -v5
	v_pk_mul_f32 v[4:5], v[38:39], v[62:63] op_sel:[1,0] op_sel_hi:[0,0]
	v_pk_fma_f32 v[28:29], v[48:49], v[24:25], v[72:73] neg_lo:[0,0,1] neg_hi:[0,0,1]
	v_pk_fma_f32 v[24:25], v[48:49], v[24:25], v[72:73] op_sel_hi:[1,0,1]
	v_mul_f32_e32 v67, v32, v9
	v_mul_f32_e32 v9, v33, v9
	v_fma_f32 v71, v30, v6, -v7
	v_fma_f32 v60, v36, v12, -v13
	v_add_f32_e32 v3, 0, v3
	v_add_f32_e32 v24, 0, v37
	v_pk_fma_f32 v[36:37], v[38:39], v[14:15], v[4:5] neg_lo:[0,0,1] neg_hi:[0,0,1]
	v_pk_fma_f32 v[4:5], v[38:39], v[14:15], v[4:5] op_sel_hi:[1,0,1]
	v_mul_f32_e32 v59, v34, v11
	v_mul_f32_e32 v11, v35, v11
	v_fmac_f32_e32 v67, v33, v8
	v_fma_f32 v75, v32, v8, -v9
	v_add_f32_e32 v3, v3, v63
	v_add_f32_e32 v4, v24, v71
	v_fmac_f32_e32 v59, v35, v10
	v_fma_f32 v58, v34, v10, -v11
	v_mov_b32_e32 v37, v5
	v_add_f32_e32 v5, v3, v67
	v_add_f32_e32 v4, v4, v75
	v_pk_mul_f32 v[64:65], v[40:41], v[16:17] op_sel:[1,1] op_sel_hi:[0,1]
	v_mov_b32_e32 v66, v19
	v_pk_add_f32 v[4:5], v[4:5], v[58:59]
	v_pk_fma_f32 v[6:7], v[40:41], v[16:17], v[64:65] neg_lo:[0,0,1] neg_hi:[0,0,1]
	v_pk_fma_f32 v[8:9], v[40:41], v[16:17], v[64:65] op_sel_hi:[1,0,1]
	v_pk_mul_f32 v[10:11], v[42:43], v[66:67] op_sel:[1,0] op_sel_hi:[0,0]
	v_pk_add_f32 v[4:5], v[4:5], v[60:61]
	v_pk_mul_f32 v[68:69], v[44:45], v[20:21] op_sel:[1,1] op_sel_hi:[0,1]
	v_mov_b32_e32 v70, v23
	v_mov_b32_e32 v7, v9
	v_pk_fma_f32 v[8:9], v[42:43], v[18:19], v[10:11] neg_lo:[0,0,1] neg_hi:[0,0,1]
	v_pk_fma_f32 v[10:11], v[42:43], v[18:19], v[10:11] op_sel_hi:[1,0,1]
	v_pk_add_f32 v[4:5], v[4:5], v[36:37]
	v_pk_fma_f32 v[12:13], v[44:45], v[20:21], v[68:69] neg_lo:[0,0,1] neg_hi:[0,0,1]
	v_pk_fma_f32 v[16:17], v[44:45], v[20:21], v[68:69] op_sel_hi:[1,0,1]
	v_pk_mul_f32 v[20:21], v[46:47], v[70:71] op_sel:[1,0] op_sel_hi:[0,0]
	v_mov_b32_e32 v9, v11
	v_pk_add_f32 v[4:5], v[4:5], v[6:7]
	v_mov_b32_e32 v74, v27
	v_mov_b32_e32 v13, v17
	v_pk_fma_f32 v[14:15], v[46:47], v[22:23], v[20:21] neg_lo:[0,0,1] neg_hi:[0,0,1]
	v_pk_fma_f32 v[16:17], v[46:47], v[22:23], v[20:21] op_sel_hi:[1,0,1]
	v_pk_add_f32 v[4:5], v[4:5], v[8:9]
	v_pk_mul_f32 v[30:31], v[50:51], v[74:75] op_sel:[1,0] op_sel_hi:[0,0]
	v_mov_b32_e32 v15, v17
	v_pk_add_f32 v[4:5], v[4:5], v[12:13]
	s_waitcnt vmcnt(1) lgkmcnt(0)
	v_pk_mul_f32 v[76:77], v[56:57], v[52:53] op_sel:[1,1] op_sel_hi:[0,1]
	v_mov_b32_e32 v29, v25
	v_pk_fma_f32 v[18:19], v[50:51], v[26:27], v[30:31] neg_lo:[0,0,1] neg_hi:[0,0,1]
	v_pk_fma_f32 v[20:21], v[50:51], v[26:27], v[30:31] op_sel_hi:[1,0,1]
	v_pk_add_f32 v[4:5], v[4:5], v[14:15]
	v_pk_fma_f32 v[32:33], v[56:57], v[52:53], v[76:77] neg_lo:[0,0,1] neg_hi:[0,0,1]
	v_pk_fma_f32 v[34:35], v[56:57], v[52:53], v[76:77] op_sel_hi:[1,0,1]
	v_mov_b32_e32 v19, v21
	v_pk_add_f32 v[4:5], v[4:5], v[28:29]
	v_mov_b32_e32 v33, v35
	v_pk_add_f32 v[4:5], v[4:5], v[18:19]
	s_nop 0
	v_pk_add_f32 v[4:5], v[4:5], v[32:33]
	s_waitcnt vmcnt(0)
	v_pk_add_f32 v[4:5], v[54:55], v[4:5] neg_lo:[0,1] neg_hi:[0,1]
	scratch_store_dwordx2 off, v[4:5], off offset:376
	s_and_saveexec_b64 s[0:1], vcc
	s_cbranch_execz .LBB124_287
; %bb.286:
	scratch_load_dwordx2 v[4:5], off, off offset:368
	v_mov_b32_e32 v3, v2
	scratch_store_dwordx2 off, v[2:3], off offset:368
	s_waitcnt vmcnt(1)
	ds_write_b64 v1, v[4:5]
.LBB124_287:
	s_or_b64 exec, exec, s[0:1]
	s_waitcnt lgkmcnt(0)
	; wave barrier
	scratch_load_dwordx4 v[4:7], off, off offset:376
	scratch_load_dwordx4 v[8:11], off, off offset:392
	;; [unrolled: 1-line block ×7, first 2 shown]
	ds_read2_b64 v[32:35], v2 offset0:109 offset1:110
	ds_read2_b64 v[36:39], v2 offset0:111 offset1:112
	;; [unrolled: 1-line block ×6, first 2 shown]
	scratch_load_dwordx2 v[60:61], off, off offset:368
	ds_read2_b64 v[56:59], v2 offset0:121 offset1:122
	v_cmp_lt_u32_e32 vcc, 45, v0
	s_waitcnt vmcnt(7) lgkmcnt(6)
	v_mul_f32_e32 v67, v32, v5
	v_mul_f32_e32 v71, v34, v7
	s_waitcnt vmcnt(6) lgkmcnt(5)
	v_mul_f32_e32 v75, v36, v9
	v_mul_f32_e32 v79, v38, v11
	s_waitcnt vmcnt(5) lgkmcnt(4)
	v_mul_f32_e32 v3, v40, v13
	v_mul_f32_e32 v63, v42, v15
	v_mul_f32_e32 v2, v33, v5
	v_mul_f32_e32 v5, v35, v7
	;; [unrolled: 1-line block ×6, first 2 shown]
	s_waitcnt vmcnt(4) lgkmcnt(3)
	v_pk_mul_f32 v[64:65], v[44:45], v[16:17] op_sel:[1,1] op_sel_hi:[0,1]
	v_mov_b32_e32 v66, v19
	s_waitcnt vmcnt(3) lgkmcnt(2)
	v_pk_mul_f32 v[68:69], v[48:49], v[20:21] op_sel:[1,1] op_sel_hi:[0,1]
	v_mov_b32_e32 v70, v23
	s_waitcnt vmcnt(1) lgkmcnt(0)
	v_pk_mul_f32 v[76:77], v[56:57], v[28:29] op_sel:[1,1] op_sel_hi:[0,1]
	v_fmac_f32_e32 v67, v33, v4
	v_fmac_f32_e32 v71, v35, v6
	;; [unrolled: 1-line block ×6, first 2 shown]
	v_fma_f32 v37, v32, v4, -v2
	v_fma_f32 v39, v34, v6, -v5
	;; [unrolled: 1-line block ×6, first 2 shown]
	v_pk_fma_f32 v[4:5], v[44:45], v[16:17], v[64:65] neg_lo:[0,0,1] neg_hi:[0,0,1]
	v_pk_fma_f32 v[6:7], v[44:45], v[16:17], v[64:65] op_sel_hi:[1,0,1]
	v_pk_mul_f32 v[8:9], v[46:47], v[66:67] op_sel:[1,0] op_sel_hi:[0,0]
	v_pk_fma_f32 v[10:11], v[48:49], v[20:21], v[68:69] neg_lo:[0,0,1] neg_hi:[0,0,1]
	v_pk_fma_f32 v[12:13], v[48:49], v[20:21], v[68:69] op_sel_hi:[1,0,1]
	v_pk_mul_f32 v[14:15], v[50:51], v[70:71] op_sel:[1,0] op_sel_hi:[0,0]
	v_pk_fma_f32 v[32:33], v[56:57], v[28:29], v[76:77] neg_lo:[0,0,1] neg_hi:[0,0,1]
	v_pk_fma_f32 v[28:29], v[56:57], v[28:29], v[76:77] op_sel_hi:[1,0,1]
	v_add_f32_e32 v37, 0, v37
	v_add_f32_e32 v28, 0, v67
	v_mov_b32_e32 v5, v7
	v_pk_fma_f32 v[6:7], v[46:47], v[18:19], v[8:9] neg_lo:[0,0,1] neg_hi:[0,0,1]
	v_pk_fma_f32 v[8:9], v[46:47], v[18:19], v[8:9] op_sel_hi:[1,0,1]
	v_mov_b32_e32 v11, v13
	v_pk_fma_f32 v[12:13], v[50:51], v[22:23], v[14:15] neg_lo:[0,0,1] neg_hi:[0,0,1]
	v_pk_fma_f32 v[14:15], v[50:51], v[22:23], v[14:15] op_sel_hi:[1,0,1]
	v_add_f32_e32 v8, v28, v71
	v_add_f32_e32 v14, v37, v39
	;; [unrolled: 1-line block ×4, first 2 shown]
	v_mov_b32_e32 v7, v9
	v_add_f32_e32 v9, v8, v79
	v_add_f32_e32 v8, v14, v38
	v_pk_add_f32 v[2:3], v[8:9], v[2:3]
	v_pk_mul_f32 v[72:73], v[52:53], v[24:25] op_sel:[1,1] op_sel_hi:[0,1]
	v_pk_add_f32 v[2:3], v[2:3], v[62:63]
	v_mov_b32_e32 v74, v27
	v_pk_add_f32 v[2:3], v[2:3], v[4:5]
	v_pk_fma_f32 v[16:17], v[52:53], v[24:25], v[72:73] neg_lo:[0,0,1] neg_hi:[0,0,1]
	v_pk_add_f32 v[2:3], v[2:3], v[6:7]
	v_pk_fma_f32 v[20:21], v[52:53], v[24:25], v[72:73] op_sel_hi:[1,0,1]
	v_pk_mul_f32 v[24:25], v[54:55], v[74:75] op_sel:[1,0] op_sel_hi:[0,0]
	v_mov_b32_e32 v13, v15
	v_pk_add_f32 v[2:3], v[2:3], v[10:11]
	v_mov_b32_e32 v78, v31
	v_mov_b32_e32 v17, v21
	v_pk_fma_f32 v[18:19], v[54:55], v[26:27], v[24:25] neg_lo:[0,0,1] neg_hi:[0,0,1]
	v_pk_fma_f32 v[20:21], v[54:55], v[26:27], v[24:25] op_sel_hi:[1,0,1]
	v_pk_add_f32 v[2:3], v[2:3], v[12:13]
	v_pk_mul_f32 v[34:35], v[58:59], v[78:79] op_sel:[1,0] op_sel_hi:[0,0]
	v_mov_b32_e32 v19, v21
	v_pk_add_f32 v[2:3], v[2:3], v[16:17]
	v_mov_b32_e32 v33, v29
	v_pk_fma_f32 v[22:23], v[58:59], v[30:31], v[34:35] neg_lo:[0,0,1] neg_hi:[0,0,1]
	v_pk_fma_f32 v[24:25], v[58:59], v[30:31], v[34:35] op_sel_hi:[1,0,1]
	v_pk_add_f32 v[2:3], v[2:3], v[18:19]
	v_mov_b32_e32 v23, v25
	v_pk_add_f32 v[2:3], v[2:3], v[32:33]
	s_nop 0
	v_pk_add_f32 v[2:3], v[2:3], v[22:23]
	s_waitcnt vmcnt(0)
	v_pk_add_f32 v[2:3], v[60:61], v[2:3] neg_lo:[0,1] neg_hi:[0,1]
	scratch_store_dwordx2 off, v[2:3], off offset:368
	s_and_saveexec_b64 s[0:1], vcc
	s_cbranch_execz .LBB124_289
; %bb.288:
	scratch_load_dwordx2 v[2:3], off, off offset:360
	v_mov_b32_e32 v4, 0
	v_mov_b32_e32 v5, v4
	scratch_store_dwordx2 off, v[4:5], off offset:360
	s_waitcnt vmcnt(1)
	ds_write_b64 v1, v[2:3]
.LBB124_289:
	s_or_b64 exec, exec, s[0:1]
	s_waitcnt lgkmcnt(0)
	; wave barrier
	scratch_load_dwordx4 v[4:7], off, off offset:368
	scratch_load_dwordx4 v[8:11], off, off offset:384
	;; [unrolled: 1-line block ×7, first 2 shown]
	scratch_load_dwordx2 v[60:61], off, off offset:480
	scratch_load_dwordx2 v[62:63], off, off offset:360
	v_mov_b32_e32 v2, 0
	ds_read_b128 v[32:35], v2 offset:864
	ds_read_b128 v[36:39], v2 offset:880
	;; [unrolled: 1-line block ×7, first 2 shown]
	ds_read_b64 v[64:65], v2 offset:976
	v_cmp_lt_u32_e32 vcc, 44, v0
	s_waitcnt vmcnt(8) lgkmcnt(7)
	v_mul_f32_e32 v71, v34, v7
	v_mul_f32_e32 v3, v32, v5
	s_waitcnt vmcnt(7) lgkmcnt(6)
	v_mul_f32_e32 v75, v36, v9
	s_waitcnt vmcnt(6) lgkmcnt(5)
	v_mul_f32_e32 v83, v40, v13
	v_mul_f32_e32 v67, v42, v15
	;; [unrolled: 1-line block ×5, first 2 shown]
	s_waitcnt vmcnt(5)
	v_mov_b32_e32 v70, v19
	s_waitcnt vmcnt(3) lgkmcnt(2)
	v_pk_mul_f32 v[76:77], v[52:53], v[24:25] op_sel:[1,1] op_sel_hi:[0,1]
	s_waitcnt vmcnt(2) lgkmcnt(1)
	v_pk_mul_f32 v[80:81], v[56:57], v[28:29] op_sel:[1,1] op_sel_hi:[0,1]
	v_fmac_f32_e32 v71, v35, v6
	v_mul_f32_e32 v7, v35, v7
	v_mul_f32_e32 v9, v37, v9
	v_fmac_f32_e32 v3, v33, v4
	v_fmac_f32_e32 v75, v37, v8
	;; [unrolled: 1-line block ×4, first 2 shown]
	v_fma_f32 v32, v32, v4, -v5
	v_fma_f32 v37, v40, v12, -v13
	;; [unrolled: 1-line block ×3, first 2 shown]
	v_pk_mul_f32 v[4:5], v[46:47], v[70:71] op_sel:[1,0] op_sel_hi:[0,0]
	v_pk_fma_f32 v[12:13], v[52:53], v[24:25], v[76:77] neg_lo:[0,0,1] neg_hi:[0,0,1]
	v_pk_fma_f32 v[14:15], v[52:53], v[24:25], v[76:77] op_sel_hi:[1,0,1]
	v_pk_fma_f32 v[24:25], v[56:57], v[28:29], v[80:81] op_sel_hi:[1,0,1]
	v_fma_f32 v34, v34, v6, -v7
	v_add_f32_e32 v3, 0, v3
	v_add_f32_e32 v24, 0, v32
	v_pk_fma_f32 v[32:33], v[46:47], v[18:19], v[4:5] neg_lo:[0,0,1] neg_hi:[0,0,1]
	v_pk_fma_f32 v[4:5], v[46:47], v[18:19], v[4:5] op_sel_hi:[1,0,1]
	v_mul_f32_e32 v79, v38, v11
	v_mul_f32_e32 v11, v39, v11
	v_fma_f32 v35, v36, v8, -v9
	v_add_f32_e32 v3, v3, v71
	v_add_f32_e32 v4, v24, v34
	v_fmac_f32_e32 v79, v39, v10
	v_fma_f32 v36, v38, v10, -v11
	v_add_f32_e32 v3, v3, v75
	v_add_f32_e32 v4, v4, v35
	;; [unrolled: 1-line block ×4, first 2 shown]
	v_mul_f32_e32 v69, v44, v17
	v_mul_f32_e32 v17, v45, v17
	v_mov_b32_e32 v33, v5
	v_add_f32_e32 v5, v3, v83
	v_add_f32_e32 v4, v4, v37
	v_pk_mul_f32 v[72:73], v[48:49], v[20:21] op_sel:[1,1] op_sel_hi:[0,1]
	v_mov_b32_e32 v74, v23
	v_fmac_f32_e32 v69, v45, v16
	v_fma_f32 v68, v44, v16, -v17
	v_pk_add_f32 v[4:5], v[4:5], v[66:67]
	v_pk_fma_f32 v[6:7], v[48:49], v[20:21], v[72:73] neg_lo:[0,0,1] neg_hi:[0,0,1]
	v_pk_fma_f32 v[8:9], v[48:49], v[20:21], v[72:73] op_sel_hi:[1,0,1]
	v_pk_mul_f32 v[10:11], v[50:51], v[74:75] op_sel:[1,0] op_sel_hi:[0,0]
	v_pk_add_f32 v[4:5], v[4:5], v[68:69]
	v_mov_b32_e32 v78, v27
	v_mov_b32_e32 v7, v9
	v_pk_fma_f32 v[8:9], v[50:51], v[22:23], v[10:11] neg_lo:[0,0,1] neg_hi:[0,0,1]
	v_pk_fma_f32 v[10:11], v[50:51], v[22:23], v[10:11] op_sel_hi:[1,0,1]
	v_pk_add_f32 v[4:5], v[4:5], v[32:33]
	v_pk_mul_f32 v[16:17], v[54:55], v[78:79] op_sel:[1,0] op_sel_hi:[0,0]
	v_mov_b32_e32 v9, v11
	v_pk_add_f32 v[4:5], v[4:5], v[6:7]
	v_mov_b32_e32 v82, v31
	v_mov_b32_e32 v13, v15
	v_pk_fma_f32 v[14:15], v[54:55], v[26:27], v[16:17] neg_lo:[0,0,1] neg_hi:[0,0,1]
	v_pk_fma_f32 v[16:17], v[54:55], v[26:27], v[16:17] op_sel_hi:[1,0,1]
	v_pk_add_f32 v[4:5], v[4:5], v[8:9]
	v_pk_fma_f32 v[20:21], v[56:57], v[28:29], v[80:81] neg_lo:[0,0,1] neg_hi:[0,0,1]
	v_pk_mul_f32 v[28:29], v[58:59], v[82:83] op_sel:[1,0] op_sel_hi:[0,0]
	v_mov_b32_e32 v15, v17
	v_pk_add_f32 v[4:5], v[4:5], v[12:13]
	v_mov_b32_e32 v21, v25
	v_pk_add_f32 v[4:5], v[4:5], v[14:15]
	v_pk_fma_f32 v[6:7], v[58:59], v[30:31], v[28:29] neg_lo:[0,0,1] neg_hi:[0,0,1]
	v_pk_fma_f32 v[8:9], v[58:59], v[30:31], v[28:29] op_sel_hi:[1,0,1]
	v_pk_add_f32 v[4:5], v[4:5], v[20:21]
	v_mov_b32_e32 v7, v9
	v_pk_add_f32 v[4:5], v[4:5], v[6:7]
	s_waitcnt vmcnt(1) lgkmcnt(0)
	v_pk_mul_f32 v[6:7], v[64:65], v[60:61] op_sel:[1,1] op_sel_hi:[0,1]
	v_pk_fma_f32 v[8:9], v[64:65], v[60:61], v[6:7] neg_lo:[0,0,1] neg_hi:[0,0,1]
	v_pk_fma_f32 v[6:7], v[64:65], v[60:61], v[6:7] op_sel_hi:[1,0,1]
	s_nop 0
	v_mov_b32_e32 v9, v7
	v_pk_add_f32 v[4:5], v[4:5], v[8:9]
	s_waitcnt vmcnt(0)
	v_pk_add_f32 v[4:5], v[62:63], v[4:5] neg_lo:[0,1] neg_hi:[0,1]
	scratch_store_dwordx2 off, v[4:5], off offset:360
	s_and_saveexec_b64 s[0:1], vcc
	s_cbranch_execz .LBB124_291
; %bb.290:
	scratch_load_dwordx2 v[4:5], off, off offset:352
	v_mov_b32_e32 v3, v2
	scratch_store_dwordx2 off, v[2:3], off offset:352
	s_waitcnt vmcnt(1)
	ds_write_b64 v1, v[4:5]
.LBB124_291:
	s_or_b64 exec, exec, s[0:1]
	s_waitcnt lgkmcnt(0)
	; wave barrier
	scratch_load_dwordx4 v[4:7], off, off offset:360
	scratch_load_dwordx4 v[8:11], off, off offset:376
	;; [unrolled: 1-line block ×7, first 2 shown]
	ds_read2_b64 v[32:35], v2 offset0:107 offset1:108
	ds_read2_b64 v[36:39], v2 offset0:109 offset1:110
	;; [unrolled: 1-line block ×4, first 2 shown]
	scratch_load_dwordx4 v[48:51], off, off offset:472
	ds_read2_b64 v[52:55], v2 offset0:115 offset1:116
	ds_read2_b64 v[56:59], v2 offset0:117 offset1:118
	ds_read2_b64 v[60:63], v2 offset0:119 offset1:120
	ds_read2_b64 v[64:67], v2 offset0:121 offset1:122
	scratch_load_dwordx2 v[2:3], off, off offset:352
	v_cmp_lt_u32_e32 vcc, 43, v0
	s_waitcnt vmcnt(8) lgkmcnt(7)
	v_mul_f32_e32 v75, v32, v5
	v_mul_f32_e32 v79, v34, v7
	s_waitcnt vmcnt(7) lgkmcnt(6)
	v_mul_f32_e32 v83, v36, v9
	v_mul_f32_e32 v84, v38, v11
	;; [unrolled: 3-line block ×3, first 2 shown]
	v_mul_f32_e32 v5, v33, v5
	v_mul_f32_e32 v7, v35, v7
	;; [unrolled: 1-line block ×6, first 2 shown]
	s_waitcnt vmcnt(4) lgkmcnt(3)
	v_pk_mul_f32 v[72:73], v[52:53], v[20:21] op_sel:[1,1] op_sel_hi:[0,1]
	v_mov_b32_e32 v74, v23
	s_waitcnt vmcnt(3) lgkmcnt(2)
	v_pk_mul_f32 v[76:77], v[56:57], v[24:25] op_sel:[1,1] op_sel_hi:[0,1]
	v_mov_b32_e32 v78, v27
	v_fmac_f32_e32 v75, v33, v4
	v_fmac_f32_e32 v79, v35, v6
	;; [unrolled: 1-line block ×6, first 2 shown]
	v_fma_f32 v32, v32, v4, -v5
	v_fma_f32 v33, v34, v6, -v7
	;; [unrolled: 1-line block ×6, first 2 shown]
	v_pk_fma_f32 v[4:5], v[52:53], v[20:21], v[72:73] neg_lo:[0,0,1] neg_hi:[0,0,1]
	v_pk_fma_f32 v[6:7], v[52:53], v[20:21], v[72:73] op_sel_hi:[1,0,1]
	v_pk_mul_f32 v[8:9], v[54:55], v[74:75] op_sel:[1,0] op_sel_hi:[0,0]
	v_pk_fma_f32 v[10:11], v[56:57], v[24:25], v[76:77] neg_lo:[0,0,1] neg_hi:[0,0,1]
	v_pk_fma_f32 v[12:13], v[56:57], v[24:25], v[76:77] op_sel_hi:[1,0,1]
	v_pk_mul_f32 v[14:15], v[58:59], v[78:79] op_sel:[1,0] op_sel_hi:[0,0]
	v_add_f32_e32 v24, 0, v75
	v_add_f32_e32 v25, 0, v32
	v_mov_b32_e32 v5, v7
	v_pk_fma_f32 v[6:7], v[54:55], v[22:23], v[8:9] neg_lo:[0,0,1] neg_hi:[0,0,1]
	v_pk_fma_f32 v[8:9], v[54:55], v[22:23], v[8:9] op_sel_hi:[1,0,1]
	v_mov_b32_e32 v11, v13
	v_pk_fma_f32 v[12:13], v[58:59], v[26:27], v[14:15] neg_lo:[0,0,1] neg_hi:[0,0,1]
	v_pk_fma_f32 v[14:15], v[58:59], v[26:27], v[14:15] op_sel_hi:[1,0,1]
	v_add_f32_e32 v8, v24, v79
	v_add_f32_e32 v14, v25, v33
	v_mov_b32_e32 v7, v9
	v_add_f32_e32 v8, v8, v83
	v_add_f32_e32 v9, v14, v34
	;; [unrolled: 1-line block ×4, first 2 shown]
	v_mul_f32_e32 v69, v44, v17
	v_mul_f32_e32 v17, v45, v17
	v_add_f32_e32 v8, v8, v85
	v_add_f32_e32 v14, v9, v36
	v_mul_f32_e32 v71, v46, v19
	v_mul_f32_e32 v19, v47, v19
	v_fmac_f32_e32 v69, v45, v16
	v_fma_f32 v68, v44, v16, -v17
	v_add_f32_e32 v9, v8, v86
	v_add_f32_e32 v8, v14, v37
	v_fmac_f32_e32 v71, v47, v18
	v_fma_f32 v70, v46, v18, -v19
	v_pk_add_f32 v[8:9], v[8:9], v[68:69]
	s_waitcnt vmcnt(2) lgkmcnt(1)
	v_pk_mul_f32 v[80:81], v[60:61], v[28:29] op_sel:[1,1] op_sel_hi:[0,1]
	v_mov_b32_e32 v82, v31
	v_pk_add_f32 v[8:9], v[8:9], v[70:71]
	v_pk_fma_f32 v[16:17], v[60:61], v[28:29], v[80:81] neg_lo:[0,0,1] neg_hi:[0,0,1]
	v_pk_fma_f32 v[18:19], v[60:61], v[28:29], v[80:81] op_sel_hi:[1,0,1]
	v_pk_mul_f32 v[20:21], v[62:63], v[82:83] op_sel:[1,0] op_sel_hi:[0,0]
	v_pk_add_f32 v[4:5], v[8:9], v[4:5]
	v_mov_b32_e32 v17, v19
	v_pk_fma_f32 v[18:19], v[62:63], v[30:31], v[20:21] neg_lo:[0,0,1] neg_hi:[0,0,1]
	v_pk_add_f32 v[4:5], v[4:5], v[6:7]
	v_pk_fma_f32 v[6:7], v[62:63], v[30:31], v[20:21] op_sel_hi:[1,0,1]
	v_mov_b32_e32 v13, v15
	v_pk_add_f32 v[4:5], v[4:5], v[10:11]
	v_mov_b32_e32 v19, v7
	s_waitcnt vmcnt(1) lgkmcnt(0)
	v_pk_mul_f32 v[6:7], v[64:65], v[48:49] op_sel:[1,1] op_sel_hi:[0,1]
	v_pk_add_f32 v[4:5], v[4:5], v[12:13]
	v_pk_fma_f32 v[8:9], v[64:65], v[48:49], v[6:7] neg_lo:[0,0,1] neg_hi:[0,0,1]
	v_pk_fma_f32 v[6:7], v[64:65], v[48:49], v[6:7] op_sel_hi:[1,0,1]
	v_pk_add_f32 v[4:5], v[4:5], v[16:17]
	v_mov_b32_e32 v6, v51
	v_pk_add_f32 v[4:5], v[4:5], v[18:19]
	v_mov_b32_e32 v9, v7
	v_pk_mul_f32 v[6:7], v[66:67], v[6:7] op_sel:[1,0] op_sel_hi:[0,0]
	v_pk_add_f32 v[4:5], v[4:5], v[8:9]
	v_pk_fma_f32 v[8:9], v[66:67], v[50:51], v[6:7] neg_lo:[0,0,1] neg_hi:[0,0,1]
	v_pk_fma_f32 v[6:7], v[66:67], v[50:51], v[6:7] op_sel_hi:[1,0,1]
	s_nop 0
	v_mov_b32_e32 v9, v7
	v_pk_add_f32 v[4:5], v[4:5], v[8:9]
	s_waitcnt vmcnt(0)
	v_pk_add_f32 v[2:3], v[2:3], v[4:5] neg_lo:[0,1] neg_hi:[0,1]
	scratch_store_dwordx2 off, v[2:3], off offset:352
	s_and_saveexec_b64 s[0:1], vcc
	s_cbranch_execz .LBB124_293
; %bb.292:
	scratch_load_dwordx2 v[2:3], off, off offset:344
	v_mov_b32_e32 v4, 0
	v_mov_b32_e32 v5, v4
	scratch_store_dwordx2 off, v[4:5], off offset:344
	s_waitcnt vmcnt(1)
	ds_write_b64 v1, v[2:3]
.LBB124_293:
	s_or_b64 exec, exec, s[0:1]
	s_waitcnt lgkmcnt(0)
	; wave barrier
	scratch_load_dwordx4 v[4:7], off, off offset:352
	scratch_load_dwordx4 v[8:11], off, off offset:368
	;; [unrolled: 1-line block ×8, first 2 shown]
	scratch_load_dwordx2 v[68:69], off, off offset:480
	scratch_load_dwordx2 v[70:71], off, off offset:344
	v_mov_b32_e32 v2, 0
	ds_read_b128 v[36:39], v2 offset:848
	ds_read_b128 v[40:43], v2 offset:864
	;; [unrolled: 1-line block ×8, first 2 shown]
	ds_read_b64 v[72:73], v2 offset:976
	v_cmp_lt_u32_e32 vcc, 42, v0
	s_waitcnt vmcnt(9) lgkmcnt(8)
	v_mul_f32_e32 v79, v38, v7
	v_mul_f32_e32 v3, v36, v5
	s_waitcnt vmcnt(8) lgkmcnt(7)
	v_mul_f32_e32 v83, v40, v9
	s_waitcnt vmcnt(7) lgkmcnt(6)
	v_mul_f32_e32 v87, v44, v13
	v_mul_f32_e32 v5, v37, v5
	;; [unrolled: 1-line block ×5, first 2 shown]
	s_waitcnt vmcnt(5)
	v_mov_b32_e32 v78, v23
	s_waitcnt vmcnt(3) lgkmcnt(2)
	v_pk_mul_f32 v[84:85], v[60:61], v[28:29] op_sel:[1,1] op_sel_hi:[0,1]
	v_fmac_f32_e32 v79, v39, v6
	v_mul_f32_e32 v86, v42, v11
	v_mul_f32_e32 v89, v48, v17
	;; [unrolled: 1-line block ×4, first 2 shown]
	v_fmac_f32_e32 v3, v37, v4
	v_fmac_f32_e32 v87, v45, v12
	v_fma_f32 v36, v36, v4, -v5
	v_fma_f32 v37, v38, v6, -v7
	v_fma_f32 v38, v40, v8, -v9
	v_fma_f32 v40, v44, v12, -v13
	v_pk_mul_f32 v[4:5], v[54:55], v[78:79] op_sel:[1,0] op_sel_hi:[0,0]
	v_pk_fma_f32 v[12:13], v[60:61], v[28:29], v[84:85] neg_lo:[0,0,1] neg_hi:[0,0,1]
	v_fmac_f32_e32 v89, v49, v16
	v_fma_f32 v39, v42, v10, -v11
	v_fma_f32 v42, v48, v16, -v17
	v_add_f32_e32 v3, 0, v3
	v_add_f32_e32 v13, 0, v36
	v_pk_fma_f32 v[16:17], v[54:55], v[22:23], v[4:5] neg_lo:[0,0,1] neg_hi:[0,0,1]
	v_pk_fma_f32 v[4:5], v[54:55], v[22:23], v[4:5] op_sel_hi:[1,0,1]
	v_fmac_f32_e32 v83, v41, v8
	v_add_f32_e32 v3, v3, v79
	v_add_f32_e32 v4, v13, v37
	v_fmac_f32_e32 v86, v43, v10
	v_add_f32_e32 v3, v3, v83
	v_add_f32_e32 v4, v4, v38
	v_mul_f32_e32 v88, v46, v15
	v_mul_f32_e32 v15, v47, v15
	v_add_f32_e32 v3, v3, v86
	v_add_f32_e32 v4, v4, v39
	v_fmac_f32_e32 v88, v47, v14
	v_fma_f32 v41, v46, v14, -v15
	v_add_f32_e32 v3, v3, v87
	v_add_f32_e32 v4, v4, v40
	v_mul_f32_e32 v75, v50, v19
	v_mul_f32_e32 v19, v51, v19
	v_add_f32_e32 v3, v3, v88
	v_add_f32_e32 v4, v4, v41
	v_mul_f32_e32 v77, v52, v21
	v_mul_f32_e32 v21, v53, v21
	v_fmac_f32_e32 v75, v51, v18
	v_fma_f32 v74, v50, v18, -v19
	v_mov_b32_e32 v17, v5
	v_add_f32_e32 v5, v3, v89
	v_add_f32_e32 v4, v4, v42
	v_pk_mul_f32 v[80:81], v[56:57], v[24:25] op_sel:[1,1] op_sel_hi:[0,1]
	v_fmac_f32_e32 v77, v53, v20
	v_fma_f32 v76, v52, v20, -v21
	v_pk_add_f32 v[4:5], v[4:5], v[74:75]
	v_mov_b32_e32 v82, v27
	v_pk_fma_f32 v[6:7], v[56:57], v[24:25], v[80:81] neg_lo:[0,0,1] neg_hi:[0,0,1]
	v_pk_fma_f32 v[8:9], v[56:57], v[24:25], v[80:81] op_sel_hi:[1,0,1]
	v_pk_add_f32 v[4:5], v[4:5], v[76:77]
	v_pk_mul_f32 v[10:11], v[58:59], v[82:83] op_sel:[1,0] op_sel_hi:[0,0]
	v_mov_b32_e32 v7, v9
	v_pk_add_f32 v[4:5], v[4:5], v[16:17]
	v_pk_fma_f32 v[8:9], v[58:59], v[26:27], v[10:11] neg_lo:[0,0,1] neg_hi:[0,0,1]
	v_pk_fma_f32 v[10:11], v[58:59], v[26:27], v[10:11] op_sel_hi:[1,0,1]
	v_pk_add_f32 v[4:5], v[4:5], v[6:7]
	v_mov_b32_e32 v6, v31
	v_pk_fma_f32 v[14:15], v[60:61], v[28:29], v[84:85] op_sel_hi:[1,0,1]
	v_mov_b32_e32 v9, v11
	v_pk_mul_f32 v[6:7], v[62:63], v[6:7] op_sel:[1,0] op_sel_hi:[0,0]
	v_pk_add_f32 v[4:5], v[4:5], v[8:9]
	v_mov_b32_e32 v13, v15
	v_pk_fma_f32 v[8:9], v[62:63], v[30:31], v[6:7] neg_lo:[0,0,1] neg_hi:[0,0,1]
	v_pk_fma_f32 v[6:7], v[62:63], v[30:31], v[6:7] op_sel_hi:[1,0,1]
	v_pk_add_f32 v[4:5], v[4:5], v[12:13]
	v_mov_b32_e32 v9, v7
	s_waitcnt vmcnt(2) lgkmcnt(1)
	v_pk_mul_f32 v[6:7], v[64:65], v[32:33] op_sel:[1,1] op_sel_hi:[0,1]
	v_pk_add_f32 v[4:5], v[4:5], v[8:9]
	v_pk_fma_f32 v[8:9], v[64:65], v[32:33], v[6:7] neg_lo:[0,0,1] neg_hi:[0,0,1]
	v_pk_fma_f32 v[6:7], v[64:65], v[32:33], v[6:7] op_sel_hi:[1,0,1]
	s_nop 0
	v_mov_b32_e32 v6, v35
	v_mov_b32_e32 v9, v7
	v_pk_mul_f32 v[6:7], v[66:67], v[6:7] op_sel:[1,0] op_sel_hi:[0,0]
	v_pk_add_f32 v[4:5], v[4:5], v[8:9]
	v_pk_fma_f32 v[8:9], v[66:67], v[34:35], v[6:7] neg_lo:[0,0,1] neg_hi:[0,0,1]
	v_pk_fma_f32 v[6:7], v[66:67], v[34:35], v[6:7] op_sel_hi:[1,0,1]
	s_nop 0
	v_mov_b32_e32 v9, v7
	s_waitcnt vmcnt(1) lgkmcnt(0)
	v_pk_mul_f32 v[6:7], v[72:73], v[68:69] op_sel:[1,1] op_sel_hi:[0,1]
	v_pk_add_f32 v[4:5], v[4:5], v[8:9]
	v_pk_fma_f32 v[8:9], v[72:73], v[68:69], v[6:7] neg_lo:[0,0,1] neg_hi:[0,0,1]
	v_pk_fma_f32 v[6:7], v[72:73], v[68:69], v[6:7] op_sel_hi:[1,0,1]
	s_nop 0
	v_mov_b32_e32 v9, v7
	v_pk_add_f32 v[4:5], v[4:5], v[8:9]
	s_waitcnt vmcnt(0)
	v_pk_add_f32 v[4:5], v[70:71], v[4:5] neg_lo:[0,1] neg_hi:[0,1]
	scratch_store_dwordx2 off, v[4:5], off offset:344
	s_and_saveexec_b64 s[0:1], vcc
	s_cbranch_execz .LBB124_295
; %bb.294:
	scratch_load_dwordx2 v[4:5], off, off offset:336
	v_mov_b32_e32 v3, v2
	scratch_store_dwordx2 off, v[2:3], off offset:336
	s_waitcnt vmcnt(1)
	ds_write_b64 v1, v[4:5]
.LBB124_295:
	s_or_b64 exec, exec, s[0:1]
	s_waitcnt lgkmcnt(0)
	; wave barrier
	scratch_load_dwordx4 v[4:7], off, off offset:344
	scratch_load_dwordx4 v[8:11], off, off offset:360
	;; [unrolled: 1-line block ×7, first 2 shown]
	ds_read2_b64 v[32:35], v2 offset0:105 offset1:106
	ds_read2_b64 v[36:39], v2 offset0:107 offset1:108
	;; [unrolled: 1-line block ×4, first 2 shown]
	scratch_load_dwordx4 v[48:51], off, off offset:456
	scratch_load_dwordx4 v[52:55], off, off offset:472
	ds_read2_b64 v[56:59], v2 offset0:113 offset1:114
	ds_read2_b64 v[60:63], v2 offset0:115 offset1:116
	;; [unrolled: 1-line block ×5, first 2 shown]
	scratch_load_dwordx2 v[2:3], off, off offset:336
	v_cmp_lt_u32_e32 vcc, 41, v0
	s_waitcnt vmcnt(9) lgkmcnt(8)
	v_mul_f32_e32 v83, v32, v5
	v_mul_f32_e32 v86, v34, v7
	s_waitcnt vmcnt(8) lgkmcnt(7)
	v_mul_f32_e32 v87, v36, v9
	s_waitcnt vmcnt(7) lgkmcnt(6)
	v_mul_f32_e32 v89, v40, v13
	v_mul_f32_e32 v5, v33, v5
	;; [unrolled: 1-line block ×5, first 2 shown]
	s_waitcnt vmcnt(4) lgkmcnt(3)
	v_pk_mul_f32 v[80:81], v[60:61], v[24:25] op_sel:[1,1] op_sel_hi:[0,1]
	v_mov_b32_e32 v82, v27
	s_waitcnt vmcnt(3) lgkmcnt(2)
	v_pk_mul_f32 v[84:85], v[64:65], v[28:29] op_sel:[1,1] op_sel_hi:[0,1]
	v_fmac_f32_e32 v83, v33, v4
	v_mul_f32_e32 v90, v42, v15
	v_mul_f32_e32 v91, v44, v17
	;; [unrolled: 1-line block ×4, first 2 shown]
	v_fmac_f32_e32 v86, v35, v6
	v_fmac_f32_e32 v87, v37, v8
	;; [unrolled: 1-line block ×3, first 2 shown]
	v_fma_f32 v32, v32, v4, -v5
	v_fma_f32 v33, v34, v6, -v7
	;; [unrolled: 1-line block ×4, first 2 shown]
	v_pk_fma_f32 v[4:5], v[60:61], v[24:25], v[80:81] neg_lo:[0,0,1] neg_hi:[0,0,1]
	v_pk_fma_f32 v[6:7], v[60:61], v[24:25], v[80:81] op_sel_hi:[1,0,1]
	v_pk_mul_f32 v[8:9], v[62:63], v[82:83] op_sel:[1,0] op_sel_hi:[0,0]
	v_pk_fma_f32 v[12:13], v[64:65], v[28:29], v[84:85] op_sel_hi:[1,0,1]
	v_fmac_f32_e32 v90, v43, v14
	v_fma_f32 v14, v42, v14, -v15
	v_fma_f32 v15, v44, v16, -v17
	v_add_f32_e32 v12, 0, v83
	v_add_f32_e32 v17, 0, v32
	v_mov_b32_e32 v5, v7
	v_pk_fma_f32 v[6:7], v[62:63], v[26:27], v[8:9] neg_lo:[0,0,1] neg_hi:[0,0,1]
	v_pk_fma_f32 v[8:9], v[62:63], v[26:27], v[8:9] op_sel_hi:[1,0,1]
	v_mul_f32_e32 v88, v38, v11
	v_mul_f32_e32 v11, v39, v11
	v_add_f32_e32 v8, v12, v86
	v_add_f32_e32 v12, v17, v33
	v_fmac_f32_e32 v88, v39, v10
	v_fma_f32 v35, v38, v10, -v11
	v_mov_b32_e32 v7, v9
	v_add_f32_e32 v8, v8, v87
	v_add_f32_e32 v9, v12, v34
	;; [unrolled: 1-line block ×6, first 2 shown]
	v_mul_f32_e32 v92, v46, v19
	v_mul_f32_e32 v19, v47, v19
	v_fmac_f32_e32 v91, v45, v16
	v_add_f32_e32 v8, v8, v90
	v_add_f32_e32 v9, v9, v14
	v_mul_f32_e32 v77, v56, v21
	v_mul_f32_e32 v21, v57, v21
	v_fmac_f32_e32 v92, v47, v18
	v_fma_f32 v16, v46, v18, -v19
	v_add_f32_e32 v8, v8, v91
	v_add_f32_e32 v12, v9, v15
	v_mul_f32_e32 v79, v58, v23
	v_mul_f32_e32 v23, v59, v23
	v_fmac_f32_e32 v77, v57, v20
	v_fma_f32 v76, v56, v20, -v21
	v_add_f32_e32 v9, v8, v92
	v_add_f32_e32 v8, v12, v16
	v_fmac_f32_e32 v79, v59, v22
	v_fma_f32 v78, v58, v22, -v23
	v_pk_add_f32 v[8:9], v[8:9], v[76:77]
	v_pk_fma_f32 v[10:11], v[64:65], v[28:29], v[84:85] neg_lo:[0,0,1] neg_hi:[0,0,1]
	v_pk_add_f32 v[8:9], v[8:9], v[78:79]
	v_mov_b32_e32 v11, v13
	v_pk_add_f32 v[4:5], v[8:9], v[4:5]
	s_nop 0
	v_pk_add_f32 v[4:5], v[4:5], v[6:7]
	v_mov_b32_e32 v6, v31
	v_pk_mul_f32 v[6:7], v[66:67], v[6:7] op_sel:[1,0] op_sel_hi:[0,0]
	v_pk_fma_f32 v[8:9], v[66:67], v[30:31], v[6:7] neg_lo:[0,0,1] neg_hi:[0,0,1]
	v_pk_fma_f32 v[6:7], v[66:67], v[30:31], v[6:7] op_sel_hi:[1,0,1]
	v_pk_add_f32 v[4:5], v[4:5], v[10:11]
	v_mov_b32_e32 v9, v7
	s_waitcnt vmcnt(2) lgkmcnt(1)
	v_pk_mul_f32 v[6:7], v[68:69], v[48:49] op_sel:[1,1] op_sel_hi:[0,1]
	v_pk_add_f32 v[4:5], v[4:5], v[8:9]
	v_pk_fma_f32 v[8:9], v[68:69], v[48:49], v[6:7] neg_lo:[0,0,1] neg_hi:[0,0,1]
	v_pk_fma_f32 v[6:7], v[68:69], v[48:49], v[6:7] op_sel_hi:[1,0,1]
	s_nop 0
	v_mov_b32_e32 v6, v51
	v_mov_b32_e32 v9, v7
	v_pk_mul_f32 v[6:7], v[70:71], v[6:7] op_sel:[1,0] op_sel_hi:[0,0]
	v_pk_add_f32 v[4:5], v[4:5], v[8:9]
	v_pk_fma_f32 v[8:9], v[70:71], v[50:51], v[6:7] neg_lo:[0,0,1] neg_hi:[0,0,1]
	v_pk_fma_f32 v[6:7], v[70:71], v[50:51], v[6:7] op_sel_hi:[1,0,1]
	s_nop 0
	v_mov_b32_e32 v9, v7
	s_waitcnt vmcnt(1) lgkmcnt(0)
	v_pk_mul_f32 v[6:7], v[72:73], v[52:53] op_sel:[1,1] op_sel_hi:[0,1]
	v_pk_add_f32 v[4:5], v[4:5], v[8:9]
	v_pk_fma_f32 v[8:9], v[72:73], v[52:53], v[6:7] neg_lo:[0,0,1] neg_hi:[0,0,1]
	v_pk_fma_f32 v[6:7], v[72:73], v[52:53], v[6:7] op_sel_hi:[1,0,1]
	s_nop 0
	v_mov_b32_e32 v6, v55
	v_mov_b32_e32 v9, v7
	v_pk_mul_f32 v[6:7], v[74:75], v[6:7] op_sel:[1,0] op_sel_hi:[0,0]
	v_pk_add_f32 v[4:5], v[4:5], v[8:9]
	v_pk_fma_f32 v[8:9], v[74:75], v[54:55], v[6:7] neg_lo:[0,0,1] neg_hi:[0,0,1]
	v_pk_fma_f32 v[6:7], v[74:75], v[54:55], v[6:7] op_sel_hi:[1,0,1]
	s_nop 0
	v_mov_b32_e32 v9, v7
	v_pk_add_f32 v[4:5], v[4:5], v[8:9]
	s_waitcnt vmcnt(0)
	v_pk_add_f32 v[2:3], v[2:3], v[4:5] neg_lo:[0,1] neg_hi:[0,1]
	scratch_store_dwordx2 off, v[2:3], off offset:336
	s_and_saveexec_b64 s[0:1], vcc
	s_cbranch_execz .LBB124_297
; %bb.296:
	scratch_load_dwordx2 v[2:3], off, off offset:328
	v_mov_b32_e32 v4, 0
	v_mov_b32_e32 v5, v4
	scratch_store_dwordx2 off, v[4:5], off offset:328
	s_waitcnt vmcnt(1)
	ds_write_b64 v1, v[2:3]
.LBB124_297:
	s_or_b64 exec, exec, s[0:1]
	s_waitcnt lgkmcnt(0)
	; wave barrier
	scratch_load_dwordx4 v[4:7], off, off offset:336
	scratch_load_dwordx4 v[8:11], off, off offset:352
	;; [unrolled: 1-line block ×9, first 2 shown]
	scratch_load_dwordx2 v[76:77], off, off offset:480
	scratch_load_dwordx2 v[78:79], off, off offset:328
	v_mov_b32_e32 v2, 0
	ds_read_b128 v[40:43], v2 offset:832
	ds_read_b128 v[44:47], v2 offset:848
	;; [unrolled: 1-line block ×9, first 2 shown]
	ds_read_b64 v[80:81], v2 offset:976
	v_cmp_lt_u32_e32 vcc, 40, v0
	s_waitcnt vmcnt(10) lgkmcnt(9)
	v_mul_f32_e32 v87, v42, v7
	v_mul_f32_e32 v3, v40, v5
	;; [unrolled: 1-line block ×3, first 2 shown]
	v_fmac_f32_e32 v87, v43, v6
	s_waitcnt vmcnt(9) lgkmcnt(8)
	v_mul_f32_e32 v88, v44, v9
	s_waitcnt vmcnt(5)
	v_mov_b32_e32 v86, v27
	v_mul_f32_e32 v89, v46, v11
	s_waitcnt lgkmcnt(7)
	v_mul_f32_e32 v91, v50, v15
	v_mul_f32_e32 v7, v43, v7
	v_mul_f32_e32 v9, v45, v9
	v_mul_f32_e32 v11, v47, v11
	v_mul_f32_e32 v15, v51, v15
	v_fmac_f32_e32 v3, v41, v4
	v_fma_f32 v40, v40, v4, -v5
	s_waitcnt lgkmcnt(4)
	v_pk_mul_f32 v[4:5], v[62:63], v[86:87] op_sel:[1,0] op_sel_hi:[0,0]
	v_fmac_f32_e32 v88, v45, v8
	v_fma_f32 v41, v42, v6, -v7
	v_fma_f32 v8, v44, v8, -v9
	;; [unrolled: 1-line block ×4, first 2 shown]
	v_add_f32_e32 v3, 0, v3
	v_add_f32_e32 v15, 0, v40
	v_pk_fma_f32 v[6:7], v[62:63], v[26:27], v[4:5] neg_lo:[0,0,1] neg_hi:[0,0,1]
	v_pk_fma_f32 v[4:5], v[62:63], v[26:27], v[4:5] op_sel_hi:[1,0,1]
	v_add_f32_e32 v3, v3, v87
	v_add_f32_e32 v4, v15, v41
	v_mul_f32_e32 v90, v48, v13
	v_mul_f32_e32 v13, v49, v13
	v_fmac_f32_e32 v89, v47, v10
	v_add_f32_e32 v3, v3, v88
	v_add_f32_e32 v4, v4, v8
	v_fmac_f32_e32 v90, v49, v12
	v_fma_f32 v10, v48, v12, -v13
	v_add_f32_e32 v3, v3, v89
	v_add_f32_e32 v4, v4, v9
	v_mul_f32_e32 v92, v52, v17
	v_mul_f32_e32 v17, v53, v17
	v_fmac_f32_e32 v91, v51, v14
	v_add_f32_e32 v3, v3, v90
	v_add_f32_e32 v4, v4, v10
	v_mul_f32_e32 v93, v54, v19
	v_mul_f32_e32 v19, v55, v19
	v_fmac_f32_e32 v92, v53, v16
	v_fma_f32 v12, v52, v16, -v17
	v_add_f32_e32 v3, v3, v91
	v_add_f32_e32 v4, v4, v11
	v_mul_f32_e32 v94, v56, v21
	v_mul_f32_e32 v21, v57, v21
	v_fmac_f32_e32 v93, v55, v18
	v_fma_f32 v13, v54, v18, -v19
	;; [unrolled: 6-line block ×4, first 2 shown]
	v_mov_b32_e32 v7, v5
	v_add_f32_e32 v5, v3, v94
	v_add_f32_e32 v4, v4, v14
	v_fmac_f32_e32 v85, v61, v24
	v_fma_f32 v84, v60, v24, -v25
	v_pk_add_f32 v[4:5], v[4:5], v[82:83]
	s_nop 0
	v_pk_add_f32 v[4:5], v[4:5], v[84:85]
	s_nop 0
	v_pk_add_f32 v[4:5], v[4:5], v[6:7]
	s_waitcnt vmcnt(4) lgkmcnt(3)
	v_pk_mul_f32 v[6:7], v[64:65], v[28:29] op_sel:[1,1] op_sel_hi:[0,1]
	v_pk_fma_f32 v[8:9], v[64:65], v[28:29], v[6:7] neg_lo:[0,0,1] neg_hi:[0,0,1]
	v_pk_fma_f32 v[6:7], v[64:65], v[28:29], v[6:7] op_sel_hi:[1,0,1]
	s_nop 0
	v_mov_b32_e32 v6, v31
	v_mov_b32_e32 v9, v7
	v_pk_mul_f32 v[6:7], v[66:67], v[6:7] op_sel:[1,0] op_sel_hi:[0,0]
	v_pk_add_f32 v[4:5], v[4:5], v[8:9]
	v_pk_fma_f32 v[8:9], v[66:67], v[30:31], v[6:7] neg_lo:[0,0,1] neg_hi:[0,0,1]
	v_pk_fma_f32 v[6:7], v[66:67], v[30:31], v[6:7] op_sel_hi:[1,0,1]
	s_nop 0
	v_mov_b32_e32 v9, v7
	s_waitcnt vmcnt(3) lgkmcnt(2)
	v_pk_mul_f32 v[6:7], v[68:69], v[32:33] op_sel:[1,1] op_sel_hi:[0,1]
	v_pk_add_f32 v[4:5], v[4:5], v[8:9]
	v_pk_fma_f32 v[8:9], v[68:69], v[32:33], v[6:7] neg_lo:[0,0,1] neg_hi:[0,0,1]
	v_pk_fma_f32 v[6:7], v[68:69], v[32:33], v[6:7] op_sel_hi:[1,0,1]
	s_nop 0
	v_mov_b32_e32 v6, v35
	v_mov_b32_e32 v9, v7
	v_pk_mul_f32 v[6:7], v[70:71], v[6:7] op_sel:[1,0] op_sel_hi:[0,0]
	v_pk_add_f32 v[4:5], v[4:5], v[8:9]
	v_pk_fma_f32 v[8:9], v[70:71], v[34:35], v[6:7] neg_lo:[0,0,1] neg_hi:[0,0,1]
	v_pk_fma_f32 v[6:7], v[70:71], v[34:35], v[6:7] op_sel_hi:[1,0,1]
	s_nop 0
	v_mov_b32_e32 v9, v7
	s_waitcnt vmcnt(2) lgkmcnt(1)
	v_pk_mul_f32 v[6:7], v[72:73], v[36:37] op_sel:[1,1] op_sel_hi:[0,1]
	v_pk_add_f32 v[4:5], v[4:5], v[8:9]
	;; [unrolled: 14-line block ×3, first 2 shown]
	v_pk_fma_f32 v[8:9], v[80:81], v[76:77], v[6:7] neg_lo:[0,0,1] neg_hi:[0,0,1]
	v_pk_fma_f32 v[6:7], v[80:81], v[76:77], v[6:7] op_sel_hi:[1,0,1]
	s_nop 0
	v_mov_b32_e32 v9, v7
	v_pk_add_f32 v[4:5], v[4:5], v[8:9]
	s_waitcnt vmcnt(0)
	v_pk_add_f32 v[4:5], v[78:79], v[4:5] neg_lo:[0,1] neg_hi:[0,1]
	scratch_store_dwordx2 off, v[4:5], off offset:328
	s_and_saveexec_b64 s[0:1], vcc
	s_cbranch_execz .LBB124_299
; %bb.298:
	scratch_load_dwordx2 v[4:5], off, off offset:320
	v_mov_b32_e32 v3, v2
	scratch_store_dwordx2 off, v[2:3], off offset:320
	s_waitcnt vmcnt(1)
	ds_write_b64 v1, v[4:5]
.LBB124_299:
	s_or_b64 exec, exec, s[0:1]
	s_waitcnt lgkmcnt(0)
	; wave barrier
	scratch_load_dwordx4 v[4:7], off, off offset:328
	scratch_load_dwordx4 v[8:11], off, off offset:344
	;; [unrolled: 1-line block ×7, first 2 shown]
	ds_read2_b64 v[32:35], v2 offset0:103 offset1:104
	ds_read2_b64 v[36:39], v2 offset0:105 offset1:106
	;; [unrolled: 1-line block ×6, first 2 shown]
	scratch_load_dwordx4 v[56:59], off, off offset:440
	scratch_load_dwordx4 v[60:63], off, off offset:456
	;; [unrolled: 1-line block ×3, first 2 shown]
	ds_read2_b64 v[68:71], v2 offset0:115 offset1:116
	ds_read2_b64 v[72:75], v2 offset0:117 offset1:118
	;; [unrolled: 1-line block ×4, first 2 shown]
	scratch_load_dwordx2 v[2:3], off, off offset:320
	v_cmp_lt_u32_e32 vcc, 39, v0
	s_waitcnt vmcnt(10) lgkmcnt(9)
	v_mul_f32_e32 v90, v32, v5
	v_mul_f32_e32 v5, v33, v5
	v_mul_f32_e32 v91, v34, v7
	s_waitcnt vmcnt(9) lgkmcnt(8)
	v_mul_f32_e32 v92, v36, v9
	s_waitcnt vmcnt(8) lgkmcnt(7)
	v_mul_f32_e32 v95, v42, v15
	v_mul_f32_e32 v7, v35, v7
	;; [unrolled: 1-line block ×4, first 2 shown]
	v_fmac_f32_e32 v90, v33, v4
	v_fma_f32 v4, v32, v4, -v5
	v_fmac_f32_e32 v91, v35, v6
	v_fmac_f32_e32 v95, v43, v14
	v_fma_f32 v5, v34, v6, -v7
	v_fma_f32 v6, v36, v8, -v9
	;; [unrolled: 1-line block ×3, first 2 shown]
	v_add_f32_e32 v14, 0, v90
	v_add_f32_e32 v4, 0, v4
	v_mul_f32_e32 v93, v38, v11
	v_mul_f32_e32 v11, v39, v11
	v_fmac_f32_e32 v92, v37, v8
	v_add_f32_e32 v14, v14, v91
	v_add_f32_e32 v4, v4, v5
	v_mul_f32_e32 v94, v40, v13
	v_mul_f32_e32 v13, v41, v13
	v_fmac_f32_e32 v93, v39, v10
	v_fma_f32 v7, v38, v10, -v11
	v_add_f32_e32 v5, v14, v92
	v_add_f32_e32 v4, v4, v6
	v_fmac_f32_e32 v94, v41, v12
	v_fma_f32 v8, v40, v12, -v13
	v_add_f32_e32 v5, v5, v93
	v_add_f32_e32 v4, v4, v7
	s_waitcnt vmcnt(7) lgkmcnt(6)
	v_mul_f32_e32 v96, v44, v17
	v_mul_f32_e32 v17, v45, v17
	v_add_f32_e32 v5, v5, v94
	v_add_f32_e32 v4, v4, v8
	v_mul_f32_e32 v97, v46, v19
	v_mul_f32_e32 v19, v47, v19
	v_fmac_f32_e32 v96, v45, v16
	v_fma_f32 v10, v44, v16, -v17
	v_add_f32_e32 v5, v5, v95
	v_add_f32_e32 v4, v4, v9
	s_waitcnt vmcnt(6) lgkmcnt(5)
	v_mul_f32_e32 v98, v48, v21
	v_mul_f32_e32 v21, v49, v21
	v_fmac_f32_e32 v97, v47, v18
	v_fma_f32 v11, v46, v18, -v19
	v_add_f32_e32 v5, v5, v96
	v_add_f32_e32 v4, v4, v10
	v_mul_f32_e32 v99, v50, v23
	v_mul_f32_e32 v23, v51, v23
	v_fmac_f32_e32 v98, v49, v20
	v_fma_f32 v12, v48, v20, -v21
	v_add_f32_e32 v5, v5, v97
	v_add_f32_e32 v4, v4, v11
	s_waitcnt vmcnt(5) lgkmcnt(4)
	v_mul_f32_e32 v85, v52, v25
	v_mul_f32_e32 v25, v53, v25
	v_fmac_f32_e32 v99, v51, v22
	v_fma_f32 v13, v50, v22, -v23
	v_add_f32_e32 v5, v5, v98
	v_add_f32_e32 v4, v4, v12
	v_mul_f32_e32 v87, v54, v27
	v_mul_f32_e32 v27, v55, v27
	s_waitcnt vmcnt(4) lgkmcnt(3)
	v_pk_mul_f32 v[88:89], v[68:69], v[28:29] op_sel:[1,1] op_sel_hi:[0,1]
	v_fmac_f32_e32 v85, v53, v24
	v_fma_f32 v84, v52, v24, -v25
	v_add_f32_e32 v5, v5, v99
	v_add_f32_e32 v4, v4, v13
	v_fmac_f32_e32 v87, v55, v26
	v_fma_f32 v86, v54, v26, -v27
	v_pk_add_f32 v[4:5], v[4:5], v[84:85]
	v_pk_fma_f32 v[6:7], v[68:69], v[28:29], v[88:89] neg_lo:[0,0,1] neg_hi:[0,0,1]
	v_pk_fma_f32 v[8:9], v[68:69], v[28:29], v[88:89] op_sel_hi:[1,0,1]
	v_pk_add_f32 v[4:5], v[4:5], v[86:87]
	v_mov_b32_e32 v7, v9
	v_pk_add_f32 v[4:5], v[4:5], v[6:7]
	v_mov_b32_e32 v6, v31
	v_pk_mul_f32 v[6:7], v[70:71], v[6:7] op_sel:[1,0] op_sel_hi:[0,0]
	v_pk_fma_f32 v[8:9], v[70:71], v[30:31], v[6:7] neg_lo:[0,0,1] neg_hi:[0,0,1]
	v_pk_fma_f32 v[6:7], v[70:71], v[30:31], v[6:7] op_sel_hi:[1,0,1]
	s_nop 0
	v_mov_b32_e32 v9, v7
	s_waitcnt vmcnt(3) lgkmcnt(2)
	v_pk_mul_f32 v[6:7], v[72:73], v[56:57] op_sel:[1,1] op_sel_hi:[0,1]
	v_pk_add_f32 v[4:5], v[4:5], v[8:9]
	v_pk_fma_f32 v[8:9], v[72:73], v[56:57], v[6:7] neg_lo:[0,0,1] neg_hi:[0,0,1]
	v_pk_fma_f32 v[6:7], v[72:73], v[56:57], v[6:7] op_sel_hi:[1,0,1]
	s_nop 0
	v_mov_b32_e32 v6, v59
	v_mov_b32_e32 v9, v7
	v_pk_mul_f32 v[6:7], v[74:75], v[6:7] op_sel:[1,0] op_sel_hi:[0,0]
	v_pk_add_f32 v[4:5], v[4:5], v[8:9]
	v_pk_fma_f32 v[8:9], v[74:75], v[58:59], v[6:7] neg_lo:[0,0,1] neg_hi:[0,0,1]
	v_pk_fma_f32 v[6:7], v[74:75], v[58:59], v[6:7] op_sel_hi:[1,0,1]
	s_nop 0
	v_mov_b32_e32 v9, v7
	s_waitcnt vmcnt(2) lgkmcnt(1)
	v_pk_mul_f32 v[6:7], v[76:77], v[60:61] op_sel:[1,1] op_sel_hi:[0,1]
	v_pk_add_f32 v[4:5], v[4:5], v[8:9]
	v_pk_fma_f32 v[8:9], v[76:77], v[60:61], v[6:7] neg_lo:[0,0,1] neg_hi:[0,0,1]
	v_pk_fma_f32 v[6:7], v[76:77], v[60:61], v[6:7] op_sel_hi:[1,0,1]
	s_nop 0
	v_mov_b32_e32 v6, v63
	v_mov_b32_e32 v9, v7
	v_pk_mul_f32 v[6:7], v[78:79], v[6:7] op_sel:[1,0] op_sel_hi:[0,0]
	v_pk_add_f32 v[4:5], v[4:5], v[8:9]
	;; [unrolled: 14-line block ×3, first 2 shown]
	v_pk_fma_f32 v[8:9], v[82:83], v[66:67], v[6:7] neg_lo:[0,0,1] neg_hi:[0,0,1]
	v_pk_fma_f32 v[6:7], v[82:83], v[66:67], v[6:7] op_sel_hi:[1,0,1]
	s_nop 0
	v_mov_b32_e32 v9, v7
	v_pk_add_f32 v[4:5], v[4:5], v[8:9]
	s_waitcnt vmcnt(0)
	v_pk_add_f32 v[2:3], v[2:3], v[4:5] neg_lo:[0,1] neg_hi:[0,1]
	scratch_store_dwordx2 off, v[2:3], off offset:320
	s_and_saveexec_b64 s[0:1], vcc
	s_cbranch_execz .LBB124_301
; %bb.300:
	scratch_load_dwordx2 v[2:3], off, off offset:312
	v_mov_b32_e32 v4, 0
	v_mov_b32_e32 v5, v4
	scratch_store_dwordx2 off, v[4:5], off offset:312
	s_waitcnt vmcnt(1)
	ds_write_b64 v1, v[2:3]
.LBB124_301:
	s_or_b64 exec, exec, s[0:1]
	s_waitcnt lgkmcnt(0)
	; wave barrier
	scratch_load_dwordx4 v[2:5], off, off offset:320
	scratch_load_dwordx4 v[6:9], off, off offset:336
	;; [unrolled: 1-line block ×10, first 2 shown]
	scratch_load_dwordx2 v[76:77], off, off offset:480
	scratch_load_dwordx2 v[78:79], off, off offset:312
	v_mov_b32_e32 v10, 0
	ds_read_b128 v[44:47], v10 offset:816
	ds_read_b128 v[48:51], v10 offset:832
	;; [unrolled: 1-line block ×8, first 2 shown]
	v_cmp_lt_u32_e32 vcc, 38, v0
	s_waitcnt vmcnt(11) lgkmcnt(7)
	v_mul_f32_e32 v11, v44, v3
	v_mul_f32_e32 v3, v45, v3
	;; [unrolled: 1-line block ×4, first 2 shown]
	v_fmac_f32_e32 v11, v45, v2
	v_fma_f32 v2, v44, v2, -v3
	s_waitcnt vmcnt(10) lgkmcnt(6)
	v_mul_f32_e32 v82, v48, v7
	v_mul_f32_e32 v7, v49, v7
	v_fma_f32 v3, v46, v4, -v5
	v_add_f32_e32 v2, 0, v2
	v_mul_f32_e32 v84, v50, v9
	v_mul_f32_e32 v9, v51, v9
	v_fmac_f32_e32 v80, v47, v4
	v_fma_f32 v4, v48, v6, -v7
	v_add_f32_e32 v11, 0, v11
	v_add_f32_e32 v2, v2, v3
	s_waitcnt vmcnt(9) lgkmcnt(5)
	v_mul_f32_e32 v85, v52, v13
	v_mul_f32_e32 v13, v53, v13
	v_fmac_f32_e32 v82, v49, v6
	v_fma_f32 v5, v50, v8, -v9
	v_add_f32_e32 v11, v11, v80
	v_add_f32_e32 v2, v2, v4
	v_mul_f32_e32 v86, v54, v15
	v_mul_f32_e32 v15, v55, v15
	v_fmac_f32_e32 v84, v51, v8
	v_fma_f32 v6, v52, v12, -v13
	v_add_f32_e32 v3, v11, v82
	v_add_f32_e32 v2, v2, v5
	s_waitcnt vmcnt(8) lgkmcnt(4)
	v_mul_f32_e32 v87, v56, v17
	v_mul_f32_e32 v17, v57, v17
	v_fmac_f32_e32 v85, v53, v12
	v_fma_f32 v7, v54, v14, -v15
	v_add_f32_e32 v3, v3, v84
	;; [unrolled: 13-line block ×4, first 2 shown]
	v_add_f32_e32 v2, v2, v12
	v_fmac_f32_e32 v90, v63, v22
	v_fma_f32 v14, v64, v24, -v25
	v_add_f32_e32 v3, v3, v89
	v_add_f32_e32 v2, v2, v13
	v_mul_f32_e32 v81, v66, v27
	v_fmac_f32_e32 v91, v65, v24
	v_add_f32_e32 v3, v3, v90
	v_add_f32_e32 v12, v2, v14
	v_mul_f32_e32 v2, v67, v27
	s_waitcnt vmcnt(5)
	v_mov_b32_e32 v16, v31
	s_waitcnt lgkmcnt(1)
	v_mul_f32_e32 v83, v68, v29
	v_fmac_f32_e32 v81, v67, v26
	v_add_f32_e32 v13, v3, v91
	v_fma_f32 v80, v66, v26, -v2
	v_mul_f32_e32 v2, v69, v29
	v_pk_mul_f32 v[16:17], v[70:71], v[16:17] op_sel:[1,0] op_sel_hi:[0,0]
	v_fmac_f32_e32 v83, v69, v28
	v_fma_f32 v82, v68, v28, -v2
	v_pk_add_f32 v[12:13], v[12:13], v[80:81]
	v_pk_fma_f32 v[18:19], v[70:71], v[30:31], v[16:17] neg_lo:[0,0,1] neg_hi:[0,0,1]
	v_pk_fma_f32 v[16:17], v[70:71], v[30:31], v[16:17] op_sel_hi:[1,0,1]
	v_pk_add_f32 v[12:13], v[12:13], v[82:83]
	v_mov_b32_e32 v19, v17
	s_waitcnt vmcnt(4) lgkmcnt(0)
	v_pk_mul_f32 v[16:17], v[72:73], v[32:33] op_sel:[1,1] op_sel_hi:[0,1]
	v_pk_add_f32 v[12:13], v[12:13], v[18:19]
	v_pk_fma_f32 v[18:19], v[72:73], v[32:33], v[16:17] neg_lo:[0,0,1] neg_hi:[0,0,1]
	v_pk_fma_f32 v[16:17], v[72:73], v[32:33], v[16:17] op_sel_hi:[1,0,1]
	ds_read_b128 v[2:5], v10 offset:944
	ds_read_b128 v[6:9], v10 offset:960
	ds_read_b64 v[14:15], v10 offset:976
	v_mov_b32_e32 v16, v35
	v_mov_b32_e32 v19, v17
	v_pk_mul_f32 v[16:17], v[74:75], v[16:17] op_sel:[1,0] op_sel_hi:[0,0]
	v_pk_add_f32 v[12:13], v[12:13], v[18:19]
	v_pk_fma_f32 v[18:19], v[74:75], v[34:35], v[16:17] neg_lo:[0,0,1] neg_hi:[0,0,1]
	v_pk_fma_f32 v[16:17], v[74:75], v[34:35], v[16:17] op_sel_hi:[1,0,1]
	s_nop 0
	v_mov_b32_e32 v19, v17
	s_waitcnt vmcnt(3) lgkmcnt(2)
	v_pk_mul_f32 v[16:17], v[2:3], v[36:37] op_sel:[1,1] op_sel_hi:[0,1]
	v_pk_add_f32 v[12:13], v[12:13], v[18:19]
	v_pk_fma_f32 v[18:19], v[2:3], v[36:37], v[16:17] neg_lo:[0,0,1] neg_hi:[0,0,1]
	v_pk_fma_f32 v[2:3], v[2:3], v[36:37], v[16:17] op_sel_hi:[1,0,1]
	s_nop 0
	v_mov_b32_e32 v19, v3
	v_pk_add_f32 v[2:3], v[12:13], v[18:19]
	v_mov_b32_e32 v12, v39
	v_pk_mul_f32 v[12:13], v[4:5], v[12:13] op_sel:[1,0] op_sel_hi:[0,0]
	v_pk_fma_f32 v[16:17], v[4:5], v[38:39], v[12:13] neg_lo:[0,0,1] neg_hi:[0,0,1]
	v_pk_fma_f32 v[4:5], v[4:5], v[38:39], v[12:13] op_sel_hi:[1,0,1]
	s_nop 0
	v_mov_b32_e32 v17, v5
	s_waitcnt vmcnt(2) lgkmcnt(1)
	v_pk_mul_f32 v[4:5], v[6:7], v[40:41] op_sel:[1,1] op_sel_hi:[0,1]
	v_pk_fma_f32 v[12:13], v[6:7], v[40:41], v[4:5] neg_lo:[0,0,1] neg_hi:[0,0,1]
	v_pk_fma_f32 v[4:5], v[6:7], v[40:41], v[4:5] op_sel_hi:[1,0,1]
	v_pk_add_f32 v[2:3], v[2:3], v[16:17]
	v_mov_b32_e32 v4, v43
	v_mov_b32_e32 v13, v5
	v_pk_mul_f32 v[4:5], v[8:9], v[4:5] op_sel:[1,0] op_sel_hi:[0,0]
	v_pk_fma_f32 v[6:7], v[8:9], v[42:43], v[4:5] neg_lo:[0,0,1] neg_hi:[0,0,1]
	v_pk_fma_f32 v[4:5], v[8:9], v[42:43], v[4:5] op_sel_hi:[1,0,1]
	v_pk_add_f32 v[2:3], v[2:3], v[12:13]
	v_mov_b32_e32 v7, v5
	s_waitcnt vmcnt(1) lgkmcnt(0)
	v_pk_mul_f32 v[4:5], v[14:15], v[76:77] op_sel:[1,1] op_sel_hi:[0,1]
	v_pk_add_f32 v[2:3], v[2:3], v[6:7]
	v_pk_fma_f32 v[6:7], v[14:15], v[76:77], v[4:5] neg_lo:[0,0,1] neg_hi:[0,0,1]
	v_pk_fma_f32 v[4:5], v[14:15], v[76:77], v[4:5] op_sel_hi:[1,0,1]
	s_nop 0
	v_mov_b32_e32 v7, v5
	v_pk_add_f32 v[2:3], v[2:3], v[6:7]
	s_waitcnt vmcnt(0)
	v_pk_add_f32 v[2:3], v[78:79], v[2:3] neg_lo:[0,1] neg_hi:[0,1]
	scratch_store_dwordx2 off, v[2:3], off offset:312
	s_and_saveexec_b64 s[0:1], vcc
	s_cbranch_execz .LBB124_303
; %bb.302:
	scratch_load_dwordx2 v[2:3], off, off offset:304
	v_mov_b32_e32 v11, v10
	scratch_store_dwordx2 off, v[10:11], off offset:304
	s_waitcnt vmcnt(1)
	ds_write_b64 v1, v[2:3]
.LBB124_303:
	s_or_b64 exec, exec, s[0:1]
	s_waitcnt lgkmcnt(0)
	; wave barrier
	scratch_load_dwordx4 v[6:9], off, off offset:312
	scratch_load_dwordx4 v[12:15], off, off offset:328
	;; [unrolled: 1-line block ×7, first 2 shown]
	ds_read2_b64 v[36:39], v10 offset0:101 offset1:102
	ds_read2_b64 v[40:43], v10 offset0:103 offset1:104
	;; [unrolled: 1-line block ×6, first 2 shown]
	scratch_load_dwordx4 v[60:63], off, off offset:424
	scratch_load_dwordx4 v[64:67], off, off offset:440
	;; [unrolled: 1-line block ×4, first 2 shown]
	ds_read2_b64 v[72:75], v10 offset0:113 offset1:114
	ds_read2_b64 v[76:79], v10 offset0:115 offset1:116
	scratch_load_dwordx2 v[80:81], off, off offset:304
	v_cmp_lt_u32_e32 vcc, 37, v0
	s_waitcnt vmcnt(11) lgkmcnt(7)
	v_mul_f32_e32 v11, v36, v7
	v_mul_f32_e32 v82, v38, v9
	;; [unrolled: 1-line block ×3, first 2 shown]
	v_fmac_f32_e32 v11, v37, v6
	s_waitcnt vmcnt(10) lgkmcnt(6)
	v_mul_f32_e32 v84, v40, v13
	v_mul_f32_e32 v9, v39, v9
	v_fmac_f32_e32 v82, v39, v8
	v_fma_f32 v6, v36, v6, -v7
	v_add_f32_e32 v11, 0, v11
	v_mul_f32_e32 v86, v42, v15
	v_fmac_f32_e32 v84, v41, v12
	v_fma_f32 v7, v38, v8, -v9
	v_add_f32_e32 v6, 0, v6
	v_add_f32_e32 v11, v11, v82
	s_waitcnt vmcnt(9) lgkmcnt(5)
	v_mul_f32_e32 v87, v44, v17
	v_mul_f32_e32 v13, v41, v13
	v_fmac_f32_e32 v86, v43, v14
	v_add_f32_e32 v6, v6, v7
	v_add_f32_e32 v7, v11, v84
	v_mul_f32_e32 v88, v46, v19
	v_mul_f32_e32 v15, v43, v15
	v_fmac_f32_e32 v87, v45, v16
	v_fma_f32 v8, v40, v12, -v13
	v_add_f32_e32 v7, v7, v86
	s_waitcnt vmcnt(8) lgkmcnt(4)
	v_mul_f32_e32 v89, v48, v21
	v_mul_f32_e32 v17, v45, v17
	v_fmac_f32_e32 v88, v47, v18
	v_fma_f32 v9, v42, v14, -v15
	v_add_f32_e32 v6, v6, v8
	v_add_f32_e32 v7, v7, v87
	v_mul_f32_e32 v90, v50, v23
	v_mul_f32_e32 v19, v47, v19
	v_fmac_f32_e32 v89, v49, v20
	v_fma_f32 v12, v44, v16, -v17
	v_add_f32_e32 v6, v6, v9
	v_add_f32_e32 v7, v7, v88
	s_waitcnt vmcnt(7) lgkmcnt(3)
	v_mul_f32_e32 v91, v52, v25
	v_mul_f32_e32 v21, v49, v21
	v_fmac_f32_e32 v90, v51, v22
	v_fma_f32 v13, v46, v18, -v19
	v_add_f32_e32 v6, v6, v12
	v_add_f32_e32 v7, v7, v89
	v_mul_f32_e32 v92, v54, v27
	v_mul_f32_e32 v23, v51, v23
	v_fmac_f32_e32 v91, v53, v24
	v_fma_f32 v14, v48, v20, -v21
	v_add_f32_e32 v6, v6, v13
	;; [unrolled: 13-line block ×3, first 2 shown]
	v_add_f32_e32 v7, v7, v92
	v_mul_f32_e32 v29, v57, v29
	v_fmac_f32_e32 v94, v59, v30
	v_fma_f32 v17, v54, v26, -v27
	v_add_f32_e32 v6, v6, v16
	v_add_f32_e32 v7, v7, v93
	v_fma_f32 v18, v56, v28, -v29
	v_add_f32_e32 v6, v6, v17
	v_add_f32_e32 v21, v7, v94
	v_mul_f32_e32 v7, v59, v31
	v_add_f32_e32 v6, v6, v18
	v_fma_f32 v7, v58, v30, -v7
	s_waitcnt vmcnt(5) lgkmcnt(1)
	v_mul_f32_e32 v83, v72, v33
	v_add_f32_e32 v20, v6, v7
	v_mul_f32_e32 v6, v73, v33
	v_fmac_f32_e32 v83, v73, v32
	v_fma_f32 v82, v72, v32, -v6
	v_mul_f32_e32 v6, v75, v35
	v_fma_f32 v84, v74, v34, -v6
	ds_read2_b64 v[6:9], v10 offset0:117 offset1:118
	ds_read2_b64 v[12:15], v10 offset0:119 offset1:120
	;; [unrolled: 1-line block ×3, first 2 shown]
	v_pk_add_f32 v[10:11], v[20:21], v[82:83]
	s_waitcnt vmcnt(4) lgkmcnt(3)
	v_pk_mul_f32 v[20:21], v[76:77], v[60:61] op_sel:[1,1] op_sel_hi:[0,1]
	v_mul_f32_e32 v85, v74, v35
	v_pk_fma_f32 v[22:23], v[76:77], v[60:61], v[20:21] neg_lo:[0,0,1] neg_hi:[0,0,1]
	v_pk_fma_f32 v[20:21], v[76:77], v[60:61], v[20:21] op_sel_hi:[1,0,1]
	v_fmac_f32_e32 v85, v75, v34
	v_mov_b32_e32 v20, v63
	v_pk_add_f32 v[10:11], v[10:11], v[84:85]
	v_mov_b32_e32 v23, v21
	v_pk_mul_f32 v[20:21], v[78:79], v[20:21] op_sel:[1,0] op_sel_hi:[0,0]
	v_pk_add_f32 v[10:11], v[10:11], v[22:23]
	v_pk_fma_f32 v[22:23], v[78:79], v[62:63], v[20:21] neg_lo:[0,0,1] neg_hi:[0,0,1]
	v_pk_fma_f32 v[20:21], v[78:79], v[62:63], v[20:21] op_sel_hi:[1,0,1]
	s_nop 0
	v_mov_b32_e32 v23, v21
	s_waitcnt vmcnt(3) lgkmcnt(2)
	v_pk_mul_f32 v[20:21], v[6:7], v[64:65] op_sel:[1,1] op_sel_hi:[0,1]
	v_pk_add_f32 v[10:11], v[10:11], v[22:23]
	v_pk_fma_f32 v[22:23], v[6:7], v[64:65], v[20:21] neg_lo:[0,0,1] neg_hi:[0,0,1]
	v_pk_fma_f32 v[6:7], v[6:7], v[64:65], v[20:21] op_sel_hi:[1,0,1]
	s_nop 0
	v_mov_b32_e32 v23, v7
	v_pk_add_f32 v[6:7], v[10:11], v[22:23]
	v_mov_b32_e32 v10, v67
	v_pk_mul_f32 v[10:11], v[8:9], v[10:11] op_sel:[1,0] op_sel_hi:[0,0]
	v_pk_fma_f32 v[20:21], v[8:9], v[66:67], v[10:11] neg_lo:[0,0,1] neg_hi:[0,0,1]
	v_pk_fma_f32 v[8:9], v[8:9], v[66:67], v[10:11] op_sel_hi:[1,0,1]
	s_nop 0
	v_mov_b32_e32 v21, v9
	s_waitcnt vmcnt(2) lgkmcnt(1)
	v_pk_mul_f32 v[8:9], v[12:13], v[68:69] op_sel:[1,1] op_sel_hi:[0,1]
	v_pk_fma_f32 v[10:11], v[12:13], v[68:69], v[8:9] neg_lo:[0,0,1] neg_hi:[0,0,1]
	v_pk_fma_f32 v[8:9], v[12:13], v[68:69], v[8:9] op_sel_hi:[1,0,1]
	v_pk_add_f32 v[6:7], v[6:7], v[20:21]
	v_mov_b32_e32 v8, v71
	v_mov_b32_e32 v11, v9
	v_pk_mul_f32 v[8:9], v[14:15], v[8:9] op_sel:[1,0] op_sel_hi:[0,0]
	v_pk_add_f32 v[6:7], v[6:7], v[10:11]
	v_pk_fma_f32 v[10:11], v[14:15], v[70:71], v[8:9] neg_lo:[0,0,1] neg_hi:[0,0,1]
	v_pk_fma_f32 v[8:9], v[14:15], v[70:71], v[8:9] op_sel_hi:[1,0,1]
	s_nop 0
	v_mov_b32_e32 v11, v9
	s_waitcnt vmcnt(1) lgkmcnt(0)
	v_pk_mul_f32 v[8:9], v[16:17], v[2:3] op_sel:[1,1] op_sel_hi:[0,1]
	v_pk_add_f32 v[6:7], v[6:7], v[10:11]
	v_pk_fma_f32 v[10:11], v[16:17], v[2:3], v[8:9] neg_lo:[0,0,1] neg_hi:[0,0,1]
	v_pk_fma_f32 v[2:3], v[16:17], v[2:3], v[8:9] op_sel_hi:[1,0,1]
	s_nop 0
	v_mov_b32_e32 v11, v3
	v_pk_add_f32 v[2:3], v[6:7], v[10:11]
	v_mov_b32_e32 v6, v5
	v_pk_mul_f32 v[6:7], v[18:19], v[6:7] op_sel:[1,0] op_sel_hi:[0,0]
	v_pk_fma_f32 v[8:9], v[18:19], v[4:5], v[6:7] neg_lo:[0,0,1] neg_hi:[0,0,1]
	v_pk_fma_f32 v[4:5], v[18:19], v[4:5], v[6:7] op_sel_hi:[1,0,1]
	s_nop 0
	v_mov_b32_e32 v9, v5
	v_pk_add_f32 v[2:3], v[2:3], v[8:9]
	s_waitcnt vmcnt(0)
	v_pk_add_f32 v[2:3], v[80:81], v[2:3] neg_lo:[0,1] neg_hi:[0,1]
	scratch_store_dwordx2 off, v[2:3], off offset:304
	s_and_saveexec_b64 s[0:1], vcc
	s_cbranch_execz .LBB124_305
; %bb.304:
	scratch_load_dwordx2 v[2:3], off, off offset:296
	v_mov_b32_e32 v4, 0
	v_mov_b32_e32 v5, v4
	scratch_store_dwordx2 off, v[4:5], off offset:296
	s_waitcnt vmcnt(1)
	ds_write_b64 v1, v[2:3]
.LBB124_305:
	s_or_b64 exec, exec, s[0:1]
	s_waitcnt lgkmcnt(0)
	; wave barrier
	scratch_load_dwordx4 v[6:9], off, off offset:304
	scratch_load_dwordx4 v[14:17], off, off offset:320
	;; [unrolled: 1-line block ×11, first 2 shown]
	scratch_load_dwordx2 v[22:23], off, off offset:480
	scratch_load_dwordx2 v[36:37], off, off offset:296
	v_mov_b32_e32 v38, 0
	ds_read_b128 v[52:55], v38 offset:800
	ds_read_b128 v[56:59], v38 offset:816
	;; [unrolled: 1-line block ×8, first 2 shown]
	v_cmp_lt_u32_e32 vcc, 36, v0
	s_waitcnt vmcnt(12) lgkmcnt(7)
	v_mul_f32_e32 v39, v52, v7
	v_mul_f32_e32 v84, v54, v9
	;; [unrolled: 1-line block ×3, first 2 shown]
	v_fmac_f32_e32 v39, v53, v6
	s_waitcnt vmcnt(8) lgkmcnt(3)
	v_mul_f32_e32 v93, v68, v19
	v_mul_f32_e32 v19, v69, v19
	v_mul_f32_e32 v86, v56, v15
	v_mul_f32_e32 v9, v55, v9
	v_fmac_f32_e32 v84, v55, v8
	v_fmac_f32_e32 v93, v69, v18
	v_fma_f32 v6, v52, v6, -v7
	v_fma_f32 v18, v68, v18, -v19
	v_add_f32_e32 v19, 0, v39
	v_mul_f32_e32 v88, v58, v17
	v_fmac_f32_e32 v86, v57, v14
	v_fma_f32 v7, v54, v8, -v9
	v_add_f32_e32 v6, 0, v6
	v_add_f32_e32 v19, v19, v84
	v_mul_f32_e32 v89, v60, v25
	v_fmac_f32_e32 v88, v59, v16
	v_add_f32_e32 v6, v6, v7
	v_add_f32_e32 v7, v19, v86
	v_mul_f32_e32 v90, v62, v27
	v_fmac_f32_e32 v89, v61, v24
	v_add_f32_e32 v7, v7, v88
	v_mul_f32_e32 v91, v64, v29
	v_mul_f32_e32 v15, v57, v15
	v_fmac_f32_e32 v90, v63, v26
	v_add_f32_e32 v7, v7, v89
	v_mul_f32_e32 v92, v66, v31
	v_mul_f32_e32 v17, v59, v17
	v_fmac_f32_e32 v91, v65, v28
	v_fma_f32 v8, v56, v14, -v15
	v_add_f32_e32 v7, v7, v90
	v_mul_f32_e32 v25, v61, v25
	v_fmac_f32_e32 v92, v67, v30
	v_fma_f32 v9, v58, v16, -v17
	v_add_f32_e32 v6, v6, v8
	v_add_f32_e32 v7, v7, v91
	v_mul_f32_e32 v94, v70, v21
	v_mul_f32_e32 v27, v63, v27
	v_fma_f32 v14, v60, v24, -v25
	v_add_f32_e32 v6, v6, v9
	v_add_f32_e32 v7, v7, v92
	s_waitcnt vmcnt(7) lgkmcnt(2)
	v_mul_f32_e32 v95, v72, v33
	v_mul_f32_e32 v29, v65, v29
	v_fmac_f32_e32 v94, v71, v20
	v_fma_f32 v15, v62, v26, -v27
	v_add_f32_e32 v6, v6, v14
	v_add_f32_e32 v7, v7, v93
	v_mul_f32_e32 v96, v74, v35
	v_mul_f32_e32 v31, v67, v31
	v_fmac_f32_e32 v95, v73, v32
	v_fma_f32 v16, v64, v28, -v29
	v_add_f32_e32 v6, v6, v15
	v_add_f32_e32 v7, v7, v94
	s_waitcnt vmcnt(6) lgkmcnt(1)
	v_mul_f32_e32 v97, v76, v41
	v_fmac_f32_e32 v96, v75, v34
	v_fma_f32 v17, v66, v30, -v31
	v_add_f32_e32 v6, v6, v16
	v_add_f32_e32 v7, v7, v95
	v_mul_f32_e32 v21, v71, v21
	v_fmac_f32_e32 v97, v77, v40
	v_add_f32_e32 v6, v6, v17
	v_add_f32_e32 v7, v7, v96
	;; [unrolled: 1-line block ×4, first 2 shown]
	v_fma_f32 v7, v70, v20, -v21
	v_add_f32_e32 v6, v6, v7
	v_mul_f32_e32 v7, v73, v33
	v_fma_f32 v7, v72, v32, -v7
	v_add_f32_e32 v6, v6, v7
	v_mul_f32_e32 v7, v75, v35
	;; [unrolled: 3-line block ×4, first 2 shown]
	v_mul_f32_e32 v85, v78, v43
	v_fma_f32 v84, v78, v42, -v6
	s_waitcnt vmcnt(5) lgkmcnt(0)
	v_mul_f32_e32 v6, v81, v45
	v_mov_b32_e32 v28, v47
	v_mul_f32_e32 v87, v80, v45
	v_fmac_f32_e32 v85, v79, v42
	v_fma_f32 v86, v80, v44, -v6
	ds_read_b128 v[6:9], v38 offset:928
	ds_read_b128 v[14:17], v38 offset:944
	;; [unrolled: 1-line block ×3, first 2 shown]
	ds_read_b64 v[26:27], v38 offset:976
	v_pk_mul_f32 v[28:29], v[82:83], v[28:29] op_sel:[1,0] op_sel_hi:[0,0]
	v_fmac_f32_e32 v87, v81, v44
	v_pk_add_f32 v[24:25], v[24:25], v[84:85]
	v_pk_fma_f32 v[30:31], v[82:83], v[46:47], v[28:29] neg_lo:[0,0,1] neg_hi:[0,0,1]
	v_pk_fma_f32 v[28:29], v[82:83], v[46:47], v[28:29] op_sel_hi:[1,0,1]
	v_pk_add_f32 v[24:25], v[24:25], v[86:87]
	v_mov_b32_e32 v31, v29
	s_waitcnt vmcnt(4) lgkmcnt(3)
	v_pk_mul_f32 v[28:29], v[6:7], v[48:49] op_sel:[1,1] op_sel_hi:[0,1]
	v_pk_add_f32 v[24:25], v[24:25], v[30:31]
	v_pk_fma_f32 v[30:31], v[6:7], v[48:49], v[28:29] neg_lo:[0,0,1] neg_hi:[0,0,1]
	v_pk_fma_f32 v[6:7], v[6:7], v[48:49], v[28:29] op_sel_hi:[1,0,1]
	s_nop 0
	v_mov_b32_e32 v31, v7
	v_pk_add_f32 v[6:7], v[24:25], v[30:31]
	v_mov_b32_e32 v24, v51
	v_pk_mul_f32 v[24:25], v[8:9], v[24:25] op_sel:[1,0] op_sel_hi:[0,0]
	v_pk_fma_f32 v[28:29], v[8:9], v[50:51], v[24:25] neg_lo:[0,0,1] neg_hi:[0,0,1]
	v_pk_fma_f32 v[8:9], v[8:9], v[50:51], v[24:25] op_sel_hi:[1,0,1]
	s_nop 0
	v_mov_b32_e32 v29, v9
	s_waitcnt vmcnt(3) lgkmcnt(2)
	v_pk_mul_f32 v[8:9], v[14:15], v[10:11] op_sel:[1,1] op_sel_hi:[0,1]
	v_pk_fma_f32 v[24:25], v[14:15], v[10:11], v[8:9] neg_lo:[0,0,1] neg_hi:[0,0,1]
	v_pk_fma_f32 v[8:9], v[14:15], v[10:11], v[8:9] op_sel_hi:[1,0,1]
	v_pk_add_f32 v[6:7], v[6:7], v[28:29]
	v_mov_b32_e32 v8, v13
	v_mov_b32_e32 v25, v9
	v_pk_mul_f32 v[8:9], v[16:17], v[8:9] op_sel:[1,0] op_sel_hi:[0,0]
	v_pk_fma_f32 v[10:11], v[16:17], v[12:13], v[8:9] neg_lo:[0,0,1] neg_hi:[0,0,1]
	v_pk_fma_f32 v[8:9], v[16:17], v[12:13], v[8:9] op_sel_hi:[1,0,1]
	v_pk_add_f32 v[6:7], v[6:7], v[24:25]
	v_mov_b32_e32 v11, v9
	s_waitcnt vmcnt(2) lgkmcnt(1)
	v_pk_mul_f32 v[8:9], v[18:19], v[2:3] op_sel:[1,1] op_sel_hi:[0,1]
	v_pk_add_f32 v[6:7], v[6:7], v[10:11]
	v_pk_fma_f32 v[10:11], v[18:19], v[2:3], v[8:9] neg_lo:[0,0,1] neg_hi:[0,0,1]
	v_pk_fma_f32 v[2:3], v[18:19], v[2:3], v[8:9] op_sel_hi:[1,0,1]
	s_nop 0
	v_mov_b32_e32 v11, v3
	v_pk_add_f32 v[2:3], v[6:7], v[10:11]
	v_mov_b32_e32 v6, v5
	v_pk_mul_f32 v[6:7], v[20:21], v[6:7] op_sel:[1,0] op_sel_hi:[0,0]
	v_pk_fma_f32 v[8:9], v[20:21], v[4:5], v[6:7] neg_lo:[0,0,1] neg_hi:[0,0,1]
	v_pk_fma_f32 v[4:5], v[20:21], v[4:5], v[6:7] op_sel_hi:[1,0,1]
	s_nop 0
	v_mov_b32_e32 v9, v5
	s_waitcnt vmcnt(1) lgkmcnt(0)
	v_pk_mul_f32 v[4:5], v[26:27], v[22:23] op_sel:[1,1] op_sel_hi:[0,1]
	v_pk_fma_f32 v[6:7], v[26:27], v[22:23], v[4:5] neg_lo:[0,0,1] neg_hi:[0,0,1]
	v_pk_fma_f32 v[4:5], v[26:27], v[22:23], v[4:5] op_sel_hi:[1,0,1]
	v_pk_add_f32 v[2:3], v[2:3], v[8:9]
	v_mov_b32_e32 v7, v5
	v_pk_add_f32 v[2:3], v[2:3], v[6:7]
	s_waitcnt vmcnt(0)
	v_pk_add_f32 v[2:3], v[36:37], v[2:3] neg_lo:[0,1] neg_hi:[0,1]
	scratch_store_dwordx2 off, v[2:3], off offset:296
	s_and_saveexec_b64 s[0:1], vcc
	s_cbranch_execz .LBB124_307
; %bb.306:
	scratch_load_dwordx2 v[2:3], off, off offset:288
	v_mov_b32_e32 v39, v38
	scratch_store_dwordx2 off, v[38:39], off offset:288
	s_waitcnt vmcnt(1)
	ds_write_b64 v1, v[2:3]
.LBB124_307:
	s_or_b64 exec, exec, s[0:1]
	s_waitcnt lgkmcnt(0)
	; wave barrier
	scratch_load_dwordx4 v[2:5], off, off offset:296
	scratch_load_dwordx4 v[14:17], off, off offset:312
	;; [unrolled: 1-line block ×8, first 2 shown]
	ds_read2_b64 v[48:51], v38 offset0:99 offset1:100
	ds_read2_b64 v[52:55], v38 offset0:101 offset1:102
	;; [unrolled: 1-line block ×8, first 2 shown]
	scratch_load_dwordx4 v[80:83], off, off offset:424
	scratch_load_dwordx4 v[26:29], off, off offset:440
	;; [unrolled: 1-line block ×4, first 2 shown]
	scratch_load_dwordx2 v[84:85], off, off offset:288
	v_cmp_lt_u32_e32 vcc, 35, v0
	s_waitcnt vmcnt(12) lgkmcnt(7)
	v_mul_f32_e32 v39, v48, v3
	v_mul_f32_e32 v86, v50, v5
	;; [unrolled: 1-line block ×3, first 2 shown]
	v_fmac_f32_e32 v39, v49, v2
	s_waitcnt vmcnt(8) lgkmcnt(3)
	v_mul_f32_e32 v95, v64, v19
	v_mul_f32_e32 v19, v65, v19
	;; [unrolled: 1-line block ×4, first 2 shown]
	v_fmac_f32_e32 v86, v51, v4
	v_fmac_f32_e32 v95, v65, v18
	v_fma_f32 v2, v48, v2, -v3
	v_fma_f32 v18, v64, v18, -v19
	v_add_f32_e32 v19, 0, v39
	v_mul_f32_e32 v90, v54, v17
	v_fmac_f32_e32 v88, v53, v14
	v_fma_f32 v3, v50, v4, -v5
	v_add_f32_e32 v2, 0, v2
	v_add_f32_e32 v19, v19, v86
	v_mul_f32_e32 v91, v56, v31
	v_fmac_f32_e32 v90, v55, v16
	v_add_f32_e32 v2, v2, v3
	v_add_f32_e32 v3, v19, v88
	v_mul_f32_e32 v92, v58, v33
	v_fmac_f32_e32 v91, v57, v30
	v_add_f32_e32 v3, v3, v90
	v_mul_f32_e32 v93, v60, v41
	v_fmac_f32_e32 v92, v59, v32
	;; [unrolled: 3-line block ×4, first 2 shown]
	v_add_f32_e32 v3, v3, v93
	v_mul_f32_e32 v96, v66, v21
	v_mul_f32_e32 v17, v55, v17
	v_fma_f32 v4, v52, v14, -v15
	v_add_f32_e32 v3, v3, v94
	s_waitcnt vmcnt(7) lgkmcnt(2)
	v_mul_f32_e32 v97, v68, v23
	v_mul_f32_e32 v31, v57, v31
	v_fmac_f32_e32 v96, v67, v20
	v_fma_f32 v5, v54, v16, -v17
	v_add_f32_e32 v2, v2, v4
	v_add_f32_e32 v3, v3, v95
	v_mul_f32_e32 v98, v70, v25
	v_mul_f32_e32 v33, v59, v33
	v_fmac_f32_e32 v97, v69, v22
	v_fma_f32 v14, v56, v30, -v31
	v_add_f32_e32 v2, v2, v5
	v_add_f32_e32 v3, v3, v96
	s_waitcnt vmcnt(6) lgkmcnt(1)
	v_mul_f32_e32 v99, v72, v35
	v_mul_f32_e32 v41, v61, v41
	v_fmac_f32_e32 v98, v71, v24
	v_fma_f32 v15, v58, v32, -v33
	v_add_f32_e32 v2, v2, v14
	v_add_f32_e32 v3, v3, v97
	v_mul_f32_e32 v100, v74, v37
	v_mul_f32_e32 v43, v63, v43
	v_fmac_f32_e32 v99, v73, v34
	v_fma_f32 v16, v60, v40, -v41
	v_add_f32_e32 v2, v2, v15
	v_add_f32_e32 v3, v3, v98
	v_fmac_f32_e32 v100, v75, v36
	v_fma_f32 v17, v62, v42, -v43
	v_add_f32_e32 v2, v2, v16
	v_add_f32_e32 v3, v3, v99
	;; [unrolled: 1-line block ×4, first 2 shown]
	v_mul_f32_e32 v3, v67, v21
	v_add_f32_e32 v2, v2, v18
	v_fma_f32 v3, v66, v20, -v3
	v_add_f32_e32 v2, v2, v3
	v_mul_f32_e32 v3, v69, v23
	v_fma_f32 v3, v68, v22, -v3
	v_add_f32_e32 v2, v2, v3
	v_mul_f32_e32 v3, v71, v25
	;; [unrolled: 3-line block ×4, first 2 shown]
	v_fma_f32 v3, v74, v36, -v3
	v_add_f32_e32 v30, v2, v3
	s_waitcnt vmcnt(5) lgkmcnt(0)
	v_mul_f32_e32 v2, v77, v45
	v_fma_f32 v86, v76, v44, -v2
	v_mul_f32_e32 v2, v79, v47
	v_fma_f32 v88, v78, v46, -v2
	ds_read2_b64 v[2:5], v38 offset0:115 offset1:116
	ds_read2_b64 v[14:17], v38 offset0:117 offset1:118
	ds_read2_b64 v[18:21], v38 offset0:119 offset1:120
	ds_read2_b64 v[22:25], v38 offset0:121 offset1:122
	v_mul_f32_e32 v87, v76, v45
	v_mul_f32_e32 v89, v78, v47
	v_fmac_f32_e32 v87, v77, v44
	s_waitcnt vmcnt(4) lgkmcnt(3)
	v_pk_mul_f32 v[32:33], v[2:3], v[80:81] op_sel:[1,1] op_sel_hi:[0,1]
	v_fmac_f32_e32 v89, v79, v46
	v_pk_add_f32 v[30:31], v[30:31], v[86:87]
	v_pk_fma_f32 v[34:35], v[2:3], v[80:81], v[32:33] neg_lo:[0,0,1] neg_hi:[0,0,1]
	v_pk_fma_f32 v[2:3], v[2:3], v[80:81], v[32:33] op_sel_hi:[1,0,1]
	v_pk_add_f32 v[30:31], v[30:31], v[88:89]
	v_mov_b32_e32 v35, v3
	v_pk_add_f32 v[2:3], v[30:31], v[34:35]
	v_mov_b32_e32 v30, v83
	v_pk_mul_f32 v[30:31], v[4:5], v[30:31] op_sel:[1,0] op_sel_hi:[0,0]
	v_pk_fma_f32 v[32:33], v[4:5], v[82:83], v[30:31] neg_lo:[0,0,1] neg_hi:[0,0,1]
	v_pk_fma_f32 v[4:5], v[4:5], v[82:83], v[30:31] op_sel_hi:[1,0,1]
	s_nop 0
	v_mov_b32_e32 v33, v5
	s_waitcnt vmcnt(3) lgkmcnt(2)
	v_pk_mul_f32 v[4:5], v[14:15], v[26:27] op_sel:[1,1] op_sel_hi:[0,1]
	v_pk_fma_f32 v[30:31], v[14:15], v[26:27], v[4:5] neg_lo:[0,0,1] neg_hi:[0,0,1]
	v_pk_fma_f32 v[4:5], v[14:15], v[26:27], v[4:5] op_sel_hi:[1,0,1]
	v_pk_add_f32 v[2:3], v[2:3], v[32:33]
	v_mov_b32_e32 v4, v29
	v_mov_b32_e32 v31, v5
	v_pk_mul_f32 v[4:5], v[16:17], v[4:5] op_sel:[1,0] op_sel_hi:[0,0]
	v_pk_fma_f32 v[14:15], v[16:17], v[28:29], v[4:5] neg_lo:[0,0,1] neg_hi:[0,0,1]
	v_pk_fma_f32 v[4:5], v[16:17], v[28:29], v[4:5] op_sel_hi:[1,0,1]
	v_pk_add_f32 v[2:3], v[2:3], v[30:31]
	v_mov_b32_e32 v15, v5
	s_waitcnt vmcnt(2) lgkmcnt(1)
	v_pk_mul_f32 v[4:5], v[18:19], v[10:11] op_sel:[1,1] op_sel_hi:[0,1]
	v_pk_add_f32 v[2:3], v[2:3], v[14:15]
	v_pk_fma_f32 v[14:15], v[18:19], v[10:11], v[4:5] neg_lo:[0,0,1] neg_hi:[0,0,1]
	v_pk_fma_f32 v[4:5], v[18:19], v[10:11], v[4:5] op_sel_hi:[1,0,1]
	s_nop 0
	v_mov_b32_e32 v4, v13
	v_mov_b32_e32 v15, v5
	v_pk_mul_f32 v[4:5], v[20:21], v[4:5] op_sel:[1,0] op_sel_hi:[0,0]
	v_pk_fma_f32 v[10:11], v[20:21], v[12:13], v[4:5] neg_lo:[0,0,1] neg_hi:[0,0,1]
	v_pk_fma_f32 v[4:5], v[20:21], v[12:13], v[4:5] op_sel_hi:[1,0,1]
	v_pk_add_f32 v[2:3], v[2:3], v[14:15]
	v_mov_b32_e32 v11, v5
	s_waitcnt vmcnt(1) lgkmcnt(0)
	v_pk_mul_f32 v[4:5], v[22:23], v[6:7] op_sel:[1,1] op_sel_hi:[0,1]
	v_pk_add_f32 v[2:3], v[2:3], v[10:11]
	v_pk_fma_f32 v[10:11], v[22:23], v[6:7], v[4:5] neg_lo:[0,0,1] neg_hi:[0,0,1]
	v_pk_fma_f32 v[4:5], v[22:23], v[6:7], v[4:5] op_sel_hi:[1,0,1]
	s_nop 0
	v_mov_b32_e32 v4, v9
	v_mov_b32_e32 v11, v5
	v_pk_mul_f32 v[4:5], v[24:25], v[4:5] op_sel:[1,0] op_sel_hi:[0,0]
	v_pk_fma_f32 v[6:7], v[24:25], v[8:9], v[4:5] neg_lo:[0,0,1] neg_hi:[0,0,1]
	v_pk_fma_f32 v[4:5], v[24:25], v[8:9], v[4:5] op_sel_hi:[1,0,1]
	v_pk_add_f32 v[2:3], v[2:3], v[10:11]
	v_mov_b32_e32 v7, v5
	v_pk_add_f32 v[2:3], v[2:3], v[6:7]
	s_waitcnt vmcnt(0)
	v_pk_add_f32 v[2:3], v[84:85], v[2:3] neg_lo:[0,1] neg_hi:[0,1]
	scratch_store_dwordx2 off, v[2:3], off offset:288
	s_and_saveexec_b64 s[0:1], vcc
	s_cbranch_execz .LBB124_309
; %bb.308:
	scratch_load_dwordx2 v[2:3], off, off offset:280
	v_mov_b32_e32 v4, 0
	v_mov_b32_e32 v5, v4
	scratch_store_dwordx2 off, v[4:5], off offset:280
	s_waitcnt vmcnt(1)
	ds_write_b64 v1, v[2:3]
.LBB124_309:
	s_or_b64 exec, exec, s[0:1]
	s_waitcnt lgkmcnt(0)
	; wave barrier
	scratch_load_dwordx4 v[10:13], off, off offset:288
	scratch_load_dwordx4 v[26:29], off, off offset:304
	;; [unrolled: 1-line block ×12, first 2 shown]
	scratch_load_dwordx2 v[50:51], off, off offset:480
	scratch_load_dwordx2 v[56:57], off, off offset:280
	v_mov_b32_e32 v58, 0
	ds_read_b128 v[52:55], v58 offset:784
	ds_read_b128 v[60:63], v58 offset:800
	ds_read_b128 v[64:67], v58 offset:816
	ds_read_b128 v[68:71], v58 offset:832
	ds_read_b128 v[72:75], v58 offset:848
	ds_read_b128 v[76:79], v58 offset:864
	ds_read_b128 v[80:83], v58 offset:880
	ds_read_b128 v[84:87], v58 offset:896
	ds_read_b128 v[88:91], v58 offset:912
	ds_read_b128 v[92:95], v58 offset:928
	v_cmp_lt_u32_e32 vcc, 34, v0
	s_waitcnt vmcnt(13) lgkmcnt(9)
	v_mul_f32_e32 v59, v52, v11
	v_mul_f32_e32 v96, v54, v13
	v_fmac_f32_e32 v59, v53, v10
	s_waitcnt vmcnt(10) lgkmcnt(6)
	v_mul_f32_e32 v103, v68, v7
	v_mul_f32_e32 v7, v69, v7
	;; [unrolled: 1-line block ×3, first 2 shown]
	v_fmac_f32_e32 v96, v55, v12
	v_fmac_f32_e32 v103, v69, v6
	v_fma_f32 v6, v68, v6, -v7
	v_add_f32_e32 v7, 0, v59
	v_mul_f32_e32 v100, v62, v29
	v_fmac_f32_e32 v98, v61, v26
	v_add_f32_e32 v7, v7, v96
	v_mul_f32_e32 v101, v64, v39
	v_fmac_f32_e32 v100, v63, v28
	;; [unrolled: 3-line block ×3, first 2 shown]
	v_add_f32_e32 v7, v7, v100
	v_fmac_f32_e32 v102, v67, v40
	v_add_f32_e32 v7, v7, v101
	v_mul_f32_e32 v104, v70, v9
	v_add_f32_e32 v7, v7, v102
	s_waitcnt vmcnt(9) lgkmcnt(5)
	v_mul_f32_e32 v105, v72, v15
	v_fmac_f32_e32 v104, v71, v8
	v_add_f32_e32 v7, v7, v103
	v_mul_f32_e32 v106, v74, v17
	v_mul_f32_e32 v11, v53, v11
	v_fmac_f32_e32 v105, v73, v14
	v_add_f32_e32 v7, v7, v104
	s_waitcnt vmcnt(8) lgkmcnt(4)
	v_mul_f32_e32 v107, v76, v23
	v_mul_f32_e32 v13, v55, v13
	v_fmac_f32_e32 v106, v75, v16
	v_fma_f32 v10, v52, v10, -v11
	v_add_f32_e32 v7, v7, v105
	v_mul_f32_e32 v108, v78, v25
	v_mul_f32_e32 v27, v61, v27
	v_fmac_f32_e32 v107, v77, v22
	v_fma_f32 v11, v54, v12, -v13
	v_add_f32_e32 v10, 0, v10
	v_add_f32_e32 v7, v7, v106
	s_waitcnt vmcnt(7) lgkmcnt(3)
	v_mul_f32_e32 v109, v80, v31
	v_mul_f32_e32 v29, v63, v29
	v_fmac_f32_e32 v108, v79, v24
	v_fma_f32 v12, v60, v26, -v27
	v_add_f32_e32 v10, v10, v11
	v_add_f32_e32 v7, v7, v107
	v_mul_f32_e32 v110, v82, v33
	v_mul_f32_e32 v39, v65, v39
	v_fmac_f32_e32 v109, v81, v30
	v_fma_f32 v13, v62, v28, -v29
	v_add_f32_e32 v10, v10, v12
	v_add_f32_e32 v7, v7, v108
	s_waitcnt vmcnt(6) lgkmcnt(2)
	v_mul_f32_e32 v111, v84, v43
	v_mul_f32_e32 v41, v67, v41
	v_fmac_f32_e32 v110, v83, v32
	v_fma_f32 v26, v64, v38, -v39
	v_add_f32_e32 v10, v10, v13
	v_add_f32_e32 v7, v7, v109
	v_fmac_f32_e32 v111, v85, v42
	v_fma_f32 v27, v66, v40, -v41
	v_add_f32_e32 v10, v10, v26
	v_add_f32_e32 v7, v7, v110
	;; [unrolled: 1-line block ×4, first 2 shown]
	v_mul_f32_e32 v7, v71, v9
	v_add_f32_e32 v6, v10, v6
	v_fma_f32 v7, v70, v8, -v7
	v_add_f32_e32 v6, v6, v7
	v_mul_f32_e32 v7, v73, v15
	v_fma_f32 v7, v72, v14, -v7
	v_add_f32_e32 v6, v6, v7
	v_mul_f32_e32 v7, v75, v17
	;; [unrolled: 3-line block ×7, first 2 shown]
	v_fma_f32 v7, v84, v42, -v7
	v_mul_f32_e32 v97, v86, v45
	v_add_f32_e32 v26, v6, v7
	v_mul_f32_e32 v6, v87, v45
	s_waitcnt vmcnt(5)
	v_mov_b32_e32 v22, v49
	s_waitcnt lgkmcnt(1)
	v_mul_f32_e32 v99, v88, v47
	v_fmac_f32_e32 v97, v87, v44
	v_fma_f32 v96, v86, v44, -v6
	v_mul_f32_e32 v6, v89, v47
	v_pk_mul_f32 v[22:23], v[90:91], v[22:23] op_sel:[1,0] op_sel_hi:[0,0]
	v_fmac_f32_e32 v99, v89, v46
	v_fma_f32 v98, v88, v46, -v6
	v_pk_add_f32 v[16:17], v[26:27], v[96:97]
	v_pk_fma_f32 v[24:25], v[90:91], v[48:49], v[22:23] neg_lo:[0,0,1] neg_hi:[0,0,1]
	v_pk_fma_f32 v[22:23], v[90:91], v[48:49], v[22:23] op_sel_hi:[1,0,1]
	v_pk_add_f32 v[16:17], v[16:17], v[98:99]
	v_mov_b32_e32 v25, v23
	s_waitcnt vmcnt(4) lgkmcnt(0)
	v_pk_mul_f32 v[22:23], v[92:93], v[34:35] op_sel:[1,1] op_sel_hi:[0,1]
	v_pk_add_f32 v[16:17], v[16:17], v[24:25]
	v_pk_fma_f32 v[24:25], v[92:93], v[34:35], v[22:23] neg_lo:[0,0,1] neg_hi:[0,0,1]
	v_pk_fma_f32 v[22:23], v[92:93], v[34:35], v[22:23] op_sel_hi:[1,0,1]
	ds_read_b128 v[6:9], v58 offset:944
	ds_read_b128 v[10:13], v58 offset:960
	ds_read_b64 v[14:15], v58 offset:976
	v_mov_b32_e32 v22, v37
	v_mov_b32_e32 v25, v23
	v_pk_mul_f32 v[22:23], v[94:95], v[22:23] op_sel:[1,0] op_sel_hi:[0,0]
	v_pk_add_f32 v[16:17], v[16:17], v[24:25]
	v_pk_fma_f32 v[24:25], v[94:95], v[36:37], v[22:23] neg_lo:[0,0,1] neg_hi:[0,0,1]
	v_pk_fma_f32 v[22:23], v[94:95], v[36:37], v[22:23] op_sel_hi:[1,0,1]
	s_nop 0
	v_mov_b32_e32 v25, v23
	s_waitcnt vmcnt(3) lgkmcnt(2)
	v_pk_mul_f32 v[22:23], v[6:7], v[18:19] op_sel:[1,1] op_sel_hi:[0,1]
	v_pk_add_f32 v[16:17], v[16:17], v[24:25]
	v_pk_fma_f32 v[24:25], v[6:7], v[18:19], v[22:23] neg_lo:[0,0,1] neg_hi:[0,0,1]
	v_pk_fma_f32 v[6:7], v[6:7], v[18:19], v[22:23] op_sel_hi:[1,0,1]
	s_nop 0
	v_mov_b32_e32 v25, v7
	v_pk_add_f32 v[6:7], v[16:17], v[24:25]
	v_mov_b32_e32 v16, v21
	v_pk_mul_f32 v[16:17], v[8:9], v[16:17] op_sel:[1,0] op_sel_hi:[0,0]
	v_pk_fma_f32 v[18:19], v[8:9], v[20:21], v[16:17] neg_lo:[0,0,1] neg_hi:[0,0,1]
	v_pk_fma_f32 v[8:9], v[8:9], v[20:21], v[16:17] op_sel_hi:[1,0,1]
	s_nop 0
	v_mov_b32_e32 v19, v9
	s_waitcnt vmcnt(2) lgkmcnt(1)
	v_pk_mul_f32 v[8:9], v[10:11], v[2:3] op_sel:[1,1] op_sel_hi:[0,1]
	v_pk_fma_f32 v[16:17], v[10:11], v[2:3], v[8:9] neg_lo:[0,0,1] neg_hi:[0,0,1]
	v_pk_fma_f32 v[2:3], v[10:11], v[2:3], v[8:9] op_sel_hi:[1,0,1]
	v_pk_add_f32 v[6:7], v[6:7], v[18:19]
	v_mov_b32_e32 v17, v3
	v_pk_add_f32 v[2:3], v[6:7], v[16:17]
	v_mov_b32_e32 v6, v5
	v_pk_mul_f32 v[6:7], v[12:13], v[6:7] op_sel:[1,0] op_sel_hi:[0,0]
	v_pk_fma_f32 v[8:9], v[12:13], v[4:5], v[6:7] neg_lo:[0,0,1] neg_hi:[0,0,1]
	v_pk_fma_f32 v[4:5], v[12:13], v[4:5], v[6:7] op_sel_hi:[1,0,1]
	s_nop 0
	v_mov_b32_e32 v9, v5
	s_waitcnt vmcnt(1) lgkmcnt(0)
	v_pk_mul_f32 v[4:5], v[14:15], v[50:51] op_sel:[1,1] op_sel_hi:[0,1]
	v_pk_fma_f32 v[6:7], v[14:15], v[50:51], v[4:5] neg_lo:[0,0,1] neg_hi:[0,0,1]
	v_pk_fma_f32 v[4:5], v[14:15], v[50:51], v[4:5] op_sel_hi:[1,0,1]
	v_pk_add_f32 v[2:3], v[2:3], v[8:9]
	v_mov_b32_e32 v7, v5
	v_pk_add_f32 v[2:3], v[2:3], v[6:7]
	s_waitcnt vmcnt(0)
	v_pk_add_f32 v[2:3], v[56:57], v[2:3] neg_lo:[0,1] neg_hi:[0,1]
	scratch_store_dwordx2 off, v[2:3], off offset:280
	s_and_saveexec_b64 s[0:1], vcc
	s_cbranch_execz .LBB124_311
; %bb.310:
	scratch_load_dwordx2 v[2:3], off, off offset:272
	v_mov_b32_e32 v59, v58
	scratch_store_dwordx2 off, v[58:59], off offset:272
	s_waitcnt vmcnt(1)
	ds_write_b64 v1, v[2:3]
.LBB124_311:
	s_or_b64 exec, exec, s[0:1]
	s_waitcnt lgkmcnt(0)
	; wave barrier
	scratch_load_dwordx4 v[2:5], off, off offset:280
	scratch_load_dwordx4 v[18:21], off, off offset:296
	;; [unrolled: 1-line block ×9, first 2 shown]
	ds_read2_b64 v[60:63], v58 offset0:97 offset1:98
	ds_read2_b64 v[64:67], v58 offset0:99 offset1:100
	ds_read2_b64 v[68:71], v58 offset0:101 offset1:102
	ds_read2_b64 v[72:75], v58 offset0:103 offset1:104
	ds_read2_b64 v[76:79], v58 offset0:105 offset1:106
	ds_read2_b64 v[80:83], v58 offset0:107 offset1:108
	ds_read2_b64 v[84:87], v58 offset0:109 offset1:110
	ds_read2_b64 v[54:57], v58 offset0:111 offset1:112
	scratch_load_dwordx4 v[50:53], off, off offset:424
	scratch_load_dwordx4 v[34:37], off, off offset:440
	;; [unrolled: 1-line block ×4, first 2 shown]
	ds_read2_b64 v[88:91], v58 offset0:113 offset1:114
	ds_read2_b64 v[92:95], v58 offset0:115 offset1:116
	scratch_load_dwordx2 v[96:97], off, off offset:272
	v_cmp_lt_u32_e32 vcc, 33, v0
	s_waitcnt vmcnt(13) lgkmcnt(9)
	v_mul_f32_e32 v59, v60, v3
	v_mul_f32_e32 v98, v62, v5
	;; [unrolled: 1-line block ×3, first 2 shown]
	s_waitcnt vmcnt(10) lgkmcnt(6)
	v_mul_f32_e32 v105, v72, v7
	v_mul_f32_e32 v7, v73, v7
	v_fmac_f32_e32 v59, v61, v2
	v_mul_f32_e32 v100, v64, v19
	v_mul_f32_e32 v5, v63, v5
	v_fmac_f32_e32 v98, v63, v4
	v_fmac_f32_e32 v105, v73, v6
	v_fma_f32 v2, v60, v2, -v3
	v_fma_f32 v6, v72, v6, -v7
	v_add_f32_e32 v7, 0, v59
	v_mul_f32_e32 v102, v66, v21
	v_fmac_f32_e32 v100, v65, v18
	v_fma_f32 v3, v62, v4, -v5
	v_add_f32_e32 v2, 0, v2
	v_add_f32_e32 v7, v7, v98
	v_mul_f32_e32 v103, v68, v39
	v_fmac_f32_e32 v102, v67, v20
	v_add_f32_e32 v2, v2, v3
	v_add_f32_e32 v3, v7, v100
	v_mul_f32_e32 v104, v70, v41
	v_fmac_f32_e32 v103, v69, v38
	v_add_f32_e32 v3, v3, v102
	v_fmac_f32_e32 v104, v71, v40
	v_add_f32_e32 v3, v3, v103
	v_mul_f32_e32 v106, v74, v9
	v_add_f32_e32 v3, v3, v104
	s_waitcnt vmcnt(9) lgkmcnt(5)
	v_mul_f32_e32 v107, v76, v15
	v_fmac_f32_e32 v106, v75, v8
	v_add_f32_e32 v3, v3, v105
	v_mul_f32_e32 v108, v78, v17
	v_fmac_f32_e32 v107, v77, v14
	v_add_f32_e32 v3, v3, v106
	s_waitcnt vmcnt(8) lgkmcnt(4)
	v_mul_f32_e32 v109, v80, v23
	v_fmac_f32_e32 v108, v79, v16
	v_add_f32_e32 v3, v3, v107
	v_mul_f32_e32 v110, v82, v25
	v_fmac_f32_e32 v109, v81, v22
	v_add_f32_e32 v3, v3, v108
	s_waitcnt vmcnt(7) lgkmcnt(3)
	v_mul_f32_e32 v111, v84, v31
	v_mul_f32_e32 v19, v65, v19
	v_fmac_f32_e32 v110, v83, v24
	v_add_f32_e32 v3, v3, v109
	v_mul_f32_e32 v112, v86, v33
	v_mul_f32_e32 v21, v67, v21
	v_fmac_f32_e32 v111, v85, v30
	v_fma_f32 v4, v64, v18, -v19
	v_add_f32_e32 v3, v3, v110
	s_waitcnt vmcnt(6) lgkmcnt(2)
	v_mul_f32_e32 v113, v54, v43
	v_mul_f32_e32 v39, v69, v39
	v_fmac_f32_e32 v112, v87, v32
	v_fma_f32 v5, v66, v20, -v21
	v_add_f32_e32 v2, v2, v4
	v_add_f32_e32 v3, v3, v111
	v_mul_f32_e32 v114, v56, v45
	v_mul_f32_e32 v41, v71, v41
	v_fmac_f32_e32 v113, v55, v42
	v_fma_f32 v18, v68, v38, -v39
	v_add_f32_e32 v2, v2, v5
	v_add_f32_e32 v3, v3, v112
	v_fmac_f32_e32 v114, v57, v44
	v_fma_f32 v19, v70, v40, -v41
	v_add_f32_e32 v2, v2, v18
	v_add_f32_e32 v3, v3, v113
	;; [unrolled: 1-line block ×4, first 2 shown]
	v_mul_f32_e32 v3, v75, v9
	v_add_f32_e32 v2, v2, v6
	v_fma_f32 v3, v74, v8, -v3
	v_add_f32_e32 v2, v2, v3
	v_mul_f32_e32 v3, v77, v15
	v_fma_f32 v3, v76, v14, -v3
	v_add_f32_e32 v2, v2, v3
	v_mul_f32_e32 v3, v79, v17
	;; [unrolled: 3-line block ×8, first 2 shown]
	v_fma_f32 v3, v56, v44, -v3
	s_waitcnt vmcnt(5) lgkmcnt(1)
	v_mul_f32_e32 v99, v88, v47
	v_add_f32_e32 v18, v2, v3
	v_mul_f32_e32 v2, v89, v47
	s_waitcnt vmcnt(4) lgkmcnt(0)
	v_pk_mul_f32 v[20:21], v[92:93], v[50:51] op_sel:[1,1] op_sel_hi:[0,1]
	v_mul_f32_e32 v101, v90, v49
	v_fmac_f32_e32 v99, v89, v46
	v_fma_f32 v98, v88, v46, -v2
	v_mul_f32_e32 v2, v91, v49
	v_pk_fma_f32 v[22:23], v[92:93], v[50:51], v[20:21] neg_lo:[0,0,1] neg_hi:[0,0,1]
	v_pk_fma_f32 v[20:21], v[92:93], v[50:51], v[20:21] op_sel_hi:[1,0,1]
	v_fmac_f32_e32 v101, v91, v48
	v_fma_f32 v100, v90, v48, -v2
	ds_read2_b64 v[2:5], v58 offset0:117 offset1:118
	ds_read2_b64 v[6:9], v58 offset0:119 offset1:120
	;; [unrolled: 1-line block ×3, first 2 shown]
	v_pk_add_f32 v[18:19], v[18:19], v[98:99]
	v_mov_b32_e32 v20, v53
	v_pk_add_f32 v[18:19], v[18:19], v[100:101]
	v_mov_b32_e32 v23, v21
	v_pk_mul_f32 v[20:21], v[94:95], v[20:21] op_sel:[1,0] op_sel_hi:[0,0]
	v_pk_add_f32 v[18:19], v[18:19], v[22:23]
	v_pk_fma_f32 v[22:23], v[94:95], v[52:53], v[20:21] neg_lo:[0,0,1] neg_hi:[0,0,1]
	v_pk_fma_f32 v[20:21], v[94:95], v[52:53], v[20:21] op_sel_hi:[1,0,1]
	s_nop 0
	v_mov_b32_e32 v23, v21
	s_waitcnt vmcnt(3) lgkmcnt(2)
	v_pk_mul_f32 v[20:21], v[2:3], v[34:35] op_sel:[1,1] op_sel_hi:[0,1]
	v_pk_add_f32 v[18:19], v[18:19], v[22:23]
	v_pk_fma_f32 v[22:23], v[2:3], v[34:35], v[20:21] neg_lo:[0,0,1] neg_hi:[0,0,1]
	v_pk_fma_f32 v[2:3], v[2:3], v[34:35], v[20:21] op_sel_hi:[1,0,1]
	s_nop 0
	v_mov_b32_e32 v23, v3
	v_pk_add_f32 v[2:3], v[18:19], v[22:23]
	v_mov_b32_e32 v18, v37
	v_pk_mul_f32 v[18:19], v[4:5], v[18:19] op_sel:[1,0] op_sel_hi:[0,0]
	v_pk_fma_f32 v[20:21], v[4:5], v[36:37], v[18:19] neg_lo:[0,0,1] neg_hi:[0,0,1]
	v_pk_fma_f32 v[4:5], v[4:5], v[36:37], v[18:19] op_sel_hi:[1,0,1]
	s_nop 0
	v_mov_b32_e32 v21, v5
	s_waitcnt vmcnt(2) lgkmcnt(1)
	v_pk_mul_f32 v[4:5], v[6:7], v[26:27] op_sel:[1,1] op_sel_hi:[0,1]
	v_pk_fma_f32 v[18:19], v[6:7], v[26:27], v[4:5] neg_lo:[0,0,1] neg_hi:[0,0,1]
	v_pk_fma_f32 v[4:5], v[6:7], v[26:27], v[4:5] op_sel_hi:[1,0,1]
	v_pk_add_f32 v[2:3], v[2:3], v[20:21]
	v_mov_b32_e32 v4, v29
	v_mov_b32_e32 v19, v5
	v_pk_mul_f32 v[4:5], v[8:9], v[4:5] op_sel:[1,0] op_sel_hi:[0,0]
	v_pk_fma_f32 v[6:7], v[8:9], v[28:29], v[4:5] neg_lo:[0,0,1] neg_hi:[0,0,1]
	v_pk_fma_f32 v[4:5], v[8:9], v[28:29], v[4:5] op_sel_hi:[1,0,1]
	v_pk_add_f32 v[2:3], v[2:3], v[18:19]
	v_mov_b32_e32 v7, v5
	s_waitcnt vmcnt(1) lgkmcnt(0)
	v_pk_mul_f32 v[4:5], v[14:15], v[10:11] op_sel:[1,1] op_sel_hi:[0,1]
	v_pk_add_f32 v[2:3], v[2:3], v[6:7]
	v_pk_fma_f32 v[6:7], v[14:15], v[10:11], v[4:5] neg_lo:[0,0,1] neg_hi:[0,0,1]
	v_pk_fma_f32 v[4:5], v[14:15], v[10:11], v[4:5] op_sel_hi:[1,0,1]
	s_nop 0
	v_mov_b32_e32 v4, v13
	v_mov_b32_e32 v7, v5
	v_pk_mul_f32 v[4:5], v[16:17], v[4:5] op_sel:[1,0] op_sel_hi:[0,0]
	v_pk_add_f32 v[2:3], v[2:3], v[6:7]
	v_pk_fma_f32 v[6:7], v[16:17], v[12:13], v[4:5] neg_lo:[0,0,1] neg_hi:[0,0,1]
	v_pk_fma_f32 v[4:5], v[16:17], v[12:13], v[4:5] op_sel_hi:[1,0,1]
	s_nop 0
	v_mov_b32_e32 v7, v5
	v_pk_add_f32 v[2:3], v[2:3], v[6:7]
	s_waitcnt vmcnt(0)
	v_pk_add_f32 v[2:3], v[96:97], v[2:3] neg_lo:[0,1] neg_hi:[0,1]
	scratch_store_dwordx2 off, v[2:3], off offset:272
	s_and_saveexec_b64 s[0:1], vcc
	s_cbranch_execz .LBB124_313
; %bb.312:
	scratch_load_dwordx2 v[2:3], off, off offset:264
	v_mov_b32_e32 v4, 0
	v_mov_b32_e32 v5, v4
	scratch_store_dwordx2 off, v[4:5], off offset:264
	s_waitcnt vmcnt(1)
	ds_write_b64 v1, v[2:3]
.LBB124_313:
	s_or_b64 exec, exec, s[0:1]
	s_waitcnt lgkmcnt(0)
	; wave barrier
	scratch_load_dwordx4 v[18:21], off, off offset:272
	scratch_load_dwordx4 v[30:33], off, off offset:288
	;; [unrolled: 1-line block ×13, first 2 shown]
	scratch_load_dwordx2 v[54:55], off, off offset:480
	scratch_load_dwordx2 v[80:81], off, off offset:264
	v_mov_b32_e32 v82, 0
	ds_read_b128 v[56:59], v82 offset:768
	ds_read_b128 v[60:63], v82 offset:784
	;; [unrolled: 1-line block ×10, first 2 shown]
	v_cmp_lt_u32_e32 vcc, 32, v0
	s_waitcnt vmcnt(14) lgkmcnt(9)
	v_mul_f32_e32 v83, v56, v19
	v_mul_f32_e32 v100, v58, v21
	s_waitcnt vmcnt(12) lgkmcnt(7)
	v_mul_f32_e32 v105, v64, v3
	v_mul_f32_e32 v3, v65, v3
	v_fmac_f32_e32 v83, v57, v18
	v_mul_f32_e32 v102, v60, v31
	v_fmac_f32_e32 v100, v59, v20
	v_fmac_f32_e32 v105, v65, v2
	v_fma_f32 v2, v64, v2, -v3
	v_add_f32_e32 v3, 0, v83
	v_mul_f32_e32 v104, v62, v33
	v_fmac_f32_e32 v102, v61, v30
	v_add_f32_e32 v3, v3, v100
	v_fmac_f32_e32 v104, v63, v32
	v_add_f32_e32 v3, v3, v102
	v_mul_f32_e32 v106, v66, v5
	v_add_f32_e32 v3, v3, v104
	s_waitcnt vmcnt(11) lgkmcnt(6)
	v_mul_f32_e32 v107, v68, v7
	v_fmac_f32_e32 v106, v67, v4
	v_add_f32_e32 v3, v3, v105
	v_mul_f32_e32 v108, v70, v9
	v_fmac_f32_e32 v107, v69, v6
	v_add_f32_e32 v3, v3, v106
	s_waitcnt vmcnt(10) lgkmcnt(5)
	v_mul_f32_e32 v109, v72, v15
	v_fmac_f32_e32 v108, v71, v8
	v_add_f32_e32 v3, v3, v107
	v_mul_f32_e32 v110, v74, v17
	v_fmac_f32_e32 v109, v73, v14
	;; [unrolled: 7-line block ×3, first 2 shown]
	v_add_f32_e32 v3, v3, v110
	s_waitcnt vmcnt(8) lgkmcnt(3)
	v_mul_f32_e32 v113, v84, v35
	v_mul_f32_e32 v19, v57, v19
	v_fmac_f32_e32 v112, v79, v24
	v_add_f32_e32 v3, v3, v111
	v_mul_f32_e32 v114, v86, v37
	v_mul_f32_e32 v21, v59, v21
	v_fmac_f32_e32 v113, v85, v34
	v_fma_f32 v18, v56, v18, -v19
	v_add_f32_e32 v3, v3, v112
	s_waitcnt vmcnt(7) lgkmcnt(2)
	v_mul_f32_e32 v115, v88, v39
	v_mul_f32_e32 v31, v61, v31
	v_fmac_f32_e32 v114, v87, v36
	v_fma_f32 v19, v58, v20, -v21
	v_add_f32_e32 v18, 0, v18
	v_add_f32_e32 v3, v3, v113
	v_mul_f32_e32 v116, v90, v41
	v_mul_f32_e32 v33, v63, v33
	v_fmac_f32_e32 v115, v89, v38
	v_fma_f32 v20, v60, v30, -v31
	v_add_f32_e32 v18, v18, v19
	v_add_f32_e32 v3, v3, v114
	s_waitcnt vmcnt(6) lgkmcnt(1)
	v_mul_f32_e32 v117, v92, v51
	v_fmac_f32_e32 v116, v91, v40
	v_fma_f32 v21, v62, v32, -v33
	v_add_f32_e32 v18, v18, v20
	v_add_f32_e32 v3, v3, v115
	v_mul_f32_e32 v5, v67, v5
	v_fmac_f32_e32 v117, v93, v50
	v_add_f32_e32 v18, v18, v21
	v_add_f32_e32 v3, v3, v116
	;; [unrolled: 1-line block ×4, first 2 shown]
	v_fma_f32 v3, v66, v4, -v5
	v_add_f32_e32 v2, v2, v3
	v_mul_f32_e32 v3, v69, v7
	v_fma_f32 v3, v68, v6, -v3
	v_add_f32_e32 v2, v2, v3
	v_mul_f32_e32 v3, v71, v9
	;; [unrolled: 3-line block ×12, first 2 shown]
	v_mul_f32_e32 v101, v94, v53
	v_fma_f32 v100, v94, v52, -v2
	s_waitcnt vmcnt(5) lgkmcnt(0)
	v_mul_f32_e32 v2, v97, v47
	v_mov_b32_e32 v22, v49
	v_mul_f32_e32 v103, v96, v47
	v_fmac_f32_e32 v101, v95, v52
	v_fma_f32 v102, v96, v46, -v2
	ds_read_b128 v[2:5], v82 offset:928
	ds_read_b128 v[6:9], v82 offset:944
	;; [unrolled: 1-line block ×3, first 2 shown]
	ds_read_b64 v[20:21], v82 offset:976
	v_pk_mul_f32 v[22:23], v[98:99], v[22:23] op_sel:[1,0] op_sel_hi:[0,0]
	v_fmac_f32_e32 v103, v97, v46
	v_pk_add_f32 v[18:19], v[18:19], v[100:101]
	v_pk_fma_f32 v[24:25], v[98:99], v[48:49], v[22:23] neg_lo:[0,0,1] neg_hi:[0,0,1]
	v_pk_fma_f32 v[22:23], v[98:99], v[48:49], v[22:23] op_sel_hi:[1,0,1]
	v_pk_add_f32 v[18:19], v[18:19], v[102:103]
	v_mov_b32_e32 v25, v23
	s_waitcnt vmcnt(4) lgkmcnt(3)
	v_pk_mul_f32 v[22:23], v[2:3], v[42:43] op_sel:[1,1] op_sel_hi:[0,1]
	v_pk_add_f32 v[18:19], v[18:19], v[24:25]
	v_pk_fma_f32 v[24:25], v[2:3], v[42:43], v[22:23] neg_lo:[0,0,1] neg_hi:[0,0,1]
	v_pk_fma_f32 v[2:3], v[2:3], v[42:43], v[22:23] op_sel_hi:[1,0,1]
	s_nop 0
	v_mov_b32_e32 v25, v3
	v_pk_add_f32 v[2:3], v[18:19], v[24:25]
	v_mov_b32_e32 v18, v45
	v_pk_mul_f32 v[18:19], v[4:5], v[18:19] op_sel:[1,0] op_sel_hi:[0,0]
	v_pk_fma_f32 v[22:23], v[4:5], v[44:45], v[18:19] neg_lo:[0,0,1] neg_hi:[0,0,1]
	v_pk_fma_f32 v[4:5], v[4:5], v[44:45], v[18:19] op_sel_hi:[1,0,1]
	s_nop 0
	v_mov_b32_e32 v23, v5
	s_waitcnt vmcnt(3) lgkmcnt(2)
	v_pk_mul_f32 v[4:5], v[6:7], v[26:27] op_sel:[1,1] op_sel_hi:[0,1]
	v_pk_fma_f32 v[18:19], v[6:7], v[26:27], v[4:5] neg_lo:[0,0,1] neg_hi:[0,0,1]
	v_pk_fma_f32 v[4:5], v[6:7], v[26:27], v[4:5] op_sel_hi:[1,0,1]
	v_pk_add_f32 v[2:3], v[2:3], v[22:23]
	v_mov_b32_e32 v4, v29
	v_mov_b32_e32 v19, v5
	v_pk_mul_f32 v[4:5], v[8:9], v[4:5] op_sel:[1,0] op_sel_hi:[0,0]
	v_pk_fma_f32 v[6:7], v[8:9], v[28:29], v[4:5] neg_lo:[0,0,1] neg_hi:[0,0,1]
	v_pk_fma_f32 v[4:5], v[8:9], v[28:29], v[4:5] op_sel_hi:[1,0,1]
	v_pk_add_f32 v[2:3], v[2:3], v[18:19]
	v_mov_b32_e32 v7, v5
	s_waitcnt vmcnt(2) lgkmcnt(1)
	v_pk_mul_f32 v[4:5], v[14:15], v[10:11] op_sel:[1,1] op_sel_hi:[0,1]
	v_pk_add_f32 v[2:3], v[2:3], v[6:7]
	v_pk_fma_f32 v[6:7], v[14:15], v[10:11], v[4:5] neg_lo:[0,0,1] neg_hi:[0,0,1]
	v_pk_fma_f32 v[4:5], v[14:15], v[10:11], v[4:5] op_sel_hi:[1,0,1]
	s_nop 0
	v_mov_b32_e32 v4, v13
	v_mov_b32_e32 v7, v5
	v_pk_mul_f32 v[4:5], v[16:17], v[4:5] op_sel:[1,0] op_sel_hi:[0,0]
	v_pk_add_f32 v[2:3], v[2:3], v[6:7]
	v_pk_fma_f32 v[6:7], v[16:17], v[12:13], v[4:5] neg_lo:[0,0,1] neg_hi:[0,0,1]
	v_pk_fma_f32 v[4:5], v[16:17], v[12:13], v[4:5] op_sel_hi:[1,0,1]
	s_nop 0
	v_mov_b32_e32 v7, v5
	s_waitcnt vmcnt(1) lgkmcnt(0)
	v_pk_mul_f32 v[4:5], v[20:21], v[54:55] op_sel:[1,1] op_sel_hi:[0,1]
	v_pk_add_f32 v[2:3], v[2:3], v[6:7]
	v_pk_fma_f32 v[6:7], v[20:21], v[54:55], v[4:5] neg_lo:[0,0,1] neg_hi:[0,0,1]
	v_pk_fma_f32 v[4:5], v[20:21], v[54:55], v[4:5] op_sel_hi:[1,0,1]
	s_nop 0
	v_mov_b32_e32 v7, v5
	v_pk_add_f32 v[2:3], v[2:3], v[6:7]
	s_waitcnt vmcnt(0)
	v_pk_add_f32 v[2:3], v[80:81], v[2:3] neg_lo:[0,1] neg_hi:[0,1]
	scratch_store_dwordx2 off, v[2:3], off offset:264
	s_and_saveexec_b64 s[0:1], vcc
	s_cbranch_execz .LBB124_315
; %bb.314:
	scratch_load_dwordx2 v[2:3], off, off offset:256
	v_mov_b32_e32 v83, v82
	scratch_store_dwordx2 off, v[82:83], off offset:256
	s_waitcnt vmcnt(1)
	ds_write_b64 v1, v[2:3]
.LBB124_315:
	s_or_b64 exec, exec, s[0:1]
	s_waitcnt lgkmcnt(0)
	; wave barrier
	scratch_load_dwordx4 v[10:13], off, off offset:264
	scratch_load_dwordx4 v[26:29], off, off offset:280
	;; [unrolled: 1-line block ×10, first 2 shown]
	ds_read2_b64 v[84:87], v82 offset0:95 offset1:96
	ds_read2_b64 v[88:91], v82 offset0:97 offset1:98
	;; [unrolled: 1-line block ×10, first 2 shown]
	scratch_load_dwordx4 v[54:57], off, off offset:424
	scratch_load_dwordx4 v[46:49], off, off offset:440
	scratch_load_dwordx4 v[34:37], off, off offset:456
	scratch_load_dwordx4 v[18:21], off, off offset:472
	scratch_load_dwordx2 v[100:101], off, off offset:256
	v_cmp_lt_u32_e32 vcc, 31, v0
	s_waitcnt vmcnt(14) lgkmcnt(9)
	v_mul_f32_e32 v83, v84, v11
	v_mul_f32_e32 v102, v86, v13
	s_waitcnt vmcnt(12) lgkmcnt(7)
	v_mul_f32_e32 v107, v92, v3
	v_mul_f32_e32 v3, v93, v3
	v_fmac_f32_e32 v83, v85, v10
	v_mul_f32_e32 v104, v88, v27
	v_fmac_f32_e32 v102, v87, v12
	v_fmac_f32_e32 v107, v93, v2
	v_fma_f32 v2, v92, v2, -v3
	v_add_f32_e32 v3, 0, v83
	v_mul_f32_e32 v106, v90, v29
	v_fmac_f32_e32 v104, v89, v26
	v_add_f32_e32 v3, v3, v102
	v_fmac_f32_e32 v106, v91, v28
	v_add_f32_e32 v3, v3, v104
	v_mul_f32_e32 v108, v94, v5
	v_add_f32_e32 v3, v3, v106
	s_waitcnt vmcnt(11) lgkmcnt(6)
	v_mul_f32_e32 v109, v96, v7
	v_fmac_f32_e32 v108, v95, v4
	v_add_f32_e32 v3, v3, v107
	v_mul_f32_e32 v110, v98, v9
	v_fmac_f32_e32 v109, v97, v6
	v_add_f32_e32 v3, v3, v108
	s_waitcnt vmcnt(10) lgkmcnt(5)
	v_mul_f32_e32 v111, v78, v15
	v_fmac_f32_e32 v110, v99, v8
	v_add_f32_e32 v3, v3, v109
	v_mul_f32_e32 v112, v80, v17
	v_fmac_f32_e32 v111, v79, v14
	;; [unrolled: 7-line block ×4, first 2 shown]
	v_add_f32_e32 v3, v3, v114
	s_waitcnt vmcnt(7) lgkmcnt(2)
	v_mul_f32_e32 v117, v66, v39
	v_mul_f32_e32 v11, v85, v11
	v_fmac_f32_e32 v116, v73, v32
	v_add_f32_e32 v3, v3, v115
	v_mul_f32_e32 v118, v68, v41
	v_mul_f32_e32 v13, v87, v13
	v_fmac_f32_e32 v117, v67, v38
	v_fma_f32 v10, v84, v10, -v11
	v_add_f32_e32 v3, v3, v116
	s_waitcnt vmcnt(6) lgkmcnt(1)
	v_mul_f32_e32 v119, v62, v43
	v_mul_f32_e32 v27, v89, v27
	v_fmac_f32_e32 v118, v69, v40
	v_fma_f32 v11, v86, v12, -v13
	v_add_f32_e32 v10, 0, v10
	v_add_f32_e32 v3, v3, v117
	v_mul_f32_e32 v120, v64, v45
	v_mul_f32_e32 v29, v91, v29
	v_fmac_f32_e32 v119, v63, v42
	v_fma_f32 v12, v88, v26, -v27
	v_add_f32_e32 v10, v10, v11
	v_add_f32_e32 v3, v3, v118
	v_fmac_f32_e32 v120, v65, v44
	v_fma_f32 v13, v90, v28, -v29
	v_add_f32_e32 v10, v10, v12
	v_add_f32_e32 v3, v3, v119
	;; [unrolled: 1-line block ×4, first 2 shown]
	v_mul_f32_e32 v3, v95, v5
	v_add_f32_e32 v2, v10, v2
	v_fma_f32 v3, v94, v4, -v3
	v_add_f32_e32 v2, v2, v3
	v_mul_f32_e32 v3, v97, v7
	v_fma_f32 v3, v96, v6, -v3
	v_add_f32_e32 v2, v2, v3
	v_mul_f32_e32 v3, v99, v9
	;; [unrolled: 3-line block ×12, first 2 shown]
	v_fma_f32 v3, v64, v44, -v3
	v_add_f32_e32 v26, v2, v3
	s_waitcnt vmcnt(5) lgkmcnt(0)
	v_mul_f32_e32 v2, v59, v51
	v_fma_f32 v102, v58, v50, -v2
	v_mul_f32_e32 v2, v61, v53
	v_fma_f32 v104, v60, v52, -v2
	ds_read2_b64 v[2:5], v82 offset0:115 offset1:116
	ds_read2_b64 v[6:9], v82 offset0:117 offset1:118
	;; [unrolled: 1-line block ×4, first 2 shown]
	v_mul_f32_e32 v103, v58, v51
	v_mul_f32_e32 v105, v60, v53
	v_fmac_f32_e32 v103, v59, v50
	s_waitcnt vmcnt(4) lgkmcnt(3)
	v_pk_mul_f32 v[24:25], v[2:3], v[54:55] op_sel:[1,1] op_sel_hi:[0,1]
	v_fmac_f32_e32 v105, v61, v52
	v_pk_add_f32 v[22:23], v[26:27], v[102:103]
	v_pk_fma_f32 v[26:27], v[2:3], v[54:55], v[24:25] neg_lo:[0,0,1] neg_hi:[0,0,1]
	v_pk_fma_f32 v[2:3], v[2:3], v[54:55], v[24:25] op_sel_hi:[1,0,1]
	v_pk_add_f32 v[22:23], v[22:23], v[104:105]
	v_mov_b32_e32 v27, v3
	v_pk_add_f32 v[2:3], v[22:23], v[26:27]
	v_mov_b32_e32 v22, v57
	v_pk_mul_f32 v[22:23], v[4:5], v[22:23] op_sel:[1,0] op_sel_hi:[0,0]
	v_pk_fma_f32 v[24:25], v[4:5], v[56:57], v[22:23] neg_lo:[0,0,1] neg_hi:[0,0,1]
	v_pk_fma_f32 v[4:5], v[4:5], v[56:57], v[22:23] op_sel_hi:[1,0,1]
	s_nop 0
	v_mov_b32_e32 v25, v5
	s_waitcnt vmcnt(3) lgkmcnt(2)
	v_pk_mul_f32 v[4:5], v[6:7], v[46:47] op_sel:[1,1] op_sel_hi:[0,1]
	v_pk_fma_f32 v[22:23], v[6:7], v[46:47], v[4:5] neg_lo:[0,0,1] neg_hi:[0,0,1]
	v_pk_fma_f32 v[4:5], v[6:7], v[46:47], v[4:5] op_sel_hi:[1,0,1]
	v_pk_add_f32 v[2:3], v[2:3], v[24:25]
	v_mov_b32_e32 v4, v49
	v_mov_b32_e32 v23, v5
	v_pk_mul_f32 v[4:5], v[8:9], v[4:5] op_sel:[1,0] op_sel_hi:[0,0]
	v_pk_fma_f32 v[6:7], v[8:9], v[48:49], v[4:5] neg_lo:[0,0,1] neg_hi:[0,0,1]
	v_pk_fma_f32 v[4:5], v[8:9], v[48:49], v[4:5] op_sel_hi:[1,0,1]
	v_pk_add_f32 v[2:3], v[2:3], v[22:23]
	v_mov_b32_e32 v7, v5
	s_waitcnt vmcnt(2) lgkmcnt(1)
	v_pk_mul_f32 v[4:5], v[10:11], v[34:35] op_sel:[1,1] op_sel_hi:[0,1]
	v_pk_add_f32 v[2:3], v[2:3], v[6:7]
	v_pk_fma_f32 v[6:7], v[10:11], v[34:35], v[4:5] neg_lo:[0,0,1] neg_hi:[0,0,1]
	v_pk_fma_f32 v[4:5], v[10:11], v[34:35], v[4:5] op_sel_hi:[1,0,1]
	s_nop 0
	v_mov_b32_e32 v4, v37
	v_mov_b32_e32 v7, v5
	v_pk_mul_f32 v[4:5], v[12:13], v[4:5] op_sel:[1,0] op_sel_hi:[0,0]
	v_pk_add_f32 v[2:3], v[2:3], v[6:7]
	v_pk_fma_f32 v[6:7], v[12:13], v[36:37], v[4:5] neg_lo:[0,0,1] neg_hi:[0,0,1]
	v_pk_fma_f32 v[4:5], v[12:13], v[36:37], v[4:5] op_sel_hi:[1,0,1]
	s_nop 0
	v_mov_b32_e32 v7, v5
	s_waitcnt vmcnt(1) lgkmcnt(0)
	v_pk_mul_f32 v[4:5], v[14:15], v[18:19] op_sel:[1,1] op_sel_hi:[0,1]
	v_pk_add_f32 v[2:3], v[2:3], v[6:7]
	v_pk_fma_f32 v[6:7], v[14:15], v[18:19], v[4:5] neg_lo:[0,0,1] neg_hi:[0,0,1]
	v_pk_fma_f32 v[4:5], v[14:15], v[18:19], v[4:5] op_sel_hi:[1,0,1]
	s_nop 0
	v_mov_b32_e32 v4, v21
	v_mov_b32_e32 v7, v5
	v_pk_mul_f32 v[4:5], v[16:17], v[4:5] op_sel:[1,0] op_sel_hi:[0,0]
	v_pk_add_f32 v[2:3], v[2:3], v[6:7]
	v_pk_fma_f32 v[6:7], v[16:17], v[20:21], v[4:5] neg_lo:[0,0,1] neg_hi:[0,0,1]
	v_pk_fma_f32 v[4:5], v[16:17], v[20:21], v[4:5] op_sel_hi:[1,0,1]
	s_nop 0
	v_mov_b32_e32 v7, v5
	v_pk_add_f32 v[2:3], v[2:3], v[6:7]
	s_waitcnt vmcnt(0)
	v_pk_add_f32 v[2:3], v[100:101], v[2:3] neg_lo:[0,1] neg_hi:[0,1]
	scratch_store_dwordx2 off, v[2:3], off offset:256
	s_and_saveexec_b64 s[0:1], vcc
	s_cbranch_execz .LBB124_317
; %bb.316:
	scratch_load_dwordx2 v[2:3], off, off offset:248
	v_mov_b32_e32 v4, 0
	v_mov_b32_e32 v5, v4
	scratch_store_dwordx2 off, v[4:5], off offset:248
	s_waitcnt vmcnt(1)
	ds_write_b64 v1, v[2:3]
.LBB124_317:
	s_or_b64 exec, exec, s[0:1]
	s_waitcnt lgkmcnt(0)
	; wave barrier
	scratch_load_dwordx4 v[26:29], off, off offset:256
	scratch_load_dwordx4 v[2:5], off, off offset:272
	;; [unrolled: 1-line block ×14, first 2 shown]
	scratch_load_dwordx2 v[58:59], off, off offset:480
	scratch_load_dwordx2 v[68:69], off, off offset:248
	v_mov_b32_e32 v70, 0
	ds_read_b128 v[60:63], v70 offset:752
	ds_read_b128 v[64:67], v70 offset:768
	;; [unrolled: 1-line block ×12, first 2 shown]
	v_cmp_lt_u32_e32 vcc, 30, v0
	s_waitcnt vmcnt(15) lgkmcnt(11)
	v_mul_f32_e32 v71, v60, v27
	v_mul_f32_e32 v112, v62, v29
	s_waitcnt vmcnt(14) lgkmcnt(10)
	v_mul_f32_e32 v114, v64, v3
	v_mul_f32_e32 v3, v65, v3
	v_fmac_f32_e32 v71, v61, v26
	v_fmac_f32_e32 v112, v63, v28
	;; [unrolled: 1-line block ×3, first 2 shown]
	v_fma_f32 v2, v64, v2, -v3
	v_add_f32_e32 v3, 0, v71
	v_mul_f32_e32 v116, v66, v5
	v_add_f32_e32 v3, v3, v112
	s_waitcnt vmcnt(13) lgkmcnt(9)
	v_mul_f32_e32 v117, v72, v7
	v_fmac_f32_e32 v116, v67, v4
	v_add_f32_e32 v3, v3, v114
	v_mul_f32_e32 v118, v74, v9
	v_fmac_f32_e32 v117, v73, v6
	v_add_f32_e32 v3, v3, v116
	s_waitcnt vmcnt(12) lgkmcnt(8)
	v_mul_f32_e32 v119, v76, v11
	v_fmac_f32_e32 v118, v75, v8
	v_add_f32_e32 v3, v3, v117
	v_mul_f32_e32 v120, v78, v13
	v_fmac_f32_e32 v119, v77, v10
	;; [unrolled: 7-line block ×6, first 2 shown]
	v_add_f32_e32 v3, v3, v126
	s_waitcnt vmcnt(7) lgkmcnt(3)
	v_mul_f32_e32 v129, v96, v43
	v_fmac_f32_e32 v128, v95, v40
	v_add_f32_e32 v3, v3, v127
	v_mul_f32_e32 v130, v98, v45
	v_mul_f32_e32 v27, v61, v27
	v_fmac_f32_e32 v129, v97, v42
	v_add_f32_e32 v3, v3, v128
	s_waitcnt vmcnt(6) lgkmcnt(2)
	v_mul_f32_e32 v131, v100, v51
	v_mul_f32_e32 v29, v63, v29
	v_fmac_f32_e32 v130, v99, v44
	v_fma_f32 v26, v60, v26, -v27
	v_add_f32_e32 v3, v3, v129
	v_fmac_f32_e32 v131, v101, v50
	v_fma_f32 v27, v62, v28, -v29
	v_add_f32_e32 v26, 0, v26
	v_add_f32_e32 v3, v3, v130
	;; [unrolled: 1-line block ×4, first 2 shown]
	v_mul_f32_e32 v3, v67, v5
	v_add_f32_e32 v2, v26, v2
	v_fma_f32 v3, v66, v4, -v3
	v_add_f32_e32 v2, v2, v3
	v_mul_f32_e32 v3, v73, v7
	v_fma_f32 v3, v72, v6, -v3
	v_add_f32_e32 v2, v2, v3
	v_mul_f32_e32 v3, v75, v9
	;; [unrolled: 3-line block ×15, first 2 shown]
	v_fma_f32 v3, v100, v50, -v3
	v_mul_f32_e32 v113, v102, v53
	v_add_f32_e32 v26, v2, v3
	v_mul_f32_e32 v2, v103, v53
	s_waitcnt vmcnt(5)
	v_mov_b32_e32 v14, v57
	s_waitcnt lgkmcnt(1)
	v_mul_f32_e32 v115, v104, v55
	v_fmac_f32_e32 v113, v103, v52
	v_fma_f32 v112, v102, v52, -v2
	v_mul_f32_e32 v2, v105, v55
	v_pk_mul_f32 v[14:15], v[106:107], v[14:15] op_sel:[1,0] op_sel_hi:[0,0]
	v_fmac_f32_e32 v115, v105, v54
	v_fma_f32 v114, v104, v54, -v2
	v_pk_add_f32 v[12:13], v[26:27], v[112:113]
	v_pk_fma_f32 v[16:17], v[106:107], v[56:57], v[14:15] neg_lo:[0,0,1] neg_hi:[0,0,1]
	v_pk_fma_f32 v[14:15], v[106:107], v[56:57], v[14:15] op_sel_hi:[1,0,1]
	v_pk_add_f32 v[12:13], v[12:13], v[114:115]
	v_mov_b32_e32 v17, v15
	s_waitcnt vmcnt(4) lgkmcnt(0)
	v_pk_mul_f32 v[14:15], v[108:109], v[46:47] op_sel:[1,1] op_sel_hi:[0,1]
	v_pk_add_f32 v[12:13], v[12:13], v[16:17]
	v_pk_fma_f32 v[16:17], v[108:109], v[46:47], v[14:15] neg_lo:[0,0,1] neg_hi:[0,0,1]
	v_pk_fma_f32 v[14:15], v[108:109], v[46:47], v[14:15] op_sel_hi:[1,0,1]
	ds_read_b128 v[2:5], v70 offset:944
	ds_read_b128 v[6:9], v70 offset:960
	ds_read_b64 v[10:11], v70 offset:976
	v_mov_b32_e32 v14, v49
	v_mov_b32_e32 v17, v15
	v_pk_mul_f32 v[14:15], v[110:111], v[14:15] op_sel:[1,0] op_sel_hi:[0,0]
	v_pk_add_f32 v[12:13], v[12:13], v[16:17]
	v_pk_fma_f32 v[16:17], v[110:111], v[48:49], v[14:15] neg_lo:[0,0,1] neg_hi:[0,0,1]
	v_pk_fma_f32 v[14:15], v[110:111], v[48:49], v[14:15] op_sel_hi:[1,0,1]
	s_nop 0
	v_mov_b32_e32 v17, v15
	s_waitcnt vmcnt(3) lgkmcnt(2)
	v_pk_mul_f32 v[14:15], v[2:3], v[34:35] op_sel:[1,1] op_sel_hi:[0,1]
	v_pk_add_f32 v[12:13], v[12:13], v[16:17]
	v_pk_fma_f32 v[16:17], v[2:3], v[34:35], v[14:15] neg_lo:[0,0,1] neg_hi:[0,0,1]
	v_pk_fma_f32 v[2:3], v[2:3], v[34:35], v[14:15] op_sel_hi:[1,0,1]
	s_nop 0
	v_mov_b32_e32 v17, v3
	v_pk_add_f32 v[2:3], v[12:13], v[16:17]
	v_mov_b32_e32 v12, v37
	v_pk_mul_f32 v[12:13], v[4:5], v[12:13] op_sel:[1,0] op_sel_hi:[0,0]
	v_pk_fma_f32 v[14:15], v[4:5], v[36:37], v[12:13] neg_lo:[0,0,1] neg_hi:[0,0,1]
	v_pk_fma_f32 v[4:5], v[4:5], v[36:37], v[12:13] op_sel_hi:[1,0,1]
	s_nop 0
	v_mov_b32_e32 v15, v5
	s_waitcnt vmcnt(2) lgkmcnt(1)
	v_pk_mul_f32 v[4:5], v[6:7], v[18:19] op_sel:[1,1] op_sel_hi:[0,1]
	v_pk_fma_f32 v[12:13], v[6:7], v[18:19], v[4:5] neg_lo:[0,0,1] neg_hi:[0,0,1]
	v_pk_fma_f32 v[4:5], v[6:7], v[18:19], v[4:5] op_sel_hi:[1,0,1]
	v_pk_add_f32 v[2:3], v[2:3], v[14:15]
	v_mov_b32_e32 v4, v21
	v_mov_b32_e32 v13, v5
	v_pk_mul_f32 v[4:5], v[8:9], v[4:5] op_sel:[1,0] op_sel_hi:[0,0]
	v_pk_fma_f32 v[6:7], v[8:9], v[20:21], v[4:5] neg_lo:[0,0,1] neg_hi:[0,0,1]
	v_pk_fma_f32 v[4:5], v[8:9], v[20:21], v[4:5] op_sel_hi:[1,0,1]
	v_pk_add_f32 v[2:3], v[2:3], v[12:13]
	v_mov_b32_e32 v7, v5
	s_waitcnt vmcnt(1) lgkmcnt(0)
	v_pk_mul_f32 v[4:5], v[10:11], v[58:59] op_sel:[1,1] op_sel_hi:[0,1]
	v_pk_add_f32 v[2:3], v[2:3], v[6:7]
	v_pk_fma_f32 v[6:7], v[10:11], v[58:59], v[4:5] neg_lo:[0,0,1] neg_hi:[0,0,1]
	v_pk_fma_f32 v[4:5], v[10:11], v[58:59], v[4:5] op_sel_hi:[1,0,1]
	s_nop 0
	v_mov_b32_e32 v7, v5
	v_pk_add_f32 v[2:3], v[2:3], v[6:7]
	s_waitcnt vmcnt(0)
	v_pk_add_f32 v[2:3], v[68:69], v[2:3] neg_lo:[0,1] neg_hi:[0,1]
	scratch_store_dwordx2 off, v[2:3], off offset:248
	s_and_saveexec_b64 s[0:1], vcc
	s_cbranch_execz .LBB124_319
; %bb.318:
	scratch_load_dwordx2 v[2:3], off, off offset:240
	v_mov_b32_e32 v71, v70
	scratch_store_dwordx2 off, v[70:71], off offset:240
	s_waitcnt vmcnt(1)
	ds_write_b64 v1, v[2:3]
.LBB124_319:
	s_or_b64 exec, exec, s[0:1]
	s_waitcnt lgkmcnt(0)
	; wave barrier
	scratch_load_dwordx4 v[62:65], off, off offset:248
	scratch_load_dwordx4 v[58:61], off, off offset:264
	;; [unrolled: 1-line block ×11, first 2 shown]
	ds_read2_b64 v[88:91], v70 offset0:93 offset1:94
	ds_read2_b64 v[92:95], v70 offset0:95 offset1:96
	;; [unrolled: 1-line block ×11, first 2 shown]
	scratch_load_dwordx4 v[14:17], off, off offset:424
	scratch_load_dwordx4 v[10:13], off, off offset:440
	scratch_load_dwordx4 v[6:9], off, off offset:456
	scratch_load_dwordx4 v[2:5], off, off offset:472
	v_cmp_lt_u32_e32 vcc, 29, v0
	s_waitcnt vmcnt(14) lgkmcnt(10)
	v_mul_f32_e32 v71, v88, v63
	v_mul_f32_e32 v63, v89, v63
	;; [unrolled: 1-line block ×4, first 2 shown]
	v_fmac_f32_e32 v71, v89, v62
	v_fma_f32 v62, v88, v62, -v63
	s_waitcnt vmcnt(13) lgkmcnt(9)
	v_mul_f32_e32 v74, v92, v59
	v_mul_f32_e32 v59, v93, v59
	v_fma_f32 v63, v90, v64, -v65
	v_add_f32_e32 v62, 0, v62
	v_mul_f32_e32 v112, v94, v61
	v_mul_f32_e32 v61, v95, v61
	v_fmac_f32_e32 v74, v93, v58
	v_fma_f32 v58, v92, v58, -v59
	v_add_f32_e32 v62, v62, v63
	v_fmac_f32_e32 v112, v95, v60
	v_add_f32_e32 v58, v62, v58
	v_fma_f32 v60, v94, v60, -v61
	v_add_f32_e32 v58, v58, v60
	s_waitcnt vmcnt(12) lgkmcnt(8)
	v_mul_f32_e32 v60, v97, v67
	v_fma_f32 v60, v96, v66, -v60
	v_add_f32_e32 v58, v58, v60
	v_mul_f32_e32 v60, v99, v69
	v_fma_f32 v60, v98, v68, -v60
	v_add_f32_e32 v58, v58, v60
	s_waitcnt vmcnt(11) lgkmcnt(7)
	v_mul_f32_e32 v60, v101, v77
	v_fma_f32 v60, v100, v76, -v60
	v_add_f32_e32 v58, v58, v60
	v_mul_f32_e32 v60, v103, v79
	;; [unrolled: 7-line block ×4, first 2 shown]
	v_fma_f32 v62, v110, v86, -v60
	scratch_load_dwordx2 v[60:61], off, off offset:240
	s_waitcnt vmcnt(9) lgkmcnt(4)
	v_mul_f32_e32 v121, v54, v19
	v_fmac_f32_e32 v72, v91, v64
	v_add_f32_e32 v59, 0, v71
	v_mul_f32_e32 v19, v55, v19
	v_fmac_f32_e32 v121, v55, v18
	v_add_f32_e32 v59, v59, v72
	v_add_f32_e32 v58, v58, v62
	v_fma_f32 v18, v54, v18, -v19
	v_mul_f32_e32 v19, v57, v21
	v_mul_f32_e32 v113, v96, v67
	v_add_f32_e32 v59, v59, v74
	v_add_f32_e32 v18, v58, v18
	v_fma_f32 v19, v56, v20, -v19
	v_mul_f32_e32 v114, v98, v69
	v_fmac_f32_e32 v113, v97, v66
	v_add_f32_e32 v59, v59, v112
	v_add_f32_e32 v18, v18, v19
	s_waitcnt vmcnt(8) lgkmcnt(3)
	v_mul_f32_e32 v19, v51, v23
	v_mul_f32_e32 v115, v100, v77
	v_fmac_f32_e32 v114, v99, v68
	v_add_f32_e32 v59, v59, v113
	v_fma_f32 v19, v50, v22, -v19
	v_mul_f32_e32 v116, v102, v79
	v_fmac_f32_e32 v115, v101, v76
	v_add_f32_e32 v59, v59, v114
	v_add_f32_e32 v18, v18, v19
	v_mul_f32_e32 v19, v53, v25
	v_mul_f32_e32 v117, v104, v81
	v_fmac_f32_e32 v116, v103, v78
	v_add_f32_e32 v59, v59, v115
	v_fma_f32 v19, v52, v24, -v19
	v_mul_f32_e32 v118, v106, v83
	v_fmac_f32_e32 v117, v105, v80
	v_add_f32_e32 v59, v59, v116
	v_add_f32_e32 v18, v18, v19
	s_waitcnt vmcnt(7) lgkmcnt(2)
	v_mul_f32_e32 v19, v47, v27
	v_mul_f32_e32 v119, v108, v85
	v_fmac_f32_e32 v118, v107, v82
	v_add_f32_e32 v59, v59, v117
	v_fma_f32 v19, v46, v26, -v19
	v_mul_f32_e32 v120, v110, v87
	v_fmac_f32_e32 v119, v109, v84
	v_add_f32_e32 v59, v59, v118
	v_add_f32_e32 v18, v18, v19
	v_mul_f32_e32 v19, v49, v29
	v_fmac_f32_e32 v120, v111, v86
	v_add_f32_e32 v59, v59, v119
	v_fma_f32 v19, v48, v28, -v19
	v_mul_f32_e32 v122, v56, v21
	v_add_f32_e32 v59, v59, v120
	v_add_f32_e32 v18, v18, v19
	s_waitcnt vmcnt(6) lgkmcnt(1)
	v_mul_f32_e32 v19, v43, v31
	v_mul_f32_e32 v123, v50, v23
	v_fmac_f32_e32 v122, v57, v20
	v_add_f32_e32 v59, v59, v121
	v_fma_f32 v19, v42, v30, -v19
	v_mul_f32_e32 v124, v52, v25
	v_fmac_f32_e32 v123, v51, v22
	v_add_f32_e32 v59, v59, v122
	v_add_f32_e32 v18, v18, v19
	v_mul_f32_e32 v19, v45, v33
	v_mul_f32_e32 v125, v46, v27
	v_fmac_f32_e32 v124, v53, v24
	v_add_f32_e32 v59, v59, v123
	v_fma_f32 v19, v44, v32, -v19
	v_mul_f32_e32 v126, v48, v29
	v_fmac_f32_e32 v125, v47, v26
	v_add_f32_e32 v59, v59, v124
	v_add_f32_e32 v58, v18, v19
	s_waitcnt vmcnt(5) lgkmcnt(0)
	v_mul_f32_e32 v18, v39, v35
	v_mul_f32_e32 v127, v42, v31
	;; [unrolled: 1-line block ×3, first 2 shown]
	v_fmac_f32_e32 v126, v49, v28
	v_add_f32_e32 v59, v59, v125
	v_fma_f32 v74, v38, v34, -v18
	v_mul_f32_e32 v18, v41, v37
	v_fmac_f32_e32 v127, v43, v30
	v_fmac_f32_e32 v128, v45, v32
	v_add_f32_e32 v59, v59, v126
	v_fma_f32 v72, v40, v36, -v18
	ds_read2_b64 v[18:21], v70 offset0:115 offset1:116
	ds_read2_b64 v[22:25], v70 offset0:117 offset1:118
	;; [unrolled: 1-line block ×4, first 2 shown]
	v_mul_f32_e32 v75, v38, v35
	v_mul_f32_e32 v73, v40, v37
	v_add_f32_e32 v59, v59, v127
	v_fmac_f32_e32 v75, v39, v34
	v_fmac_f32_e32 v73, v41, v36
	v_add_f32_e32 v59, v59, v128
	s_waitcnt vmcnt(4) lgkmcnt(3)
	v_pk_mul_f32 v[36:37], v[18:19], v[14:15] op_sel:[1,1] op_sel_hi:[0,1]
	v_pk_add_f32 v[34:35], v[58:59], v[74:75]
	v_pk_fma_f32 v[38:39], v[18:19], v[14:15], v[36:37] neg_lo:[0,0,1] neg_hi:[0,0,1]
	v_pk_fma_f32 v[14:15], v[18:19], v[14:15], v[36:37] op_sel_hi:[1,0,1]
	v_mov_b32_e32 v18, v17
	v_pk_add_f32 v[34:35], v[34:35], v[72:73]
	v_mov_b32_e32 v39, v15
	v_pk_mul_f32 v[18:19], v[20:21], v[18:19] op_sel:[1,0] op_sel_hi:[0,0]
	v_pk_add_f32 v[14:15], v[34:35], v[38:39]
	v_pk_fma_f32 v[34:35], v[20:21], v[16:17], v[18:19] neg_lo:[0,0,1] neg_hi:[0,0,1]
	v_pk_fma_f32 v[16:17], v[20:21], v[16:17], v[18:19] op_sel_hi:[1,0,1]
	s_nop 0
	v_mov_b32_e32 v35, v17
	s_waitcnt vmcnt(3) lgkmcnt(2)
	v_pk_mul_f32 v[16:17], v[22:23], v[10:11] op_sel:[1,1] op_sel_hi:[0,1]
	v_pk_fma_f32 v[18:19], v[22:23], v[10:11], v[16:17] neg_lo:[0,0,1] neg_hi:[0,0,1]
	v_pk_fma_f32 v[10:11], v[22:23], v[10:11], v[16:17] op_sel_hi:[1,0,1]
	v_pk_add_f32 v[14:15], v[14:15], v[34:35]
	v_mov_b32_e32 v19, v11
	v_pk_add_f32 v[10:11], v[14:15], v[18:19]
	v_mov_b32_e32 v14, v13
	v_pk_mul_f32 v[14:15], v[24:25], v[14:15] op_sel:[1,0] op_sel_hi:[0,0]
	v_pk_fma_f32 v[16:17], v[24:25], v[12:13], v[14:15] neg_lo:[0,0,1] neg_hi:[0,0,1]
	v_pk_fma_f32 v[12:13], v[24:25], v[12:13], v[14:15] op_sel_hi:[1,0,1]
	s_nop 0
	v_mov_b32_e32 v17, v13
	s_waitcnt vmcnt(2) lgkmcnt(1)
	v_pk_mul_f32 v[12:13], v[26:27], v[6:7] op_sel:[1,1] op_sel_hi:[0,1]
	v_pk_fma_f32 v[14:15], v[26:27], v[6:7], v[12:13] neg_lo:[0,0,1] neg_hi:[0,0,1]
	v_pk_fma_f32 v[6:7], v[26:27], v[6:7], v[12:13] op_sel_hi:[1,0,1]
	v_pk_add_f32 v[10:11], v[10:11], v[16:17]
	v_mov_b32_e32 v15, v7
	v_pk_add_f32 v[6:7], v[10:11], v[14:15]
	v_mov_b32_e32 v10, v9
	v_pk_mul_f32 v[10:11], v[28:29], v[10:11] op_sel:[1,0] op_sel_hi:[0,0]
	;; [unrolled: 13-line block ×3, first 2 shown]
	v_pk_fma_f32 v[8:9], v[32:33], v[4:5], v[6:7] neg_lo:[0,0,1] neg_hi:[0,0,1]
	v_pk_fma_f32 v[4:5], v[32:33], v[4:5], v[6:7] op_sel_hi:[1,0,1]
	s_nop 0
	v_mov_b32_e32 v9, v5
	v_pk_add_f32 v[2:3], v[2:3], v[8:9]
	s_waitcnt vmcnt(0)
	v_pk_add_f32 v[2:3], v[60:61], v[2:3] neg_lo:[0,1] neg_hi:[0,1]
	scratch_store_dwordx2 off, v[2:3], off offset:240
	s_and_saveexec_b64 s[0:1], vcc
	s_cbranch_execz .LBB124_321
; %bb.320:
	scratch_load_dwordx2 v[2:3], off, off offset:232
	v_mov_b32_e32 v4, 0
	v_mov_b32_e32 v5, v4
	scratch_store_dwordx2 off, v[4:5], off offset:232
	s_waitcnt vmcnt(1)
	ds_write_b64 v1, v[2:3]
.LBB124_321:
	s_or_b64 exec, exec, s[0:1]
	v_mov_b32_e32 v62, 0
	s_waitcnt lgkmcnt(0)
	; wave barrier
	ds_read_b128 v[14:17], v62 offset:736
	ds_read_b128 v[10:13], v62 offset:752
	;; [unrolled: 1-line block ×4, first 2 shown]
	scratch_load_dwordx4 v[18:21], off, off offset:240
	scratch_load_dwordx4 v[38:41], off, off offset:304
	;; [unrolled: 1-line block ×6, first 2 shown]
	v_cmp_lt_u32_e32 vcc, 28, v0
	scratch_load_dwordx4 v[46:49], off, off offset:320
	scratch_load_dwordx4 v[54:57], off, off offset:336
	scratch_load_dwordx4 v[64:67], off, off offset:352
	s_waitcnt vmcnt(8) lgkmcnt(3)
	v_mul_f32_e32 v22, v14, v19
	v_fmac_f32_e32 v22, v15, v18
	v_mul_f32_e32 v23, v16, v21
	v_add_f32_e32 v22, 0, v22
	v_fmac_f32_e32 v23, v17, v20
	v_add_f32_e32 v26, v22, v23
	scratch_load_dwordx4 v[22:25], off, off offset:256
	v_mul_f32_e32 v15, v15, v19
	v_fma_f32 v14, v14, v18, -v15
	v_mul_f32_e32 v15, v17, v21
	v_add_f32_e32 v14, 0, v14
	v_fma_f32 v15, v16, v20, -v15
	v_add_f32_e32 v14, v14, v15
	s_waitcnt vmcnt(4)
	v_mov_b32_e32 v18, v99
	s_waitcnt vmcnt(0) lgkmcnt(2)
	v_mul_f32_e32 v27, v10, v23
	v_fmac_f32_e32 v27, v11, v22
	v_add_f32_e32 v26, v26, v27
	v_mul_f32_e32 v27, v12, v25
	v_fmac_f32_e32 v27, v13, v24
	v_add_f32_e32 v30, v26, v27
	scratch_load_dwordx4 v[26:29], off, off offset:272
	v_mul_f32_e32 v11, v11, v23
	v_fma_f32 v10, v10, v22, -v11
	v_mul_f32_e32 v11, v13, v25
	v_add_f32_e32 v10, v14, v10
	v_fma_f32 v11, v12, v24, -v11
	v_add_f32_e32 v10, v10, v11
	s_waitcnt vmcnt(0) lgkmcnt(1)
	v_mul_f32_e32 v31, v6, v27
	v_fmac_f32_e32 v31, v7, v26
	v_add_f32_e32 v30, v30, v31
	v_mul_f32_e32 v31, v8, v29
	v_fmac_f32_e32 v31, v9, v28
	v_add_f32_e32 v34, v30, v31
	scratch_load_dwordx4 v[30:33], off, off offset:288
	v_mul_f32_e32 v7, v7, v27
	v_fma_f32 v6, v6, v26, -v7
	v_mul_f32_e32 v7, v9, v29
	v_add_f32_e32 v6, v10, v6
	v_fma_f32 v7, v8, v28, -v7
	v_add_f32_e32 v6, v6, v7
	s_waitcnt vmcnt(0) lgkmcnt(0)
	v_mul_f32_e32 v35, v2, v31
	v_fmac_f32_e32 v35, v3, v30
	v_add_f32_e32 v34, v34, v35
	v_mul_f32_e32 v35, v4, v33
	v_fmac_f32_e32 v35, v5, v32
	v_add_f32_e32 v42, v34, v35
	ds_read_b128 v[34:37], v62 offset:800
	v_mul_f32_e32 v3, v3, v31
	v_fma_f32 v2, v2, v30, -v3
	v_mul_f32_e32 v3, v5, v33
	v_add_f32_e32 v2, v6, v2
	s_waitcnt lgkmcnt(0)
	v_mul_f32_e32 v43, v34, v39
	v_fmac_f32_e32 v43, v35, v38
	v_add_f32_e32 v42, v42, v43
	v_mul_f32_e32 v43, v36, v41
	v_fmac_f32_e32 v43, v37, v40
	v_add_f32_e32 v50, v42, v43
	ds_read_b128 v[42:45], v62 offset:816
	v_fma_f32 v3, v4, v32, -v3
	v_add_f32_e32 v2, v2, v3
	v_mul_f32_e32 v3, v35, v39
	v_fma_f32 v3, v34, v38, -v3
	s_waitcnt lgkmcnt(0)
	v_mul_f32_e32 v51, v42, v47
	v_fmac_f32_e32 v51, v43, v46
	v_add_f32_e32 v50, v50, v51
	v_mul_f32_e32 v51, v44, v49
	v_fmac_f32_e32 v51, v45, v48
	v_add_f32_e32 v58, v50, v51
	ds_read_b128 v[50:53], v62 offset:832
	v_add_f32_e32 v2, v2, v3
	v_mul_f32_e32 v3, v37, v41
	v_fma_f32 v3, v36, v40, -v3
	v_add_f32_e32 v2, v2, v3
	s_waitcnt lgkmcnt(0)
	v_mul_f32_e32 v59, v50, v55
	v_fmac_f32_e32 v59, v51, v54
	v_add_f32_e32 v58, v58, v59
	v_mul_f32_e32 v59, v52, v57
	v_fmac_f32_e32 v59, v53, v56
	v_add_f32_e32 v63, v58, v59
	ds_read_b128 v[58:61], v62 offset:848
	v_mul_f32_e32 v3, v43, v47
	v_fma_f32 v3, v42, v46, -v3
	v_add_f32_e32 v2, v2, v3
	v_mul_f32_e32 v3, v45, v49
	s_waitcnt lgkmcnt(0)
	v_mul_f32_e32 v68, v58, v65
	v_fmac_f32_e32 v68, v59, v64
	v_add_f32_e32 v63, v63, v68
	v_mul_f32_e32 v68, v60, v67
	v_fmac_f32_e32 v68, v61, v66
	v_add_f32_e32 v63, v63, v68
	ds_read_b128 v[68:71], v62 offset:864
	v_fma_f32 v3, v44, v48, -v3
	v_add_f32_e32 v2, v2, v3
	v_mul_f32_e32 v3, v51, v55
	v_fma_f32 v3, v50, v54, -v3
	s_waitcnt lgkmcnt(0)
	v_mul_f32_e32 v76, v68, v73
	v_fmac_f32_e32 v76, v69, v72
	v_add_f32_e32 v63, v63, v76
	v_mul_f32_e32 v76, v70, v75
	v_fmac_f32_e32 v76, v71, v74
	v_add_f32_e32 v63, v63, v76
	ds_read_b128 v[76:79], v62 offset:880
	v_add_f32_e32 v2, v2, v3
	v_mul_f32_e32 v3, v53, v57
	v_fma_f32 v3, v52, v56, -v3
	v_add_f32_e32 v2, v2, v3
	s_waitcnt lgkmcnt(0)
	v_mul_f32_e32 v84, v76, v81
	v_fmac_f32_e32 v84, v77, v80
	v_add_f32_e32 v63, v63, v84
	v_mul_f32_e32 v84, v78, v83
	v_fmac_f32_e32 v84, v79, v82
	v_add_f32_e32 v63, v63, v84
	ds_read_b128 v[84:87], v62 offset:896
	v_mul_f32_e32 v3, v59, v65
	v_fma_f32 v3, v58, v64, -v3
	v_add_f32_e32 v2, v2, v3
	v_mul_f32_e32 v3, v61, v67
	s_waitcnt lgkmcnt(0)
	v_mul_f32_e32 v92, v84, v89
	v_fmac_f32_e32 v92, v85, v88
	v_add_f32_e32 v113, v63, v92
	ds_read_b128 v[92:95], v62 offset:912
	scratch_load_dwordx4 v[100:103], off, off offset:432
	scratch_load_dwordx4 v[104:107], off, off offset:448
	;; [unrolled: 1-line block ×3, first 2 shown]
	scratch_load_dwordx2 v[118:119], off, off offset:480
	v_fma_f32 v3, v60, v66, -v3
	v_add_f32_e32 v2, v2, v3
	v_mul_f32_e32 v3, v69, v73
	v_fma_f32 v3, v68, v72, -v3
	v_add_f32_e32 v2, v2, v3
	v_mul_f32_e32 v3, v71, v75
	;; [unrolled: 3-line block ×6, first 2 shown]
	v_mul_f32_e32 v115, v86, v91
	v_fma_f32 v114, v86, v90, -v2
	s_waitcnt lgkmcnt(0)
	v_mul_f32_e32 v2, v93, v97
	v_fmac_f32_e32 v115, v87, v90
	v_mul_f32_e32 v117, v92, v97
	v_fma_f32 v116, v92, v96, -v2
	ds_read_b128 v[2:5], v62 offset:928
	ds_read_b128 v[6:9], v62 offset:944
	;; [unrolled: 1-line block ×3, first 2 shown]
	ds_read_b64 v[14:15], v62 offset:976
	v_pk_mul_f32 v[18:19], v[94:95], v[18:19] op_sel:[1,0] op_sel_hi:[0,0]
	v_fmac_f32_e32 v117, v93, v96
	v_pk_add_f32 v[16:17], v[112:113], v[114:115]
	v_pk_fma_f32 v[20:21], v[94:95], v[98:99], v[18:19] neg_lo:[0,0,1] neg_hi:[0,0,1]
	v_pk_fma_f32 v[18:19], v[94:95], v[98:99], v[18:19] op_sel_hi:[1,0,1]
	v_pk_add_f32 v[16:17], v[16:17], v[116:117]
	v_mov_b32_e32 v21, v19
	v_pk_add_f32 v[16:17], v[16:17], v[20:21]
	s_waitcnt vmcnt(3) lgkmcnt(3)
	v_pk_mul_f32 v[18:19], v[2:3], v[100:101] op_sel:[1,1] op_sel_hi:[0,1]
	v_pk_fma_f32 v[20:21], v[2:3], v[100:101], v[18:19] neg_lo:[0,0,1] neg_hi:[0,0,1]
	v_pk_fma_f32 v[2:3], v[2:3], v[100:101], v[18:19] op_sel_hi:[1,0,1]
	s_nop 0
	v_mov_b32_e32 v21, v3
	v_pk_add_f32 v[2:3], v[16:17], v[20:21]
	v_mov_b32_e32 v16, v103
	v_pk_mul_f32 v[16:17], v[4:5], v[16:17] op_sel:[1,0] op_sel_hi:[0,0]
	v_pk_fma_f32 v[18:19], v[4:5], v[102:103], v[16:17] neg_lo:[0,0,1] neg_hi:[0,0,1]
	v_pk_fma_f32 v[4:5], v[4:5], v[102:103], v[16:17] op_sel_hi:[1,0,1]
	s_nop 0
	v_mov_b32_e32 v19, v5
	s_waitcnt vmcnt(2) lgkmcnt(2)
	v_pk_mul_f32 v[4:5], v[6:7], v[104:105] op_sel:[1,1] op_sel_hi:[0,1]
	v_pk_fma_f32 v[16:17], v[6:7], v[104:105], v[4:5] neg_lo:[0,0,1] neg_hi:[0,0,1]
	v_pk_fma_f32 v[4:5], v[6:7], v[104:105], v[4:5] op_sel_hi:[1,0,1]
	v_pk_add_f32 v[2:3], v[2:3], v[18:19]
	v_mov_b32_e32 v4, v107
	v_mov_b32_e32 v17, v5
	v_pk_mul_f32 v[4:5], v[8:9], v[4:5] op_sel:[1,0] op_sel_hi:[0,0]
	v_pk_fma_f32 v[6:7], v[8:9], v[106:107], v[4:5] neg_lo:[0,0,1] neg_hi:[0,0,1]
	v_pk_fma_f32 v[4:5], v[8:9], v[106:107], v[4:5] op_sel_hi:[1,0,1]
	v_pk_add_f32 v[2:3], v[2:3], v[16:17]
	v_mov_b32_e32 v7, v5
	s_waitcnt vmcnt(1) lgkmcnt(1)
	v_pk_mul_f32 v[4:5], v[10:11], v[108:109] op_sel:[1,1] op_sel_hi:[0,1]
	v_pk_add_f32 v[2:3], v[2:3], v[6:7]
	v_pk_fma_f32 v[6:7], v[10:11], v[108:109], v[4:5] neg_lo:[0,0,1] neg_hi:[0,0,1]
	v_pk_fma_f32 v[4:5], v[10:11], v[108:109], v[4:5] op_sel_hi:[1,0,1]
	s_nop 0
	v_mov_b32_e32 v4, v111
	v_mov_b32_e32 v7, v5
	v_pk_mul_f32 v[4:5], v[12:13], v[4:5] op_sel:[1,0] op_sel_hi:[0,0]
	v_pk_add_f32 v[2:3], v[2:3], v[6:7]
	v_pk_fma_f32 v[6:7], v[12:13], v[110:111], v[4:5] neg_lo:[0,0,1] neg_hi:[0,0,1]
	v_pk_fma_f32 v[4:5], v[12:13], v[110:111], v[4:5] op_sel_hi:[1,0,1]
	s_nop 0
	v_mov_b32_e32 v7, v5
	s_waitcnt vmcnt(0) lgkmcnt(0)
	v_pk_mul_f32 v[4:5], v[14:15], v[118:119] op_sel:[1,1] op_sel_hi:[0,1]
	v_pk_add_f32 v[2:3], v[2:3], v[6:7]
	v_pk_fma_f32 v[6:7], v[14:15], v[118:119], v[4:5] neg_lo:[0,0,1] neg_hi:[0,0,1]
	v_pk_fma_f32 v[4:5], v[14:15], v[118:119], v[4:5] op_sel_hi:[1,0,1]
	s_nop 0
	v_mov_b32_e32 v7, v5
	scratch_load_dwordx2 v[4:5], off, off offset:232
	v_pk_add_f32 v[2:3], v[2:3], v[6:7]
	s_waitcnt vmcnt(0)
	v_pk_add_f32 v[2:3], v[4:5], v[2:3] neg_lo:[0,1] neg_hi:[0,1]
	scratch_store_dwordx2 off, v[2:3], off offset:232
	s_and_saveexec_b64 s[0:1], vcc
	s_cbranch_execz .LBB124_323
; %bb.322:
	scratch_load_dwordx2 v[2:3], off, off offset:224
	v_mov_b32_e32 v63, v62
	scratch_store_dwordx2 off, v[62:63], off offset:224
	s_waitcnt vmcnt(1)
	ds_write_b64 v1, v[2:3]
.LBB124_323:
	s_or_b64 exec, exec, s[0:1]
	s_waitcnt lgkmcnt(0)
	; wave barrier
	scratch_load_dwordx4 v[6:9], off, off offset:232
	scratch_load_dwordx4 v[14:17], off, off offset:248
	;; [unrolled: 1-line block ×10, first 2 shown]
	ds_read2_b64 v[2:5], v62 offset0:91 offset1:92
	scratch_load_dwordx4 v[88:91], off, off offset:392
	scratch_load_dwordx4 v[96:99], off, off offset:408
	v_cmp_lt_u32_e32 vcc, 27, v0
	s_waitcnt vmcnt(11) lgkmcnt(0)
	v_mul_f32_e32 v10, v2, v7
	v_fmac_f32_e32 v10, v3, v6
	v_mul_f32_e32 v11, v4, v9
	v_add_f32_e32 v10, 0, v10
	v_fmac_f32_e32 v11, v5, v8
	v_add_f32_e32 v18, v10, v11
	ds_read2_b64 v[10:13], v62 offset0:93 offset1:94
	v_mul_f32_e32 v3, v3, v7
	v_fma_f32 v2, v2, v6, -v3
	v_mul_f32_e32 v3, v5, v9
	v_add_f32_e32 v2, 0, v2
	s_waitcnt vmcnt(10) lgkmcnt(0)
	v_mul_f32_e32 v19, v10, v15
	v_fmac_f32_e32 v19, v11, v14
	v_add_f32_e32 v18, v18, v19
	v_mul_f32_e32 v19, v12, v17
	v_fmac_f32_e32 v19, v13, v16
	v_add_f32_e32 v26, v18, v19
	ds_read2_b64 v[18:21], v62 offset0:95 offset1:96
	v_fma_f32 v3, v4, v8, -v3
	v_add_f32_e32 v2, v2, v3
	v_mul_f32_e32 v3, v11, v15
	v_fma_f32 v3, v10, v14, -v3
	s_waitcnt vmcnt(9) lgkmcnt(0)
	v_mul_f32_e32 v27, v18, v23
	v_fmac_f32_e32 v27, v19, v22
	v_add_f32_e32 v26, v26, v27
	v_mul_f32_e32 v27, v20, v25
	v_fmac_f32_e32 v27, v21, v24
	v_add_f32_e32 v34, v26, v27
	ds_read2_b64 v[26:29], v62 offset0:97 offset1:98
	v_add_f32_e32 v2, v2, v3
	v_mul_f32_e32 v3, v13, v17
	v_fma_f32 v3, v12, v16, -v3
	v_add_f32_e32 v2, v2, v3
	s_waitcnt vmcnt(8) lgkmcnt(0)
	v_mul_f32_e32 v35, v26, v31
	v_fmac_f32_e32 v35, v27, v30
	v_add_f32_e32 v34, v34, v35
	v_mul_f32_e32 v35, v28, v33
	v_fmac_f32_e32 v35, v29, v32
	v_add_f32_e32 v42, v34, v35
	ds_read2_b64 v[34:37], v62 offset0:99 offset1:100
	v_mul_f32_e32 v3, v19, v23
	v_fma_f32 v3, v18, v22, -v3
	v_add_f32_e32 v2, v2, v3
	v_mul_f32_e32 v3, v21, v25
	s_waitcnt vmcnt(7) lgkmcnt(0)
	v_mul_f32_e32 v43, v34, v39
	v_fmac_f32_e32 v43, v35, v38
	v_add_f32_e32 v42, v42, v43
	v_mul_f32_e32 v43, v36, v41
	v_fmac_f32_e32 v43, v37, v40
	v_add_f32_e32 v50, v42, v43
	ds_read2_b64 v[42:45], v62 offset0:101 offset1:102
	v_fma_f32 v3, v20, v24, -v3
	v_add_f32_e32 v2, v2, v3
	v_mul_f32_e32 v3, v27, v31
	v_fma_f32 v3, v26, v30, -v3
	s_waitcnt vmcnt(6) lgkmcnt(0)
	v_mul_f32_e32 v51, v42, v47
	v_fmac_f32_e32 v51, v43, v46
	v_add_f32_e32 v50, v50, v51
	v_mul_f32_e32 v51, v44, v49
	v_fmac_f32_e32 v51, v45, v48
	v_add_f32_e32 v58, v50, v51
	ds_read2_b64 v[50:53], v62 offset0:103 offset1:104
	v_add_f32_e32 v2, v2, v3
	v_mul_f32_e32 v3, v29, v33
	v_fma_f32 v3, v28, v32, -v3
	v_add_f32_e32 v2, v2, v3
	s_waitcnt vmcnt(5) lgkmcnt(0)
	v_mul_f32_e32 v59, v50, v55
	v_fmac_f32_e32 v59, v51, v54
	v_add_f32_e32 v58, v58, v59
	v_mul_f32_e32 v59, v52, v57
	v_fmac_f32_e32 v59, v53, v56
	v_add_f32_e32 v63, v58, v59
	ds_read2_b64 v[58:61], v62 offset0:105 offset1:106
	v_mul_f32_e32 v3, v35, v39
	v_fma_f32 v3, v34, v38, -v3
	v_add_f32_e32 v2, v2, v3
	v_mul_f32_e32 v3, v37, v41
	s_waitcnt vmcnt(4) lgkmcnt(0)
	v_mul_f32_e32 v68, v58, v65
	v_fmac_f32_e32 v68, v59, v64
	v_add_f32_e32 v63, v63, v68
	v_mul_f32_e32 v68, v60, v67
	v_fmac_f32_e32 v68, v61, v66
	v_add_f32_e32 v63, v63, v68
	ds_read2_b64 v[68:71], v62 offset0:107 offset1:108
	v_fma_f32 v3, v36, v40, -v3
	v_add_f32_e32 v2, v2, v3
	v_mul_f32_e32 v3, v43, v47
	v_fma_f32 v3, v42, v46, -v3
	s_waitcnt vmcnt(3) lgkmcnt(0)
	v_mul_f32_e32 v76, v68, v73
	v_fmac_f32_e32 v76, v69, v72
	v_add_f32_e32 v63, v63, v76
	v_mul_f32_e32 v76, v70, v75
	v_fmac_f32_e32 v76, v71, v74
	v_add_f32_e32 v63, v63, v76
	ds_read2_b64 v[76:79], v62 offset0:109 offset1:110
	v_add_f32_e32 v2, v2, v3
	v_mul_f32_e32 v3, v45, v49
	v_fma_f32 v3, v44, v48, -v3
	v_add_f32_e32 v2, v2, v3
	s_waitcnt vmcnt(2) lgkmcnt(0)
	v_mul_f32_e32 v84, v76, v81
	v_fmac_f32_e32 v84, v77, v80
	v_add_f32_e32 v63, v63, v84
	v_mul_f32_e32 v84, v78, v83
	v_fmac_f32_e32 v84, v79, v82
	v_add_f32_e32 v63, v63, v84
	ds_read2_b64 v[84:87], v62 offset0:111 offset1:112
	v_mul_f32_e32 v3, v51, v55
	v_fma_f32 v3, v50, v54, -v3
	v_add_f32_e32 v2, v2, v3
	v_mul_f32_e32 v3, v53, v57
	s_waitcnt vmcnt(1) lgkmcnt(0)
	v_mul_f32_e32 v92, v84, v89
	v_fmac_f32_e32 v92, v85, v88
	v_add_f32_e32 v63, v63, v92
	v_mul_f32_e32 v92, v86, v91
	v_fmac_f32_e32 v92, v87, v90
	v_add_f32_e32 v117, v63, v92
	ds_read2_b64 v[92:95], v62 offset0:113 offset1:114
	scratch_load_dwordx4 v[100:103], off, off offset:424
	scratch_load_dwordx4 v[104:107], off, off offset:440
	;; [unrolled: 1-line block ×4, first 2 shown]
	v_fma_f32 v3, v52, v56, -v3
	v_add_f32_e32 v2, v2, v3
	v_mul_f32_e32 v3, v59, v65
	v_fma_f32 v3, v58, v64, -v3
	v_add_f32_e32 v2, v2, v3
	v_mul_f32_e32 v3, v61, v67
	;; [unrolled: 3-line block ×8, first 2 shown]
	v_fma_f32 v3, v86, v90, -v3
	v_add_f32_e32 v116, v2, v3
	s_waitcnt vmcnt(4) lgkmcnt(0)
	v_mul_f32_e32 v2, v93, v97
	v_fma_f32 v118, v92, v96, -v2
	v_mul_f32_e32 v2, v95, v99
	v_fma_f32 v120, v94, v98, -v2
	ds_read2_b64 v[2:5], v62 offset0:115 offset1:116
	ds_read2_b64 v[6:9], v62 offset0:117 offset1:118
	;; [unrolled: 1-line block ×4, first 2 shown]
	v_mul_f32_e32 v119, v92, v97
	v_fmac_f32_e32 v119, v93, v96
	v_mul_f32_e32 v121, v94, v99
	v_fmac_f32_e32 v121, v95, v98
	v_pk_add_f32 v[18:19], v[116:117], v[118:119]
	s_waitcnt vmcnt(3) lgkmcnt(3)
	v_pk_mul_f32 v[20:21], v[2:3], v[100:101] op_sel:[1,1] op_sel_hi:[0,1]
	v_pk_fma_f32 v[22:23], v[2:3], v[100:101], v[20:21] neg_lo:[0,0,1] neg_hi:[0,0,1]
	v_pk_fma_f32 v[2:3], v[2:3], v[100:101], v[20:21] op_sel_hi:[1,0,1]
	v_pk_add_f32 v[18:19], v[18:19], v[120:121]
	v_mov_b32_e32 v23, v3
	v_pk_add_f32 v[2:3], v[18:19], v[22:23]
	v_mov_b32_e32 v18, v103
	v_pk_mul_f32 v[18:19], v[4:5], v[18:19] op_sel:[1,0] op_sel_hi:[0,0]
	v_pk_fma_f32 v[20:21], v[4:5], v[102:103], v[18:19] neg_lo:[0,0,1] neg_hi:[0,0,1]
	v_pk_fma_f32 v[4:5], v[4:5], v[102:103], v[18:19] op_sel_hi:[1,0,1]
	s_nop 0
	v_mov_b32_e32 v21, v5
	s_waitcnt vmcnt(2) lgkmcnt(2)
	v_pk_mul_f32 v[4:5], v[6:7], v[104:105] op_sel:[1,1] op_sel_hi:[0,1]
	v_pk_fma_f32 v[18:19], v[6:7], v[104:105], v[4:5] neg_lo:[0,0,1] neg_hi:[0,0,1]
	v_pk_fma_f32 v[4:5], v[6:7], v[104:105], v[4:5] op_sel_hi:[1,0,1]
	v_pk_add_f32 v[2:3], v[2:3], v[20:21]
	v_mov_b32_e32 v4, v107
	v_mov_b32_e32 v19, v5
	v_pk_mul_f32 v[4:5], v[8:9], v[4:5] op_sel:[1,0] op_sel_hi:[0,0]
	v_pk_fma_f32 v[6:7], v[8:9], v[106:107], v[4:5] neg_lo:[0,0,1] neg_hi:[0,0,1]
	v_pk_fma_f32 v[4:5], v[8:9], v[106:107], v[4:5] op_sel_hi:[1,0,1]
	v_pk_add_f32 v[2:3], v[2:3], v[18:19]
	v_mov_b32_e32 v7, v5
	s_waitcnt vmcnt(1) lgkmcnt(1)
	v_pk_mul_f32 v[4:5], v[10:11], v[108:109] op_sel:[1,1] op_sel_hi:[0,1]
	v_pk_add_f32 v[2:3], v[2:3], v[6:7]
	v_pk_fma_f32 v[6:7], v[10:11], v[108:109], v[4:5] neg_lo:[0,0,1] neg_hi:[0,0,1]
	v_pk_fma_f32 v[4:5], v[10:11], v[108:109], v[4:5] op_sel_hi:[1,0,1]
	s_nop 0
	v_mov_b32_e32 v4, v111
	v_mov_b32_e32 v7, v5
	v_pk_mul_f32 v[4:5], v[12:13], v[4:5] op_sel:[1,0] op_sel_hi:[0,0]
	v_pk_add_f32 v[2:3], v[2:3], v[6:7]
	v_pk_fma_f32 v[6:7], v[12:13], v[110:111], v[4:5] neg_lo:[0,0,1] neg_hi:[0,0,1]
	v_pk_fma_f32 v[4:5], v[12:13], v[110:111], v[4:5] op_sel_hi:[1,0,1]
	s_nop 0
	v_mov_b32_e32 v7, v5
	s_waitcnt vmcnt(0) lgkmcnt(0)
	v_pk_mul_f32 v[4:5], v[14:15], v[112:113] op_sel:[1,1] op_sel_hi:[0,1]
	v_pk_add_f32 v[2:3], v[2:3], v[6:7]
	v_pk_fma_f32 v[6:7], v[14:15], v[112:113], v[4:5] neg_lo:[0,0,1] neg_hi:[0,0,1]
	v_pk_fma_f32 v[4:5], v[14:15], v[112:113], v[4:5] op_sel_hi:[1,0,1]
	s_nop 0
	v_mov_b32_e32 v4, v115
	v_mov_b32_e32 v7, v5
	v_pk_mul_f32 v[4:5], v[16:17], v[4:5] op_sel:[1,0] op_sel_hi:[0,0]
	v_pk_add_f32 v[2:3], v[2:3], v[6:7]
	v_pk_fma_f32 v[6:7], v[16:17], v[114:115], v[4:5] neg_lo:[0,0,1] neg_hi:[0,0,1]
	v_pk_fma_f32 v[4:5], v[16:17], v[114:115], v[4:5] op_sel_hi:[1,0,1]
	s_nop 0
	v_mov_b32_e32 v7, v5
	scratch_load_dwordx2 v[4:5], off, off offset:224
	v_pk_add_f32 v[2:3], v[2:3], v[6:7]
	s_waitcnt vmcnt(0)
	v_pk_add_f32 v[2:3], v[4:5], v[2:3] neg_lo:[0,1] neg_hi:[0,1]
	scratch_store_dwordx2 off, v[2:3], off offset:224
	s_and_saveexec_b64 s[0:1], vcc
	s_cbranch_execz .LBB124_325
; %bb.324:
	scratch_load_dwordx2 v[2:3], off, off offset:216
	v_mov_b32_e32 v4, 0
	v_mov_b32_e32 v5, v4
	scratch_store_dwordx2 off, v[4:5], off offset:216
	s_waitcnt vmcnt(1)
	ds_write_b64 v1, v[2:3]
.LBB124_325:
	s_or_b64 exec, exec, s[0:1]
	v_mov_b32_e32 v70, 0
	s_waitcnt lgkmcnt(0)
	; wave barrier
	ds_read_b128 v[14:17], v70 offset:720
	ds_read_b128 v[10:13], v70 offset:736
	ds_read_b128 v[6:9], v70 offset:752
	ds_read_b128 v[2:5], v70 offset:768
	scratch_load_dwordx4 v[18:21], off, off offset:224
	scratch_load_dwordx4 v[38:41], off, off offset:288
	scratch_load_dwordx4 v[72:75], off, off offset:352
	scratch_load_dwordx4 v[80:83], off, off offset:368
	scratch_load_dwordx4 v[88:91], off, off offset:384
	scratch_load_dwordx4 v[96:99], off, off offset:400
	scratch_load_dwordx4 v[104:107], off, off offset:416
	v_cmp_lt_u32_e32 vcc, 26, v0
	scratch_load_dwordx4 v[46:49], off, off offset:304
	scratch_load_dwordx4 v[54:57], off, off offset:320
	;; [unrolled: 1-line block ×3, first 2 shown]
	s_waitcnt vmcnt(9) lgkmcnt(3)
	v_mul_f32_e32 v22, v14, v19
	v_fmac_f32_e32 v22, v15, v18
	v_mul_f32_e32 v23, v16, v21
	v_add_f32_e32 v22, 0, v22
	v_fmac_f32_e32 v23, v17, v20
	v_add_f32_e32 v26, v22, v23
	scratch_load_dwordx4 v[22:25], off, off offset:240
	v_mul_f32_e32 v15, v15, v19
	v_fma_f32 v14, v14, v18, -v15
	v_mul_f32_e32 v15, v17, v21
	v_add_f32_e32 v14, 0, v14
	v_fma_f32 v15, v16, v20, -v15
	v_add_f32_e32 v14, v14, v15
	s_waitcnt vmcnt(4)
	v_mov_b32_e32 v18, v107
	s_waitcnt vmcnt(0) lgkmcnt(2)
	v_mul_f32_e32 v27, v10, v23
	v_fmac_f32_e32 v27, v11, v22
	v_add_f32_e32 v26, v26, v27
	v_mul_f32_e32 v27, v12, v25
	v_fmac_f32_e32 v27, v13, v24
	v_add_f32_e32 v30, v26, v27
	scratch_load_dwordx4 v[26:29], off, off offset:256
	v_mul_f32_e32 v11, v11, v23
	v_fma_f32 v10, v10, v22, -v11
	v_mul_f32_e32 v11, v13, v25
	v_add_f32_e32 v10, v14, v10
	v_fma_f32 v11, v12, v24, -v11
	v_add_f32_e32 v10, v10, v11
	s_waitcnt vmcnt(0) lgkmcnt(1)
	v_mul_f32_e32 v31, v6, v27
	v_fmac_f32_e32 v31, v7, v26
	v_add_f32_e32 v30, v30, v31
	v_mul_f32_e32 v31, v8, v29
	v_fmac_f32_e32 v31, v9, v28
	v_add_f32_e32 v34, v30, v31
	scratch_load_dwordx4 v[30:33], off, off offset:272
	v_mul_f32_e32 v7, v7, v27
	v_fma_f32 v6, v6, v26, -v7
	v_mul_f32_e32 v7, v9, v29
	v_add_f32_e32 v6, v10, v6
	v_fma_f32 v7, v8, v28, -v7
	v_add_f32_e32 v6, v6, v7
	s_waitcnt vmcnt(0) lgkmcnt(0)
	v_mul_f32_e32 v35, v2, v31
	v_fmac_f32_e32 v35, v3, v30
	v_add_f32_e32 v34, v34, v35
	v_mul_f32_e32 v35, v4, v33
	v_fmac_f32_e32 v35, v5, v32
	v_add_f32_e32 v42, v34, v35
	ds_read_b128 v[34:37], v70 offset:784
	v_mul_f32_e32 v3, v3, v31
	v_fma_f32 v2, v2, v30, -v3
	v_mul_f32_e32 v3, v5, v33
	v_add_f32_e32 v2, v6, v2
	s_waitcnt lgkmcnt(0)
	v_mul_f32_e32 v43, v34, v39
	v_fmac_f32_e32 v43, v35, v38
	v_add_f32_e32 v42, v42, v43
	v_mul_f32_e32 v43, v36, v41
	v_fmac_f32_e32 v43, v37, v40
	v_add_f32_e32 v50, v42, v43
	ds_read_b128 v[42:45], v70 offset:800
	v_fma_f32 v3, v4, v32, -v3
	v_add_f32_e32 v2, v2, v3
	v_mul_f32_e32 v3, v35, v39
	v_fma_f32 v3, v34, v38, -v3
	s_waitcnt lgkmcnt(0)
	v_mul_f32_e32 v51, v42, v47
	v_fmac_f32_e32 v51, v43, v46
	v_add_f32_e32 v50, v50, v51
	v_mul_f32_e32 v51, v44, v49
	v_fmac_f32_e32 v51, v45, v48
	v_add_f32_e32 v58, v50, v51
	ds_read_b128 v[50:53], v70 offset:816
	v_add_f32_e32 v2, v2, v3
	v_mul_f32_e32 v3, v37, v41
	v_fma_f32 v3, v36, v40, -v3
	v_add_f32_e32 v2, v2, v3
	s_waitcnt lgkmcnt(0)
	v_mul_f32_e32 v59, v50, v55
	v_fmac_f32_e32 v59, v51, v54
	v_add_f32_e32 v58, v58, v59
	v_mul_f32_e32 v59, v52, v57
	v_fmac_f32_e32 v59, v53, v56
	v_add_f32_e32 v66, v58, v59
	ds_read_b128 v[58:61], v70 offset:832
	v_mul_f32_e32 v3, v43, v47
	v_fma_f32 v3, v42, v46, -v3
	v_add_f32_e32 v2, v2, v3
	v_mul_f32_e32 v3, v45, v49
	s_waitcnt lgkmcnt(0)
	v_mul_f32_e32 v67, v58, v63
	v_fmac_f32_e32 v67, v59, v62
	v_add_f32_e32 v66, v66, v67
	v_mul_f32_e32 v67, v60, v65
	v_fmac_f32_e32 v67, v61, v64
	v_add_f32_e32 v71, v66, v67
	ds_read_b128 v[66:69], v70 offset:848
	v_fma_f32 v3, v44, v48, -v3
	v_add_f32_e32 v2, v2, v3
	v_mul_f32_e32 v3, v51, v55
	v_fma_f32 v3, v50, v54, -v3
	s_waitcnt lgkmcnt(0)
	v_mul_f32_e32 v76, v66, v73
	v_fmac_f32_e32 v76, v67, v72
	v_add_f32_e32 v71, v71, v76
	v_mul_f32_e32 v76, v68, v75
	v_fmac_f32_e32 v76, v69, v74
	v_add_f32_e32 v71, v71, v76
	ds_read_b128 v[76:79], v70 offset:864
	v_add_f32_e32 v2, v2, v3
	v_mul_f32_e32 v3, v53, v57
	v_fma_f32 v3, v52, v56, -v3
	v_add_f32_e32 v2, v2, v3
	s_waitcnt lgkmcnt(0)
	v_mul_f32_e32 v84, v76, v81
	v_fmac_f32_e32 v84, v77, v80
	v_add_f32_e32 v71, v71, v84
	v_mul_f32_e32 v84, v78, v83
	v_fmac_f32_e32 v84, v79, v82
	v_add_f32_e32 v71, v71, v84
	ds_read_b128 v[84:87], v70 offset:880
	v_mul_f32_e32 v3, v59, v63
	v_fma_f32 v3, v58, v62, -v3
	v_add_f32_e32 v2, v2, v3
	v_mul_f32_e32 v3, v61, v65
	s_waitcnt lgkmcnt(0)
	v_mul_f32_e32 v92, v84, v89
	v_fmac_f32_e32 v92, v85, v88
	v_add_f32_e32 v71, v71, v92
	v_mul_f32_e32 v92, v86, v91
	v_fmac_f32_e32 v92, v87, v90
	v_add_f32_e32 v71, v71, v92
	ds_read_b128 v[92:95], v70 offset:896
	v_fma_f32 v3, v60, v64, -v3
	v_add_f32_e32 v2, v2, v3
	v_mul_f32_e32 v3, v67, v73
	v_fma_f32 v3, v66, v72, -v3
	s_waitcnt lgkmcnt(0)
	v_mul_f32_e32 v100, v92, v97
	v_fmac_f32_e32 v100, v93, v96
	v_add_f32_e32 v121, v71, v100
	ds_read_b128 v[100:103], v70 offset:912
	scratch_load_dwordx4 v[108:111], off, off offset:432
	scratch_load_dwordx4 v[112:115], off, off offset:448
	;; [unrolled: 1-line block ×3, first 2 shown]
	scratch_load_dwordx2 v[126:127], off, off offset:480
	v_add_f32_e32 v2, v2, v3
	v_mul_f32_e32 v3, v69, v75
	v_fma_f32 v3, v68, v74, -v3
	v_add_f32_e32 v2, v2, v3
	v_mul_f32_e32 v3, v77, v81
	v_fma_f32 v3, v76, v80, -v3
	;; [unrolled: 3-line block ×6, first 2 shown]
	v_add_f32_e32 v120, v2, v3
	v_mul_f32_e32 v2, v95, v99
	v_mul_f32_e32 v123, v94, v99
	v_fma_f32 v122, v94, v98, -v2
	s_waitcnt lgkmcnt(0)
	v_mul_f32_e32 v2, v101, v105
	v_fmac_f32_e32 v123, v95, v98
	v_mul_f32_e32 v125, v100, v105
	v_fma_f32 v124, v100, v104, -v2
	ds_read_b128 v[2:5], v70 offset:928
	ds_read_b128 v[6:9], v70 offset:944
	;; [unrolled: 1-line block ×3, first 2 shown]
	ds_read_b64 v[14:15], v70 offset:976
	v_pk_mul_f32 v[18:19], v[102:103], v[18:19] op_sel:[1,0] op_sel_hi:[0,0]
	v_fmac_f32_e32 v125, v101, v104
	v_pk_add_f32 v[16:17], v[120:121], v[122:123]
	v_pk_fma_f32 v[20:21], v[102:103], v[106:107], v[18:19] neg_lo:[0,0,1] neg_hi:[0,0,1]
	v_pk_fma_f32 v[18:19], v[102:103], v[106:107], v[18:19] op_sel_hi:[1,0,1]
	v_pk_add_f32 v[16:17], v[16:17], v[124:125]
	v_mov_b32_e32 v21, v19
	v_pk_add_f32 v[16:17], v[16:17], v[20:21]
	s_waitcnt vmcnt(3) lgkmcnt(3)
	v_pk_mul_f32 v[18:19], v[2:3], v[108:109] op_sel:[1,1] op_sel_hi:[0,1]
	v_pk_fma_f32 v[20:21], v[2:3], v[108:109], v[18:19] neg_lo:[0,0,1] neg_hi:[0,0,1]
	v_pk_fma_f32 v[2:3], v[2:3], v[108:109], v[18:19] op_sel_hi:[1,0,1]
	s_nop 0
	v_mov_b32_e32 v21, v3
	v_pk_add_f32 v[2:3], v[16:17], v[20:21]
	v_mov_b32_e32 v16, v111
	v_pk_mul_f32 v[16:17], v[4:5], v[16:17] op_sel:[1,0] op_sel_hi:[0,0]
	v_pk_fma_f32 v[18:19], v[4:5], v[110:111], v[16:17] neg_lo:[0,0,1] neg_hi:[0,0,1]
	v_pk_fma_f32 v[4:5], v[4:5], v[110:111], v[16:17] op_sel_hi:[1,0,1]
	s_nop 0
	v_mov_b32_e32 v19, v5
	s_waitcnt vmcnt(2) lgkmcnt(2)
	v_pk_mul_f32 v[4:5], v[6:7], v[112:113] op_sel:[1,1] op_sel_hi:[0,1]
	v_pk_fma_f32 v[16:17], v[6:7], v[112:113], v[4:5] neg_lo:[0,0,1] neg_hi:[0,0,1]
	v_pk_fma_f32 v[4:5], v[6:7], v[112:113], v[4:5] op_sel_hi:[1,0,1]
	v_pk_add_f32 v[2:3], v[2:3], v[18:19]
	v_mov_b32_e32 v4, v115
	v_mov_b32_e32 v17, v5
	v_pk_mul_f32 v[4:5], v[8:9], v[4:5] op_sel:[1,0] op_sel_hi:[0,0]
	v_pk_fma_f32 v[6:7], v[8:9], v[114:115], v[4:5] neg_lo:[0,0,1] neg_hi:[0,0,1]
	v_pk_fma_f32 v[4:5], v[8:9], v[114:115], v[4:5] op_sel_hi:[1,0,1]
	v_pk_add_f32 v[2:3], v[2:3], v[16:17]
	v_mov_b32_e32 v7, v5
	s_waitcnt vmcnt(1) lgkmcnt(1)
	v_pk_mul_f32 v[4:5], v[10:11], v[116:117] op_sel:[1,1] op_sel_hi:[0,1]
	v_pk_add_f32 v[2:3], v[2:3], v[6:7]
	v_pk_fma_f32 v[6:7], v[10:11], v[116:117], v[4:5] neg_lo:[0,0,1] neg_hi:[0,0,1]
	v_pk_fma_f32 v[4:5], v[10:11], v[116:117], v[4:5] op_sel_hi:[1,0,1]
	s_nop 0
	v_mov_b32_e32 v4, v119
	v_mov_b32_e32 v7, v5
	v_pk_mul_f32 v[4:5], v[12:13], v[4:5] op_sel:[1,0] op_sel_hi:[0,0]
	v_pk_add_f32 v[2:3], v[2:3], v[6:7]
	v_pk_fma_f32 v[6:7], v[12:13], v[118:119], v[4:5] neg_lo:[0,0,1] neg_hi:[0,0,1]
	v_pk_fma_f32 v[4:5], v[12:13], v[118:119], v[4:5] op_sel_hi:[1,0,1]
	s_nop 0
	v_mov_b32_e32 v7, v5
	s_waitcnt vmcnt(0) lgkmcnt(0)
	v_pk_mul_f32 v[4:5], v[14:15], v[126:127] op_sel:[1,1] op_sel_hi:[0,1]
	v_pk_add_f32 v[2:3], v[2:3], v[6:7]
	v_pk_fma_f32 v[6:7], v[14:15], v[126:127], v[4:5] neg_lo:[0,0,1] neg_hi:[0,0,1]
	v_pk_fma_f32 v[4:5], v[14:15], v[126:127], v[4:5] op_sel_hi:[1,0,1]
	s_nop 0
	v_mov_b32_e32 v7, v5
	scratch_load_dwordx2 v[4:5], off, off offset:216
	v_pk_add_f32 v[2:3], v[2:3], v[6:7]
	s_waitcnt vmcnt(0)
	v_pk_add_f32 v[2:3], v[4:5], v[2:3] neg_lo:[0,1] neg_hi:[0,1]
	scratch_store_dwordx2 off, v[2:3], off offset:216
	s_and_saveexec_b64 s[0:1], vcc
	s_cbranch_execz .LBB124_327
; %bb.326:
	scratch_load_dwordx2 v[2:3], off, off offset:208
	v_mov_b32_e32 v71, v70
	scratch_store_dwordx2 off, v[70:71], off offset:208
	s_waitcnt vmcnt(1)
	ds_write_b64 v1, v[2:3]
.LBB124_327:
	s_or_b64 exec, exec, s[0:1]
	s_waitcnt lgkmcnt(0)
	; wave barrier
	scratch_load_dwordx4 v[6:9], off, off offset:216
	scratch_load_dwordx4 v[14:17], off, off offset:232
	;; [unrolled: 1-line block ×12, first 2 shown]
	ds_read2_b64 v[2:5], v70 offset0:89 offset1:90
	ds_read2_b64 v[38:41], v70 offset0:97 offset1:98
	;; [unrolled: 1-line block ×6, first 2 shown]
	scratch_load_dwordx4 v[126:129], off, off offset:408
	ds_read2_b64 v[122:125], v70 offset0:113 offset1:114
	v_cmp_lt_u32_e32 vcc, 25, v0
	ds_read2_b64 v[54:57], v70 offset0:99 offset1:100
	ds_read2_b64 v[66:69], v70 offset0:101 offset1:102
	;; [unrolled: 1-line block ×3, first 2 shown]
	s_waitcnt vmcnt(12) lgkmcnt(9)
	v_mul_f32_e32 v10, v2, v7
	v_fmac_f32_e32 v10, v3, v6
	v_mul_f32_e32 v11, v4, v9
	v_add_f32_e32 v10, 0, v10
	v_fmac_f32_e32 v11, v5, v8
	v_add_f32_e32 v18, v10, v11
	ds_read2_b64 v[10:13], v70 offset0:91 offset1:92
	v_mul_f32_e32 v3, v3, v7
	v_fma_f32 v2, v2, v6, -v3
	v_mul_f32_e32 v3, v5, v9
	v_add_f32_e32 v2, 0, v2
	s_waitcnt vmcnt(11) lgkmcnt(0)
	v_mul_f32_e32 v19, v10, v15
	v_fmac_f32_e32 v19, v11, v14
	v_add_f32_e32 v18, v18, v19
	v_mul_f32_e32 v19, v12, v17
	v_fmac_f32_e32 v19, v13, v16
	v_add_f32_e32 v26, v18, v19
	ds_read2_b64 v[18:21], v70 offset0:93 offset1:94
	v_fma_f32 v3, v4, v8, -v3
	v_add_f32_e32 v2, v2, v3
	v_mul_f32_e32 v3, v11, v15
	v_fma_f32 v3, v10, v14, -v3
	s_waitcnt vmcnt(10) lgkmcnt(0)
	v_mul_f32_e32 v27, v18, v23
	v_fmac_f32_e32 v27, v19, v22
	v_add_f32_e32 v26, v26, v27
	v_mul_f32_e32 v27, v20, v25
	v_fmac_f32_e32 v27, v21, v24
	v_add_f32_e32 v30, v26, v27
	ds_read2_b64 v[26:29], v70 offset0:95 offset1:96
	v_add_f32_e32 v2, v2, v3
	v_mul_f32_e32 v3, v13, v17
	v_fma_f32 v3, v12, v16, -v3
	v_add_f32_e32 v2, v2, v3
	s_waitcnt vmcnt(9) lgkmcnt(0)
	v_mul_f32_e32 v31, v26, v35
	v_fmac_f32_e32 v31, v27, v34
	v_add_f32_e32 v30, v30, v31
	v_mul_f32_e32 v31, v28, v37
	v_fmac_f32_e32 v31, v29, v36
	v_add_f32_e32 v30, v30, v31
	s_waitcnt vmcnt(8)
	v_mul_f32_e32 v31, v38, v51
	v_fmac_f32_e32 v31, v39, v50
	v_add_f32_e32 v30, v30, v31
	v_mul_f32_e32 v31, v40, v53
	v_fmac_f32_e32 v31, v41, v52
	v_add_f32_e32 v30, v30, v31
	s_waitcnt vmcnt(7)
	v_mul_f32_e32 v31, v54, v63
	v_fmac_f32_e32 v31, v55, v62
	v_add_f32_e32 v30, v30, v31
	v_mul_f32_e32 v31, v56, v65
	v_fmac_f32_e32 v31, v57, v64
	v_add_f32_e32 v30, v30, v31
	s_waitcnt vmcnt(6)
	v_mul_f32_e32 v31, v66, v79
	v_fmac_f32_e32 v31, v67, v78
	v_add_f32_e32 v30, v30, v31
	v_mul_f32_e32 v31, v68, v81
	v_fmac_f32_e32 v31, v69, v80
	v_add_f32_e32 v30, v30, v31
	s_waitcnt vmcnt(5)
	v_mul_f32_e32 v31, v82, v87
	v_fmac_f32_e32 v31, v83, v86
	v_add_f32_e32 v30, v30, v31
	v_mul_f32_e32 v31, v84, v89
	v_fmac_f32_e32 v31, v85, v88
	v_add_f32_e32 v30, v30, v31
	s_waitcnt vmcnt(4)
	v_mul_f32_e32 v31, v90, v95
	v_fmac_f32_e32 v31, v91, v94
	v_add_f32_e32 v30, v30, v31
	v_mul_f32_e32 v31, v92, v97
	v_fmac_f32_e32 v31, v93, v96
	v_add_f32_e32 v30, v30, v31
	s_waitcnt vmcnt(3)
	v_mul_f32_e32 v31, v98, v103
	v_fmac_f32_e32 v31, v99, v102
	v_add_f32_e32 v30, v30, v31
	v_mul_f32_e32 v31, v100, v105
	v_fmac_f32_e32 v31, v101, v104
	v_add_f32_e32 v30, v30, v31
	s_waitcnt vmcnt(2)
	v_mul_f32_e32 v31, v106, v111
	v_fmac_f32_e32 v31, v107, v110
	v_add_f32_e32 v30, v30, v31
	v_mul_f32_e32 v31, v108, v113
	v_fmac_f32_e32 v31, v109, v112
	v_add_f32_e32 v30, v30, v31
	s_waitcnt vmcnt(1)
	v_mul_f32_e32 v31, v114, v119
	v_fmac_f32_e32 v31, v115, v118
	v_add_f32_e32 v30, v30, v31
	v_mul_f32_e32 v31, v116, v121
	v_fmac_f32_e32 v31, v117, v120
	v_add_f32_e32 v73, v30, v31
	scratch_load_dwordx4 v[58:61], off, off offset:424
	scratch_load_dwordx4 v[46:49], off, off offset:440
	;; [unrolled: 1-line block ×4, first 2 shown]
	v_mul_f32_e32 v3, v19, v23
	v_fma_f32 v3, v18, v22, -v3
	v_add_f32_e32 v2, v2, v3
	v_mul_f32_e32 v3, v21, v25
	v_fma_f32 v3, v20, v24, -v3
	v_add_f32_e32 v2, v2, v3
	;; [unrolled: 3-line block ×20, first 2 shown]
	s_waitcnt vmcnt(4)
	v_mul_f32_e32 v2, v123, v127
	v_fma_f32 v74, v122, v126, -v2
	v_mul_f32_e32 v2, v125, v129
	v_fma_f32 v76, v124, v128, -v2
	ds_read2_b64 v[2:5], v70 offset0:115 offset1:116
	ds_read2_b64 v[6:9], v70 offset0:117 offset1:118
	;; [unrolled: 1-line block ×4, first 2 shown]
	v_mul_f32_e32 v75, v122, v127
	v_fmac_f32_e32 v75, v123, v126
	v_mul_f32_e32 v77, v124, v129
	v_fmac_f32_e32 v77, v125, v128
	v_pk_add_f32 v[18:19], v[72:73], v[74:75]
	s_waitcnt vmcnt(3) lgkmcnt(3)
	v_pk_mul_f32 v[20:21], v[2:3], v[58:59] op_sel:[1,1] op_sel_hi:[0,1]
	v_pk_fma_f32 v[22:23], v[2:3], v[58:59], v[20:21] neg_lo:[0,0,1] neg_hi:[0,0,1]
	v_pk_fma_f32 v[2:3], v[2:3], v[58:59], v[20:21] op_sel_hi:[1,0,1]
	v_pk_add_f32 v[18:19], v[18:19], v[76:77]
	v_mov_b32_e32 v23, v3
	v_pk_add_f32 v[2:3], v[18:19], v[22:23]
	v_mov_b32_e32 v18, v61
	v_pk_mul_f32 v[18:19], v[4:5], v[18:19] op_sel:[1,0] op_sel_hi:[0,0]
	v_pk_fma_f32 v[20:21], v[4:5], v[60:61], v[18:19] neg_lo:[0,0,1] neg_hi:[0,0,1]
	v_pk_fma_f32 v[4:5], v[4:5], v[60:61], v[18:19] op_sel_hi:[1,0,1]
	s_nop 0
	v_mov_b32_e32 v21, v5
	s_waitcnt vmcnt(2) lgkmcnt(2)
	v_pk_mul_f32 v[4:5], v[6:7], v[46:47] op_sel:[1,1] op_sel_hi:[0,1]
	v_pk_fma_f32 v[18:19], v[6:7], v[46:47], v[4:5] neg_lo:[0,0,1] neg_hi:[0,0,1]
	v_pk_fma_f32 v[4:5], v[6:7], v[46:47], v[4:5] op_sel_hi:[1,0,1]
	v_pk_add_f32 v[2:3], v[2:3], v[20:21]
	v_mov_b32_e32 v4, v49
	v_mov_b32_e32 v19, v5
	v_pk_mul_f32 v[4:5], v[8:9], v[4:5] op_sel:[1,0] op_sel_hi:[0,0]
	v_pk_fma_f32 v[6:7], v[8:9], v[48:49], v[4:5] neg_lo:[0,0,1] neg_hi:[0,0,1]
	v_pk_fma_f32 v[4:5], v[8:9], v[48:49], v[4:5] op_sel_hi:[1,0,1]
	v_pk_add_f32 v[2:3], v[2:3], v[18:19]
	v_mov_b32_e32 v7, v5
	s_waitcnt vmcnt(1) lgkmcnt(1)
	v_pk_mul_f32 v[4:5], v[10:11], v[42:43] op_sel:[1,1] op_sel_hi:[0,1]
	v_pk_add_f32 v[2:3], v[2:3], v[6:7]
	v_pk_fma_f32 v[6:7], v[10:11], v[42:43], v[4:5] neg_lo:[0,0,1] neg_hi:[0,0,1]
	v_pk_fma_f32 v[4:5], v[10:11], v[42:43], v[4:5] op_sel_hi:[1,0,1]
	s_nop 0
	v_mov_b32_e32 v4, v45
	v_mov_b32_e32 v7, v5
	v_pk_mul_f32 v[4:5], v[12:13], v[4:5] op_sel:[1,0] op_sel_hi:[0,0]
	v_pk_add_f32 v[2:3], v[2:3], v[6:7]
	v_pk_fma_f32 v[6:7], v[12:13], v[44:45], v[4:5] neg_lo:[0,0,1] neg_hi:[0,0,1]
	v_pk_fma_f32 v[4:5], v[12:13], v[44:45], v[4:5] op_sel_hi:[1,0,1]
	s_nop 0
	v_mov_b32_e32 v7, v5
	s_waitcnt vmcnt(0) lgkmcnt(0)
	v_pk_mul_f32 v[4:5], v[14:15], v[30:31] op_sel:[1,1] op_sel_hi:[0,1]
	v_pk_add_f32 v[2:3], v[2:3], v[6:7]
	v_pk_fma_f32 v[6:7], v[14:15], v[30:31], v[4:5] neg_lo:[0,0,1] neg_hi:[0,0,1]
	v_pk_fma_f32 v[4:5], v[14:15], v[30:31], v[4:5] op_sel_hi:[1,0,1]
	s_nop 0
	v_mov_b32_e32 v4, v33
	v_mov_b32_e32 v7, v5
	v_pk_mul_f32 v[4:5], v[16:17], v[4:5] op_sel:[1,0] op_sel_hi:[0,0]
	v_pk_add_f32 v[2:3], v[2:3], v[6:7]
	v_pk_fma_f32 v[6:7], v[16:17], v[32:33], v[4:5] neg_lo:[0,0,1] neg_hi:[0,0,1]
	v_pk_fma_f32 v[4:5], v[16:17], v[32:33], v[4:5] op_sel_hi:[1,0,1]
	s_nop 0
	v_mov_b32_e32 v7, v5
	scratch_load_dwordx2 v[4:5], off, off offset:208
	v_pk_add_f32 v[2:3], v[2:3], v[6:7]
	s_waitcnt vmcnt(0)
	v_pk_add_f32 v[2:3], v[4:5], v[2:3] neg_lo:[0,1] neg_hi:[0,1]
	scratch_store_dwordx2 off, v[2:3], off offset:208
	s_and_saveexec_b64 s[0:1], vcc
	s_cbranch_execz .LBB124_329
; %bb.328:
	scratch_load_dwordx2 v[2:3], off, off offset:200
	v_mov_b32_e32 v4, 0
	v_mov_b32_e32 v5, v4
	scratch_store_dwordx2 off, v[4:5], off offset:200
	s_waitcnt vmcnt(1)
	ds_write_b64 v1, v[2:3]
.LBB124_329:
	s_or_b64 exec, exec, s[0:1]
	v_mov_b32_e32 v70, 0
	s_waitcnt lgkmcnt(0)
	; wave barrier
	ds_read_b128 v[14:17], v70 offset:704
	ds_read_b128 v[10:13], v70 offset:720
	ds_read_b128 v[6:9], v70 offset:736
	ds_read_b128 v[2:5], v70 offset:752
	scratch_load_dwordx4 v[18:21], off, off offset:208
	scratch_load_dwordx4 v[38:41], off, off offset:272
	;; [unrolled: 1-line block ×8, first 2 shown]
	v_cmp_lt_u32_e32 vcc, 24, v0
	scratch_load_dwordx4 v[46:49], off, off offset:288
	scratch_load_dwordx4 v[54:57], off, off offset:304
	;; [unrolled: 1-line block ×3, first 2 shown]
	s_waitcnt vmcnt(10) lgkmcnt(3)
	v_mul_f32_e32 v22, v14, v19
	v_fmac_f32_e32 v22, v15, v18
	v_mul_f32_e32 v23, v16, v21
	v_add_f32_e32 v22, 0, v22
	v_fmac_f32_e32 v23, v17, v20
	v_add_f32_e32 v26, v22, v23
	scratch_load_dwordx4 v[22:25], off, off offset:224
	v_mul_f32_e32 v15, v15, v19
	v_fma_f32 v14, v14, v18, -v15
	v_mul_f32_e32 v15, v17, v21
	v_add_f32_e32 v14, 0, v14
	v_fma_f32 v15, v16, v20, -v15
	v_add_f32_e32 v14, v14, v15
	s_waitcnt vmcnt(4)
	v_mov_b32_e32 v18, v115
	s_waitcnt vmcnt(0) lgkmcnt(2)
	v_mul_f32_e32 v27, v10, v23
	v_fmac_f32_e32 v27, v11, v22
	v_add_f32_e32 v26, v26, v27
	v_mul_f32_e32 v27, v12, v25
	v_fmac_f32_e32 v27, v13, v24
	v_add_f32_e32 v30, v26, v27
	scratch_load_dwordx4 v[26:29], off, off offset:240
	v_mul_f32_e32 v11, v11, v23
	v_fma_f32 v10, v10, v22, -v11
	v_mul_f32_e32 v11, v13, v25
	v_add_f32_e32 v10, v14, v10
	v_fma_f32 v11, v12, v24, -v11
	v_add_f32_e32 v10, v10, v11
	s_waitcnt vmcnt(0) lgkmcnt(1)
	v_mul_f32_e32 v31, v6, v27
	v_fmac_f32_e32 v31, v7, v26
	v_add_f32_e32 v30, v30, v31
	v_mul_f32_e32 v31, v8, v29
	v_fmac_f32_e32 v31, v9, v28
	v_add_f32_e32 v34, v30, v31
	scratch_load_dwordx4 v[30:33], off, off offset:256
	v_mul_f32_e32 v7, v7, v27
	v_fma_f32 v6, v6, v26, -v7
	v_mul_f32_e32 v7, v9, v29
	v_add_f32_e32 v6, v10, v6
	v_fma_f32 v7, v8, v28, -v7
	v_add_f32_e32 v6, v6, v7
	s_waitcnt vmcnt(0) lgkmcnt(0)
	v_mul_f32_e32 v35, v2, v31
	v_fmac_f32_e32 v35, v3, v30
	v_add_f32_e32 v34, v34, v35
	v_mul_f32_e32 v35, v4, v33
	v_fmac_f32_e32 v35, v5, v32
	v_add_f32_e32 v42, v34, v35
	ds_read_b128 v[34:37], v70 offset:768
	v_mul_f32_e32 v3, v3, v31
	v_fma_f32 v2, v2, v30, -v3
	v_mul_f32_e32 v3, v5, v33
	v_add_f32_e32 v2, v6, v2
	s_waitcnt lgkmcnt(0)
	v_mul_f32_e32 v43, v34, v39
	v_fmac_f32_e32 v43, v35, v38
	v_add_f32_e32 v42, v42, v43
	v_mul_f32_e32 v43, v36, v41
	v_fmac_f32_e32 v43, v37, v40
	v_add_f32_e32 v50, v42, v43
	ds_read_b128 v[42:45], v70 offset:784
	v_fma_f32 v3, v4, v32, -v3
	v_add_f32_e32 v2, v2, v3
	v_mul_f32_e32 v3, v35, v39
	v_fma_f32 v3, v34, v38, -v3
	s_waitcnt lgkmcnt(0)
	v_mul_f32_e32 v51, v42, v47
	v_fmac_f32_e32 v51, v43, v46
	v_add_f32_e32 v50, v50, v51
	v_mul_f32_e32 v51, v44, v49
	v_fmac_f32_e32 v51, v45, v48
	v_add_f32_e32 v58, v50, v51
	ds_read_b128 v[50:53], v70 offset:800
	v_add_f32_e32 v2, v2, v3
	v_mul_f32_e32 v3, v37, v41
	v_fma_f32 v3, v36, v40, -v3
	v_add_f32_e32 v2, v2, v3
	s_waitcnt lgkmcnt(0)
	v_mul_f32_e32 v59, v50, v55
	v_fmac_f32_e32 v59, v51, v54
	v_add_f32_e32 v58, v58, v59
	v_mul_f32_e32 v59, v52, v57
	v_fmac_f32_e32 v59, v53, v56
	v_add_f32_e32 v66, v58, v59
	ds_read_b128 v[58:61], v70 offset:816
	v_mul_f32_e32 v3, v43, v47
	v_fma_f32 v3, v42, v46, -v3
	v_add_f32_e32 v2, v2, v3
	v_mul_f32_e32 v3, v45, v49
	s_waitcnt lgkmcnt(0)
	v_mul_f32_e32 v67, v58, v63
	v_fmac_f32_e32 v67, v59, v62
	v_add_f32_e32 v66, v66, v67
	v_mul_f32_e32 v67, v60, v65
	v_fmac_f32_e32 v67, v61, v64
	v_add_f32_e32 v71, v66, v67
	ds_read_b128 v[66:69], v70 offset:832
	v_fma_f32 v3, v44, v48, -v3
	v_add_f32_e32 v2, v2, v3
	v_mul_f32_e32 v3, v51, v55
	v_fma_f32 v3, v50, v54, -v3
	s_waitcnt lgkmcnt(0)
	v_mul_f32_e32 v76, v66, v73
	v_fmac_f32_e32 v76, v67, v72
	v_add_f32_e32 v71, v71, v76
	v_mul_f32_e32 v76, v68, v75
	v_fmac_f32_e32 v76, v69, v74
	v_add_f32_e32 v71, v71, v76
	ds_read_b128 v[76:79], v70 offset:848
	v_add_f32_e32 v2, v2, v3
	v_mul_f32_e32 v3, v53, v57
	v_fma_f32 v3, v52, v56, -v3
	v_add_f32_e32 v2, v2, v3
	s_waitcnt lgkmcnt(0)
	v_mul_f32_e32 v84, v76, v81
	v_fmac_f32_e32 v84, v77, v80
	v_add_f32_e32 v71, v71, v84
	v_mul_f32_e32 v84, v78, v83
	v_fmac_f32_e32 v84, v79, v82
	v_add_f32_e32 v71, v71, v84
	ds_read_b128 v[84:87], v70 offset:864
	v_mul_f32_e32 v3, v59, v63
	v_fma_f32 v3, v58, v62, -v3
	v_add_f32_e32 v2, v2, v3
	v_mul_f32_e32 v3, v61, v65
	s_waitcnt lgkmcnt(0)
	v_mul_f32_e32 v92, v84, v89
	v_fmac_f32_e32 v92, v85, v88
	v_add_f32_e32 v71, v71, v92
	v_mul_f32_e32 v92, v86, v91
	v_fmac_f32_e32 v92, v87, v90
	v_add_f32_e32 v71, v71, v92
	ds_read_b128 v[92:95], v70 offset:880
	v_fma_f32 v3, v60, v64, -v3
	v_add_f32_e32 v2, v2, v3
	v_mul_f32_e32 v3, v67, v73
	v_fma_f32 v3, v66, v72, -v3
	s_waitcnt lgkmcnt(0)
	v_mul_f32_e32 v100, v92, v97
	v_fmac_f32_e32 v100, v93, v96
	v_add_f32_e32 v71, v71, v100
	v_mul_f32_e32 v100, v94, v99
	v_fmac_f32_e32 v100, v95, v98
	v_add_f32_e32 v71, v71, v100
	ds_read_b128 v[100:103], v70 offset:896
	v_add_f32_e32 v2, v2, v3
	v_mul_f32_e32 v3, v69, v75
	v_fma_f32 v3, v68, v74, -v3
	v_add_f32_e32 v2, v2, v3
	s_waitcnt lgkmcnt(0)
	v_mul_f32_e32 v108, v100, v105
	v_fmac_f32_e32 v108, v101, v104
	v_add_f32_e32 v129, v71, v108
	ds_read_b128 v[108:111], v70 offset:912
	scratch_load_dwordx4 v[116:119], off, off offset:432
	scratch_load_dwordx4 v[120:123], off, off offset:448
	;; [unrolled: 1-line block ×3, first 2 shown]
	scratch_load_dwordx2 v[134:135], off, off offset:480
	v_mul_f32_e32 v3, v77, v81
	v_fma_f32 v3, v76, v80, -v3
	v_add_f32_e32 v2, v2, v3
	v_mul_f32_e32 v3, v79, v83
	v_fma_f32 v3, v78, v82, -v3
	v_add_f32_e32 v2, v2, v3
	;; [unrolled: 3-line block ×7, first 2 shown]
	v_mul_f32_e32 v2, v103, v107
	v_mul_f32_e32 v131, v102, v107
	v_fma_f32 v130, v102, v106, -v2
	s_waitcnt lgkmcnt(0)
	v_mul_f32_e32 v2, v109, v113
	v_fmac_f32_e32 v131, v103, v106
	v_mul_f32_e32 v133, v108, v113
	v_fma_f32 v132, v108, v112, -v2
	ds_read_b128 v[2:5], v70 offset:928
	ds_read_b128 v[6:9], v70 offset:944
	;; [unrolled: 1-line block ×3, first 2 shown]
	ds_read_b64 v[14:15], v70 offset:976
	v_pk_mul_f32 v[18:19], v[110:111], v[18:19] op_sel:[1,0] op_sel_hi:[0,0]
	v_fmac_f32_e32 v133, v109, v112
	v_pk_add_f32 v[16:17], v[128:129], v[130:131]
	v_pk_fma_f32 v[20:21], v[110:111], v[114:115], v[18:19] neg_lo:[0,0,1] neg_hi:[0,0,1]
	v_pk_fma_f32 v[18:19], v[110:111], v[114:115], v[18:19] op_sel_hi:[1,0,1]
	v_pk_add_f32 v[16:17], v[16:17], v[132:133]
	v_mov_b32_e32 v21, v19
	v_pk_add_f32 v[16:17], v[16:17], v[20:21]
	s_waitcnt vmcnt(3) lgkmcnt(3)
	v_pk_mul_f32 v[18:19], v[2:3], v[116:117] op_sel:[1,1] op_sel_hi:[0,1]
	v_pk_fma_f32 v[20:21], v[2:3], v[116:117], v[18:19] neg_lo:[0,0,1] neg_hi:[0,0,1]
	v_pk_fma_f32 v[2:3], v[2:3], v[116:117], v[18:19] op_sel_hi:[1,0,1]
	s_nop 0
	v_mov_b32_e32 v21, v3
	v_pk_add_f32 v[2:3], v[16:17], v[20:21]
	v_mov_b32_e32 v16, v119
	v_pk_mul_f32 v[16:17], v[4:5], v[16:17] op_sel:[1,0] op_sel_hi:[0,0]
	v_pk_fma_f32 v[18:19], v[4:5], v[118:119], v[16:17] neg_lo:[0,0,1] neg_hi:[0,0,1]
	v_pk_fma_f32 v[4:5], v[4:5], v[118:119], v[16:17] op_sel_hi:[1,0,1]
	s_nop 0
	v_mov_b32_e32 v19, v5
	s_waitcnt vmcnt(2) lgkmcnt(2)
	v_pk_mul_f32 v[4:5], v[6:7], v[120:121] op_sel:[1,1] op_sel_hi:[0,1]
	v_pk_fma_f32 v[16:17], v[6:7], v[120:121], v[4:5] neg_lo:[0,0,1] neg_hi:[0,0,1]
	v_pk_fma_f32 v[4:5], v[6:7], v[120:121], v[4:5] op_sel_hi:[1,0,1]
	v_pk_add_f32 v[2:3], v[2:3], v[18:19]
	v_mov_b32_e32 v4, v123
	v_mov_b32_e32 v17, v5
	v_pk_mul_f32 v[4:5], v[8:9], v[4:5] op_sel:[1,0] op_sel_hi:[0,0]
	v_pk_fma_f32 v[6:7], v[8:9], v[122:123], v[4:5] neg_lo:[0,0,1] neg_hi:[0,0,1]
	v_pk_fma_f32 v[4:5], v[8:9], v[122:123], v[4:5] op_sel_hi:[1,0,1]
	v_pk_add_f32 v[2:3], v[2:3], v[16:17]
	v_mov_b32_e32 v7, v5
	s_waitcnt vmcnt(1) lgkmcnt(1)
	v_pk_mul_f32 v[4:5], v[10:11], v[124:125] op_sel:[1,1] op_sel_hi:[0,1]
	v_pk_add_f32 v[2:3], v[2:3], v[6:7]
	v_pk_fma_f32 v[6:7], v[10:11], v[124:125], v[4:5] neg_lo:[0,0,1] neg_hi:[0,0,1]
	v_pk_fma_f32 v[4:5], v[10:11], v[124:125], v[4:5] op_sel_hi:[1,0,1]
	s_nop 0
	v_mov_b32_e32 v4, v127
	v_mov_b32_e32 v7, v5
	v_pk_mul_f32 v[4:5], v[12:13], v[4:5] op_sel:[1,0] op_sel_hi:[0,0]
	v_pk_add_f32 v[2:3], v[2:3], v[6:7]
	v_pk_fma_f32 v[6:7], v[12:13], v[126:127], v[4:5] neg_lo:[0,0,1] neg_hi:[0,0,1]
	v_pk_fma_f32 v[4:5], v[12:13], v[126:127], v[4:5] op_sel_hi:[1,0,1]
	s_nop 0
	v_mov_b32_e32 v7, v5
	s_waitcnt vmcnt(0) lgkmcnt(0)
	v_pk_mul_f32 v[4:5], v[14:15], v[134:135] op_sel:[1,1] op_sel_hi:[0,1]
	v_pk_add_f32 v[2:3], v[2:3], v[6:7]
	v_pk_fma_f32 v[6:7], v[14:15], v[134:135], v[4:5] neg_lo:[0,0,1] neg_hi:[0,0,1]
	v_pk_fma_f32 v[4:5], v[14:15], v[134:135], v[4:5] op_sel_hi:[1,0,1]
	s_nop 0
	v_mov_b32_e32 v7, v5
	scratch_load_dwordx2 v[4:5], off, off offset:200
	v_pk_add_f32 v[2:3], v[2:3], v[6:7]
	s_waitcnt vmcnt(0)
	v_pk_add_f32 v[2:3], v[4:5], v[2:3] neg_lo:[0,1] neg_hi:[0,1]
	scratch_store_dwordx2 off, v[2:3], off offset:200
	s_and_saveexec_b64 s[0:1], vcc
	s_cbranch_execz .LBB124_331
; %bb.330:
	scratch_load_dwordx2 v[2:3], off, off offset:192
	v_mov_b32_e32 v71, v70
	scratch_store_dwordx2 off, v[70:71], off offset:192
	s_waitcnt vmcnt(1)
	ds_write_b64 v1, v[2:3]
.LBB124_331:
	s_or_b64 exec, exec, s[0:1]
	s_waitcnt lgkmcnt(0)
	; wave barrier
	scratch_load_dwordx4 v[6:9], off, off offset:200
	scratch_load_dwordx4 v[14:17], off, off offset:216
	;; [unrolled: 1-line block ×10, first 2 shown]
	ds_read2_b64 v[2:5], v70 offset0:87 offset1:88
	scratch_load_dwordx4 v[88:91], off, off offset:360
	scratch_load_dwordx4 v[96:99], off, off offset:376
	;; [unrolled: 1-line block ×4, first 2 shown]
	v_cmp_lt_u32_e32 vcc, 23, v0
	s_waitcnt vmcnt(13) lgkmcnt(0)
	v_mul_f32_e32 v10, v2, v7
	v_fmac_f32_e32 v10, v3, v6
	v_mul_f32_e32 v11, v4, v9
	v_add_f32_e32 v10, 0, v10
	v_fmac_f32_e32 v11, v5, v8
	v_add_f32_e32 v18, v10, v11
	ds_read2_b64 v[10:13], v70 offset0:89 offset1:90
	v_mul_f32_e32 v3, v3, v7
	v_fma_f32 v2, v2, v6, -v3
	v_mul_f32_e32 v3, v5, v9
	v_add_f32_e32 v2, 0, v2
	s_waitcnt vmcnt(12) lgkmcnt(0)
	v_mul_f32_e32 v19, v10, v15
	v_fmac_f32_e32 v19, v11, v14
	v_add_f32_e32 v18, v18, v19
	v_mul_f32_e32 v19, v12, v17
	v_fmac_f32_e32 v19, v13, v16
	v_add_f32_e32 v26, v18, v19
	ds_read2_b64 v[18:21], v70 offset0:91 offset1:92
	v_fma_f32 v3, v4, v8, -v3
	v_add_f32_e32 v2, v2, v3
	v_mul_f32_e32 v3, v11, v15
	v_fma_f32 v3, v10, v14, -v3
	s_waitcnt vmcnt(11) lgkmcnt(0)
	v_mul_f32_e32 v27, v18, v23
	v_fmac_f32_e32 v27, v19, v22
	v_add_f32_e32 v26, v26, v27
	v_mul_f32_e32 v27, v20, v25
	v_fmac_f32_e32 v27, v21, v24
	v_add_f32_e32 v34, v26, v27
	ds_read2_b64 v[26:29], v70 offset0:93 offset1:94
	v_add_f32_e32 v2, v2, v3
	v_mul_f32_e32 v3, v13, v17
	v_fma_f32 v3, v12, v16, -v3
	v_add_f32_e32 v2, v2, v3
	s_waitcnt vmcnt(10) lgkmcnt(0)
	v_mul_f32_e32 v35, v26, v31
	v_fmac_f32_e32 v35, v27, v30
	v_add_f32_e32 v34, v34, v35
	v_mul_f32_e32 v35, v28, v33
	v_fmac_f32_e32 v35, v29, v32
	v_add_f32_e32 v42, v34, v35
	ds_read2_b64 v[34:37], v70 offset0:95 offset1:96
	v_mul_f32_e32 v3, v19, v23
	v_fma_f32 v3, v18, v22, -v3
	v_add_f32_e32 v2, v2, v3
	v_mul_f32_e32 v3, v21, v25
	s_waitcnt vmcnt(9) lgkmcnt(0)
	v_mul_f32_e32 v43, v34, v39
	v_fmac_f32_e32 v43, v35, v38
	v_add_f32_e32 v42, v42, v43
	v_mul_f32_e32 v43, v36, v41
	v_fmac_f32_e32 v43, v37, v40
	v_add_f32_e32 v50, v42, v43
	ds_read2_b64 v[42:45], v70 offset0:97 offset1:98
	v_fma_f32 v3, v20, v24, -v3
	v_add_f32_e32 v2, v2, v3
	v_mul_f32_e32 v3, v27, v31
	v_fma_f32 v3, v26, v30, -v3
	s_waitcnt vmcnt(8) lgkmcnt(0)
	v_mul_f32_e32 v51, v42, v47
	v_fmac_f32_e32 v51, v43, v46
	v_add_f32_e32 v50, v50, v51
	v_mul_f32_e32 v51, v44, v49
	v_fmac_f32_e32 v51, v45, v48
	v_add_f32_e32 v58, v50, v51
	ds_read2_b64 v[50:53], v70 offset0:99 offset1:100
	v_add_f32_e32 v2, v2, v3
	v_mul_f32_e32 v3, v29, v33
	v_fma_f32 v3, v28, v32, -v3
	v_add_f32_e32 v2, v2, v3
	s_waitcnt vmcnt(7) lgkmcnt(0)
	v_mul_f32_e32 v59, v50, v55
	v_fmac_f32_e32 v59, v51, v54
	v_add_f32_e32 v58, v58, v59
	v_mul_f32_e32 v59, v52, v57
	v_fmac_f32_e32 v59, v53, v56
	v_add_f32_e32 v66, v58, v59
	ds_read2_b64 v[58:61], v70 offset0:101 offset1:102
	v_mul_f32_e32 v3, v35, v39
	v_fma_f32 v3, v34, v38, -v3
	v_add_f32_e32 v2, v2, v3
	v_mul_f32_e32 v3, v37, v41
	;; [unrolled: 36-line block ×3, first 2 shown]
	s_waitcnt vmcnt(3) lgkmcnt(0)
	v_mul_f32_e32 v92, v84, v89
	v_fmac_f32_e32 v92, v85, v88
	v_add_f32_e32 v71, v71, v92
	v_mul_f32_e32 v92, v86, v91
	v_fmac_f32_e32 v92, v87, v90
	v_add_f32_e32 v71, v71, v92
	ds_read2_b64 v[92:95], v70 offset0:109 offset1:110
	v_fma_f32 v3, v52, v56, -v3
	v_add_f32_e32 v2, v2, v3
	v_mul_f32_e32 v3, v59, v63
	v_fma_f32 v3, v58, v62, -v3
	s_waitcnt vmcnt(2) lgkmcnt(0)
	v_mul_f32_e32 v100, v92, v97
	v_fmac_f32_e32 v100, v93, v96
	v_add_f32_e32 v71, v71, v100
	v_mul_f32_e32 v100, v94, v99
	v_fmac_f32_e32 v100, v95, v98
	v_add_f32_e32 v71, v71, v100
	ds_read2_b64 v[100:103], v70 offset0:111 offset1:112
	v_add_f32_e32 v2, v2, v3
	v_mul_f32_e32 v3, v61, v65
	v_fma_f32 v3, v60, v64, -v3
	v_add_f32_e32 v2, v2, v3
	s_waitcnt vmcnt(1) lgkmcnt(0)
	v_mul_f32_e32 v108, v100, v105
	v_fmac_f32_e32 v108, v101, v104
	v_add_f32_e32 v71, v71, v108
	v_mul_f32_e32 v108, v102, v107
	v_fmac_f32_e32 v108, v103, v106
	v_add_f32_e32 v133, v71, v108
	ds_read2_b64 v[108:111], v70 offset0:113 offset1:114
	scratch_load_dwordx4 v[116:119], off, off offset:424
	scratch_load_dwordx4 v[120:123], off, off offset:440
	;; [unrolled: 1-line block ×4, first 2 shown]
	v_mul_f32_e32 v3, v67, v73
	v_fma_f32 v3, v66, v72, -v3
	v_add_f32_e32 v2, v2, v3
	v_mul_f32_e32 v3, v69, v75
	v_fma_f32 v3, v68, v74, -v3
	v_add_f32_e32 v2, v2, v3
	;; [unrolled: 3-line block ×10, first 2 shown]
	s_waitcnt vmcnt(4) lgkmcnt(0)
	v_mul_f32_e32 v2, v109, v113
	v_fma_f32 v134, v108, v112, -v2
	v_mul_f32_e32 v2, v111, v115
	v_fma_f32 v136, v110, v114, -v2
	ds_read2_b64 v[2:5], v70 offset0:115 offset1:116
	ds_read2_b64 v[6:9], v70 offset0:117 offset1:118
	;; [unrolled: 1-line block ×4, first 2 shown]
	v_mul_f32_e32 v135, v108, v113
	v_fmac_f32_e32 v135, v109, v112
	v_mul_f32_e32 v137, v110, v115
	v_fmac_f32_e32 v137, v111, v114
	v_pk_add_f32 v[18:19], v[132:133], v[134:135]
	s_waitcnt vmcnt(3) lgkmcnt(3)
	v_pk_mul_f32 v[20:21], v[2:3], v[116:117] op_sel:[1,1] op_sel_hi:[0,1]
	v_pk_fma_f32 v[22:23], v[2:3], v[116:117], v[20:21] neg_lo:[0,0,1] neg_hi:[0,0,1]
	v_pk_fma_f32 v[2:3], v[2:3], v[116:117], v[20:21] op_sel_hi:[1,0,1]
	v_pk_add_f32 v[18:19], v[18:19], v[136:137]
	v_mov_b32_e32 v23, v3
	v_pk_add_f32 v[2:3], v[18:19], v[22:23]
	v_mov_b32_e32 v18, v119
	v_pk_mul_f32 v[18:19], v[4:5], v[18:19] op_sel:[1,0] op_sel_hi:[0,0]
	v_pk_fma_f32 v[20:21], v[4:5], v[118:119], v[18:19] neg_lo:[0,0,1] neg_hi:[0,0,1]
	v_pk_fma_f32 v[4:5], v[4:5], v[118:119], v[18:19] op_sel_hi:[1,0,1]
	s_nop 0
	v_mov_b32_e32 v21, v5
	s_waitcnt vmcnt(2) lgkmcnt(2)
	v_pk_mul_f32 v[4:5], v[6:7], v[120:121] op_sel:[1,1] op_sel_hi:[0,1]
	v_pk_fma_f32 v[18:19], v[6:7], v[120:121], v[4:5] neg_lo:[0,0,1] neg_hi:[0,0,1]
	v_pk_fma_f32 v[4:5], v[6:7], v[120:121], v[4:5] op_sel_hi:[1,0,1]
	v_pk_add_f32 v[2:3], v[2:3], v[20:21]
	v_mov_b32_e32 v4, v123
	v_mov_b32_e32 v19, v5
	v_pk_mul_f32 v[4:5], v[8:9], v[4:5] op_sel:[1,0] op_sel_hi:[0,0]
	v_pk_fma_f32 v[6:7], v[8:9], v[122:123], v[4:5] neg_lo:[0,0,1] neg_hi:[0,0,1]
	v_pk_fma_f32 v[4:5], v[8:9], v[122:123], v[4:5] op_sel_hi:[1,0,1]
	v_pk_add_f32 v[2:3], v[2:3], v[18:19]
	v_mov_b32_e32 v7, v5
	s_waitcnt vmcnt(1) lgkmcnt(1)
	v_pk_mul_f32 v[4:5], v[10:11], v[124:125] op_sel:[1,1] op_sel_hi:[0,1]
	v_pk_add_f32 v[2:3], v[2:3], v[6:7]
	v_pk_fma_f32 v[6:7], v[10:11], v[124:125], v[4:5] neg_lo:[0,0,1] neg_hi:[0,0,1]
	v_pk_fma_f32 v[4:5], v[10:11], v[124:125], v[4:5] op_sel_hi:[1,0,1]
	s_nop 0
	v_mov_b32_e32 v4, v127
	v_mov_b32_e32 v7, v5
	v_pk_mul_f32 v[4:5], v[12:13], v[4:5] op_sel:[1,0] op_sel_hi:[0,0]
	v_pk_add_f32 v[2:3], v[2:3], v[6:7]
	v_pk_fma_f32 v[6:7], v[12:13], v[126:127], v[4:5] neg_lo:[0,0,1] neg_hi:[0,0,1]
	v_pk_fma_f32 v[4:5], v[12:13], v[126:127], v[4:5] op_sel_hi:[1,0,1]
	s_nop 0
	v_mov_b32_e32 v7, v5
	s_waitcnt vmcnt(0) lgkmcnt(0)
	v_pk_mul_f32 v[4:5], v[14:15], v[128:129] op_sel:[1,1] op_sel_hi:[0,1]
	v_pk_add_f32 v[2:3], v[2:3], v[6:7]
	v_pk_fma_f32 v[6:7], v[14:15], v[128:129], v[4:5] neg_lo:[0,0,1] neg_hi:[0,0,1]
	v_pk_fma_f32 v[4:5], v[14:15], v[128:129], v[4:5] op_sel_hi:[1,0,1]
	s_nop 0
	v_mov_b32_e32 v4, v131
	v_mov_b32_e32 v7, v5
	v_pk_mul_f32 v[4:5], v[16:17], v[4:5] op_sel:[1,0] op_sel_hi:[0,0]
	v_pk_add_f32 v[2:3], v[2:3], v[6:7]
	v_pk_fma_f32 v[6:7], v[16:17], v[130:131], v[4:5] neg_lo:[0,0,1] neg_hi:[0,0,1]
	v_pk_fma_f32 v[4:5], v[16:17], v[130:131], v[4:5] op_sel_hi:[1,0,1]
	s_nop 0
	v_mov_b32_e32 v7, v5
	scratch_load_dwordx2 v[4:5], off, off offset:192
	v_pk_add_f32 v[2:3], v[2:3], v[6:7]
	s_waitcnt vmcnt(0)
	v_pk_add_f32 v[2:3], v[4:5], v[2:3] neg_lo:[0,1] neg_hi:[0,1]
	scratch_store_dwordx2 off, v[2:3], off offset:192
	s_and_saveexec_b64 s[0:1], vcc
	s_cbranch_execz .LBB124_333
; %bb.332:
	scratch_load_dwordx2 v[2:3], off, off offset:184
	v_mov_b32_e32 v4, 0
	v_mov_b32_e32 v5, v4
	scratch_store_dwordx2 off, v[4:5], off offset:184
	s_waitcnt vmcnt(1)
	ds_write_b64 v1, v[2:3]
.LBB124_333:
	s_or_b64 exec, exec, s[0:1]
	v_mov_b32_e32 v86, 0
	s_waitcnt lgkmcnt(0)
	; wave barrier
	ds_read_b128 v[14:17], v86 offset:688
	ds_read_b128 v[10:13], v86 offset:704
	;; [unrolled: 1-line block ×4, first 2 shown]
	scratch_load_dwordx4 v[18:21], off, off offset:192
	scratch_load_dwordx4 v[38:41], off, off offset:256
	;; [unrolled: 1-line block ×9, first 2 shown]
	v_cmp_lt_u32_e32 vcc, 22, v0
	scratch_load_dwordx4 v[46:49], off, off offset:272
	scratch_load_dwordx4 v[54:57], off, off offset:288
	;; [unrolled: 1-line block ×3, first 2 shown]
	s_waitcnt vmcnt(11) lgkmcnt(3)
	v_mul_f32_e32 v22, v14, v19
	v_fmac_f32_e32 v22, v15, v18
	v_mul_f32_e32 v23, v16, v21
	v_add_f32_e32 v22, 0, v22
	v_fmac_f32_e32 v23, v17, v20
	v_add_f32_e32 v26, v22, v23
	scratch_load_dwordx4 v[22:25], off, off offset:208
	v_mul_f32_e32 v15, v15, v19
	v_fma_f32 v14, v14, v18, -v15
	v_mul_f32_e32 v15, v17, v21
	v_add_f32_e32 v14, 0, v14
	v_fma_f32 v15, v16, v20, -v15
	v_add_f32_e32 v14, v14, v15
	s_waitcnt vmcnt(4)
	v_mov_b32_e32 v18, v123
	s_waitcnt vmcnt(0) lgkmcnt(2)
	v_mul_f32_e32 v27, v10, v23
	v_fmac_f32_e32 v27, v11, v22
	v_add_f32_e32 v26, v26, v27
	v_mul_f32_e32 v27, v12, v25
	v_fmac_f32_e32 v27, v13, v24
	v_add_f32_e32 v30, v26, v27
	scratch_load_dwordx4 v[26:29], off, off offset:224
	v_mul_f32_e32 v11, v11, v23
	v_fma_f32 v10, v10, v22, -v11
	v_mul_f32_e32 v11, v13, v25
	v_add_f32_e32 v10, v14, v10
	v_fma_f32 v11, v12, v24, -v11
	v_add_f32_e32 v10, v10, v11
	s_waitcnt vmcnt(0) lgkmcnt(1)
	v_mul_f32_e32 v31, v6, v27
	v_fmac_f32_e32 v31, v7, v26
	v_add_f32_e32 v30, v30, v31
	v_mul_f32_e32 v31, v8, v29
	v_fmac_f32_e32 v31, v9, v28
	v_add_f32_e32 v34, v30, v31
	scratch_load_dwordx4 v[30:33], off, off offset:240
	v_mul_f32_e32 v7, v7, v27
	v_fma_f32 v6, v6, v26, -v7
	v_mul_f32_e32 v7, v9, v29
	v_add_f32_e32 v6, v10, v6
	v_fma_f32 v7, v8, v28, -v7
	v_add_f32_e32 v6, v6, v7
	s_waitcnt vmcnt(0) lgkmcnt(0)
	v_mul_f32_e32 v35, v2, v31
	v_fmac_f32_e32 v35, v3, v30
	v_add_f32_e32 v34, v34, v35
	v_mul_f32_e32 v35, v4, v33
	v_fmac_f32_e32 v35, v5, v32
	v_add_f32_e32 v42, v34, v35
	ds_read_b128 v[34:37], v86 offset:752
	v_mul_f32_e32 v3, v3, v31
	v_fma_f32 v2, v2, v30, -v3
	v_mul_f32_e32 v3, v5, v33
	v_add_f32_e32 v2, v6, v2
	s_waitcnt lgkmcnt(0)
	v_mul_f32_e32 v43, v34, v39
	v_fmac_f32_e32 v43, v35, v38
	v_add_f32_e32 v42, v42, v43
	v_mul_f32_e32 v43, v36, v41
	v_fmac_f32_e32 v43, v37, v40
	v_add_f32_e32 v50, v42, v43
	ds_read_b128 v[42:45], v86 offset:768
	v_fma_f32 v3, v4, v32, -v3
	v_add_f32_e32 v2, v2, v3
	v_mul_f32_e32 v3, v35, v39
	v_fma_f32 v3, v34, v38, -v3
	s_waitcnt lgkmcnt(0)
	v_mul_f32_e32 v51, v42, v47
	v_fmac_f32_e32 v51, v43, v46
	v_add_f32_e32 v50, v50, v51
	v_mul_f32_e32 v51, v44, v49
	v_fmac_f32_e32 v51, v45, v48
	v_add_f32_e32 v58, v50, v51
	ds_read_b128 v[50:53], v86 offset:784
	v_add_f32_e32 v2, v2, v3
	v_mul_f32_e32 v3, v37, v41
	v_fma_f32 v3, v36, v40, -v3
	v_add_f32_e32 v2, v2, v3
	s_waitcnt lgkmcnt(0)
	v_mul_f32_e32 v59, v50, v55
	v_fmac_f32_e32 v59, v51, v54
	v_add_f32_e32 v58, v58, v59
	v_mul_f32_e32 v59, v52, v57
	v_fmac_f32_e32 v59, v53, v56
	v_add_f32_e32 v66, v58, v59
	ds_read_b128 v[58:61], v86 offset:800
	v_mul_f32_e32 v3, v43, v47
	v_fma_f32 v3, v42, v46, -v3
	v_add_f32_e32 v2, v2, v3
	v_mul_f32_e32 v3, v45, v49
	s_waitcnt lgkmcnt(0)
	v_mul_f32_e32 v67, v58, v63
	v_fmac_f32_e32 v67, v59, v62
	v_add_f32_e32 v66, v66, v67
	v_mul_f32_e32 v67, v60, v65
	v_fmac_f32_e32 v67, v61, v64
	v_add_f32_e32 v74, v66, v67
	ds_read_b128 v[66:69], v86 offset:816
	v_fma_f32 v3, v44, v48, -v3
	v_add_f32_e32 v2, v2, v3
	v_mul_f32_e32 v3, v51, v55
	v_fma_f32 v3, v50, v54, -v3
	s_waitcnt lgkmcnt(0)
	v_mul_f32_e32 v75, v66, v71
	v_fmac_f32_e32 v75, v67, v70
	v_add_f32_e32 v74, v74, v75
	v_mul_f32_e32 v75, v68, v73
	v_fmac_f32_e32 v75, v69, v72
	v_add_f32_e32 v82, v74, v75
	ds_read_b128 v[74:77], v86 offset:832
	v_add_f32_e32 v2, v2, v3
	v_mul_f32_e32 v3, v53, v57
	v_fma_f32 v3, v52, v56, -v3
	v_add_f32_e32 v2, v2, v3
	s_waitcnt lgkmcnt(0)
	v_mul_f32_e32 v83, v74, v79
	v_fmac_f32_e32 v83, v75, v78
	v_add_f32_e32 v82, v82, v83
	v_mul_f32_e32 v83, v76, v81
	v_fmac_f32_e32 v83, v77, v80
	v_add_f32_e32 v87, v82, v83
	ds_read_b128 v[82:85], v86 offset:848
	v_mul_f32_e32 v3, v59, v63
	v_fma_f32 v3, v58, v62, -v3
	v_add_f32_e32 v2, v2, v3
	v_mul_f32_e32 v3, v61, v65
	;; [unrolled: 36-line block ×3, first 2 shown]
	s_waitcnt lgkmcnt(0)
	v_mul_f32_e32 v116, v108, v113
	v_fmac_f32_e32 v116, v109, v112
	v_add_f32_e32 v137, v87, v116
	ds_read_b128 v[116:119], v86 offset:912
	scratch_load_dwordx4 v[124:127], off, off offset:432
	scratch_load_dwordx4 v[128:131], off, off offset:448
	;; [unrolled: 1-line block ×3, first 2 shown]
	scratch_load_dwordx2 v[142:143], off, off offset:480
	v_fma_f32 v3, v76, v80, -v3
	v_add_f32_e32 v2, v2, v3
	v_mul_f32_e32 v3, v83, v89
	v_fma_f32 v3, v82, v88, -v3
	v_add_f32_e32 v2, v2, v3
	v_mul_f32_e32 v3, v85, v91
	;; [unrolled: 3-line block ×8, first 2 shown]
	v_mul_f32_e32 v139, v110, v115
	v_fma_f32 v138, v110, v114, -v2
	s_waitcnt lgkmcnt(0)
	v_mul_f32_e32 v2, v117, v121
	v_fmac_f32_e32 v139, v111, v114
	v_mul_f32_e32 v141, v116, v121
	v_fma_f32 v140, v116, v120, -v2
	ds_read_b128 v[2:5], v86 offset:928
	ds_read_b128 v[6:9], v86 offset:944
	ds_read_b128 v[10:13], v86 offset:960
	ds_read_b64 v[14:15], v86 offset:976
	v_pk_mul_f32 v[18:19], v[118:119], v[18:19] op_sel:[1,0] op_sel_hi:[0,0]
	v_fmac_f32_e32 v141, v117, v120
	v_pk_add_f32 v[16:17], v[136:137], v[138:139]
	v_pk_fma_f32 v[20:21], v[118:119], v[122:123], v[18:19] neg_lo:[0,0,1] neg_hi:[0,0,1]
	v_pk_fma_f32 v[18:19], v[118:119], v[122:123], v[18:19] op_sel_hi:[1,0,1]
	v_pk_add_f32 v[16:17], v[16:17], v[140:141]
	v_mov_b32_e32 v21, v19
	v_pk_add_f32 v[16:17], v[16:17], v[20:21]
	s_waitcnt vmcnt(3) lgkmcnt(3)
	v_pk_mul_f32 v[18:19], v[2:3], v[124:125] op_sel:[1,1] op_sel_hi:[0,1]
	v_pk_fma_f32 v[20:21], v[2:3], v[124:125], v[18:19] neg_lo:[0,0,1] neg_hi:[0,0,1]
	v_pk_fma_f32 v[2:3], v[2:3], v[124:125], v[18:19] op_sel_hi:[1,0,1]
	s_nop 0
	v_mov_b32_e32 v21, v3
	v_pk_add_f32 v[2:3], v[16:17], v[20:21]
	v_mov_b32_e32 v16, v127
	v_pk_mul_f32 v[16:17], v[4:5], v[16:17] op_sel:[1,0] op_sel_hi:[0,0]
	v_pk_fma_f32 v[18:19], v[4:5], v[126:127], v[16:17] neg_lo:[0,0,1] neg_hi:[0,0,1]
	v_pk_fma_f32 v[4:5], v[4:5], v[126:127], v[16:17] op_sel_hi:[1,0,1]
	s_nop 0
	v_mov_b32_e32 v19, v5
	s_waitcnt vmcnt(2) lgkmcnt(2)
	v_pk_mul_f32 v[4:5], v[6:7], v[128:129] op_sel:[1,1] op_sel_hi:[0,1]
	v_pk_fma_f32 v[16:17], v[6:7], v[128:129], v[4:5] neg_lo:[0,0,1] neg_hi:[0,0,1]
	v_pk_fma_f32 v[4:5], v[6:7], v[128:129], v[4:5] op_sel_hi:[1,0,1]
	v_pk_add_f32 v[2:3], v[2:3], v[18:19]
	v_mov_b32_e32 v4, v131
	v_mov_b32_e32 v17, v5
	v_pk_mul_f32 v[4:5], v[8:9], v[4:5] op_sel:[1,0] op_sel_hi:[0,0]
	v_pk_fma_f32 v[6:7], v[8:9], v[130:131], v[4:5] neg_lo:[0,0,1] neg_hi:[0,0,1]
	v_pk_fma_f32 v[4:5], v[8:9], v[130:131], v[4:5] op_sel_hi:[1,0,1]
	v_pk_add_f32 v[2:3], v[2:3], v[16:17]
	v_mov_b32_e32 v7, v5
	s_waitcnt vmcnt(1) lgkmcnt(1)
	v_pk_mul_f32 v[4:5], v[10:11], v[132:133] op_sel:[1,1] op_sel_hi:[0,1]
	v_pk_add_f32 v[2:3], v[2:3], v[6:7]
	v_pk_fma_f32 v[6:7], v[10:11], v[132:133], v[4:5] neg_lo:[0,0,1] neg_hi:[0,0,1]
	v_pk_fma_f32 v[4:5], v[10:11], v[132:133], v[4:5] op_sel_hi:[1,0,1]
	s_nop 0
	v_mov_b32_e32 v4, v135
	v_mov_b32_e32 v7, v5
	v_pk_mul_f32 v[4:5], v[12:13], v[4:5] op_sel:[1,0] op_sel_hi:[0,0]
	v_pk_add_f32 v[2:3], v[2:3], v[6:7]
	v_pk_fma_f32 v[6:7], v[12:13], v[134:135], v[4:5] neg_lo:[0,0,1] neg_hi:[0,0,1]
	v_pk_fma_f32 v[4:5], v[12:13], v[134:135], v[4:5] op_sel_hi:[1,0,1]
	s_nop 0
	v_mov_b32_e32 v7, v5
	s_waitcnt vmcnt(0) lgkmcnt(0)
	v_pk_mul_f32 v[4:5], v[14:15], v[142:143] op_sel:[1,1] op_sel_hi:[0,1]
	v_pk_add_f32 v[2:3], v[2:3], v[6:7]
	v_pk_fma_f32 v[6:7], v[14:15], v[142:143], v[4:5] neg_lo:[0,0,1] neg_hi:[0,0,1]
	v_pk_fma_f32 v[4:5], v[14:15], v[142:143], v[4:5] op_sel_hi:[1,0,1]
	s_nop 0
	v_mov_b32_e32 v7, v5
	scratch_load_dwordx2 v[4:5], off, off offset:184
	v_pk_add_f32 v[2:3], v[2:3], v[6:7]
	s_waitcnt vmcnt(0)
	v_pk_add_f32 v[2:3], v[4:5], v[2:3] neg_lo:[0,1] neg_hi:[0,1]
	scratch_store_dwordx2 off, v[2:3], off offset:184
	s_and_saveexec_b64 s[0:1], vcc
	s_cbranch_execz .LBB124_335
; %bb.334:
	scratch_load_dwordx2 v[2:3], off, off offset:176
	v_mov_b32_e32 v87, v86
	scratch_store_dwordx2 off, v[86:87], off offset:176
	s_waitcnt vmcnt(1)
	ds_write_b64 v1, v[2:3]
.LBB124_335:
	s_or_b64 exec, exec, s[0:1]
	s_waitcnt lgkmcnt(0)
	; wave barrier
	scratch_load_dwordx4 v[6:9], off, off offset:184
	scratch_load_dwordx4 v[14:17], off, off offset:200
	scratch_load_dwordx4 v[22:25], off, off offset:216
	scratch_load_dwordx4 v[30:33], off, off offset:232
	scratch_load_dwordx4 v[38:41], off, off offset:248
	scratch_load_dwordx4 v[46:49], off, off offset:264
	scratch_load_dwordx4 v[54:57], off, off offset:280
	scratch_load_dwordx4 v[62:65], off, off offset:296
	scratch_load_dwordx4 v[70:73], off, off offset:312
	scratch_load_dwordx4 v[78:81], off, off offset:328
	ds_read2_b64 v[2:5], v86 offset0:85 offset1:86
	scratch_load_dwordx4 v[88:91], off, off offset:344
	scratch_load_dwordx4 v[96:99], off, off offset:360
	;; [unrolled: 1-line block ×5, first 2 shown]
	v_cmp_lt_u32_e32 vcc, 21, v0
	s_waitcnt vmcnt(14) lgkmcnt(0)
	v_mul_f32_e32 v10, v2, v7
	v_fmac_f32_e32 v10, v3, v6
	v_mul_f32_e32 v11, v4, v9
	v_add_f32_e32 v10, 0, v10
	v_fmac_f32_e32 v11, v5, v8
	v_add_f32_e32 v18, v10, v11
	ds_read2_b64 v[10:13], v86 offset0:87 offset1:88
	v_mul_f32_e32 v3, v3, v7
	v_fma_f32 v2, v2, v6, -v3
	v_mul_f32_e32 v3, v5, v9
	v_add_f32_e32 v2, 0, v2
	s_waitcnt vmcnt(13) lgkmcnt(0)
	v_mul_f32_e32 v19, v10, v15
	v_fmac_f32_e32 v19, v11, v14
	v_add_f32_e32 v18, v18, v19
	v_mul_f32_e32 v19, v12, v17
	v_fmac_f32_e32 v19, v13, v16
	v_add_f32_e32 v26, v18, v19
	ds_read2_b64 v[18:21], v86 offset0:89 offset1:90
	v_fma_f32 v3, v4, v8, -v3
	v_add_f32_e32 v2, v2, v3
	v_mul_f32_e32 v3, v11, v15
	v_fma_f32 v3, v10, v14, -v3
	s_waitcnt vmcnt(12) lgkmcnt(0)
	v_mul_f32_e32 v27, v18, v23
	v_fmac_f32_e32 v27, v19, v22
	v_add_f32_e32 v26, v26, v27
	v_mul_f32_e32 v27, v20, v25
	v_fmac_f32_e32 v27, v21, v24
	v_add_f32_e32 v34, v26, v27
	ds_read2_b64 v[26:29], v86 offset0:91 offset1:92
	v_add_f32_e32 v2, v2, v3
	v_mul_f32_e32 v3, v13, v17
	v_fma_f32 v3, v12, v16, -v3
	v_add_f32_e32 v2, v2, v3
	s_waitcnt vmcnt(11) lgkmcnt(0)
	v_mul_f32_e32 v35, v26, v31
	v_fmac_f32_e32 v35, v27, v30
	v_add_f32_e32 v34, v34, v35
	v_mul_f32_e32 v35, v28, v33
	v_fmac_f32_e32 v35, v29, v32
	v_add_f32_e32 v42, v34, v35
	ds_read2_b64 v[34:37], v86 offset0:93 offset1:94
	v_mul_f32_e32 v3, v19, v23
	v_fma_f32 v3, v18, v22, -v3
	v_add_f32_e32 v2, v2, v3
	v_mul_f32_e32 v3, v21, v25
	s_waitcnt vmcnt(10) lgkmcnt(0)
	v_mul_f32_e32 v43, v34, v39
	v_fmac_f32_e32 v43, v35, v38
	v_add_f32_e32 v42, v42, v43
	v_mul_f32_e32 v43, v36, v41
	v_fmac_f32_e32 v43, v37, v40
	v_add_f32_e32 v50, v42, v43
	ds_read2_b64 v[42:45], v86 offset0:95 offset1:96
	v_fma_f32 v3, v20, v24, -v3
	v_add_f32_e32 v2, v2, v3
	v_mul_f32_e32 v3, v27, v31
	v_fma_f32 v3, v26, v30, -v3
	s_waitcnt vmcnt(9) lgkmcnt(0)
	v_mul_f32_e32 v51, v42, v47
	v_fmac_f32_e32 v51, v43, v46
	v_add_f32_e32 v50, v50, v51
	v_mul_f32_e32 v51, v44, v49
	v_fmac_f32_e32 v51, v45, v48
	v_add_f32_e32 v58, v50, v51
	ds_read2_b64 v[50:53], v86 offset0:97 offset1:98
	v_add_f32_e32 v2, v2, v3
	v_mul_f32_e32 v3, v29, v33
	v_fma_f32 v3, v28, v32, -v3
	v_add_f32_e32 v2, v2, v3
	s_waitcnt vmcnt(8) lgkmcnt(0)
	v_mul_f32_e32 v59, v50, v55
	v_fmac_f32_e32 v59, v51, v54
	v_add_f32_e32 v58, v58, v59
	v_mul_f32_e32 v59, v52, v57
	v_fmac_f32_e32 v59, v53, v56
	v_add_f32_e32 v66, v58, v59
	ds_read2_b64 v[58:61], v86 offset0:99 offset1:100
	v_mul_f32_e32 v3, v35, v39
	v_fma_f32 v3, v34, v38, -v3
	v_add_f32_e32 v2, v2, v3
	v_mul_f32_e32 v3, v37, v41
	;; [unrolled: 36-line block ×4, first 2 shown]
	s_waitcnt vmcnt(1) lgkmcnt(0)
	v_mul_f32_e32 v116, v108, v113
	v_fmac_f32_e32 v116, v109, v112
	v_add_f32_e32 v87, v87, v116
	v_mul_f32_e32 v116, v110, v115
	v_fmac_f32_e32 v116, v111, v114
	v_add_f32_e32 v141, v87, v116
	ds_read2_b64 v[116:119], v86 offset0:113 offset1:114
	scratch_load_dwordx4 v[124:127], off, off offset:424
	scratch_load_dwordx4 v[128:131], off, off offset:440
	;; [unrolled: 1-line block ×4, first 2 shown]
	v_fma_f32 v3, v68, v72, -v3
	v_add_f32_e32 v2, v2, v3
	v_mul_f32_e32 v3, v75, v79
	v_fma_f32 v3, v74, v78, -v3
	v_add_f32_e32 v2, v2, v3
	v_mul_f32_e32 v3, v77, v81
	;; [unrolled: 3-line block ×10, first 2 shown]
	v_fma_f32 v3, v110, v114, -v3
	v_add_f32_e32 v140, v2, v3
	s_waitcnt vmcnt(4) lgkmcnt(0)
	v_mul_f32_e32 v2, v117, v121
	v_fma_f32 v142, v116, v120, -v2
	v_mul_f32_e32 v2, v119, v123
	v_fma_f32 v144, v118, v122, -v2
	ds_read2_b64 v[2:5], v86 offset0:115 offset1:116
	ds_read2_b64 v[6:9], v86 offset0:117 offset1:118
	;; [unrolled: 1-line block ×4, first 2 shown]
	v_mul_f32_e32 v143, v116, v121
	v_fmac_f32_e32 v143, v117, v120
	v_mul_f32_e32 v145, v118, v123
	v_fmac_f32_e32 v145, v119, v122
	v_pk_add_f32 v[18:19], v[140:141], v[142:143]
	s_waitcnt vmcnt(3) lgkmcnt(3)
	v_pk_mul_f32 v[20:21], v[2:3], v[124:125] op_sel:[1,1] op_sel_hi:[0,1]
	v_pk_fma_f32 v[22:23], v[2:3], v[124:125], v[20:21] neg_lo:[0,0,1] neg_hi:[0,0,1]
	v_pk_fma_f32 v[2:3], v[2:3], v[124:125], v[20:21] op_sel_hi:[1,0,1]
	v_pk_add_f32 v[18:19], v[18:19], v[144:145]
	v_mov_b32_e32 v23, v3
	v_pk_add_f32 v[2:3], v[18:19], v[22:23]
	v_mov_b32_e32 v18, v127
	v_pk_mul_f32 v[18:19], v[4:5], v[18:19] op_sel:[1,0] op_sel_hi:[0,0]
	v_pk_fma_f32 v[20:21], v[4:5], v[126:127], v[18:19] neg_lo:[0,0,1] neg_hi:[0,0,1]
	v_pk_fma_f32 v[4:5], v[4:5], v[126:127], v[18:19] op_sel_hi:[1,0,1]
	s_nop 0
	v_mov_b32_e32 v21, v5
	s_waitcnt vmcnt(2) lgkmcnt(2)
	v_pk_mul_f32 v[4:5], v[6:7], v[128:129] op_sel:[1,1] op_sel_hi:[0,1]
	v_pk_fma_f32 v[18:19], v[6:7], v[128:129], v[4:5] neg_lo:[0,0,1] neg_hi:[0,0,1]
	v_pk_fma_f32 v[4:5], v[6:7], v[128:129], v[4:5] op_sel_hi:[1,0,1]
	v_pk_add_f32 v[2:3], v[2:3], v[20:21]
	v_mov_b32_e32 v4, v131
	v_mov_b32_e32 v19, v5
	v_pk_mul_f32 v[4:5], v[8:9], v[4:5] op_sel:[1,0] op_sel_hi:[0,0]
	v_pk_fma_f32 v[6:7], v[8:9], v[130:131], v[4:5] neg_lo:[0,0,1] neg_hi:[0,0,1]
	v_pk_fma_f32 v[4:5], v[8:9], v[130:131], v[4:5] op_sel_hi:[1,0,1]
	v_pk_add_f32 v[2:3], v[2:3], v[18:19]
	v_mov_b32_e32 v7, v5
	s_waitcnt vmcnt(1) lgkmcnt(1)
	v_pk_mul_f32 v[4:5], v[10:11], v[132:133] op_sel:[1,1] op_sel_hi:[0,1]
	v_pk_add_f32 v[2:3], v[2:3], v[6:7]
	v_pk_fma_f32 v[6:7], v[10:11], v[132:133], v[4:5] neg_lo:[0,0,1] neg_hi:[0,0,1]
	v_pk_fma_f32 v[4:5], v[10:11], v[132:133], v[4:5] op_sel_hi:[1,0,1]
	s_nop 0
	v_mov_b32_e32 v4, v135
	v_mov_b32_e32 v7, v5
	v_pk_mul_f32 v[4:5], v[12:13], v[4:5] op_sel:[1,0] op_sel_hi:[0,0]
	v_pk_add_f32 v[2:3], v[2:3], v[6:7]
	v_pk_fma_f32 v[6:7], v[12:13], v[134:135], v[4:5] neg_lo:[0,0,1] neg_hi:[0,0,1]
	v_pk_fma_f32 v[4:5], v[12:13], v[134:135], v[4:5] op_sel_hi:[1,0,1]
	s_nop 0
	v_mov_b32_e32 v7, v5
	s_waitcnt vmcnt(0) lgkmcnt(0)
	v_pk_mul_f32 v[4:5], v[14:15], v[136:137] op_sel:[1,1] op_sel_hi:[0,1]
	v_pk_add_f32 v[2:3], v[2:3], v[6:7]
	v_pk_fma_f32 v[6:7], v[14:15], v[136:137], v[4:5] neg_lo:[0,0,1] neg_hi:[0,0,1]
	v_pk_fma_f32 v[4:5], v[14:15], v[136:137], v[4:5] op_sel_hi:[1,0,1]
	s_nop 0
	v_mov_b32_e32 v4, v139
	v_mov_b32_e32 v7, v5
	v_pk_mul_f32 v[4:5], v[16:17], v[4:5] op_sel:[1,0] op_sel_hi:[0,0]
	v_pk_add_f32 v[2:3], v[2:3], v[6:7]
	v_pk_fma_f32 v[6:7], v[16:17], v[138:139], v[4:5] neg_lo:[0,0,1] neg_hi:[0,0,1]
	v_pk_fma_f32 v[4:5], v[16:17], v[138:139], v[4:5] op_sel_hi:[1,0,1]
	s_nop 0
	v_mov_b32_e32 v7, v5
	scratch_load_dwordx2 v[4:5], off, off offset:176
	v_pk_add_f32 v[2:3], v[2:3], v[6:7]
	s_waitcnt vmcnt(0)
	v_pk_add_f32 v[2:3], v[4:5], v[2:3] neg_lo:[0,1] neg_hi:[0,1]
	scratch_store_dwordx2 off, v[2:3], off offset:176
	s_and_saveexec_b64 s[0:1], vcc
	s_cbranch_execz .LBB124_337
; %bb.336:
	scratch_load_dwordx2 v[2:3], off, off offset:168
	v_mov_b32_e32 v4, 0
	v_mov_b32_e32 v5, v4
	scratch_store_dwordx2 off, v[4:5], off offset:168
	s_waitcnt vmcnt(1)
	ds_write_b64 v1, v[2:3]
.LBB124_337:
	s_or_b64 exec, exec, s[0:1]
	v_mov_b32_e32 v94, 0
	s_waitcnt lgkmcnt(0)
	; wave barrier
	ds_read_b128 v[14:17], v94 offset:672
	ds_read_b128 v[10:13], v94 offset:688
	;; [unrolled: 1-line block ×4, first 2 shown]
	scratch_load_dwordx4 v[18:21], off, off offset:176
	scratch_load_dwordx4 v[38:41], off, off offset:240
	;; [unrolled: 1-line block ×10, first 2 shown]
	v_cmp_lt_u32_e32 vcc, 20, v0
	scratch_load_dwordx4 v[46:49], off, off offset:256
	scratch_load_dwordx4 v[54:57], off, off offset:272
	;; [unrolled: 1-line block ×3, first 2 shown]
	s_waitcnt vmcnt(12) lgkmcnt(3)
	v_mul_f32_e32 v22, v14, v19
	v_fmac_f32_e32 v22, v15, v18
	v_mul_f32_e32 v23, v16, v21
	v_add_f32_e32 v22, 0, v22
	v_fmac_f32_e32 v23, v17, v20
	v_add_f32_e32 v26, v22, v23
	scratch_load_dwordx4 v[22:25], off, off offset:192
	v_mul_f32_e32 v15, v15, v19
	v_fma_f32 v14, v14, v18, -v15
	v_mul_f32_e32 v15, v17, v21
	v_add_f32_e32 v14, 0, v14
	v_fma_f32 v15, v16, v20, -v15
	v_add_f32_e32 v14, v14, v15
	s_waitcnt vmcnt(4)
	v_mov_b32_e32 v18, v131
	s_waitcnt vmcnt(0) lgkmcnt(2)
	v_mul_f32_e32 v27, v10, v23
	v_fmac_f32_e32 v27, v11, v22
	v_add_f32_e32 v26, v26, v27
	v_mul_f32_e32 v27, v12, v25
	v_fmac_f32_e32 v27, v13, v24
	v_add_f32_e32 v30, v26, v27
	scratch_load_dwordx4 v[26:29], off, off offset:208
	v_mul_f32_e32 v11, v11, v23
	v_fma_f32 v10, v10, v22, -v11
	v_mul_f32_e32 v11, v13, v25
	v_add_f32_e32 v10, v14, v10
	v_fma_f32 v11, v12, v24, -v11
	v_add_f32_e32 v10, v10, v11
	s_waitcnt vmcnt(0) lgkmcnt(1)
	v_mul_f32_e32 v31, v6, v27
	v_fmac_f32_e32 v31, v7, v26
	v_add_f32_e32 v30, v30, v31
	v_mul_f32_e32 v31, v8, v29
	v_fmac_f32_e32 v31, v9, v28
	v_add_f32_e32 v34, v30, v31
	scratch_load_dwordx4 v[30:33], off, off offset:224
	v_mul_f32_e32 v7, v7, v27
	v_fma_f32 v6, v6, v26, -v7
	v_mul_f32_e32 v7, v9, v29
	v_add_f32_e32 v6, v10, v6
	v_fma_f32 v7, v8, v28, -v7
	v_add_f32_e32 v6, v6, v7
	s_waitcnt vmcnt(0) lgkmcnt(0)
	v_mul_f32_e32 v35, v2, v31
	v_fmac_f32_e32 v35, v3, v30
	v_add_f32_e32 v34, v34, v35
	v_mul_f32_e32 v35, v4, v33
	v_fmac_f32_e32 v35, v5, v32
	v_add_f32_e32 v42, v34, v35
	ds_read_b128 v[34:37], v94 offset:736
	v_mul_f32_e32 v3, v3, v31
	v_fma_f32 v2, v2, v30, -v3
	v_mul_f32_e32 v3, v5, v33
	v_add_f32_e32 v2, v6, v2
	s_waitcnt lgkmcnt(0)
	v_mul_f32_e32 v43, v34, v39
	v_fmac_f32_e32 v43, v35, v38
	v_add_f32_e32 v42, v42, v43
	v_mul_f32_e32 v43, v36, v41
	v_fmac_f32_e32 v43, v37, v40
	v_add_f32_e32 v50, v42, v43
	ds_read_b128 v[42:45], v94 offset:752
	v_fma_f32 v3, v4, v32, -v3
	v_add_f32_e32 v2, v2, v3
	v_mul_f32_e32 v3, v35, v39
	v_fma_f32 v3, v34, v38, -v3
	s_waitcnt lgkmcnt(0)
	v_mul_f32_e32 v51, v42, v47
	v_fmac_f32_e32 v51, v43, v46
	v_add_f32_e32 v50, v50, v51
	v_mul_f32_e32 v51, v44, v49
	v_fmac_f32_e32 v51, v45, v48
	v_add_f32_e32 v58, v50, v51
	ds_read_b128 v[50:53], v94 offset:768
	v_add_f32_e32 v2, v2, v3
	v_mul_f32_e32 v3, v37, v41
	v_fma_f32 v3, v36, v40, -v3
	v_add_f32_e32 v2, v2, v3
	s_waitcnt lgkmcnt(0)
	v_mul_f32_e32 v59, v50, v55
	v_fmac_f32_e32 v59, v51, v54
	v_add_f32_e32 v58, v58, v59
	v_mul_f32_e32 v59, v52, v57
	v_fmac_f32_e32 v59, v53, v56
	v_add_f32_e32 v66, v58, v59
	ds_read_b128 v[58:61], v94 offset:784
	v_mul_f32_e32 v3, v43, v47
	v_fma_f32 v3, v42, v46, -v3
	v_add_f32_e32 v2, v2, v3
	v_mul_f32_e32 v3, v45, v49
	s_waitcnt lgkmcnt(0)
	v_mul_f32_e32 v67, v58, v63
	v_fmac_f32_e32 v67, v59, v62
	v_add_f32_e32 v66, v66, v67
	v_mul_f32_e32 v67, v60, v65
	v_fmac_f32_e32 v67, v61, v64
	v_add_f32_e32 v74, v66, v67
	ds_read_b128 v[66:69], v94 offset:800
	v_fma_f32 v3, v44, v48, -v3
	v_add_f32_e32 v2, v2, v3
	v_mul_f32_e32 v3, v51, v55
	v_fma_f32 v3, v50, v54, -v3
	s_waitcnt lgkmcnt(0)
	v_mul_f32_e32 v75, v66, v71
	v_fmac_f32_e32 v75, v67, v70
	v_add_f32_e32 v74, v74, v75
	v_mul_f32_e32 v75, v68, v73
	v_fmac_f32_e32 v75, v69, v72
	v_add_f32_e32 v82, v74, v75
	ds_read_b128 v[74:77], v94 offset:816
	v_add_f32_e32 v2, v2, v3
	v_mul_f32_e32 v3, v53, v57
	v_fma_f32 v3, v52, v56, -v3
	v_add_f32_e32 v2, v2, v3
	s_waitcnt lgkmcnt(0)
	v_mul_f32_e32 v83, v74, v79
	v_fmac_f32_e32 v83, v75, v78
	v_add_f32_e32 v82, v82, v83
	v_mul_f32_e32 v83, v76, v81
	v_fmac_f32_e32 v83, v77, v80
	v_add_f32_e32 v90, v82, v83
	ds_read_b128 v[82:85], v94 offset:832
	v_mul_f32_e32 v3, v59, v63
	v_fma_f32 v3, v58, v62, -v3
	v_add_f32_e32 v2, v2, v3
	v_mul_f32_e32 v3, v61, v65
	;; [unrolled: 36-line block ×3, first 2 shown]
	s_waitcnt lgkmcnt(0)
	v_mul_f32_e32 v116, v108, v113
	v_fmac_f32_e32 v116, v109, v112
	v_add_f32_e32 v95, v95, v116
	v_mul_f32_e32 v116, v110, v115
	v_fmac_f32_e32 v116, v111, v114
	v_add_f32_e32 v95, v95, v116
	ds_read_b128 v[116:119], v94 offset:896
	v_fma_f32 v3, v76, v80, -v3
	v_add_f32_e32 v2, v2, v3
	v_mul_f32_e32 v3, v83, v87
	v_fma_f32 v3, v82, v86, -v3
	s_waitcnt lgkmcnt(0)
	v_mul_f32_e32 v124, v116, v121
	v_fmac_f32_e32 v124, v117, v120
	v_add_f32_e32 v145, v95, v124
	ds_read_b128 v[124:127], v94 offset:912
	scratch_load_dwordx4 v[132:135], off, off offset:432
	scratch_load_dwordx4 v[136:139], off, off offset:448
	scratch_load_dwordx4 v[140:143], off, off offset:464
	scratch_load_dwordx2 v[168:169], off, off offset:480
	v_add_f32_e32 v2, v2, v3
	v_mul_f32_e32 v3, v85, v89
	v_fma_f32 v3, v84, v88, -v3
	v_add_f32_e32 v2, v2, v3
	v_mul_f32_e32 v3, v91, v97
	v_fma_f32 v3, v90, v96, -v3
	;; [unrolled: 3-line block ×8, first 2 shown]
	v_add_f32_e32 v144, v2, v3
	v_mul_f32_e32 v2, v119, v123
	v_mul_f32_e32 v147, v118, v123
	v_fma_f32 v146, v118, v122, -v2
	s_waitcnt lgkmcnt(0)
	v_mul_f32_e32 v2, v125, v129
	v_fmac_f32_e32 v147, v119, v122
	v_mul_f32_e32 v149, v124, v129
	v_fma_f32 v148, v124, v128, -v2
	ds_read_b128 v[2:5], v94 offset:928
	ds_read_b128 v[6:9], v94 offset:944
	;; [unrolled: 1-line block ×3, first 2 shown]
	ds_read_b64 v[14:15], v94 offset:976
	v_pk_mul_f32 v[18:19], v[126:127], v[18:19] op_sel:[1,0] op_sel_hi:[0,0]
	v_fmac_f32_e32 v149, v125, v128
	v_pk_add_f32 v[16:17], v[144:145], v[146:147]
	v_pk_fma_f32 v[20:21], v[126:127], v[130:131], v[18:19] neg_lo:[0,0,1] neg_hi:[0,0,1]
	v_pk_fma_f32 v[18:19], v[126:127], v[130:131], v[18:19] op_sel_hi:[1,0,1]
	v_pk_add_f32 v[16:17], v[16:17], v[148:149]
	v_mov_b32_e32 v21, v19
	v_pk_add_f32 v[16:17], v[16:17], v[20:21]
	s_waitcnt vmcnt(3) lgkmcnt(3)
	v_pk_mul_f32 v[18:19], v[2:3], v[132:133] op_sel:[1,1] op_sel_hi:[0,1]
	v_pk_fma_f32 v[20:21], v[2:3], v[132:133], v[18:19] neg_lo:[0,0,1] neg_hi:[0,0,1]
	v_pk_fma_f32 v[2:3], v[2:3], v[132:133], v[18:19] op_sel_hi:[1,0,1]
	s_nop 0
	v_mov_b32_e32 v21, v3
	v_pk_add_f32 v[2:3], v[16:17], v[20:21]
	v_mov_b32_e32 v16, v135
	v_pk_mul_f32 v[16:17], v[4:5], v[16:17] op_sel:[1,0] op_sel_hi:[0,0]
	v_pk_fma_f32 v[18:19], v[4:5], v[134:135], v[16:17] neg_lo:[0,0,1] neg_hi:[0,0,1]
	v_pk_fma_f32 v[4:5], v[4:5], v[134:135], v[16:17] op_sel_hi:[1,0,1]
	s_nop 0
	v_mov_b32_e32 v19, v5
	s_waitcnt vmcnt(2) lgkmcnt(2)
	v_pk_mul_f32 v[4:5], v[6:7], v[136:137] op_sel:[1,1] op_sel_hi:[0,1]
	v_pk_fma_f32 v[16:17], v[6:7], v[136:137], v[4:5] neg_lo:[0,0,1] neg_hi:[0,0,1]
	v_pk_fma_f32 v[4:5], v[6:7], v[136:137], v[4:5] op_sel_hi:[1,0,1]
	v_pk_add_f32 v[2:3], v[2:3], v[18:19]
	v_mov_b32_e32 v4, v139
	v_mov_b32_e32 v17, v5
	v_pk_mul_f32 v[4:5], v[8:9], v[4:5] op_sel:[1,0] op_sel_hi:[0,0]
	v_pk_fma_f32 v[6:7], v[8:9], v[138:139], v[4:5] neg_lo:[0,0,1] neg_hi:[0,0,1]
	v_pk_fma_f32 v[4:5], v[8:9], v[138:139], v[4:5] op_sel_hi:[1,0,1]
	v_pk_add_f32 v[2:3], v[2:3], v[16:17]
	v_mov_b32_e32 v7, v5
	s_waitcnt vmcnt(1) lgkmcnt(1)
	v_pk_mul_f32 v[4:5], v[10:11], v[140:141] op_sel:[1,1] op_sel_hi:[0,1]
	v_pk_add_f32 v[2:3], v[2:3], v[6:7]
	v_pk_fma_f32 v[6:7], v[10:11], v[140:141], v[4:5] neg_lo:[0,0,1] neg_hi:[0,0,1]
	v_pk_fma_f32 v[4:5], v[10:11], v[140:141], v[4:5] op_sel_hi:[1,0,1]
	s_nop 0
	v_mov_b32_e32 v4, v143
	v_mov_b32_e32 v7, v5
	v_pk_mul_f32 v[4:5], v[12:13], v[4:5] op_sel:[1,0] op_sel_hi:[0,0]
	v_pk_add_f32 v[2:3], v[2:3], v[6:7]
	v_pk_fma_f32 v[6:7], v[12:13], v[142:143], v[4:5] neg_lo:[0,0,1] neg_hi:[0,0,1]
	v_pk_fma_f32 v[4:5], v[12:13], v[142:143], v[4:5] op_sel_hi:[1,0,1]
	s_nop 0
	v_mov_b32_e32 v7, v5
	s_waitcnt vmcnt(0) lgkmcnt(0)
	v_pk_mul_f32 v[4:5], v[14:15], v[168:169] op_sel:[1,1] op_sel_hi:[0,1]
	v_pk_add_f32 v[2:3], v[2:3], v[6:7]
	v_pk_fma_f32 v[6:7], v[14:15], v[168:169], v[4:5] neg_lo:[0,0,1] neg_hi:[0,0,1]
	v_pk_fma_f32 v[4:5], v[14:15], v[168:169], v[4:5] op_sel_hi:[1,0,1]
	s_nop 0
	v_mov_b32_e32 v7, v5
	scratch_load_dwordx2 v[4:5], off, off offset:168
	v_pk_add_f32 v[2:3], v[2:3], v[6:7]
	s_waitcnt vmcnt(0)
	v_pk_add_f32 v[2:3], v[4:5], v[2:3] neg_lo:[0,1] neg_hi:[0,1]
	scratch_store_dwordx2 off, v[2:3], off offset:168
	s_and_saveexec_b64 s[0:1], vcc
	s_cbranch_execz .LBB124_339
; %bb.338:
	scratch_load_dwordx2 v[2:3], off, off offset:160
	v_mov_b32_e32 v95, v94
	scratch_store_dwordx2 off, v[94:95], off offset:160
	s_waitcnt vmcnt(1)
	ds_write_b64 v1, v[2:3]
.LBB124_339:
	s_or_b64 exec, exec, s[0:1]
	s_waitcnt lgkmcnt(0)
	; wave barrier
	scratch_load_dwordx4 v[6:9], off, off offset:168
	scratch_load_dwordx4 v[14:17], off, off offset:184
	;; [unrolled: 1-line block ×10, first 2 shown]
	ds_read2_b64 v[2:5], v94 offset0:83 offset1:84
	scratch_load_dwordx4 v[86:89], off, off offset:328
	scratch_load_dwordx4 v[96:99], off, off offset:344
	;; [unrolled: 1-line block ×6, first 2 shown]
	v_cmp_lt_u32_e32 vcc, 19, v0
	s_waitcnt vmcnt(15) lgkmcnt(0)
	v_mul_f32_e32 v10, v2, v7
	v_fmac_f32_e32 v10, v3, v6
	v_mul_f32_e32 v11, v4, v9
	v_add_f32_e32 v10, 0, v10
	v_fmac_f32_e32 v11, v5, v8
	v_add_f32_e32 v18, v10, v11
	ds_read2_b64 v[10:13], v94 offset0:85 offset1:86
	v_mul_f32_e32 v3, v3, v7
	v_fma_f32 v2, v2, v6, -v3
	v_mul_f32_e32 v3, v5, v9
	v_add_f32_e32 v2, 0, v2
	s_waitcnt vmcnt(14) lgkmcnt(0)
	v_mul_f32_e32 v19, v10, v15
	v_fmac_f32_e32 v19, v11, v14
	v_add_f32_e32 v18, v18, v19
	v_mul_f32_e32 v19, v12, v17
	v_fmac_f32_e32 v19, v13, v16
	v_add_f32_e32 v26, v18, v19
	ds_read2_b64 v[18:21], v94 offset0:87 offset1:88
	v_fma_f32 v3, v4, v8, -v3
	v_add_f32_e32 v2, v2, v3
	v_mul_f32_e32 v3, v11, v15
	v_fma_f32 v3, v10, v14, -v3
	s_waitcnt vmcnt(13) lgkmcnt(0)
	v_mul_f32_e32 v27, v18, v23
	v_fmac_f32_e32 v27, v19, v22
	v_add_f32_e32 v26, v26, v27
	v_mul_f32_e32 v27, v20, v25
	v_fmac_f32_e32 v27, v21, v24
	v_add_f32_e32 v34, v26, v27
	ds_read2_b64 v[26:29], v94 offset0:89 offset1:90
	v_add_f32_e32 v2, v2, v3
	v_mul_f32_e32 v3, v13, v17
	v_fma_f32 v3, v12, v16, -v3
	v_add_f32_e32 v2, v2, v3
	s_waitcnt vmcnt(12) lgkmcnt(0)
	v_mul_f32_e32 v35, v26, v31
	v_fmac_f32_e32 v35, v27, v30
	v_add_f32_e32 v34, v34, v35
	v_mul_f32_e32 v35, v28, v33
	v_fmac_f32_e32 v35, v29, v32
	v_add_f32_e32 v42, v34, v35
	ds_read2_b64 v[34:37], v94 offset0:91 offset1:92
	v_mul_f32_e32 v3, v19, v23
	v_fma_f32 v3, v18, v22, -v3
	v_add_f32_e32 v2, v2, v3
	v_mul_f32_e32 v3, v21, v25
	s_waitcnt vmcnt(11) lgkmcnt(0)
	v_mul_f32_e32 v43, v34, v39
	v_fmac_f32_e32 v43, v35, v38
	v_add_f32_e32 v42, v42, v43
	v_mul_f32_e32 v43, v36, v41
	v_fmac_f32_e32 v43, v37, v40
	v_add_f32_e32 v50, v42, v43
	ds_read2_b64 v[42:45], v94 offset0:93 offset1:94
	v_fma_f32 v3, v20, v24, -v3
	v_add_f32_e32 v2, v2, v3
	v_mul_f32_e32 v3, v27, v31
	v_fma_f32 v3, v26, v30, -v3
	s_waitcnt vmcnt(10) lgkmcnt(0)
	v_mul_f32_e32 v51, v42, v47
	v_fmac_f32_e32 v51, v43, v46
	v_add_f32_e32 v50, v50, v51
	v_mul_f32_e32 v51, v44, v49
	v_fmac_f32_e32 v51, v45, v48
	v_add_f32_e32 v58, v50, v51
	ds_read2_b64 v[50:53], v94 offset0:95 offset1:96
	v_add_f32_e32 v2, v2, v3
	v_mul_f32_e32 v3, v29, v33
	v_fma_f32 v3, v28, v32, -v3
	v_add_f32_e32 v2, v2, v3
	s_waitcnt vmcnt(9) lgkmcnt(0)
	v_mul_f32_e32 v59, v50, v55
	v_fmac_f32_e32 v59, v51, v54
	v_add_f32_e32 v58, v58, v59
	v_mul_f32_e32 v59, v52, v57
	v_fmac_f32_e32 v59, v53, v56
	v_add_f32_e32 v66, v58, v59
	ds_read2_b64 v[58:61], v94 offset0:97 offset1:98
	v_mul_f32_e32 v3, v35, v39
	v_fma_f32 v3, v34, v38, -v3
	v_add_f32_e32 v2, v2, v3
	v_mul_f32_e32 v3, v37, v41
	;; [unrolled: 36-line block ×4, first 2 shown]
	s_waitcnt vmcnt(2) lgkmcnt(0)
	v_mul_f32_e32 v116, v108, v113
	v_fmac_f32_e32 v116, v109, v112
	v_add_f32_e32 v95, v95, v116
	v_mul_f32_e32 v116, v110, v115
	v_fmac_f32_e32 v116, v111, v114
	v_add_f32_e32 v95, v95, v116
	ds_read2_b64 v[116:119], v94 offset0:111 offset1:112
	v_fma_f32 v3, v68, v72, -v3
	v_add_f32_e32 v2, v2, v3
	v_mul_f32_e32 v3, v75, v79
	v_fma_f32 v3, v74, v78, -v3
	s_waitcnt vmcnt(1) lgkmcnt(0)
	v_mul_f32_e32 v124, v116, v121
	v_fmac_f32_e32 v124, v117, v120
	v_add_f32_e32 v95, v95, v124
	v_mul_f32_e32 v124, v118, v123
	v_fmac_f32_e32 v124, v119, v122
	v_add_f32_e32 v149, v95, v124
	ds_read2_b64 v[124:127], v94 offset0:113 offset1:114
	scratch_load_dwordx4 v[132:135], off, off offset:424
	scratch_load_dwordx4 v[136:139], off, off offset:440
	;; [unrolled: 1-line block ×4, first 2 shown]
	v_add_f32_e32 v2, v2, v3
	v_mul_f32_e32 v3, v77, v81
	v_fma_f32 v3, v76, v80, -v3
	v_add_f32_e32 v2, v2, v3
	v_mul_f32_e32 v3, v83, v87
	v_fma_f32 v3, v82, v86, -v3
	;; [unrolled: 3-line block ×11, first 2 shown]
	v_add_f32_e32 v148, v2, v3
	s_waitcnt vmcnt(4) lgkmcnt(0)
	v_mul_f32_e32 v2, v125, v129
	v_fma_f32 v168, v124, v128, -v2
	v_mul_f32_e32 v2, v127, v131
	v_fma_f32 v170, v126, v130, -v2
	ds_read2_b64 v[2:5], v94 offset0:115 offset1:116
	ds_read2_b64 v[6:9], v94 offset0:117 offset1:118
	;; [unrolled: 1-line block ×4, first 2 shown]
	v_mul_f32_e32 v169, v124, v129
	v_fmac_f32_e32 v169, v125, v128
	v_mul_f32_e32 v171, v126, v131
	v_fmac_f32_e32 v171, v127, v130
	v_pk_add_f32 v[18:19], v[148:149], v[168:169]
	s_waitcnt vmcnt(3) lgkmcnt(3)
	v_pk_mul_f32 v[20:21], v[2:3], v[132:133] op_sel:[1,1] op_sel_hi:[0,1]
	v_pk_fma_f32 v[22:23], v[2:3], v[132:133], v[20:21] neg_lo:[0,0,1] neg_hi:[0,0,1]
	v_pk_fma_f32 v[2:3], v[2:3], v[132:133], v[20:21] op_sel_hi:[1,0,1]
	v_pk_add_f32 v[18:19], v[18:19], v[170:171]
	v_mov_b32_e32 v23, v3
	v_pk_add_f32 v[2:3], v[18:19], v[22:23]
	v_mov_b32_e32 v18, v135
	v_pk_mul_f32 v[18:19], v[4:5], v[18:19] op_sel:[1,0] op_sel_hi:[0,0]
	v_pk_fma_f32 v[20:21], v[4:5], v[134:135], v[18:19] neg_lo:[0,0,1] neg_hi:[0,0,1]
	v_pk_fma_f32 v[4:5], v[4:5], v[134:135], v[18:19] op_sel_hi:[1,0,1]
	s_nop 0
	v_mov_b32_e32 v21, v5
	s_waitcnt vmcnt(2) lgkmcnt(2)
	v_pk_mul_f32 v[4:5], v[6:7], v[136:137] op_sel:[1,1] op_sel_hi:[0,1]
	v_pk_fma_f32 v[18:19], v[6:7], v[136:137], v[4:5] neg_lo:[0,0,1] neg_hi:[0,0,1]
	v_pk_fma_f32 v[4:5], v[6:7], v[136:137], v[4:5] op_sel_hi:[1,0,1]
	v_pk_add_f32 v[2:3], v[2:3], v[20:21]
	v_mov_b32_e32 v4, v139
	v_mov_b32_e32 v19, v5
	v_pk_mul_f32 v[4:5], v[8:9], v[4:5] op_sel:[1,0] op_sel_hi:[0,0]
	v_pk_fma_f32 v[6:7], v[8:9], v[138:139], v[4:5] neg_lo:[0,0,1] neg_hi:[0,0,1]
	v_pk_fma_f32 v[4:5], v[8:9], v[138:139], v[4:5] op_sel_hi:[1,0,1]
	v_pk_add_f32 v[2:3], v[2:3], v[18:19]
	v_mov_b32_e32 v7, v5
	s_waitcnt vmcnt(1) lgkmcnt(1)
	v_pk_mul_f32 v[4:5], v[10:11], v[140:141] op_sel:[1,1] op_sel_hi:[0,1]
	v_pk_add_f32 v[2:3], v[2:3], v[6:7]
	v_pk_fma_f32 v[6:7], v[10:11], v[140:141], v[4:5] neg_lo:[0,0,1] neg_hi:[0,0,1]
	v_pk_fma_f32 v[4:5], v[10:11], v[140:141], v[4:5] op_sel_hi:[1,0,1]
	s_nop 0
	v_mov_b32_e32 v4, v143
	v_mov_b32_e32 v7, v5
	v_pk_mul_f32 v[4:5], v[12:13], v[4:5] op_sel:[1,0] op_sel_hi:[0,0]
	v_pk_add_f32 v[2:3], v[2:3], v[6:7]
	v_pk_fma_f32 v[6:7], v[12:13], v[142:143], v[4:5] neg_lo:[0,0,1] neg_hi:[0,0,1]
	v_pk_fma_f32 v[4:5], v[12:13], v[142:143], v[4:5] op_sel_hi:[1,0,1]
	s_nop 0
	v_mov_b32_e32 v7, v5
	s_waitcnt vmcnt(0) lgkmcnt(0)
	v_pk_mul_f32 v[4:5], v[14:15], v[144:145] op_sel:[1,1] op_sel_hi:[0,1]
	v_pk_add_f32 v[2:3], v[2:3], v[6:7]
	v_pk_fma_f32 v[6:7], v[14:15], v[144:145], v[4:5] neg_lo:[0,0,1] neg_hi:[0,0,1]
	v_pk_fma_f32 v[4:5], v[14:15], v[144:145], v[4:5] op_sel_hi:[1,0,1]
	s_nop 0
	v_mov_b32_e32 v4, v147
	v_mov_b32_e32 v7, v5
	v_pk_mul_f32 v[4:5], v[16:17], v[4:5] op_sel:[1,0] op_sel_hi:[0,0]
	v_pk_add_f32 v[2:3], v[2:3], v[6:7]
	v_pk_fma_f32 v[6:7], v[16:17], v[146:147], v[4:5] neg_lo:[0,0,1] neg_hi:[0,0,1]
	v_pk_fma_f32 v[4:5], v[16:17], v[146:147], v[4:5] op_sel_hi:[1,0,1]
	s_nop 0
	v_mov_b32_e32 v7, v5
	scratch_load_dwordx2 v[4:5], off, off offset:160
	v_pk_add_f32 v[2:3], v[2:3], v[6:7]
	s_waitcnt vmcnt(0)
	v_pk_add_f32 v[2:3], v[4:5], v[2:3] neg_lo:[0,1] neg_hi:[0,1]
	scratch_store_dwordx2 off, v[2:3], off offset:160
	s_and_saveexec_b64 s[0:1], vcc
	s_cbranch_execz .LBB124_341
; %bb.340:
	scratch_load_dwordx2 v[2:3], off, off offset:152
	v_mov_b32_e32 v4, 0
	v_mov_b32_e32 v5, v4
	scratch_store_dwordx2 off, v[4:5], off offset:152
	s_waitcnt vmcnt(1)
	ds_write_b64 v1, v[2:3]
.LBB124_341:
	s_or_b64 exec, exec, s[0:1]
	v_mov_b32_e32 v102, 0
	s_waitcnt lgkmcnt(0)
	; wave barrier
	ds_read_b128 v[14:17], v102 offset:656
	ds_read_b128 v[10:13], v102 offset:672
	ds_read_b128 v[6:9], v102 offset:688
	ds_read_b128 v[2:5], v102 offset:704
	scratch_load_dwordx4 v[18:21], off, off offset:160
	scratch_load_dwordx4 v[38:41], off, off offset:224
	;; [unrolled: 1-line block ×11, first 2 shown]
	v_cmp_lt_u32_e32 vcc, 18, v0
	scratch_load_dwordx4 v[46:49], off, off offset:240
	scratch_load_dwordx4 v[54:57], off, off offset:256
	;; [unrolled: 1-line block ×3, first 2 shown]
	s_waitcnt vmcnt(13) lgkmcnt(3)
	v_mul_f32_e32 v22, v14, v19
	v_fmac_f32_e32 v22, v15, v18
	v_mul_f32_e32 v23, v16, v21
	v_add_f32_e32 v22, 0, v22
	v_fmac_f32_e32 v23, v17, v20
	v_add_f32_e32 v26, v22, v23
	scratch_load_dwordx4 v[22:25], off, off offset:176
	v_mul_f32_e32 v15, v15, v19
	v_fma_f32 v14, v14, v18, -v15
	v_mul_f32_e32 v15, v17, v21
	v_add_f32_e32 v14, 0, v14
	v_fma_f32 v15, v16, v20, -v15
	v_add_f32_e32 v14, v14, v15
	s_waitcnt vmcnt(4)
	v_mov_b32_e32 v18, v139
	s_waitcnt vmcnt(0) lgkmcnt(2)
	v_mul_f32_e32 v27, v10, v23
	v_fmac_f32_e32 v27, v11, v22
	v_add_f32_e32 v26, v26, v27
	v_mul_f32_e32 v27, v12, v25
	v_fmac_f32_e32 v27, v13, v24
	v_add_f32_e32 v30, v26, v27
	scratch_load_dwordx4 v[26:29], off, off offset:192
	v_mul_f32_e32 v11, v11, v23
	v_fma_f32 v10, v10, v22, -v11
	v_mul_f32_e32 v11, v13, v25
	v_add_f32_e32 v10, v14, v10
	v_fma_f32 v11, v12, v24, -v11
	v_add_f32_e32 v10, v10, v11
	s_waitcnt vmcnt(0) lgkmcnt(1)
	v_mul_f32_e32 v31, v6, v27
	v_fmac_f32_e32 v31, v7, v26
	v_add_f32_e32 v30, v30, v31
	v_mul_f32_e32 v31, v8, v29
	v_fmac_f32_e32 v31, v9, v28
	v_add_f32_e32 v34, v30, v31
	scratch_load_dwordx4 v[30:33], off, off offset:208
	v_mul_f32_e32 v7, v7, v27
	v_fma_f32 v6, v6, v26, -v7
	v_mul_f32_e32 v7, v9, v29
	v_add_f32_e32 v6, v10, v6
	v_fma_f32 v7, v8, v28, -v7
	v_add_f32_e32 v6, v6, v7
	s_waitcnt vmcnt(0) lgkmcnt(0)
	v_mul_f32_e32 v35, v2, v31
	v_fmac_f32_e32 v35, v3, v30
	v_add_f32_e32 v34, v34, v35
	v_mul_f32_e32 v35, v4, v33
	v_fmac_f32_e32 v35, v5, v32
	v_add_f32_e32 v42, v34, v35
	ds_read_b128 v[34:37], v102 offset:720
	v_mul_f32_e32 v3, v3, v31
	v_fma_f32 v2, v2, v30, -v3
	v_mul_f32_e32 v3, v5, v33
	v_add_f32_e32 v2, v6, v2
	s_waitcnt lgkmcnt(0)
	v_mul_f32_e32 v43, v34, v39
	v_fmac_f32_e32 v43, v35, v38
	v_add_f32_e32 v42, v42, v43
	v_mul_f32_e32 v43, v36, v41
	v_fmac_f32_e32 v43, v37, v40
	v_add_f32_e32 v50, v42, v43
	ds_read_b128 v[42:45], v102 offset:736
	v_fma_f32 v3, v4, v32, -v3
	v_add_f32_e32 v2, v2, v3
	v_mul_f32_e32 v3, v35, v39
	v_fma_f32 v3, v34, v38, -v3
	s_waitcnt lgkmcnt(0)
	v_mul_f32_e32 v51, v42, v47
	v_fmac_f32_e32 v51, v43, v46
	v_add_f32_e32 v50, v50, v51
	v_mul_f32_e32 v51, v44, v49
	v_fmac_f32_e32 v51, v45, v48
	v_add_f32_e32 v58, v50, v51
	ds_read_b128 v[50:53], v102 offset:752
	v_add_f32_e32 v2, v2, v3
	v_mul_f32_e32 v3, v37, v41
	v_fma_f32 v3, v36, v40, -v3
	v_add_f32_e32 v2, v2, v3
	s_waitcnt lgkmcnt(0)
	v_mul_f32_e32 v59, v50, v55
	v_fmac_f32_e32 v59, v51, v54
	v_add_f32_e32 v58, v58, v59
	v_mul_f32_e32 v59, v52, v57
	v_fmac_f32_e32 v59, v53, v56
	v_add_f32_e32 v66, v58, v59
	ds_read_b128 v[58:61], v102 offset:768
	v_mul_f32_e32 v3, v43, v47
	v_fma_f32 v3, v42, v46, -v3
	v_add_f32_e32 v2, v2, v3
	v_mul_f32_e32 v3, v45, v49
	s_waitcnt lgkmcnt(0)
	v_mul_f32_e32 v67, v58, v63
	v_fmac_f32_e32 v67, v59, v62
	v_add_f32_e32 v66, v66, v67
	v_mul_f32_e32 v67, v60, v65
	v_fmac_f32_e32 v67, v61, v64
	v_add_f32_e32 v74, v66, v67
	ds_read_b128 v[66:69], v102 offset:784
	v_fma_f32 v3, v44, v48, -v3
	v_add_f32_e32 v2, v2, v3
	v_mul_f32_e32 v3, v51, v55
	v_fma_f32 v3, v50, v54, -v3
	s_waitcnt lgkmcnt(0)
	v_mul_f32_e32 v75, v66, v71
	v_fmac_f32_e32 v75, v67, v70
	v_add_f32_e32 v74, v74, v75
	v_mul_f32_e32 v75, v68, v73
	v_fmac_f32_e32 v75, v69, v72
	v_add_f32_e32 v82, v74, v75
	ds_read_b128 v[74:77], v102 offset:800
	v_add_f32_e32 v2, v2, v3
	v_mul_f32_e32 v3, v53, v57
	v_fma_f32 v3, v52, v56, -v3
	v_add_f32_e32 v2, v2, v3
	s_waitcnt lgkmcnt(0)
	v_mul_f32_e32 v83, v74, v79
	v_fmac_f32_e32 v83, v75, v78
	v_add_f32_e32 v82, v82, v83
	v_mul_f32_e32 v83, v76, v81
	v_fmac_f32_e32 v83, v77, v80
	v_add_f32_e32 v90, v82, v83
	ds_read_b128 v[82:85], v102 offset:816
	v_mul_f32_e32 v3, v59, v63
	v_fma_f32 v3, v58, v62, -v3
	v_add_f32_e32 v2, v2, v3
	v_mul_f32_e32 v3, v61, v65
	;; [unrolled: 36-line block ×3, first 2 shown]
	s_waitcnt lgkmcnt(0)
	v_mul_f32_e32 v116, v108, v113
	v_fmac_f32_e32 v116, v109, v112
	v_add_f32_e32 v103, v103, v116
	v_mul_f32_e32 v116, v110, v115
	v_fmac_f32_e32 v116, v111, v114
	v_add_f32_e32 v103, v103, v116
	ds_read_b128 v[116:119], v102 offset:880
	v_fma_f32 v3, v76, v80, -v3
	v_add_f32_e32 v2, v2, v3
	v_mul_f32_e32 v3, v83, v87
	v_fma_f32 v3, v82, v86, -v3
	s_waitcnt lgkmcnt(0)
	v_mul_f32_e32 v124, v116, v121
	v_fmac_f32_e32 v124, v117, v120
	v_add_f32_e32 v103, v103, v124
	v_mul_f32_e32 v124, v118, v123
	v_fmac_f32_e32 v124, v119, v122
	v_add_f32_e32 v103, v103, v124
	ds_read_b128 v[124:127], v102 offset:896
	v_add_f32_e32 v2, v2, v3
	v_mul_f32_e32 v3, v85, v89
	v_fma_f32 v3, v84, v88, -v3
	v_add_f32_e32 v2, v2, v3
	s_waitcnt lgkmcnt(0)
	v_mul_f32_e32 v132, v124, v129
	v_fmac_f32_e32 v132, v125, v128
	v_add_f32_e32 v149, v103, v132
	ds_read_b128 v[132:135], v102 offset:912
	scratch_load_dwordx4 v[140:143], off, off offset:432
	scratch_load_dwordx4 v[144:147], off, off offset:448
	;; [unrolled: 1-line block ×3, first 2 shown]
	scratch_load_dwordx2 v[176:177], off, off offset:480
	v_mul_f32_e32 v3, v91, v95
	v_fma_f32 v3, v90, v94, -v3
	v_add_f32_e32 v2, v2, v3
	v_mul_f32_e32 v3, v93, v97
	v_fma_f32 v3, v92, v96, -v3
	v_add_f32_e32 v2, v2, v3
	;; [unrolled: 3-line block ×9, first 2 shown]
	v_mul_f32_e32 v2, v127, v131
	v_mul_f32_e32 v173, v126, v131
	v_fma_f32 v172, v126, v130, -v2
	s_waitcnt lgkmcnt(0)
	v_mul_f32_e32 v2, v133, v137
	v_fmac_f32_e32 v173, v127, v130
	v_mul_f32_e32 v175, v132, v137
	v_fma_f32 v174, v132, v136, -v2
	ds_read_b128 v[2:5], v102 offset:928
	ds_read_b128 v[6:9], v102 offset:944
	;; [unrolled: 1-line block ×3, first 2 shown]
	ds_read_b64 v[14:15], v102 offset:976
	v_pk_mul_f32 v[18:19], v[134:135], v[18:19] op_sel:[1,0] op_sel_hi:[0,0]
	v_fmac_f32_e32 v175, v133, v136
	v_pk_add_f32 v[16:17], v[148:149], v[172:173]
	v_pk_fma_f32 v[20:21], v[134:135], v[138:139], v[18:19] neg_lo:[0,0,1] neg_hi:[0,0,1]
	v_pk_fma_f32 v[18:19], v[134:135], v[138:139], v[18:19] op_sel_hi:[1,0,1]
	v_pk_add_f32 v[16:17], v[16:17], v[174:175]
	v_mov_b32_e32 v21, v19
	v_pk_add_f32 v[16:17], v[16:17], v[20:21]
	s_waitcnt vmcnt(3) lgkmcnt(3)
	v_pk_mul_f32 v[18:19], v[2:3], v[140:141] op_sel:[1,1] op_sel_hi:[0,1]
	v_pk_fma_f32 v[20:21], v[2:3], v[140:141], v[18:19] neg_lo:[0,0,1] neg_hi:[0,0,1]
	v_pk_fma_f32 v[2:3], v[2:3], v[140:141], v[18:19] op_sel_hi:[1,0,1]
	s_nop 0
	v_mov_b32_e32 v21, v3
	v_pk_add_f32 v[2:3], v[16:17], v[20:21]
	v_mov_b32_e32 v16, v143
	v_pk_mul_f32 v[16:17], v[4:5], v[16:17] op_sel:[1,0] op_sel_hi:[0,0]
	v_pk_fma_f32 v[18:19], v[4:5], v[142:143], v[16:17] neg_lo:[0,0,1] neg_hi:[0,0,1]
	v_pk_fma_f32 v[4:5], v[4:5], v[142:143], v[16:17] op_sel_hi:[1,0,1]
	s_nop 0
	v_mov_b32_e32 v19, v5
	s_waitcnt vmcnt(2) lgkmcnt(2)
	v_pk_mul_f32 v[4:5], v[6:7], v[144:145] op_sel:[1,1] op_sel_hi:[0,1]
	v_pk_fma_f32 v[16:17], v[6:7], v[144:145], v[4:5] neg_lo:[0,0,1] neg_hi:[0,0,1]
	v_pk_fma_f32 v[4:5], v[6:7], v[144:145], v[4:5] op_sel_hi:[1,0,1]
	v_pk_add_f32 v[2:3], v[2:3], v[18:19]
	v_mov_b32_e32 v4, v147
	v_mov_b32_e32 v17, v5
	v_pk_mul_f32 v[4:5], v[8:9], v[4:5] op_sel:[1,0] op_sel_hi:[0,0]
	v_pk_fma_f32 v[6:7], v[8:9], v[146:147], v[4:5] neg_lo:[0,0,1] neg_hi:[0,0,1]
	v_pk_fma_f32 v[4:5], v[8:9], v[146:147], v[4:5] op_sel_hi:[1,0,1]
	v_pk_add_f32 v[2:3], v[2:3], v[16:17]
	v_mov_b32_e32 v7, v5
	s_waitcnt vmcnt(1) lgkmcnt(1)
	v_pk_mul_f32 v[4:5], v[10:11], v[168:169] op_sel:[1,1] op_sel_hi:[0,1]
	v_pk_add_f32 v[2:3], v[2:3], v[6:7]
	v_pk_fma_f32 v[6:7], v[10:11], v[168:169], v[4:5] neg_lo:[0,0,1] neg_hi:[0,0,1]
	v_pk_fma_f32 v[4:5], v[10:11], v[168:169], v[4:5] op_sel_hi:[1,0,1]
	s_nop 0
	v_mov_b32_e32 v4, v171
	v_mov_b32_e32 v7, v5
	v_pk_mul_f32 v[4:5], v[12:13], v[4:5] op_sel:[1,0] op_sel_hi:[0,0]
	v_pk_add_f32 v[2:3], v[2:3], v[6:7]
	v_pk_fma_f32 v[6:7], v[12:13], v[170:171], v[4:5] neg_lo:[0,0,1] neg_hi:[0,0,1]
	v_pk_fma_f32 v[4:5], v[12:13], v[170:171], v[4:5] op_sel_hi:[1,0,1]
	s_nop 0
	v_mov_b32_e32 v7, v5
	s_waitcnt vmcnt(0) lgkmcnt(0)
	v_pk_mul_f32 v[4:5], v[14:15], v[176:177] op_sel:[1,1] op_sel_hi:[0,1]
	v_pk_add_f32 v[2:3], v[2:3], v[6:7]
	v_pk_fma_f32 v[6:7], v[14:15], v[176:177], v[4:5] neg_lo:[0,0,1] neg_hi:[0,0,1]
	v_pk_fma_f32 v[4:5], v[14:15], v[176:177], v[4:5] op_sel_hi:[1,0,1]
	s_nop 0
	v_mov_b32_e32 v7, v5
	scratch_load_dwordx2 v[4:5], off, off offset:152
	v_pk_add_f32 v[2:3], v[2:3], v[6:7]
	s_waitcnt vmcnt(0)
	v_pk_add_f32 v[2:3], v[4:5], v[2:3] neg_lo:[0,1] neg_hi:[0,1]
	scratch_store_dwordx2 off, v[2:3], off offset:152
	s_and_saveexec_b64 s[0:1], vcc
	s_cbranch_execz .LBB124_343
; %bb.342:
	scratch_load_dwordx2 v[2:3], off, off offset:144
	v_mov_b32_e32 v103, v102
	scratch_store_dwordx2 off, v[102:103], off offset:144
	s_waitcnt vmcnt(1)
	ds_write_b64 v1, v[2:3]
.LBB124_343:
	s_or_b64 exec, exec, s[0:1]
	s_waitcnt lgkmcnt(0)
	; wave barrier
	scratch_load_dwordx4 v[6:9], off, off offset:152
	scratch_load_dwordx4 v[14:17], off, off offset:168
	;; [unrolled: 1-line block ×10, first 2 shown]
	ds_read2_b64 v[2:5], v102 offset0:81 offset1:82
	scratch_load_dwordx4 v[86:89], off, off offset:312
	scratch_load_dwordx4 v[94:97], off, off offset:328
	;; [unrolled: 1-line block ×7, first 2 shown]
	v_cmp_lt_u32_e32 vcc, 17, v0
	s_waitcnt vmcnt(16) lgkmcnt(0)
	v_mul_f32_e32 v10, v2, v7
	v_fmac_f32_e32 v10, v3, v6
	v_mul_f32_e32 v11, v4, v9
	v_add_f32_e32 v10, 0, v10
	v_fmac_f32_e32 v11, v5, v8
	v_add_f32_e32 v18, v10, v11
	ds_read2_b64 v[10:13], v102 offset0:83 offset1:84
	v_mul_f32_e32 v3, v3, v7
	v_fma_f32 v2, v2, v6, -v3
	v_mul_f32_e32 v3, v5, v9
	v_add_f32_e32 v2, 0, v2
	s_waitcnt vmcnt(15) lgkmcnt(0)
	v_mul_f32_e32 v19, v10, v15
	v_fmac_f32_e32 v19, v11, v14
	v_add_f32_e32 v18, v18, v19
	v_mul_f32_e32 v19, v12, v17
	v_fmac_f32_e32 v19, v13, v16
	v_add_f32_e32 v26, v18, v19
	ds_read2_b64 v[18:21], v102 offset0:85 offset1:86
	v_fma_f32 v3, v4, v8, -v3
	v_add_f32_e32 v2, v2, v3
	v_mul_f32_e32 v3, v11, v15
	v_fma_f32 v3, v10, v14, -v3
	s_waitcnt vmcnt(14) lgkmcnt(0)
	v_mul_f32_e32 v27, v18, v23
	v_fmac_f32_e32 v27, v19, v22
	v_add_f32_e32 v26, v26, v27
	v_mul_f32_e32 v27, v20, v25
	v_fmac_f32_e32 v27, v21, v24
	v_add_f32_e32 v34, v26, v27
	ds_read2_b64 v[26:29], v102 offset0:87 offset1:88
	v_add_f32_e32 v2, v2, v3
	v_mul_f32_e32 v3, v13, v17
	v_fma_f32 v3, v12, v16, -v3
	v_add_f32_e32 v2, v2, v3
	s_waitcnt vmcnt(13) lgkmcnt(0)
	v_mul_f32_e32 v35, v26, v31
	v_fmac_f32_e32 v35, v27, v30
	v_add_f32_e32 v34, v34, v35
	v_mul_f32_e32 v35, v28, v33
	v_fmac_f32_e32 v35, v29, v32
	v_add_f32_e32 v42, v34, v35
	ds_read2_b64 v[34:37], v102 offset0:89 offset1:90
	v_mul_f32_e32 v3, v19, v23
	v_fma_f32 v3, v18, v22, -v3
	v_add_f32_e32 v2, v2, v3
	v_mul_f32_e32 v3, v21, v25
	s_waitcnt vmcnt(12) lgkmcnt(0)
	v_mul_f32_e32 v43, v34, v39
	v_fmac_f32_e32 v43, v35, v38
	v_add_f32_e32 v42, v42, v43
	v_mul_f32_e32 v43, v36, v41
	v_fmac_f32_e32 v43, v37, v40
	v_add_f32_e32 v50, v42, v43
	ds_read2_b64 v[42:45], v102 offset0:91 offset1:92
	v_fma_f32 v3, v20, v24, -v3
	v_add_f32_e32 v2, v2, v3
	v_mul_f32_e32 v3, v27, v31
	v_fma_f32 v3, v26, v30, -v3
	s_waitcnt vmcnt(11) lgkmcnt(0)
	v_mul_f32_e32 v51, v42, v47
	v_fmac_f32_e32 v51, v43, v46
	v_add_f32_e32 v50, v50, v51
	v_mul_f32_e32 v51, v44, v49
	v_fmac_f32_e32 v51, v45, v48
	v_add_f32_e32 v58, v50, v51
	ds_read2_b64 v[50:53], v102 offset0:93 offset1:94
	v_add_f32_e32 v2, v2, v3
	v_mul_f32_e32 v3, v29, v33
	v_fma_f32 v3, v28, v32, -v3
	v_add_f32_e32 v2, v2, v3
	s_waitcnt vmcnt(10) lgkmcnt(0)
	v_mul_f32_e32 v59, v50, v55
	v_fmac_f32_e32 v59, v51, v54
	v_add_f32_e32 v58, v58, v59
	v_mul_f32_e32 v59, v52, v57
	v_fmac_f32_e32 v59, v53, v56
	v_add_f32_e32 v66, v58, v59
	ds_read2_b64 v[58:61], v102 offset0:95 offset1:96
	v_mul_f32_e32 v3, v35, v39
	v_fma_f32 v3, v34, v38, -v3
	v_add_f32_e32 v2, v2, v3
	v_mul_f32_e32 v3, v37, v41
	;; [unrolled: 36-line block ×4, first 2 shown]
	s_waitcnt vmcnt(3) lgkmcnt(0)
	v_mul_f32_e32 v116, v108, v113
	v_fmac_f32_e32 v116, v109, v112
	v_add_f32_e32 v103, v103, v116
	v_mul_f32_e32 v116, v110, v115
	v_fmac_f32_e32 v116, v111, v114
	v_add_f32_e32 v103, v103, v116
	ds_read2_b64 v[116:119], v102 offset0:109 offset1:110
	v_fma_f32 v3, v68, v72, -v3
	v_add_f32_e32 v2, v2, v3
	v_mul_f32_e32 v3, v75, v79
	v_fma_f32 v3, v74, v78, -v3
	s_waitcnt vmcnt(2) lgkmcnt(0)
	v_mul_f32_e32 v124, v116, v121
	v_fmac_f32_e32 v124, v117, v120
	v_add_f32_e32 v103, v103, v124
	v_mul_f32_e32 v124, v118, v123
	v_fmac_f32_e32 v124, v119, v122
	v_add_f32_e32 v103, v103, v124
	ds_read2_b64 v[124:127], v102 offset0:111 offset1:112
	v_add_f32_e32 v2, v2, v3
	v_mul_f32_e32 v3, v77, v81
	v_fma_f32 v3, v76, v80, -v3
	v_add_f32_e32 v2, v2, v3
	s_waitcnt vmcnt(1) lgkmcnt(0)
	v_mul_f32_e32 v132, v124, v129
	v_fmac_f32_e32 v132, v125, v128
	v_add_f32_e32 v103, v103, v132
	v_mul_f32_e32 v132, v126, v131
	v_fmac_f32_e32 v132, v127, v130
	v_add_f32_e32 v149, v103, v132
	ds_read2_b64 v[132:135], v102 offset0:113 offset1:114
	scratch_load_dwordx4 v[140:143], off, off offset:424
	scratch_load_dwordx4 v[144:147], off, off offset:440
	;; [unrolled: 1-line block ×4, first 2 shown]
	v_mul_f32_e32 v3, v83, v87
	v_fma_f32 v3, v82, v86, -v3
	v_add_f32_e32 v2, v2, v3
	v_mul_f32_e32 v3, v85, v89
	v_fma_f32 v3, v84, v88, -v3
	v_add_f32_e32 v2, v2, v3
	;; [unrolled: 3-line block ×12, first 2 shown]
	s_waitcnt vmcnt(4) lgkmcnt(0)
	v_mul_f32_e32 v2, v133, v137
	v_fma_f32 v176, v132, v136, -v2
	v_mul_f32_e32 v2, v135, v139
	v_fma_f32 v178, v134, v138, -v2
	ds_read2_b64 v[2:5], v102 offset0:115 offset1:116
	ds_read2_b64 v[6:9], v102 offset0:117 offset1:118
	ds_read2_b64 v[10:13], v102 offset0:119 offset1:120
	ds_read2_b64 v[14:17], v102 offset0:121 offset1:122
	v_mul_f32_e32 v177, v132, v137
	v_fmac_f32_e32 v177, v133, v136
	v_mul_f32_e32 v179, v134, v139
	v_fmac_f32_e32 v179, v135, v138
	v_pk_add_f32 v[18:19], v[148:149], v[176:177]
	s_waitcnt vmcnt(3) lgkmcnt(3)
	v_pk_mul_f32 v[20:21], v[2:3], v[140:141] op_sel:[1,1] op_sel_hi:[0,1]
	v_pk_fma_f32 v[22:23], v[2:3], v[140:141], v[20:21] neg_lo:[0,0,1] neg_hi:[0,0,1]
	v_pk_fma_f32 v[2:3], v[2:3], v[140:141], v[20:21] op_sel_hi:[1,0,1]
	v_pk_add_f32 v[18:19], v[18:19], v[178:179]
	v_mov_b32_e32 v23, v3
	v_pk_add_f32 v[2:3], v[18:19], v[22:23]
	v_mov_b32_e32 v18, v143
	v_pk_mul_f32 v[18:19], v[4:5], v[18:19] op_sel:[1,0] op_sel_hi:[0,0]
	v_pk_fma_f32 v[20:21], v[4:5], v[142:143], v[18:19] neg_lo:[0,0,1] neg_hi:[0,0,1]
	v_pk_fma_f32 v[4:5], v[4:5], v[142:143], v[18:19] op_sel_hi:[1,0,1]
	s_nop 0
	v_mov_b32_e32 v21, v5
	s_waitcnt vmcnt(2) lgkmcnt(2)
	v_pk_mul_f32 v[4:5], v[6:7], v[144:145] op_sel:[1,1] op_sel_hi:[0,1]
	v_pk_fma_f32 v[18:19], v[6:7], v[144:145], v[4:5] neg_lo:[0,0,1] neg_hi:[0,0,1]
	v_pk_fma_f32 v[4:5], v[6:7], v[144:145], v[4:5] op_sel_hi:[1,0,1]
	v_pk_add_f32 v[2:3], v[2:3], v[20:21]
	v_mov_b32_e32 v4, v147
	v_mov_b32_e32 v19, v5
	v_pk_mul_f32 v[4:5], v[8:9], v[4:5] op_sel:[1,0] op_sel_hi:[0,0]
	v_pk_fma_f32 v[6:7], v[8:9], v[146:147], v[4:5] neg_lo:[0,0,1] neg_hi:[0,0,1]
	v_pk_fma_f32 v[4:5], v[8:9], v[146:147], v[4:5] op_sel_hi:[1,0,1]
	v_pk_add_f32 v[2:3], v[2:3], v[18:19]
	v_mov_b32_e32 v7, v5
	s_waitcnt vmcnt(1) lgkmcnt(1)
	v_pk_mul_f32 v[4:5], v[10:11], v[168:169] op_sel:[1,1] op_sel_hi:[0,1]
	v_pk_add_f32 v[2:3], v[2:3], v[6:7]
	v_pk_fma_f32 v[6:7], v[10:11], v[168:169], v[4:5] neg_lo:[0,0,1] neg_hi:[0,0,1]
	v_pk_fma_f32 v[4:5], v[10:11], v[168:169], v[4:5] op_sel_hi:[1,0,1]
	s_nop 0
	v_mov_b32_e32 v4, v171
	v_mov_b32_e32 v7, v5
	v_pk_mul_f32 v[4:5], v[12:13], v[4:5] op_sel:[1,0] op_sel_hi:[0,0]
	v_pk_add_f32 v[2:3], v[2:3], v[6:7]
	v_pk_fma_f32 v[6:7], v[12:13], v[170:171], v[4:5] neg_lo:[0,0,1] neg_hi:[0,0,1]
	v_pk_fma_f32 v[4:5], v[12:13], v[170:171], v[4:5] op_sel_hi:[1,0,1]
	s_nop 0
	v_mov_b32_e32 v7, v5
	s_waitcnt vmcnt(0) lgkmcnt(0)
	v_pk_mul_f32 v[4:5], v[14:15], v[172:173] op_sel:[1,1] op_sel_hi:[0,1]
	v_pk_add_f32 v[2:3], v[2:3], v[6:7]
	v_pk_fma_f32 v[6:7], v[14:15], v[172:173], v[4:5] neg_lo:[0,0,1] neg_hi:[0,0,1]
	v_pk_fma_f32 v[4:5], v[14:15], v[172:173], v[4:5] op_sel_hi:[1,0,1]
	s_nop 0
	v_mov_b32_e32 v4, v175
	v_mov_b32_e32 v7, v5
	v_pk_mul_f32 v[4:5], v[16:17], v[4:5] op_sel:[1,0] op_sel_hi:[0,0]
	v_pk_add_f32 v[2:3], v[2:3], v[6:7]
	v_pk_fma_f32 v[6:7], v[16:17], v[174:175], v[4:5] neg_lo:[0,0,1] neg_hi:[0,0,1]
	v_pk_fma_f32 v[4:5], v[16:17], v[174:175], v[4:5] op_sel_hi:[1,0,1]
	s_nop 0
	v_mov_b32_e32 v7, v5
	scratch_load_dwordx2 v[4:5], off, off offset:144
	v_pk_add_f32 v[2:3], v[2:3], v[6:7]
	s_waitcnt vmcnt(0)
	v_pk_add_f32 v[2:3], v[4:5], v[2:3] neg_lo:[0,1] neg_hi:[0,1]
	scratch_store_dwordx2 off, v[2:3], off offset:144
	s_and_saveexec_b64 s[0:1], vcc
	s_cbranch_execz .LBB124_345
; %bb.344:
	scratch_load_dwordx2 v[2:3], off, off offset:136
	v_mov_b32_e32 v4, 0
	v_mov_b32_e32 v5, v4
	scratch_store_dwordx2 off, v[4:5], off offset:136
	s_waitcnt vmcnt(1)
	ds_write_b64 v1, v[2:3]
.LBB124_345:
	s_or_b64 exec, exec, s[0:1]
	v_mov_b32_e32 v102, 0
	s_waitcnt lgkmcnt(0)
	; wave barrier
	ds_read_b128 v[14:17], v102 offset:640
	ds_read_b128 v[10:13], v102 offset:656
	;; [unrolled: 1-line block ×4, first 2 shown]
	scratch_load_dwordx4 v[18:21], off, off offset:144
	scratch_load_dwordx4 v[38:41], off, off offset:208
	;; [unrolled: 1-line block ×12, first 2 shown]
	v_cmp_lt_u32_e32 vcc, 16, v0
	scratch_load_dwordx4 v[46:49], off, off offset:224
	scratch_load_dwordx4 v[54:57], off, off offset:240
	;; [unrolled: 1-line block ×3, first 2 shown]
	s_waitcnt vmcnt(14) lgkmcnt(3)
	v_mul_f32_e32 v22, v14, v19
	v_fmac_f32_e32 v22, v15, v18
	v_mul_f32_e32 v23, v16, v21
	v_add_f32_e32 v22, 0, v22
	v_fmac_f32_e32 v23, v17, v20
	v_add_f32_e32 v26, v22, v23
	scratch_load_dwordx4 v[22:25], off, off offset:160
	v_mul_f32_e32 v15, v15, v19
	v_fma_f32 v14, v14, v18, -v15
	v_mul_f32_e32 v15, v17, v21
	v_add_f32_e32 v14, 0, v14
	v_fma_f32 v15, v16, v20, -v15
	v_add_f32_e32 v14, v14, v15
	s_waitcnt vmcnt(4)
	v_mov_b32_e32 v18, v147
	s_waitcnt vmcnt(0) lgkmcnt(2)
	v_mul_f32_e32 v27, v10, v23
	v_fmac_f32_e32 v27, v11, v22
	v_add_f32_e32 v26, v26, v27
	v_mul_f32_e32 v27, v12, v25
	v_fmac_f32_e32 v27, v13, v24
	v_add_f32_e32 v30, v26, v27
	scratch_load_dwordx4 v[26:29], off, off offset:176
	v_mul_f32_e32 v11, v11, v23
	v_fma_f32 v10, v10, v22, -v11
	v_mul_f32_e32 v11, v13, v25
	v_add_f32_e32 v10, v14, v10
	v_fma_f32 v11, v12, v24, -v11
	v_add_f32_e32 v10, v10, v11
	s_waitcnt vmcnt(0) lgkmcnt(1)
	v_mul_f32_e32 v31, v6, v27
	v_fmac_f32_e32 v31, v7, v26
	v_add_f32_e32 v30, v30, v31
	v_mul_f32_e32 v31, v8, v29
	v_fmac_f32_e32 v31, v9, v28
	v_add_f32_e32 v34, v30, v31
	scratch_load_dwordx4 v[30:33], off, off offset:192
	v_mul_f32_e32 v7, v7, v27
	v_fma_f32 v6, v6, v26, -v7
	v_mul_f32_e32 v7, v9, v29
	v_add_f32_e32 v6, v10, v6
	v_fma_f32 v7, v8, v28, -v7
	v_add_f32_e32 v6, v6, v7
	s_waitcnt vmcnt(0) lgkmcnt(0)
	v_mul_f32_e32 v35, v2, v31
	v_fmac_f32_e32 v35, v3, v30
	v_add_f32_e32 v34, v34, v35
	v_mul_f32_e32 v35, v4, v33
	v_fmac_f32_e32 v35, v5, v32
	v_add_f32_e32 v42, v34, v35
	ds_read_b128 v[34:37], v102 offset:704
	v_mul_f32_e32 v3, v3, v31
	v_fma_f32 v2, v2, v30, -v3
	v_mul_f32_e32 v3, v5, v33
	v_add_f32_e32 v2, v6, v2
	s_waitcnt lgkmcnt(0)
	v_mul_f32_e32 v43, v34, v39
	v_fmac_f32_e32 v43, v35, v38
	v_add_f32_e32 v42, v42, v43
	v_mul_f32_e32 v43, v36, v41
	v_fmac_f32_e32 v43, v37, v40
	v_add_f32_e32 v50, v42, v43
	ds_read_b128 v[42:45], v102 offset:720
	v_fma_f32 v3, v4, v32, -v3
	v_add_f32_e32 v2, v2, v3
	v_mul_f32_e32 v3, v35, v39
	v_fma_f32 v3, v34, v38, -v3
	s_waitcnt lgkmcnt(0)
	v_mul_f32_e32 v51, v42, v47
	v_fmac_f32_e32 v51, v43, v46
	v_add_f32_e32 v50, v50, v51
	v_mul_f32_e32 v51, v44, v49
	v_fmac_f32_e32 v51, v45, v48
	v_add_f32_e32 v58, v50, v51
	ds_read_b128 v[50:53], v102 offset:736
	v_add_f32_e32 v2, v2, v3
	v_mul_f32_e32 v3, v37, v41
	v_fma_f32 v3, v36, v40, -v3
	v_add_f32_e32 v2, v2, v3
	s_waitcnt lgkmcnt(0)
	v_mul_f32_e32 v59, v50, v55
	v_fmac_f32_e32 v59, v51, v54
	v_add_f32_e32 v58, v58, v59
	v_mul_f32_e32 v59, v52, v57
	v_fmac_f32_e32 v59, v53, v56
	v_add_f32_e32 v66, v58, v59
	ds_read_b128 v[58:61], v102 offset:752
	v_mul_f32_e32 v3, v43, v47
	v_fma_f32 v3, v42, v46, -v3
	v_add_f32_e32 v2, v2, v3
	v_mul_f32_e32 v3, v45, v49
	s_waitcnt lgkmcnt(0)
	v_mul_f32_e32 v67, v58, v63
	v_fmac_f32_e32 v67, v59, v62
	v_add_f32_e32 v66, v66, v67
	v_mul_f32_e32 v67, v60, v65
	v_fmac_f32_e32 v67, v61, v64
	v_add_f32_e32 v74, v66, v67
	ds_read_b128 v[66:69], v102 offset:768
	v_fma_f32 v3, v44, v48, -v3
	v_add_f32_e32 v2, v2, v3
	v_mul_f32_e32 v3, v51, v55
	v_fma_f32 v3, v50, v54, -v3
	s_waitcnt lgkmcnt(0)
	v_mul_f32_e32 v75, v66, v71
	v_fmac_f32_e32 v75, v67, v70
	v_add_f32_e32 v74, v74, v75
	v_mul_f32_e32 v75, v68, v73
	v_fmac_f32_e32 v75, v69, v72
	v_add_f32_e32 v82, v74, v75
	ds_read_b128 v[74:77], v102 offset:784
	v_add_f32_e32 v2, v2, v3
	v_mul_f32_e32 v3, v53, v57
	v_fma_f32 v3, v52, v56, -v3
	v_add_f32_e32 v2, v2, v3
	s_waitcnt lgkmcnt(0)
	v_mul_f32_e32 v83, v74, v79
	v_fmac_f32_e32 v83, v75, v78
	v_add_f32_e32 v82, v82, v83
	v_mul_f32_e32 v83, v76, v81
	v_fmac_f32_e32 v83, v77, v80
	v_add_f32_e32 v90, v82, v83
	ds_read_b128 v[82:85], v102 offset:800
	v_mul_f32_e32 v3, v59, v63
	v_fma_f32 v3, v58, v62, -v3
	v_add_f32_e32 v2, v2, v3
	v_mul_f32_e32 v3, v61, v65
	;; [unrolled: 36-line block ×4, first 2 shown]
	s_waitcnt lgkmcnt(0)
	v_mul_f32_e32 v140, v132, v137
	v_fmac_f32_e32 v140, v133, v136
	v_add_f32_e32 v149, v103, v140
	ds_read_b128 v[140:143], v102 offset:912
	scratch_load_dwordx4 v[168:171], off, off offset:432
	scratch_load_dwordx4 v[172:175], off, off offset:448
	;; [unrolled: 1-line block ×3, first 2 shown]
	scratch_load_dwordx2 v[184:185], off, off offset:480
	v_fma_f32 v3, v92, v96, -v3
	v_add_f32_e32 v2, v2, v3
	v_mul_f32_e32 v3, v99, v105
	v_fma_f32 v3, v98, v104, -v3
	v_add_f32_e32 v2, v2, v3
	v_mul_f32_e32 v3, v101, v107
	;; [unrolled: 3-line block ×10, first 2 shown]
	v_mul_f32_e32 v181, v134, v139
	v_fma_f32 v180, v134, v138, -v2
	s_waitcnt lgkmcnt(0)
	v_mul_f32_e32 v2, v141, v145
	v_fmac_f32_e32 v181, v135, v138
	v_mul_f32_e32 v183, v140, v145
	v_fma_f32 v182, v140, v144, -v2
	ds_read_b128 v[2:5], v102 offset:928
	ds_read_b128 v[6:9], v102 offset:944
	ds_read_b128 v[10:13], v102 offset:960
	ds_read_b64 v[14:15], v102 offset:976
	v_pk_mul_f32 v[18:19], v[142:143], v[18:19] op_sel:[1,0] op_sel_hi:[0,0]
	v_fmac_f32_e32 v183, v141, v144
	v_pk_add_f32 v[16:17], v[148:149], v[180:181]
	v_pk_fma_f32 v[20:21], v[142:143], v[146:147], v[18:19] neg_lo:[0,0,1] neg_hi:[0,0,1]
	v_pk_fma_f32 v[18:19], v[142:143], v[146:147], v[18:19] op_sel_hi:[1,0,1]
	v_pk_add_f32 v[16:17], v[16:17], v[182:183]
	v_mov_b32_e32 v21, v19
	v_pk_add_f32 v[16:17], v[16:17], v[20:21]
	s_waitcnt vmcnt(3) lgkmcnt(3)
	v_pk_mul_f32 v[18:19], v[2:3], v[168:169] op_sel:[1,1] op_sel_hi:[0,1]
	v_pk_fma_f32 v[20:21], v[2:3], v[168:169], v[18:19] neg_lo:[0,0,1] neg_hi:[0,0,1]
	v_pk_fma_f32 v[2:3], v[2:3], v[168:169], v[18:19] op_sel_hi:[1,0,1]
	s_nop 0
	v_mov_b32_e32 v21, v3
	v_pk_add_f32 v[2:3], v[16:17], v[20:21]
	v_mov_b32_e32 v16, v171
	v_pk_mul_f32 v[16:17], v[4:5], v[16:17] op_sel:[1,0] op_sel_hi:[0,0]
	v_pk_fma_f32 v[18:19], v[4:5], v[170:171], v[16:17] neg_lo:[0,0,1] neg_hi:[0,0,1]
	v_pk_fma_f32 v[4:5], v[4:5], v[170:171], v[16:17] op_sel_hi:[1,0,1]
	s_nop 0
	v_mov_b32_e32 v19, v5
	s_waitcnt vmcnt(2) lgkmcnt(2)
	v_pk_mul_f32 v[4:5], v[6:7], v[172:173] op_sel:[1,1] op_sel_hi:[0,1]
	v_pk_fma_f32 v[16:17], v[6:7], v[172:173], v[4:5] neg_lo:[0,0,1] neg_hi:[0,0,1]
	v_pk_fma_f32 v[4:5], v[6:7], v[172:173], v[4:5] op_sel_hi:[1,0,1]
	v_pk_add_f32 v[2:3], v[2:3], v[18:19]
	v_mov_b32_e32 v4, v175
	v_mov_b32_e32 v17, v5
	v_pk_mul_f32 v[4:5], v[8:9], v[4:5] op_sel:[1,0] op_sel_hi:[0,0]
	v_pk_fma_f32 v[6:7], v[8:9], v[174:175], v[4:5] neg_lo:[0,0,1] neg_hi:[0,0,1]
	v_pk_fma_f32 v[4:5], v[8:9], v[174:175], v[4:5] op_sel_hi:[1,0,1]
	v_pk_add_f32 v[2:3], v[2:3], v[16:17]
	v_mov_b32_e32 v7, v5
	s_waitcnt vmcnt(1) lgkmcnt(1)
	v_pk_mul_f32 v[4:5], v[10:11], v[176:177] op_sel:[1,1] op_sel_hi:[0,1]
	v_pk_add_f32 v[2:3], v[2:3], v[6:7]
	v_pk_fma_f32 v[6:7], v[10:11], v[176:177], v[4:5] neg_lo:[0,0,1] neg_hi:[0,0,1]
	v_pk_fma_f32 v[4:5], v[10:11], v[176:177], v[4:5] op_sel_hi:[1,0,1]
	s_nop 0
	v_mov_b32_e32 v4, v179
	v_mov_b32_e32 v7, v5
	v_pk_mul_f32 v[4:5], v[12:13], v[4:5] op_sel:[1,0] op_sel_hi:[0,0]
	v_pk_add_f32 v[2:3], v[2:3], v[6:7]
	v_pk_fma_f32 v[6:7], v[12:13], v[178:179], v[4:5] neg_lo:[0,0,1] neg_hi:[0,0,1]
	v_pk_fma_f32 v[4:5], v[12:13], v[178:179], v[4:5] op_sel_hi:[1,0,1]
	s_nop 0
	v_mov_b32_e32 v7, v5
	s_waitcnt vmcnt(0) lgkmcnt(0)
	v_pk_mul_f32 v[4:5], v[14:15], v[184:185] op_sel:[1,1] op_sel_hi:[0,1]
	v_pk_add_f32 v[2:3], v[2:3], v[6:7]
	v_pk_fma_f32 v[6:7], v[14:15], v[184:185], v[4:5] neg_lo:[0,0,1] neg_hi:[0,0,1]
	v_pk_fma_f32 v[4:5], v[14:15], v[184:185], v[4:5] op_sel_hi:[1,0,1]
	s_nop 0
	v_mov_b32_e32 v7, v5
	scratch_load_dwordx2 v[4:5], off, off offset:136
	v_pk_add_f32 v[2:3], v[2:3], v[6:7]
	s_waitcnt vmcnt(0)
	v_pk_add_f32 v[2:3], v[4:5], v[2:3] neg_lo:[0,1] neg_hi:[0,1]
	scratch_store_dwordx2 off, v[2:3], off offset:136
	s_and_saveexec_b64 s[0:1], vcc
	s_cbranch_execz .LBB124_347
; %bb.346:
	scratch_load_dwordx2 v[2:3], off, off offset:128
	v_mov_b32_e32 v103, v102
	scratch_store_dwordx2 off, v[102:103], off offset:128
	s_waitcnt vmcnt(1)
	ds_write_b64 v1, v[2:3]
.LBB124_347:
	s_or_b64 exec, exec, s[0:1]
	s_waitcnt lgkmcnt(0)
	; wave barrier
	scratch_load_dwordx4 v[6:9], off, off offset:136
	scratch_load_dwordx4 v[14:17], off, off offset:152
	;; [unrolled: 1-line block ×10, first 2 shown]
	ds_read2_b64 v[2:5], v102 offset0:79 offset1:80
	scratch_load_dwordx4 v[86:89], off, off offset:296
	scratch_load_dwordx4 v[94:97], off, off offset:312
	;; [unrolled: 1-line block ×8, first 2 shown]
	v_cmp_lt_u32_e32 vcc, 15, v0
	s_waitcnt vmcnt(17) lgkmcnt(0)
	v_mul_f32_e32 v10, v2, v7
	v_fmac_f32_e32 v10, v3, v6
	v_mul_f32_e32 v11, v4, v9
	v_add_f32_e32 v10, 0, v10
	v_fmac_f32_e32 v11, v5, v8
	v_add_f32_e32 v18, v10, v11
	ds_read2_b64 v[10:13], v102 offset0:81 offset1:82
	v_mul_f32_e32 v3, v3, v7
	v_fma_f32 v2, v2, v6, -v3
	v_mul_f32_e32 v3, v5, v9
	v_add_f32_e32 v2, 0, v2
	s_waitcnt vmcnt(16) lgkmcnt(0)
	v_mul_f32_e32 v19, v10, v15
	v_fmac_f32_e32 v19, v11, v14
	v_add_f32_e32 v18, v18, v19
	v_mul_f32_e32 v19, v12, v17
	v_fmac_f32_e32 v19, v13, v16
	v_add_f32_e32 v26, v18, v19
	ds_read2_b64 v[18:21], v102 offset0:83 offset1:84
	v_fma_f32 v3, v4, v8, -v3
	v_add_f32_e32 v2, v2, v3
	v_mul_f32_e32 v3, v11, v15
	v_fma_f32 v3, v10, v14, -v3
	s_waitcnt vmcnt(15) lgkmcnt(0)
	v_mul_f32_e32 v27, v18, v23
	v_fmac_f32_e32 v27, v19, v22
	v_add_f32_e32 v26, v26, v27
	v_mul_f32_e32 v27, v20, v25
	v_fmac_f32_e32 v27, v21, v24
	v_add_f32_e32 v34, v26, v27
	ds_read2_b64 v[26:29], v102 offset0:85 offset1:86
	v_add_f32_e32 v2, v2, v3
	v_mul_f32_e32 v3, v13, v17
	v_fma_f32 v3, v12, v16, -v3
	v_add_f32_e32 v2, v2, v3
	s_waitcnt vmcnt(14) lgkmcnt(0)
	v_mul_f32_e32 v35, v26, v31
	v_fmac_f32_e32 v35, v27, v30
	v_add_f32_e32 v34, v34, v35
	v_mul_f32_e32 v35, v28, v33
	v_fmac_f32_e32 v35, v29, v32
	v_add_f32_e32 v42, v34, v35
	ds_read2_b64 v[34:37], v102 offset0:87 offset1:88
	v_mul_f32_e32 v3, v19, v23
	v_fma_f32 v3, v18, v22, -v3
	v_add_f32_e32 v2, v2, v3
	v_mul_f32_e32 v3, v21, v25
	s_waitcnt vmcnt(13) lgkmcnt(0)
	v_mul_f32_e32 v43, v34, v39
	v_fmac_f32_e32 v43, v35, v38
	v_add_f32_e32 v42, v42, v43
	v_mul_f32_e32 v43, v36, v41
	v_fmac_f32_e32 v43, v37, v40
	v_add_f32_e32 v50, v42, v43
	ds_read2_b64 v[42:45], v102 offset0:89 offset1:90
	v_fma_f32 v3, v20, v24, -v3
	v_add_f32_e32 v2, v2, v3
	v_mul_f32_e32 v3, v27, v31
	v_fma_f32 v3, v26, v30, -v3
	s_waitcnt vmcnt(12) lgkmcnt(0)
	v_mul_f32_e32 v51, v42, v47
	v_fmac_f32_e32 v51, v43, v46
	v_add_f32_e32 v50, v50, v51
	v_mul_f32_e32 v51, v44, v49
	v_fmac_f32_e32 v51, v45, v48
	v_add_f32_e32 v58, v50, v51
	ds_read2_b64 v[50:53], v102 offset0:91 offset1:92
	v_add_f32_e32 v2, v2, v3
	v_mul_f32_e32 v3, v29, v33
	v_fma_f32 v3, v28, v32, -v3
	v_add_f32_e32 v2, v2, v3
	s_waitcnt vmcnt(11) lgkmcnt(0)
	v_mul_f32_e32 v59, v50, v55
	v_fmac_f32_e32 v59, v51, v54
	v_add_f32_e32 v58, v58, v59
	v_mul_f32_e32 v59, v52, v57
	v_fmac_f32_e32 v59, v53, v56
	v_add_f32_e32 v66, v58, v59
	ds_read2_b64 v[58:61], v102 offset0:93 offset1:94
	v_mul_f32_e32 v3, v35, v39
	v_fma_f32 v3, v34, v38, -v3
	v_add_f32_e32 v2, v2, v3
	v_mul_f32_e32 v3, v37, v41
	;; [unrolled: 36-line block ×5, first 2 shown]
	s_waitcnt vmcnt(1) lgkmcnt(0)
	v_mul_f32_e32 v140, v132, v137
	v_fmac_f32_e32 v140, v133, v136
	v_add_f32_e32 v103, v103, v140
	v_mul_f32_e32 v140, v134, v139
	v_fmac_f32_e32 v140, v135, v138
	v_add_f32_e32 v149, v103, v140
	ds_read2_b64 v[140:143], v102 offset0:113 offset1:114
	scratch_load_dwordx4 v[168:171], off, off offset:424
	scratch_load_dwordx4 v[172:175], off, off offset:440
	;; [unrolled: 1-line block ×4, first 2 shown]
	v_fma_f32 v3, v84, v88, -v3
	v_add_f32_e32 v2, v2, v3
	v_mul_f32_e32 v3, v91, v95
	v_fma_f32 v3, v90, v94, -v3
	v_add_f32_e32 v2, v2, v3
	v_mul_f32_e32 v3, v93, v97
	;; [unrolled: 3-line block ×12, first 2 shown]
	v_fma_f32 v3, v134, v138, -v3
	v_add_f32_e32 v148, v2, v3
	s_waitcnt vmcnt(4) lgkmcnt(0)
	v_mul_f32_e32 v2, v141, v145
	v_fma_f32 v184, v140, v144, -v2
	v_mul_f32_e32 v2, v143, v147
	v_fma_f32 v186, v142, v146, -v2
	ds_read2_b64 v[2:5], v102 offset0:115 offset1:116
	ds_read2_b64 v[6:9], v102 offset0:117 offset1:118
	;; [unrolled: 1-line block ×4, first 2 shown]
	v_mul_f32_e32 v185, v140, v145
	v_fmac_f32_e32 v185, v141, v144
	v_mul_f32_e32 v187, v142, v147
	v_fmac_f32_e32 v187, v143, v146
	v_pk_add_f32 v[18:19], v[148:149], v[184:185]
	s_waitcnt vmcnt(3) lgkmcnt(3)
	v_pk_mul_f32 v[20:21], v[2:3], v[168:169] op_sel:[1,1] op_sel_hi:[0,1]
	v_pk_fma_f32 v[22:23], v[2:3], v[168:169], v[20:21] neg_lo:[0,0,1] neg_hi:[0,0,1]
	v_pk_fma_f32 v[2:3], v[2:3], v[168:169], v[20:21] op_sel_hi:[1,0,1]
	v_pk_add_f32 v[18:19], v[18:19], v[186:187]
	v_mov_b32_e32 v23, v3
	v_pk_add_f32 v[2:3], v[18:19], v[22:23]
	v_mov_b32_e32 v18, v171
	v_pk_mul_f32 v[18:19], v[4:5], v[18:19] op_sel:[1,0] op_sel_hi:[0,0]
	v_pk_fma_f32 v[20:21], v[4:5], v[170:171], v[18:19] neg_lo:[0,0,1] neg_hi:[0,0,1]
	v_pk_fma_f32 v[4:5], v[4:5], v[170:171], v[18:19] op_sel_hi:[1,0,1]
	s_nop 0
	v_mov_b32_e32 v21, v5
	s_waitcnt vmcnt(2) lgkmcnt(2)
	v_pk_mul_f32 v[4:5], v[6:7], v[172:173] op_sel:[1,1] op_sel_hi:[0,1]
	v_pk_fma_f32 v[18:19], v[6:7], v[172:173], v[4:5] neg_lo:[0,0,1] neg_hi:[0,0,1]
	v_pk_fma_f32 v[4:5], v[6:7], v[172:173], v[4:5] op_sel_hi:[1,0,1]
	v_pk_add_f32 v[2:3], v[2:3], v[20:21]
	v_mov_b32_e32 v4, v175
	v_mov_b32_e32 v19, v5
	v_pk_mul_f32 v[4:5], v[8:9], v[4:5] op_sel:[1,0] op_sel_hi:[0,0]
	v_pk_fma_f32 v[6:7], v[8:9], v[174:175], v[4:5] neg_lo:[0,0,1] neg_hi:[0,0,1]
	v_pk_fma_f32 v[4:5], v[8:9], v[174:175], v[4:5] op_sel_hi:[1,0,1]
	v_pk_add_f32 v[2:3], v[2:3], v[18:19]
	v_mov_b32_e32 v7, v5
	s_waitcnt vmcnt(1) lgkmcnt(1)
	v_pk_mul_f32 v[4:5], v[10:11], v[176:177] op_sel:[1,1] op_sel_hi:[0,1]
	v_pk_add_f32 v[2:3], v[2:3], v[6:7]
	v_pk_fma_f32 v[6:7], v[10:11], v[176:177], v[4:5] neg_lo:[0,0,1] neg_hi:[0,0,1]
	v_pk_fma_f32 v[4:5], v[10:11], v[176:177], v[4:5] op_sel_hi:[1,0,1]
	s_nop 0
	v_mov_b32_e32 v4, v179
	v_mov_b32_e32 v7, v5
	v_pk_mul_f32 v[4:5], v[12:13], v[4:5] op_sel:[1,0] op_sel_hi:[0,0]
	v_pk_add_f32 v[2:3], v[2:3], v[6:7]
	v_pk_fma_f32 v[6:7], v[12:13], v[178:179], v[4:5] neg_lo:[0,0,1] neg_hi:[0,0,1]
	v_pk_fma_f32 v[4:5], v[12:13], v[178:179], v[4:5] op_sel_hi:[1,0,1]
	s_nop 0
	v_mov_b32_e32 v7, v5
	s_waitcnt vmcnt(0) lgkmcnt(0)
	v_pk_mul_f32 v[4:5], v[14:15], v[180:181] op_sel:[1,1] op_sel_hi:[0,1]
	v_pk_add_f32 v[2:3], v[2:3], v[6:7]
	v_pk_fma_f32 v[6:7], v[14:15], v[180:181], v[4:5] neg_lo:[0,0,1] neg_hi:[0,0,1]
	v_pk_fma_f32 v[4:5], v[14:15], v[180:181], v[4:5] op_sel_hi:[1,0,1]
	s_nop 0
	v_mov_b32_e32 v4, v183
	v_mov_b32_e32 v7, v5
	v_pk_mul_f32 v[4:5], v[16:17], v[4:5] op_sel:[1,0] op_sel_hi:[0,0]
	v_pk_add_f32 v[2:3], v[2:3], v[6:7]
	v_pk_fma_f32 v[6:7], v[16:17], v[182:183], v[4:5] neg_lo:[0,0,1] neg_hi:[0,0,1]
	v_pk_fma_f32 v[4:5], v[16:17], v[182:183], v[4:5] op_sel_hi:[1,0,1]
	s_nop 0
	v_mov_b32_e32 v7, v5
	scratch_load_dwordx2 v[4:5], off, off offset:128
	v_pk_add_f32 v[2:3], v[2:3], v[6:7]
	s_waitcnt vmcnt(0)
	v_pk_add_f32 v[2:3], v[4:5], v[2:3] neg_lo:[0,1] neg_hi:[0,1]
	scratch_store_dwordx2 off, v[2:3], off offset:128
	s_and_saveexec_b64 s[0:1], vcc
	s_cbranch_execz .LBB124_349
; %bb.348:
	scratch_load_dwordx2 v[2:3], off, off offset:120
	v_mov_b32_e32 v4, 0
	v_mov_b32_e32 v5, v4
	scratch_store_dwordx2 off, v[4:5], off offset:120
	s_waitcnt vmcnt(1)
	ds_write_b64 v1, v[2:3]
.LBB124_349:
	s_or_b64 exec, exec, s[0:1]
	v_mov_b32_e32 v110, 0
	s_waitcnt lgkmcnt(0)
	; wave barrier
	ds_read_b128 v[14:17], v110 offset:624
	ds_read_b128 v[10:13], v110 offset:640
	;; [unrolled: 1-line block ×4, first 2 shown]
	scratch_load_dwordx4 v[18:21], off, off offset:128
	scratch_load_dwordx4 v[38:41], off, off offset:192
	;; [unrolled: 1-line block ×13, first 2 shown]
	v_cmp_lt_u32_e32 vcc, 14, v0
	scratch_load_dwordx4 v[46:49], off, off offset:208
	scratch_load_dwordx4 v[54:57], off, off offset:224
	;; [unrolled: 1-line block ×3, first 2 shown]
	ds_read_b128 v[168:171], v110 offset:912
	s_waitcnt vmcnt(15) lgkmcnt(4)
	v_mul_f32_e32 v22, v14, v19
	v_fmac_f32_e32 v22, v15, v18
	v_mul_f32_e32 v23, v16, v21
	v_add_f32_e32 v22, 0, v22
	v_fmac_f32_e32 v23, v17, v20
	v_add_f32_e32 v26, v22, v23
	scratch_load_dwordx4 v[22:25], off, off offset:144
	v_mul_f32_e32 v15, v15, v19
	v_fma_f32 v14, v14, v18, -v15
	v_mul_f32_e32 v15, v17, v21
	v_add_f32_e32 v14, 0, v14
	v_fma_f32 v15, v16, v20, -v15
	v_add_f32_e32 v14, v14, v15
	s_waitcnt vmcnt(4)
	v_mov_b32_e32 v18, v175
	s_waitcnt lgkmcnt(0)
	v_mul_f32_e32 v191, v168, v173
	v_pk_mul_f32 v[18:19], v[170:171], v[18:19] op_sel:[1,0] op_sel_hi:[0,0]
	v_fmac_f32_e32 v191, v169, v172
	v_pk_fma_f32 v[20:21], v[170:171], v[174:175], v[18:19] neg_lo:[0,0,1] neg_hi:[0,0,1]
	v_pk_fma_f32 v[18:19], v[170:171], v[174:175], v[18:19] op_sel_hi:[1,0,1]
	s_waitcnt vmcnt(0)
	v_mul_f32_e32 v27, v10, v23
	v_fmac_f32_e32 v27, v11, v22
	v_add_f32_e32 v26, v26, v27
	v_mul_f32_e32 v27, v12, v25
	v_fmac_f32_e32 v27, v13, v24
	v_add_f32_e32 v30, v26, v27
	scratch_load_dwordx4 v[26:29], off, off offset:160
	v_mul_f32_e32 v11, v11, v23
	v_fma_f32 v10, v10, v22, -v11
	v_mul_f32_e32 v11, v13, v25
	v_add_f32_e32 v10, v14, v10
	v_fma_f32 v11, v12, v24, -v11
	v_add_f32_e32 v10, v10, v11
	v_mov_b32_e32 v21, v19
	s_waitcnt vmcnt(0)
	v_mul_f32_e32 v31, v6, v27
	v_fmac_f32_e32 v31, v7, v26
	v_add_f32_e32 v30, v30, v31
	v_mul_f32_e32 v31, v8, v29
	v_fmac_f32_e32 v31, v9, v28
	v_add_f32_e32 v34, v30, v31
	scratch_load_dwordx4 v[30:33], off, off offset:176
	v_mul_f32_e32 v7, v7, v27
	v_fma_f32 v6, v6, v26, -v7
	v_mul_f32_e32 v7, v9, v29
	v_add_f32_e32 v6, v10, v6
	v_fma_f32 v7, v8, v28, -v7
	v_add_f32_e32 v6, v6, v7
	s_waitcnt vmcnt(0)
	v_mul_f32_e32 v35, v2, v31
	v_fmac_f32_e32 v35, v3, v30
	v_add_f32_e32 v34, v34, v35
	v_mul_f32_e32 v35, v4, v33
	v_fmac_f32_e32 v35, v5, v32
	v_add_f32_e32 v42, v34, v35
	ds_read_b128 v[34:37], v110 offset:688
	v_mul_f32_e32 v3, v3, v31
	v_fma_f32 v2, v2, v30, -v3
	v_mul_f32_e32 v3, v5, v33
	v_add_f32_e32 v2, v6, v2
	s_waitcnt lgkmcnt(0)
	v_mul_f32_e32 v43, v34, v39
	v_fmac_f32_e32 v43, v35, v38
	v_add_f32_e32 v42, v42, v43
	v_mul_f32_e32 v43, v36, v41
	v_fmac_f32_e32 v43, v37, v40
	v_add_f32_e32 v50, v42, v43
	ds_read_b128 v[42:45], v110 offset:704
	v_fma_f32 v3, v4, v32, -v3
	v_add_f32_e32 v2, v2, v3
	v_mul_f32_e32 v3, v35, v39
	v_fma_f32 v3, v34, v38, -v3
	s_waitcnt lgkmcnt(0)
	v_mul_f32_e32 v51, v42, v47
	v_fmac_f32_e32 v51, v43, v46
	v_add_f32_e32 v50, v50, v51
	v_mul_f32_e32 v51, v44, v49
	v_fmac_f32_e32 v51, v45, v48
	v_add_f32_e32 v58, v50, v51
	ds_read_b128 v[50:53], v110 offset:720
	v_add_f32_e32 v2, v2, v3
	v_mul_f32_e32 v3, v37, v41
	v_fma_f32 v3, v36, v40, -v3
	v_add_f32_e32 v2, v2, v3
	s_waitcnt lgkmcnt(0)
	v_mul_f32_e32 v59, v50, v55
	v_fmac_f32_e32 v59, v51, v54
	v_add_f32_e32 v58, v58, v59
	v_mul_f32_e32 v59, v52, v57
	v_fmac_f32_e32 v59, v53, v56
	v_add_f32_e32 v66, v58, v59
	ds_read_b128 v[58:61], v110 offset:736
	v_mul_f32_e32 v3, v43, v47
	v_fma_f32 v3, v42, v46, -v3
	v_add_f32_e32 v2, v2, v3
	v_mul_f32_e32 v3, v45, v49
	s_waitcnt lgkmcnt(0)
	v_mul_f32_e32 v67, v58, v63
	v_fmac_f32_e32 v67, v59, v62
	v_add_f32_e32 v66, v66, v67
	v_mul_f32_e32 v67, v60, v65
	v_fmac_f32_e32 v67, v61, v64
	v_add_f32_e32 v74, v66, v67
	ds_read_b128 v[66:69], v110 offset:752
	v_fma_f32 v3, v44, v48, -v3
	v_add_f32_e32 v2, v2, v3
	v_mul_f32_e32 v3, v51, v55
	v_fma_f32 v3, v50, v54, -v3
	s_waitcnt lgkmcnt(0)
	v_mul_f32_e32 v75, v66, v71
	v_fmac_f32_e32 v75, v67, v70
	v_add_f32_e32 v74, v74, v75
	v_mul_f32_e32 v75, v68, v73
	v_fmac_f32_e32 v75, v69, v72
	v_add_f32_e32 v82, v74, v75
	ds_read_b128 v[74:77], v110 offset:768
	v_add_f32_e32 v2, v2, v3
	v_mul_f32_e32 v3, v53, v57
	v_fma_f32 v3, v52, v56, -v3
	v_add_f32_e32 v2, v2, v3
	s_waitcnt lgkmcnt(0)
	v_mul_f32_e32 v83, v74, v79
	v_fmac_f32_e32 v83, v75, v78
	v_add_f32_e32 v82, v82, v83
	v_mul_f32_e32 v83, v76, v81
	v_fmac_f32_e32 v83, v77, v80
	v_add_f32_e32 v90, v82, v83
	ds_read_b128 v[82:85], v110 offset:784
	v_mul_f32_e32 v3, v59, v63
	v_fma_f32 v3, v58, v62, -v3
	v_add_f32_e32 v2, v2, v3
	v_mul_f32_e32 v3, v61, v65
	;; [unrolled: 36-line block ×4, first 2 shown]
	s_waitcnt lgkmcnt(0)
	v_mul_f32_e32 v140, v132, v137
	v_fmac_f32_e32 v140, v133, v136
	v_add_f32_e32 v111, v111, v140
	v_mul_f32_e32 v140, v134, v139
	v_fmac_f32_e32 v140, v135, v138
	v_add_f32_e32 v111, v111, v140
	ds_read_b128 v[140:143], v110 offset:896
	scratch_load_dwordx4 v[176:179], off, off offset:432
	scratch_load_dwordx4 v[180:183], off, off offset:448
	;; [unrolled: 1-line block ×3, first 2 shown]
	scratch_load_dwordx2 v[192:193], off, off offset:480
	v_fma_f32 v3, v92, v96, -v3
	v_add_f32_e32 v2, v2, v3
	v_mul_f32_e32 v3, v99, v103
	v_fma_f32 v3, v98, v102, -v3
	v_add_f32_e32 v2, v2, v3
	v_mul_f32_e32 v3, v101, v105
	;; [unrolled: 3-line block ×10, first 2 shown]
	v_fma_f32 v3, v134, v138, -v3
	s_waitcnt lgkmcnt(0)
	v_mul_f32_e32 v148, v140, v145
	v_add_f32_e32 v2, v2, v3
	v_mul_f32_e32 v3, v141, v145
	v_fmac_f32_e32 v148, v141, v144
	v_fma_f32 v3, v140, v144, -v3
	v_add_f32_e32 v149, v111, v148
	v_add_f32_e32 v148, v2, v3
	v_mul_f32_e32 v2, v143, v147
	v_mul_f32_e32 v189, v142, v147
	v_fma_f32 v188, v142, v146, -v2
	v_mul_f32_e32 v2, v169, v173
	v_fmac_f32_e32 v189, v143, v146
	v_fma_f32 v190, v168, v172, -v2
	ds_read_b128 v[2:5], v110 offset:928
	ds_read_b128 v[6:9], v110 offset:944
	;; [unrolled: 1-line block ×3, first 2 shown]
	ds_read_b64 v[14:15], v110 offset:976
	v_pk_add_f32 v[16:17], v[148:149], v[188:189]
	s_waitcnt vmcnt(3) lgkmcnt(3)
	v_pk_mul_f32 v[18:19], v[2:3], v[176:177] op_sel:[1,1] op_sel_hi:[0,1]
	v_pk_add_f32 v[16:17], v[16:17], v[190:191]
	s_nop 0
	v_pk_add_f32 v[16:17], v[16:17], v[20:21]
	v_pk_fma_f32 v[20:21], v[2:3], v[176:177], v[18:19] neg_lo:[0,0,1] neg_hi:[0,0,1]
	v_pk_fma_f32 v[2:3], v[2:3], v[176:177], v[18:19] op_sel_hi:[1,0,1]
	s_nop 0
	v_mov_b32_e32 v21, v3
	v_pk_add_f32 v[2:3], v[16:17], v[20:21]
	v_mov_b32_e32 v16, v179
	v_pk_mul_f32 v[16:17], v[4:5], v[16:17] op_sel:[1,0] op_sel_hi:[0,0]
	v_pk_fma_f32 v[18:19], v[4:5], v[178:179], v[16:17] neg_lo:[0,0,1] neg_hi:[0,0,1]
	v_pk_fma_f32 v[4:5], v[4:5], v[178:179], v[16:17] op_sel_hi:[1,0,1]
	s_nop 0
	v_mov_b32_e32 v19, v5
	s_waitcnt vmcnt(2) lgkmcnt(2)
	v_pk_mul_f32 v[4:5], v[6:7], v[180:181] op_sel:[1,1] op_sel_hi:[0,1]
	v_pk_fma_f32 v[16:17], v[6:7], v[180:181], v[4:5] neg_lo:[0,0,1] neg_hi:[0,0,1]
	v_pk_fma_f32 v[4:5], v[6:7], v[180:181], v[4:5] op_sel_hi:[1,0,1]
	v_pk_add_f32 v[2:3], v[2:3], v[18:19]
	v_mov_b32_e32 v4, v183
	v_mov_b32_e32 v17, v5
	v_pk_mul_f32 v[4:5], v[8:9], v[4:5] op_sel:[1,0] op_sel_hi:[0,0]
	v_pk_fma_f32 v[6:7], v[8:9], v[182:183], v[4:5] neg_lo:[0,0,1] neg_hi:[0,0,1]
	v_pk_fma_f32 v[4:5], v[8:9], v[182:183], v[4:5] op_sel_hi:[1,0,1]
	v_pk_add_f32 v[2:3], v[2:3], v[16:17]
	v_mov_b32_e32 v7, v5
	s_waitcnt vmcnt(1) lgkmcnt(1)
	v_pk_mul_f32 v[4:5], v[10:11], v[184:185] op_sel:[1,1] op_sel_hi:[0,1]
	v_pk_add_f32 v[2:3], v[2:3], v[6:7]
	v_pk_fma_f32 v[6:7], v[10:11], v[184:185], v[4:5] neg_lo:[0,0,1] neg_hi:[0,0,1]
	v_pk_fma_f32 v[4:5], v[10:11], v[184:185], v[4:5] op_sel_hi:[1,0,1]
	s_nop 0
	v_mov_b32_e32 v4, v187
	v_mov_b32_e32 v7, v5
	v_pk_mul_f32 v[4:5], v[12:13], v[4:5] op_sel:[1,0] op_sel_hi:[0,0]
	v_pk_add_f32 v[2:3], v[2:3], v[6:7]
	v_pk_fma_f32 v[6:7], v[12:13], v[186:187], v[4:5] neg_lo:[0,0,1] neg_hi:[0,0,1]
	v_pk_fma_f32 v[4:5], v[12:13], v[186:187], v[4:5] op_sel_hi:[1,0,1]
	s_nop 0
	v_mov_b32_e32 v7, v5
	s_waitcnt vmcnt(0) lgkmcnt(0)
	v_pk_mul_f32 v[4:5], v[14:15], v[192:193] op_sel:[1,1] op_sel_hi:[0,1]
	v_pk_add_f32 v[2:3], v[2:3], v[6:7]
	v_pk_fma_f32 v[6:7], v[14:15], v[192:193], v[4:5] neg_lo:[0,0,1] neg_hi:[0,0,1]
	v_pk_fma_f32 v[4:5], v[14:15], v[192:193], v[4:5] op_sel_hi:[1,0,1]
	s_nop 0
	v_mov_b32_e32 v7, v5
	scratch_load_dwordx2 v[4:5], off, off offset:120
	v_pk_add_f32 v[2:3], v[2:3], v[6:7]
	s_waitcnt vmcnt(0)
	v_pk_add_f32 v[2:3], v[4:5], v[2:3] neg_lo:[0,1] neg_hi:[0,1]
	scratch_store_dwordx2 off, v[2:3], off offset:120
	s_and_saveexec_b64 s[0:1], vcc
	s_cbranch_execz .LBB124_351
; %bb.350:
	scratch_load_dwordx2 v[2:3], off, off offset:112
	v_mov_b32_e32 v111, v110
	scratch_store_dwordx2 off, v[110:111], off offset:112
	s_waitcnt vmcnt(1)
	ds_write_b64 v1, v[2:3]
.LBB124_351:
	s_or_b64 exec, exec, s[0:1]
	s_waitcnt lgkmcnt(0)
	; wave barrier
	scratch_load_dwordx4 v[6:9], off, off offset:120
	scratch_load_dwordx4 v[14:17], off, off offset:136
	scratch_load_dwordx4 v[22:25], off, off offset:152
	scratch_load_dwordx4 v[30:33], off, off offset:168
	scratch_load_dwordx4 v[38:41], off, off offset:184
	scratch_load_dwordx4 v[46:49], off, off offset:200
	scratch_load_dwordx4 v[54:57], off, off offset:216
	scratch_load_dwordx4 v[62:65], off, off offset:232
	scratch_load_dwordx4 v[70:73], off, off offset:248
	scratch_load_dwordx4 v[78:81], off, off offset:264
	ds_read2_b64 v[2:5], v110 offset0:77 offset1:78
	ds_read2_b64 v[168:171], v110 offset0:113 offset1:114
	scratch_load_dwordx4 v[86:89], off, off offset:280
	scratch_load_dwordx4 v[94:97], off, off offset:296
	;; [unrolled: 1-line block ×9, first 2 shown]
	v_cmp_lt_u32_e32 vcc, 13, v0
	s_waitcnt vmcnt(18) lgkmcnt(1)
	v_mul_f32_e32 v10, v2, v7
	v_fmac_f32_e32 v10, v3, v6
	v_mul_f32_e32 v11, v4, v9
	v_add_f32_e32 v10, 0, v10
	v_fmac_f32_e32 v11, v5, v8
	v_add_f32_e32 v18, v10, v11
	ds_read2_b64 v[10:13], v110 offset0:79 offset1:80
	v_mul_f32_e32 v3, v3, v7
	v_fma_f32 v2, v2, v6, -v3
	v_mul_f32_e32 v3, v5, v9
	v_add_f32_e32 v2, 0, v2
	s_waitcnt vmcnt(17) lgkmcnt(0)
	v_mul_f32_e32 v19, v10, v15
	v_fmac_f32_e32 v19, v11, v14
	v_add_f32_e32 v18, v18, v19
	v_mul_f32_e32 v19, v12, v17
	v_fmac_f32_e32 v19, v13, v16
	v_add_f32_e32 v26, v18, v19
	ds_read2_b64 v[18:21], v110 offset0:81 offset1:82
	v_fma_f32 v3, v4, v8, -v3
	v_add_f32_e32 v2, v2, v3
	v_mul_f32_e32 v3, v11, v15
	v_fma_f32 v3, v10, v14, -v3
	s_waitcnt vmcnt(16) lgkmcnt(0)
	v_mul_f32_e32 v27, v18, v23
	v_fmac_f32_e32 v27, v19, v22
	v_add_f32_e32 v26, v26, v27
	v_mul_f32_e32 v27, v20, v25
	v_fmac_f32_e32 v27, v21, v24
	v_add_f32_e32 v34, v26, v27
	ds_read2_b64 v[26:29], v110 offset0:83 offset1:84
	v_add_f32_e32 v2, v2, v3
	v_mul_f32_e32 v3, v13, v17
	v_fma_f32 v3, v12, v16, -v3
	v_add_f32_e32 v2, v2, v3
	s_waitcnt vmcnt(15) lgkmcnt(0)
	v_mul_f32_e32 v35, v26, v31
	v_fmac_f32_e32 v35, v27, v30
	v_add_f32_e32 v34, v34, v35
	v_mul_f32_e32 v35, v28, v33
	v_fmac_f32_e32 v35, v29, v32
	v_add_f32_e32 v42, v34, v35
	ds_read2_b64 v[34:37], v110 offset0:85 offset1:86
	v_mul_f32_e32 v3, v19, v23
	v_fma_f32 v3, v18, v22, -v3
	v_add_f32_e32 v2, v2, v3
	v_mul_f32_e32 v3, v21, v25
	s_waitcnt vmcnt(14) lgkmcnt(0)
	v_mul_f32_e32 v43, v34, v39
	v_fmac_f32_e32 v43, v35, v38
	v_add_f32_e32 v42, v42, v43
	v_mul_f32_e32 v43, v36, v41
	v_fmac_f32_e32 v43, v37, v40
	v_add_f32_e32 v50, v42, v43
	ds_read2_b64 v[42:45], v110 offset0:87 offset1:88
	v_fma_f32 v3, v20, v24, -v3
	v_add_f32_e32 v2, v2, v3
	v_mul_f32_e32 v3, v27, v31
	v_fma_f32 v3, v26, v30, -v3
	s_waitcnt vmcnt(13) lgkmcnt(0)
	v_mul_f32_e32 v51, v42, v47
	v_fmac_f32_e32 v51, v43, v46
	v_add_f32_e32 v50, v50, v51
	v_mul_f32_e32 v51, v44, v49
	v_fmac_f32_e32 v51, v45, v48
	v_add_f32_e32 v58, v50, v51
	ds_read2_b64 v[50:53], v110 offset0:89 offset1:90
	v_add_f32_e32 v2, v2, v3
	v_mul_f32_e32 v3, v29, v33
	v_fma_f32 v3, v28, v32, -v3
	v_add_f32_e32 v2, v2, v3
	s_waitcnt vmcnt(12) lgkmcnt(0)
	v_mul_f32_e32 v59, v50, v55
	v_fmac_f32_e32 v59, v51, v54
	v_add_f32_e32 v58, v58, v59
	v_mul_f32_e32 v59, v52, v57
	v_fmac_f32_e32 v59, v53, v56
	v_add_f32_e32 v66, v58, v59
	ds_read2_b64 v[58:61], v110 offset0:91 offset1:92
	v_mul_f32_e32 v3, v35, v39
	v_fma_f32 v3, v34, v38, -v3
	v_add_f32_e32 v2, v2, v3
	v_mul_f32_e32 v3, v37, v41
	;; [unrolled: 36-line block ×5, first 2 shown]
	s_waitcnt vmcnt(2) lgkmcnt(0)
	v_mul_f32_e32 v140, v132, v137
	v_fmac_f32_e32 v140, v133, v136
	v_add_f32_e32 v111, v111, v140
	v_mul_f32_e32 v140, v134, v139
	v_fmac_f32_e32 v140, v135, v138
	v_add_f32_e32 v111, v111, v140
	ds_read2_b64 v[140:143], v110 offset0:111 offset1:112
	scratch_load_dwordx4 v[176:179], off, off offset:424
	scratch_load_dwordx4 v[180:183], off, off offset:440
	;; [unrolled: 1-line block ×4, first 2 shown]
	v_fma_f32 v3, v84, v88, -v3
	v_add_f32_e32 v2, v2, v3
	v_mul_f32_e32 v3, v91, v95
	v_fma_f32 v3, v90, v94, -v3
	v_add_f32_e32 v2, v2, v3
	v_mul_f32_e32 v3, v93, v97
	;; [unrolled: 3-line block ×12, first 2 shown]
	v_fma_f32 v3, v134, v138, -v3
	s_waitcnt vmcnt(5) lgkmcnt(0)
	v_mul_f32_e32 v148, v140, v145
	v_add_f32_e32 v2, v2, v3
	v_mul_f32_e32 v3, v141, v145
	v_fmac_f32_e32 v148, v141, v144
	v_fma_f32 v3, v140, v144, -v3
	v_add_f32_e32 v111, v111, v148
	v_mul_f32_e32 v148, v142, v147
	v_add_f32_e32 v2, v2, v3
	v_mul_f32_e32 v3, v143, v147
	v_fmac_f32_e32 v148, v143, v146
	v_fma_f32 v3, v142, v146, -v3
	v_add_f32_e32 v149, v111, v148
	v_add_f32_e32 v148, v2, v3
	s_waitcnt vmcnt(4)
	v_mul_f32_e32 v2, v169, v173
	v_fma_f32 v192, v168, v172, -v2
	v_mul_f32_e32 v2, v171, v175
	v_fma_f32 v194, v170, v174, -v2
	ds_read2_b64 v[2:5], v110 offset0:115 offset1:116
	ds_read2_b64 v[6:9], v110 offset0:117 offset1:118
	;; [unrolled: 1-line block ×4, first 2 shown]
	v_mul_f32_e32 v193, v168, v173
	v_fmac_f32_e32 v193, v169, v172
	v_mul_f32_e32 v195, v170, v175
	v_fmac_f32_e32 v195, v171, v174
	v_pk_add_f32 v[18:19], v[148:149], v[192:193]
	s_waitcnt vmcnt(3) lgkmcnt(3)
	v_pk_mul_f32 v[20:21], v[2:3], v[176:177] op_sel:[1,1] op_sel_hi:[0,1]
	v_pk_fma_f32 v[22:23], v[2:3], v[176:177], v[20:21] neg_lo:[0,0,1] neg_hi:[0,0,1]
	v_pk_fma_f32 v[2:3], v[2:3], v[176:177], v[20:21] op_sel_hi:[1,0,1]
	v_pk_add_f32 v[18:19], v[18:19], v[194:195]
	v_mov_b32_e32 v23, v3
	v_pk_add_f32 v[2:3], v[18:19], v[22:23]
	v_mov_b32_e32 v18, v179
	v_pk_mul_f32 v[18:19], v[4:5], v[18:19] op_sel:[1,0] op_sel_hi:[0,0]
	v_pk_fma_f32 v[20:21], v[4:5], v[178:179], v[18:19] neg_lo:[0,0,1] neg_hi:[0,0,1]
	v_pk_fma_f32 v[4:5], v[4:5], v[178:179], v[18:19] op_sel_hi:[1,0,1]
	s_nop 0
	v_mov_b32_e32 v21, v5
	s_waitcnt vmcnt(2) lgkmcnt(2)
	v_pk_mul_f32 v[4:5], v[6:7], v[180:181] op_sel:[1,1] op_sel_hi:[0,1]
	v_pk_fma_f32 v[18:19], v[6:7], v[180:181], v[4:5] neg_lo:[0,0,1] neg_hi:[0,0,1]
	v_pk_fma_f32 v[4:5], v[6:7], v[180:181], v[4:5] op_sel_hi:[1,0,1]
	v_pk_add_f32 v[2:3], v[2:3], v[20:21]
	v_mov_b32_e32 v4, v183
	v_mov_b32_e32 v19, v5
	v_pk_mul_f32 v[4:5], v[8:9], v[4:5] op_sel:[1,0] op_sel_hi:[0,0]
	v_pk_fma_f32 v[6:7], v[8:9], v[182:183], v[4:5] neg_lo:[0,0,1] neg_hi:[0,0,1]
	v_pk_fma_f32 v[4:5], v[8:9], v[182:183], v[4:5] op_sel_hi:[1,0,1]
	v_pk_add_f32 v[2:3], v[2:3], v[18:19]
	v_mov_b32_e32 v7, v5
	s_waitcnt vmcnt(1) lgkmcnt(1)
	v_pk_mul_f32 v[4:5], v[10:11], v[184:185] op_sel:[1,1] op_sel_hi:[0,1]
	v_pk_add_f32 v[2:3], v[2:3], v[6:7]
	v_pk_fma_f32 v[6:7], v[10:11], v[184:185], v[4:5] neg_lo:[0,0,1] neg_hi:[0,0,1]
	v_pk_fma_f32 v[4:5], v[10:11], v[184:185], v[4:5] op_sel_hi:[1,0,1]
	s_nop 0
	v_mov_b32_e32 v4, v187
	v_mov_b32_e32 v7, v5
	v_pk_mul_f32 v[4:5], v[12:13], v[4:5] op_sel:[1,0] op_sel_hi:[0,0]
	v_pk_add_f32 v[2:3], v[2:3], v[6:7]
	v_pk_fma_f32 v[6:7], v[12:13], v[186:187], v[4:5] neg_lo:[0,0,1] neg_hi:[0,0,1]
	v_pk_fma_f32 v[4:5], v[12:13], v[186:187], v[4:5] op_sel_hi:[1,0,1]
	s_nop 0
	v_mov_b32_e32 v7, v5
	s_waitcnt vmcnt(0) lgkmcnt(0)
	v_pk_mul_f32 v[4:5], v[14:15], v[188:189] op_sel:[1,1] op_sel_hi:[0,1]
	v_pk_add_f32 v[2:3], v[2:3], v[6:7]
	v_pk_fma_f32 v[6:7], v[14:15], v[188:189], v[4:5] neg_lo:[0,0,1] neg_hi:[0,0,1]
	v_pk_fma_f32 v[4:5], v[14:15], v[188:189], v[4:5] op_sel_hi:[1,0,1]
	s_nop 0
	v_mov_b32_e32 v4, v191
	v_mov_b32_e32 v7, v5
	v_pk_mul_f32 v[4:5], v[16:17], v[4:5] op_sel:[1,0] op_sel_hi:[0,0]
	v_pk_add_f32 v[2:3], v[2:3], v[6:7]
	v_pk_fma_f32 v[6:7], v[16:17], v[190:191], v[4:5] neg_lo:[0,0,1] neg_hi:[0,0,1]
	v_pk_fma_f32 v[4:5], v[16:17], v[190:191], v[4:5] op_sel_hi:[1,0,1]
	s_nop 0
	v_mov_b32_e32 v7, v5
	scratch_load_dwordx2 v[4:5], off, off offset:112
	v_pk_add_f32 v[2:3], v[2:3], v[6:7]
	s_waitcnt vmcnt(0)
	v_pk_add_f32 v[2:3], v[4:5], v[2:3] neg_lo:[0,1] neg_hi:[0,1]
	scratch_store_dwordx2 off, v[2:3], off offset:112
	s_and_saveexec_b64 s[0:1], vcc
	s_cbranch_execz .LBB124_353
; %bb.352:
	scratch_load_dwordx2 v[2:3], off, off offset:104
	v_mov_b32_e32 v4, 0
	v_mov_b32_e32 v5, v4
	scratch_store_dwordx2 off, v[4:5], off offset:104
	s_waitcnt vmcnt(1)
	ds_write_b64 v1, v[2:3]
.LBB124_353:
	s_or_b64 exec, exec, s[0:1]
	v_mov_b32_e32 v118, 0
	s_waitcnt lgkmcnt(0)
	; wave barrier
	ds_read_b128 v[14:17], v118 offset:608
	ds_read_b128 v[10:13], v118 offset:624
	ds_read_b128 v[6:9], v118 offset:640
	ds_read_b128 v[2:5], v118 offset:656
	scratch_load_dwordx4 v[18:21], off, off offset:112
	scratch_load_dwordx4 v[38:41], off, off offset:176
	;; [unrolled: 1-line block ×14, first 2 shown]
	v_cmp_lt_u32_e32 vcc, 12, v0
	scratch_load_dwordx4 v[46:49], off, off offset:192
	scratch_load_dwordx4 v[54:57], off, off offset:208
	;; [unrolled: 1-line block ×3, first 2 shown]
	ds_read_b128 v[168:171], v118 offset:896
	ds_read_b128 v[176:179], v118 offset:912
	s_waitcnt vmcnt(16) lgkmcnt(5)
	v_mul_f32_e32 v22, v14, v19
	v_fmac_f32_e32 v22, v15, v18
	v_mul_f32_e32 v23, v16, v21
	v_add_f32_e32 v22, 0, v22
	v_fmac_f32_e32 v23, v17, v20
	v_add_f32_e32 v26, v22, v23
	scratch_load_dwordx4 v[22:25], off, off offset:128
	v_mul_f32_e32 v15, v15, v19
	v_fma_f32 v14, v14, v18, -v15
	v_mul_f32_e32 v15, v17, v21
	v_add_f32_e32 v14, 0, v14
	v_fma_f32 v15, v16, v20, -v15
	v_add_f32_e32 v14, v14, v15
	s_waitcnt vmcnt(5) lgkmcnt(1)
	v_mul_f32_e32 v197, v170, v175
	s_waitcnt vmcnt(4)
	v_mov_b32_e32 v18, v183
	v_fmac_f32_e32 v197, v171, v174
	s_waitcnt lgkmcnt(0)
	v_mul_f32_e32 v199, v176, v181
	v_pk_mul_f32 v[18:19], v[178:179], v[18:19] op_sel:[1,0] op_sel_hi:[0,0]
	v_fmac_f32_e32 v199, v177, v180
	v_pk_fma_f32 v[20:21], v[178:179], v[182:183], v[18:19] neg_lo:[0,0,1] neg_hi:[0,0,1]
	v_pk_fma_f32 v[18:19], v[178:179], v[182:183], v[18:19] op_sel_hi:[1,0,1]
	s_waitcnt vmcnt(0)
	v_mul_f32_e32 v27, v10, v23
	v_fmac_f32_e32 v27, v11, v22
	v_add_f32_e32 v26, v26, v27
	v_mul_f32_e32 v27, v12, v25
	v_fmac_f32_e32 v27, v13, v24
	v_add_f32_e32 v30, v26, v27
	scratch_load_dwordx4 v[26:29], off, off offset:144
	v_mul_f32_e32 v11, v11, v23
	v_fma_f32 v10, v10, v22, -v11
	v_mul_f32_e32 v11, v13, v25
	v_add_f32_e32 v10, v14, v10
	v_fma_f32 v11, v12, v24, -v11
	v_add_f32_e32 v10, v10, v11
	v_mov_b32_e32 v21, v19
	s_waitcnt vmcnt(0)
	v_mul_f32_e32 v31, v6, v27
	v_fmac_f32_e32 v31, v7, v26
	v_add_f32_e32 v30, v30, v31
	v_mul_f32_e32 v31, v8, v29
	v_fmac_f32_e32 v31, v9, v28
	v_add_f32_e32 v34, v30, v31
	scratch_load_dwordx4 v[30:33], off, off offset:160
	v_mul_f32_e32 v7, v7, v27
	v_fma_f32 v6, v6, v26, -v7
	v_mul_f32_e32 v7, v9, v29
	v_add_f32_e32 v6, v10, v6
	v_fma_f32 v7, v8, v28, -v7
	v_add_f32_e32 v6, v6, v7
	s_waitcnt vmcnt(0)
	v_mul_f32_e32 v35, v2, v31
	v_fmac_f32_e32 v35, v3, v30
	v_add_f32_e32 v34, v34, v35
	v_mul_f32_e32 v35, v4, v33
	v_fmac_f32_e32 v35, v5, v32
	v_add_f32_e32 v42, v34, v35
	ds_read_b128 v[34:37], v118 offset:672
	v_mul_f32_e32 v3, v3, v31
	v_fma_f32 v2, v2, v30, -v3
	v_mul_f32_e32 v3, v5, v33
	v_add_f32_e32 v2, v6, v2
	s_waitcnt lgkmcnt(0)
	v_mul_f32_e32 v43, v34, v39
	v_fmac_f32_e32 v43, v35, v38
	v_add_f32_e32 v42, v42, v43
	v_mul_f32_e32 v43, v36, v41
	v_fmac_f32_e32 v43, v37, v40
	v_add_f32_e32 v50, v42, v43
	ds_read_b128 v[42:45], v118 offset:688
	v_fma_f32 v3, v4, v32, -v3
	v_add_f32_e32 v2, v2, v3
	v_mul_f32_e32 v3, v35, v39
	v_fma_f32 v3, v34, v38, -v3
	s_waitcnt lgkmcnt(0)
	v_mul_f32_e32 v51, v42, v47
	v_fmac_f32_e32 v51, v43, v46
	v_add_f32_e32 v50, v50, v51
	v_mul_f32_e32 v51, v44, v49
	v_fmac_f32_e32 v51, v45, v48
	v_add_f32_e32 v58, v50, v51
	ds_read_b128 v[50:53], v118 offset:704
	v_add_f32_e32 v2, v2, v3
	v_mul_f32_e32 v3, v37, v41
	v_fma_f32 v3, v36, v40, -v3
	v_add_f32_e32 v2, v2, v3
	s_waitcnt lgkmcnt(0)
	v_mul_f32_e32 v59, v50, v55
	v_fmac_f32_e32 v59, v51, v54
	v_add_f32_e32 v58, v58, v59
	v_mul_f32_e32 v59, v52, v57
	v_fmac_f32_e32 v59, v53, v56
	v_add_f32_e32 v66, v58, v59
	ds_read_b128 v[58:61], v118 offset:720
	v_mul_f32_e32 v3, v43, v47
	v_fma_f32 v3, v42, v46, -v3
	v_add_f32_e32 v2, v2, v3
	v_mul_f32_e32 v3, v45, v49
	s_waitcnt lgkmcnt(0)
	v_mul_f32_e32 v67, v58, v63
	v_fmac_f32_e32 v67, v59, v62
	v_add_f32_e32 v66, v66, v67
	v_mul_f32_e32 v67, v60, v65
	v_fmac_f32_e32 v67, v61, v64
	v_add_f32_e32 v74, v66, v67
	ds_read_b128 v[66:69], v118 offset:736
	v_fma_f32 v3, v44, v48, -v3
	v_add_f32_e32 v2, v2, v3
	v_mul_f32_e32 v3, v51, v55
	v_fma_f32 v3, v50, v54, -v3
	s_waitcnt lgkmcnt(0)
	v_mul_f32_e32 v75, v66, v71
	v_fmac_f32_e32 v75, v67, v70
	v_add_f32_e32 v74, v74, v75
	v_mul_f32_e32 v75, v68, v73
	v_fmac_f32_e32 v75, v69, v72
	v_add_f32_e32 v82, v74, v75
	ds_read_b128 v[74:77], v118 offset:752
	v_add_f32_e32 v2, v2, v3
	v_mul_f32_e32 v3, v53, v57
	v_fma_f32 v3, v52, v56, -v3
	v_add_f32_e32 v2, v2, v3
	s_waitcnt lgkmcnt(0)
	v_mul_f32_e32 v83, v74, v79
	v_fmac_f32_e32 v83, v75, v78
	v_add_f32_e32 v82, v82, v83
	v_mul_f32_e32 v83, v76, v81
	v_fmac_f32_e32 v83, v77, v80
	v_add_f32_e32 v90, v82, v83
	ds_read_b128 v[82:85], v118 offset:768
	v_mul_f32_e32 v3, v59, v63
	v_fma_f32 v3, v58, v62, -v3
	v_add_f32_e32 v2, v2, v3
	v_mul_f32_e32 v3, v61, v65
	;; [unrolled: 36-line block ×4, first 2 shown]
	s_waitcnt lgkmcnt(0)
	v_mul_f32_e32 v140, v132, v137
	v_fmac_f32_e32 v140, v133, v136
	v_add_f32_e32 v119, v119, v140
	v_mul_f32_e32 v140, v134, v139
	v_fmac_f32_e32 v140, v135, v138
	v_add_f32_e32 v119, v119, v140
	ds_read_b128 v[140:143], v118 offset:880
	scratch_load_dwordx4 v[184:187], off, off offset:432
	scratch_load_dwordx4 v[188:191], off, off offset:448
	scratch_load_dwordx4 v[192:195], off, off offset:464
	scratch_load_dwordx2 v[200:201], off, off offset:480
	v_fma_f32 v3, v92, v96, -v3
	v_add_f32_e32 v2, v2, v3
	v_mul_f32_e32 v3, v99, v103
	v_fma_f32 v3, v98, v102, -v3
	v_add_f32_e32 v2, v2, v3
	v_mul_f32_e32 v3, v101, v105
	;; [unrolled: 3-line block ×10, first 2 shown]
	v_fma_f32 v3, v134, v138, -v3
	s_waitcnt lgkmcnt(0)
	v_mul_f32_e32 v148, v140, v145
	v_add_f32_e32 v2, v2, v3
	v_mul_f32_e32 v3, v141, v145
	v_fmac_f32_e32 v148, v141, v144
	v_fma_f32 v3, v140, v144, -v3
	v_add_f32_e32 v119, v119, v148
	v_mul_f32_e32 v148, v142, v147
	v_add_f32_e32 v2, v2, v3
	v_mul_f32_e32 v3, v143, v147
	v_fmac_f32_e32 v148, v143, v146
	v_fma_f32 v3, v142, v146, -v3
	v_add_f32_e32 v119, v119, v148
	;; [unrolled: 6-line block ×3, first 2 shown]
	v_add_f32_e32 v148, v2, v3
	v_mul_f32_e32 v2, v171, v175
	v_fma_f32 v196, v170, v174, -v2
	v_mul_f32_e32 v2, v177, v181
	v_fma_f32 v198, v176, v180, -v2
	ds_read_b128 v[2:5], v118 offset:928
	ds_read_b128 v[6:9], v118 offset:944
	;; [unrolled: 1-line block ×3, first 2 shown]
	ds_read_b64 v[14:15], v118 offset:976
	v_pk_add_f32 v[16:17], v[148:149], v[196:197]
	s_waitcnt vmcnt(3) lgkmcnt(3)
	v_pk_mul_f32 v[18:19], v[2:3], v[184:185] op_sel:[1,1] op_sel_hi:[0,1]
	v_pk_add_f32 v[16:17], v[16:17], v[198:199]
	s_nop 0
	v_pk_add_f32 v[16:17], v[16:17], v[20:21]
	v_pk_fma_f32 v[20:21], v[2:3], v[184:185], v[18:19] neg_lo:[0,0,1] neg_hi:[0,0,1]
	v_pk_fma_f32 v[2:3], v[2:3], v[184:185], v[18:19] op_sel_hi:[1,0,1]
	s_nop 0
	v_mov_b32_e32 v21, v3
	v_pk_add_f32 v[2:3], v[16:17], v[20:21]
	v_mov_b32_e32 v16, v187
	v_pk_mul_f32 v[16:17], v[4:5], v[16:17] op_sel:[1,0] op_sel_hi:[0,0]
	v_pk_fma_f32 v[18:19], v[4:5], v[186:187], v[16:17] neg_lo:[0,0,1] neg_hi:[0,0,1]
	v_pk_fma_f32 v[4:5], v[4:5], v[186:187], v[16:17] op_sel_hi:[1,0,1]
	s_nop 0
	v_mov_b32_e32 v19, v5
	s_waitcnt vmcnt(2) lgkmcnt(2)
	v_pk_mul_f32 v[4:5], v[6:7], v[188:189] op_sel:[1,1] op_sel_hi:[0,1]
	v_pk_fma_f32 v[16:17], v[6:7], v[188:189], v[4:5] neg_lo:[0,0,1] neg_hi:[0,0,1]
	v_pk_fma_f32 v[4:5], v[6:7], v[188:189], v[4:5] op_sel_hi:[1,0,1]
	v_pk_add_f32 v[2:3], v[2:3], v[18:19]
	v_mov_b32_e32 v4, v191
	v_mov_b32_e32 v17, v5
	v_pk_mul_f32 v[4:5], v[8:9], v[4:5] op_sel:[1,0] op_sel_hi:[0,0]
	v_pk_fma_f32 v[6:7], v[8:9], v[190:191], v[4:5] neg_lo:[0,0,1] neg_hi:[0,0,1]
	v_pk_fma_f32 v[4:5], v[8:9], v[190:191], v[4:5] op_sel_hi:[1,0,1]
	v_pk_add_f32 v[2:3], v[2:3], v[16:17]
	v_mov_b32_e32 v7, v5
	s_waitcnt vmcnt(1) lgkmcnt(1)
	v_pk_mul_f32 v[4:5], v[10:11], v[192:193] op_sel:[1,1] op_sel_hi:[0,1]
	v_pk_add_f32 v[2:3], v[2:3], v[6:7]
	v_pk_fma_f32 v[6:7], v[10:11], v[192:193], v[4:5] neg_lo:[0,0,1] neg_hi:[0,0,1]
	v_pk_fma_f32 v[4:5], v[10:11], v[192:193], v[4:5] op_sel_hi:[1,0,1]
	s_nop 0
	v_mov_b32_e32 v4, v195
	v_mov_b32_e32 v7, v5
	v_pk_mul_f32 v[4:5], v[12:13], v[4:5] op_sel:[1,0] op_sel_hi:[0,0]
	v_pk_add_f32 v[2:3], v[2:3], v[6:7]
	v_pk_fma_f32 v[6:7], v[12:13], v[194:195], v[4:5] neg_lo:[0,0,1] neg_hi:[0,0,1]
	v_pk_fma_f32 v[4:5], v[12:13], v[194:195], v[4:5] op_sel_hi:[1,0,1]
	s_nop 0
	v_mov_b32_e32 v7, v5
	s_waitcnt vmcnt(0) lgkmcnt(0)
	v_pk_mul_f32 v[4:5], v[14:15], v[200:201] op_sel:[1,1] op_sel_hi:[0,1]
	v_pk_add_f32 v[2:3], v[2:3], v[6:7]
	v_pk_fma_f32 v[6:7], v[14:15], v[200:201], v[4:5] neg_lo:[0,0,1] neg_hi:[0,0,1]
	v_pk_fma_f32 v[4:5], v[14:15], v[200:201], v[4:5] op_sel_hi:[1,0,1]
	s_nop 0
	v_mov_b32_e32 v7, v5
	scratch_load_dwordx2 v[4:5], off, off offset:104
	v_pk_add_f32 v[2:3], v[2:3], v[6:7]
	s_waitcnt vmcnt(0)
	v_pk_add_f32 v[2:3], v[4:5], v[2:3] neg_lo:[0,1] neg_hi:[0,1]
	scratch_store_dwordx2 off, v[2:3], off offset:104
	s_and_saveexec_b64 s[0:1], vcc
	s_cbranch_execz .LBB124_355
; %bb.354:
	scratch_load_dwordx2 v[2:3], off, off offset:96
	v_mov_b32_e32 v119, v118
	scratch_store_dwordx2 off, v[118:119], off offset:96
	s_waitcnt vmcnt(1)
	ds_write_b64 v1, v[2:3]
.LBB124_355:
	s_or_b64 exec, exec, s[0:1]
	s_waitcnt lgkmcnt(0)
	; wave barrier
	scratch_load_dwordx4 v[6:9], off, off offset:104
	scratch_load_dwordx4 v[14:17], off, off offset:120
	;; [unrolled: 1-line block ×10, first 2 shown]
	ds_read2_b64 v[2:5], v118 offset0:75 offset1:76
	ds_read2_b64 v[168:171], v118 offset0:111 offset1:112
	scratch_load_dwordx4 v[86:89], off, off offset:264
	scratch_load_dwordx4 v[94:97], off, off offset:280
	;; [unrolled: 1-line block ×10, first 2 shown]
	v_cmp_lt_u32_e32 vcc, 11, v0
	ds_read2_b64 v[176:179], v118 offset0:113 offset1:114
	s_waitcnt vmcnt(19) lgkmcnt(2)
	v_mul_f32_e32 v10, v2, v7
	v_fmac_f32_e32 v10, v3, v6
	v_mul_f32_e32 v11, v4, v9
	v_add_f32_e32 v10, 0, v10
	v_fmac_f32_e32 v11, v5, v8
	v_add_f32_e32 v18, v10, v11
	ds_read2_b64 v[10:13], v118 offset0:77 offset1:78
	v_mul_f32_e32 v3, v3, v7
	v_fma_f32 v2, v2, v6, -v3
	v_mul_f32_e32 v3, v5, v9
	v_add_f32_e32 v2, 0, v2
	s_waitcnt vmcnt(18) lgkmcnt(0)
	v_mul_f32_e32 v19, v10, v15
	v_fmac_f32_e32 v19, v11, v14
	v_add_f32_e32 v18, v18, v19
	v_mul_f32_e32 v19, v12, v17
	v_fmac_f32_e32 v19, v13, v16
	v_add_f32_e32 v26, v18, v19
	ds_read2_b64 v[18:21], v118 offset0:79 offset1:80
	v_fma_f32 v3, v4, v8, -v3
	v_add_f32_e32 v2, v2, v3
	v_mul_f32_e32 v3, v11, v15
	v_fma_f32 v3, v10, v14, -v3
	s_waitcnt vmcnt(17) lgkmcnt(0)
	v_mul_f32_e32 v27, v18, v23
	v_fmac_f32_e32 v27, v19, v22
	v_add_f32_e32 v26, v26, v27
	v_mul_f32_e32 v27, v20, v25
	v_fmac_f32_e32 v27, v21, v24
	v_add_f32_e32 v34, v26, v27
	ds_read2_b64 v[26:29], v118 offset0:81 offset1:82
	v_add_f32_e32 v2, v2, v3
	v_mul_f32_e32 v3, v13, v17
	v_fma_f32 v3, v12, v16, -v3
	v_add_f32_e32 v2, v2, v3
	s_waitcnt vmcnt(16) lgkmcnt(0)
	v_mul_f32_e32 v35, v26, v31
	v_fmac_f32_e32 v35, v27, v30
	v_add_f32_e32 v34, v34, v35
	v_mul_f32_e32 v35, v28, v33
	v_fmac_f32_e32 v35, v29, v32
	v_add_f32_e32 v42, v34, v35
	ds_read2_b64 v[34:37], v118 offset0:83 offset1:84
	v_mul_f32_e32 v3, v19, v23
	v_fma_f32 v3, v18, v22, -v3
	v_add_f32_e32 v2, v2, v3
	v_mul_f32_e32 v3, v21, v25
	s_waitcnt vmcnt(15) lgkmcnt(0)
	v_mul_f32_e32 v43, v34, v39
	v_fmac_f32_e32 v43, v35, v38
	v_add_f32_e32 v42, v42, v43
	v_mul_f32_e32 v43, v36, v41
	v_fmac_f32_e32 v43, v37, v40
	v_add_f32_e32 v50, v42, v43
	ds_read2_b64 v[42:45], v118 offset0:85 offset1:86
	v_fma_f32 v3, v20, v24, -v3
	v_add_f32_e32 v2, v2, v3
	v_mul_f32_e32 v3, v27, v31
	v_fma_f32 v3, v26, v30, -v3
	s_waitcnt vmcnt(14) lgkmcnt(0)
	v_mul_f32_e32 v51, v42, v47
	v_fmac_f32_e32 v51, v43, v46
	v_add_f32_e32 v50, v50, v51
	v_mul_f32_e32 v51, v44, v49
	v_fmac_f32_e32 v51, v45, v48
	v_add_f32_e32 v58, v50, v51
	ds_read2_b64 v[50:53], v118 offset0:87 offset1:88
	v_add_f32_e32 v2, v2, v3
	v_mul_f32_e32 v3, v29, v33
	v_fma_f32 v3, v28, v32, -v3
	v_add_f32_e32 v2, v2, v3
	s_waitcnt vmcnt(13) lgkmcnt(0)
	v_mul_f32_e32 v59, v50, v55
	v_fmac_f32_e32 v59, v51, v54
	v_add_f32_e32 v58, v58, v59
	v_mul_f32_e32 v59, v52, v57
	v_fmac_f32_e32 v59, v53, v56
	v_add_f32_e32 v66, v58, v59
	ds_read2_b64 v[58:61], v118 offset0:89 offset1:90
	v_mul_f32_e32 v3, v35, v39
	v_fma_f32 v3, v34, v38, -v3
	v_add_f32_e32 v2, v2, v3
	v_mul_f32_e32 v3, v37, v41
	;; [unrolled: 36-line block ×5, first 2 shown]
	s_waitcnt vmcnt(3) lgkmcnt(0)
	v_mul_f32_e32 v140, v132, v137
	v_fmac_f32_e32 v140, v133, v136
	v_add_f32_e32 v119, v119, v140
	v_mul_f32_e32 v140, v134, v139
	v_fmac_f32_e32 v140, v135, v138
	v_add_f32_e32 v119, v119, v140
	ds_read2_b64 v[140:143], v118 offset0:109 offset1:110
	scratch_load_dwordx4 v[184:187], off, off offset:424
	scratch_load_dwordx4 v[188:191], off, off offset:440
	;; [unrolled: 1-line block ×4, first 2 shown]
	v_fma_f32 v3, v84, v88, -v3
	v_add_f32_e32 v2, v2, v3
	v_mul_f32_e32 v3, v91, v95
	v_fma_f32 v3, v90, v94, -v3
	v_add_f32_e32 v2, v2, v3
	v_mul_f32_e32 v3, v93, v97
	;; [unrolled: 3-line block ×12, first 2 shown]
	v_fma_f32 v3, v134, v138, -v3
	s_waitcnt vmcnt(6) lgkmcnt(0)
	v_mul_f32_e32 v148, v140, v145
	v_add_f32_e32 v2, v2, v3
	v_mul_f32_e32 v3, v141, v145
	v_fmac_f32_e32 v148, v141, v144
	v_fma_f32 v3, v140, v144, -v3
	v_add_f32_e32 v119, v119, v148
	v_mul_f32_e32 v148, v142, v147
	v_add_f32_e32 v2, v2, v3
	v_mul_f32_e32 v3, v143, v147
	v_fmac_f32_e32 v148, v143, v146
	v_fma_f32 v3, v142, v146, -v3
	v_add_f32_e32 v119, v119, v148
	s_waitcnt vmcnt(5)
	v_mul_f32_e32 v148, v168, v173
	v_add_f32_e32 v2, v2, v3
	v_mul_f32_e32 v3, v169, v173
	v_fmac_f32_e32 v148, v169, v172
	v_fma_f32 v3, v168, v172, -v3
	v_add_f32_e32 v119, v119, v148
	v_mul_f32_e32 v148, v170, v175
	v_add_f32_e32 v2, v2, v3
	v_mul_f32_e32 v3, v171, v175
	v_fmac_f32_e32 v148, v171, v174
	v_fma_f32 v3, v170, v174, -v3
	v_add_f32_e32 v149, v119, v148
	v_add_f32_e32 v148, v2, v3
	s_waitcnt vmcnt(4)
	v_mul_f32_e32 v2, v177, v181
	v_fma_f32 v200, v176, v180, -v2
	v_mul_f32_e32 v2, v179, v183
	v_fma_f32 v202, v178, v182, -v2
	ds_read2_b64 v[2:5], v118 offset0:115 offset1:116
	ds_read2_b64 v[6:9], v118 offset0:117 offset1:118
	;; [unrolled: 1-line block ×4, first 2 shown]
	v_mul_f32_e32 v201, v176, v181
	v_fmac_f32_e32 v201, v177, v180
	v_mul_f32_e32 v203, v178, v183
	v_fmac_f32_e32 v203, v179, v182
	v_pk_add_f32 v[18:19], v[148:149], v[200:201]
	s_waitcnt vmcnt(3) lgkmcnt(3)
	v_pk_mul_f32 v[20:21], v[2:3], v[184:185] op_sel:[1,1] op_sel_hi:[0,1]
	v_pk_fma_f32 v[22:23], v[2:3], v[184:185], v[20:21] neg_lo:[0,0,1] neg_hi:[0,0,1]
	v_pk_fma_f32 v[2:3], v[2:3], v[184:185], v[20:21] op_sel_hi:[1,0,1]
	v_pk_add_f32 v[18:19], v[18:19], v[202:203]
	v_mov_b32_e32 v23, v3
	v_pk_add_f32 v[2:3], v[18:19], v[22:23]
	v_mov_b32_e32 v18, v187
	v_pk_mul_f32 v[18:19], v[4:5], v[18:19] op_sel:[1,0] op_sel_hi:[0,0]
	v_pk_fma_f32 v[20:21], v[4:5], v[186:187], v[18:19] neg_lo:[0,0,1] neg_hi:[0,0,1]
	v_pk_fma_f32 v[4:5], v[4:5], v[186:187], v[18:19] op_sel_hi:[1,0,1]
	s_nop 0
	v_mov_b32_e32 v21, v5
	s_waitcnt vmcnt(2) lgkmcnt(2)
	v_pk_mul_f32 v[4:5], v[6:7], v[188:189] op_sel:[1,1] op_sel_hi:[0,1]
	v_pk_fma_f32 v[18:19], v[6:7], v[188:189], v[4:5] neg_lo:[0,0,1] neg_hi:[0,0,1]
	v_pk_fma_f32 v[4:5], v[6:7], v[188:189], v[4:5] op_sel_hi:[1,0,1]
	v_pk_add_f32 v[2:3], v[2:3], v[20:21]
	v_mov_b32_e32 v4, v191
	v_mov_b32_e32 v19, v5
	v_pk_mul_f32 v[4:5], v[8:9], v[4:5] op_sel:[1,0] op_sel_hi:[0,0]
	v_pk_fma_f32 v[6:7], v[8:9], v[190:191], v[4:5] neg_lo:[0,0,1] neg_hi:[0,0,1]
	v_pk_fma_f32 v[4:5], v[8:9], v[190:191], v[4:5] op_sel_hi:[1,0,1]
	v_pk_add_f32 v[2:3], v[2:3], v[18:19]
	v_mov_b32_e32 v7, v5
	s_waitcnt vmcnt(1) lgkmcnt(1)
	v_pk_mul_f32 v[4:5], v[10:11], v[192:193] op_sel:[1,1] op_sel_hi:[0,1]
	v_pk_add_f32 v[2:3], v[2:3], v[6:7]
	v_pk_fma_f32 v[6:7], v[10:11], v[192:193], v[4:5] neg_lo:[0,0,1] neg_hi:[0,0,1]
	v_pk_fma_f32 v[4:5], v[10:11], v[192:193], v[4:5] op_sel_hi:[1,0,1]
	s_nop 0
	v_mov_b32_e32 v4, v195
	v_mov_b32_e32 v7, v5
	v_pk_mul_f32 v[4:5], v[12:13], v[4:5] op_sel:[1,0] op_sel_hi:[0,0]
	v_pk_add_f32 v[2:3], v[2:3], v[6:7]
	v_pk_fma_f32 v[6:7], v[12:13], v[194:195], v[4:5] neg_lo:[0,0,1] neg_hi:[0,0,1]
	v_pk_fma_f32 v[4:5], v[12:13], v[194:195], v[4:5] op_sel_hi:[1,0,1]
	s_nop 0
	v_mov_b32_e32 v7, v5
	s_waitcnt vmcnt(0) lgkmcnt(0)
	v_pk_mul_f32 v[4:5], v[14:15], v[196:197] op_sel:[1,1] op_sel_hi:[0,1]
	v_pk_add_f32 v[2:3], v[2:3], v[6:7]
	v_pk_fma_f32 v[6:7], v[14:15], v[196:197], v[4:5] neg_lo:[0,0,1] neg_hi:[0,0,1]
	v_pk_fma_f32 v[4:5], v[14:15], v[196:197], v[4:5] op_sel_hi:[1,0,1]
	s_nop 0
	v_mov_b32_e32 v4, v199
	v_mov_b32_e32 v7, v5
	v_pk_mul_f32 v[4:5], v[16:17], v[4:5] op_sel:[1,0] op_sel_hi:[0,0]
	v_pk_add_f32 v[2:3], v[2:3], v[6:7]
	v_pk_fma_f32 v[6:7], v[16:17], v[198:199], v[4:5] neg_lo:[0,0,1] neg_hi:[0,0,1]
	v_pk_fma_f32 v[4:5], v[16:17], v[198:199], v[4:5] op_sel_hi:[1,0,1]
	s_nop 0
	v_mov_b32_e32 v7, v5
	scratch_load_dwordx2 v[4:5], off, off offset:96
	v_pk_add_f32 v[2:3], v[2:3], v[6:7]
	s_waitcnt vmcnt(0)
	v_pk_add_f32 v[2:3], v[4:5], v[2:3] neg_lo:[0,1] neg_hi:[0,1]
	scratch_store_dwordx2 off, v[2:3], off offset:96
	s_and_saveexec_b64 s[0:1], vcc
	s_cbranch_execz .LBB124_357
; %bb.356:
	scratch_load_dwordx2 v[2:3], off, off offset:88
	v_mov_b32_e32 v4, 0
	v_mov_b32_e32 v5, v4
	scratch_store_dwordx2 off, v[4:5], off offset:88
	s_waitcnt vmcnt(1)
	ds_write_b64 v1, v[2:3]
.LBB124_357:
	s_or_b64 exec, exec, s[0:1]
	v_mov_b32_e32 v134, 0
	s_waitcnt lgkmcnt(0)
	; wave barrier
	ds_read_b128 v[14:17], v134 offset:592
	ds_read_b128 v[10:13], v134 offset:608
	;; [unrolled: 1-line block ×4, first 2 shown]
	scratch_load_dwordx4 v[18:21], off, off offset:96
	scratch_load_dwordx4 v[38:41], off, off offset:160
	;; [unrolled: 1-line block ×15, first 2 shown]
	v_cmp_lt_u32_e32 vcc, 10, v0
	scratch_load_dwordx4 v[46:49], off, off offset:176
	scratch_load_dwordx4 v[54:57], off, off offset:192
	;; [unrolled: 1-line block ×3, first 2 shown]
	ds_read_b128 v[168:171], v134 offset:880
	ds_read_b128 v[176:179], v134 offset:896
	;; [unrolled: 1-line block ×3, first 2 shown]
	s_waitcnt vmcnt(17) lgkmcnt(6)
	v_mul_f32_e32 v22, v14, v19
	v_fmac_f32_e32 v22, v15, v18
	v_mul_f32_e32 v23, v16, v21
	v_add_f32_e32 v22, 0, v22
	v_fmac_f32_e32 v23, v17, v20
	v_add_f32_e32 v26, v22, v23
	scratch_load_dwordx4 v[22:25], off, off offset:112
	v_mul_f32_e32 v15, v15, v19
	v_fma_f32 v14, v14, v18, -v15
	v_mul_f32_e32 v15, v17, v21
	v_add_f32_e32 v14, 0, v14
	v_fma_f32 v15, v16, v20, -v15
	v_add_f32_e32 v14, v14, v15
	s_waitcnt vmcnt(5) lgkmcnt(1)
	v_mul_f32_e32 v205, v178, v183
	s_waitcnt vmcnt(4)
	v_mov_b32_e32 v18, v191
	v_fmac_f32_e32 v205, v179, v182
	s_waitcnt lgkmcnt(0)
	v_mul_f32_e32 v207, v184, v189
	v_pk_mul_f32 v[18:19], v[186:187], v[18:19] op_sel:[1,0] op_sel_hi:[0,0]
	v_fmac_f32_e32 v207, v185, v188
	v_pk_fma_f32 v[20:21], v[186:187], v[190:191], v[18:19] neg_lo:[0,0,1] neg_hi:[0,0,1]
	v_pk_fma_f32 v[18:19], v[186:187], v[190:191], v[18:19] op_sel_hi:[1,0,1]
	s_waitcnt vmcnt(0)
	v_mul_f32_e32 v27, v10, v23
	v_fmac_f32_e32 v27, v11, v22
	v_add_f32_e32 v26, v26, v27
	v_mul_f32_e32 v27, v12, v25
	v_fmac_f32_e32 v27, v13, v24
	v_add_f32_e32 v30, v26, v27
	scratch_load_dwordx4 v[26:29], off, off offset:128
	v_mul_f32_e32 v11, v11, v23
	v_fma_f32 v10, v10, v22, -v11
	v_mul_f32_e32 v11, v13, v25
	v_add_f32_e32 v10, v14, v10
	v_fma_f32 v11, v12, v24, -v11
	v_add_f32_e32 v10, v10, v11
	v_mov_b32_e32 v21, v19
	s_waitcnt vmcnt(0)
	v_mul_f32_e32 v31, v6, v27
	v_fmac_f32_e32 v31, v7, v26
	v_add_f32_e32 v30, v30, v31
	v_mul_f32_e32 v31, v8, v29
	v_fmac_f32_e32 v31, v9, v28
	v_add_f32_e32 v34, v30, v31
	scratch_load_dwordx4 v[30:33], off, off offset:144
	v_mul_f32_e32 v7, v7, v27
	v_fma_f32 v6, v6, v26, -v7
	v_mul_f32_e32 v7, v9, v29
	v_add_f32_e32 v6, v10, v6
	v_fma_f32 v7, v8, v28, -v7
	v_add_f32_e32 v6, v6, v7
	s_waitcnt vmcnt(0)
	v_mul_f32_e32 v35, v2, v31
	v_fmac_f32_e32 v35, v3, v30
	v_add_f32_e32 v34, v34, v35
	v_mul_f32_e32 v35, v4, v33
	v_fmac_f32_e32 v35, v5, v32
	v_add_f32_e32 v42, v34, v35
	ds_read_b128 v[34:37], v134 offset:656
	v_mul_f32_e32 v3, v3, v31
	v_fma_f32 v2, v2, v30, -v3
	v_mul_f32_e32 v3, v5, v33
	v_add_f32_e32 v2, v6, v2
	s_waitcnt lgkmcnt(0)
	v_mul_f32_e32 v43, v34, v39
	v_fmac_f32_e32 v43, v35, v38
	v_add_f32_e32 v42, v42, v43
	v_mul_f32_e32 v43, v36, v41
	v_fmac_f32_e32 v43, v37, v40
	v_add_f32_e32 v50, v42, v43
	ds_read_b128 v[42:45], v134 offset:672
	v_fma_f32 v3, v4, v32, -v3
	v_add_f32_e32 v2, v2, v3
	v_mul_f32_e32 v3, v35, v39
	v_fma_f32 v3, v34, v38, -v3
	s_waitcnt lgkmcnt(0)
	v_mul_f32_e32 v51, v42, v47
	v_fmac_f32_e32 v51, v43, v46
	v_add_f32_e32 v50, v50, v51
	v_mul_f32_e32 v51, v44, v49
	v_fmac_f32_e32 v51, v45, v48
	v_add_f32_e32 v58, v50, v51
	ds_read_b128 v[50:53], v134 offset:688
	v_add_f32_e32 v2, v2, v3
	v_mul_f32_e32 v3, v37, v41
	v_fma_f32 v3, v36, v40, -v3
	v_add_f32_e32 v2, v2, v3
	s_waitcnt lgkmcnt(0)
	v_mul_f32_e32 v59, v50, v55
	v_fmac_f32_e32 v59, v51, v54
	v_add_f32_e32 v58, v58, v59
	v_mul_f32_e32 v59, v52, v57
	v_fmac_f32_e32 v59, v53, v56
	v_add_f32_e32 v66, v58, v59
	ds_read_b128 v[58:61], v134 offset:704
	v_mul_f32_e32 v3, v43, v47
	v_fma_f32 v3, v42, v46, -v3
	v_add_f32_e32 v2, v2, v3
	v_mul_f32_e32 v3, v45, v49
	s_waitcnt lgkmcnt(0)
	v_mul_f32_e32 v67, v58, v63
	v_fmac_f32_e32 v67, v59, v62
	v_add_f32_e32 v66, v66, v67
	v_mul_f32_e32 v67, v60, v65
	v_fmac_f32_e32 v67, v61, v64
	v_add_f32_e32 v74, v66, v67
	ds_read_b128 v[66:69], v134 offset:720
	v_fma_f32 v3, v44, v48, -v3
	v_add_f32_e32 v2, v2, v3
	v_mul_f32_e32 v3, v51, v55
	v_fma_f32 v3, v50, v54, -v3
	s_waitcnt lgkmcnt(0)
	v_mul_f32_e32 v75, v66, v71
	v_fmac_f32_e32 v75, v67, v70
	v_add_f32_e32 v74, v74, v75
	v_mul_f32_e32 v75, v68, v73
	v_fmac_f32_e32 v75, v69, v72
	v_add_f32_e32 v82, v74, v75
	ds_read_b128 v[74:77], v134 offset:736
	v_add_f32_e32 v2, v2, v3
	v_mul_f32_e32 v3, v53, v57
	v_fma_f32 v3, v52, v56, -v3
	v_add_f32_e32 v2, v2, v3
	s_waitcnt lgkmcnt(0)
	v_mul_f32_e32 v83, v74, v79
	v_fmac_f32_e32 v83, v75, v78
	v_add_f32_e32 v82, v82, v83
	v_mul_f32_e32 v83, v76, v81
	v_fmac_f32_e32 v83, v77, v80
	v_add_f32_e32 v90, v82, v83
	ds_read_b128 v[82:85], v134 offset:752
	v_mul_f32_e32 v3, v59, v63
	v_fma_f32 v3, v58, v62, -v3
	v_add_f32_e32 v2, v2, v3
	v_mul_f32_e32 v3, v61, v65
	;; [unrolled: 36-line block ×4, first 2 shown]
	s_waitcnt lgkmcnt(0)
	v_mul_f32_e32 v140, v130, v137
	v_fmac_f32_e32 v140, v131, v136
	v_add_f32_e32 v135, v135, v140
	v_mul_f32_e32 v140, v132, v139
	v_fmac_f32_e32 v140, v133, v138
	v_add_f32_e32 v135, v135, v140
	ds_read_b128 v[140:143], v134 offset:864
	scratch_load_dwordx4 v[192:195], off, off offset:432
	scratch_load_dwordx4 v[196:199], off, off offset:448
	;; [unrolled: 1-line block ×3, first 2 shown]
	scratch_load_dwordx2 v[208:209], off, off offset:480
	v_fma_f32 v3, v92, v96, -v3
	v_add_f32_e32 v2, v2, v3
	v_mul_f32_e32 v3, v99, v103
	v_fma_f32 v3, v98, v102, -v3
	v_add_f32_e32 v2, v2, v3
	v_mul_f32_e32 v3, v101, v105
	;; [unrolled: 3-line block ×10, first 2 shown]
	v_fma_f32 v3, v132, v138, -v3
	s_waitcnt lgkmcnt(0)
	v_mul_f32_e32 v148, v140, v145
	v_add_f32_e32 v2, v2, v3
	v_mul_f32_e32 v3, v141, v145
	v_fmac_f32_e32 v148, v141, v144
	v_fma_f32 v3, v140, v144, -v3
	v_add_f32_e32 v135, v135, v148
	v_mul_f32_e32 v148, v142, v147
	v_add_f32_e32 v2, v2, v3
	v_mul_f32_e32 v3, v143, v147
	v_fmac_f32_e32 v148, v143, v146
	v_fma_f32 v3, v142, v146, -v3
	v_add_f32_e32 v135, v135, v148
	;; [unrolled: 6-line block ×5, first 2 shown]
	v_add_f32_e32 v148, v2, v3
	v_mul_f32_e32 v2, v179, v183
	v_fma_f32 v204, v178, v182, -v2
	v_mul_f32_e32 v2, v185, v189
	v_fma_f32 v206, v184, v188, -v2
	ds_read_b128 v[2:5], v134 offset:928
	ds_read_b128 v[6:9], v134 offset:944
	;; [unrolled: 1-line block ×3, first 2 shown]
	ds_read_b64 v[14:15], v134 offset:976
	v_pk_add_f32 v[16:17], v[148:149], v[204:205]
	s_waitcnt vmcnt(3) lgkmcnt(3)
	v_pk_mul_f32 v[18:19], v[2:3], v[192:193] op_sel:[1,1] op_sel_hi:[0,1]
	v_pk_add_f32 v[16:17], v[16:17], v[206:207]
	s_nop 0
	v_pk_add_f32 v[16:17], v[16:17], v[20:21]
	v_pk_fma_f32 v[20:21], v[2:3], v[192:193], v[18:19] neg_lo:[0,0,1] neg_hi:[0,0,1]
	v_pk_fma_f32 v[2:3], v[2:3], v[192:193], v[18:19] op_sel_hi:[1,0,1]
	s_nop 0
	v_mov_b32_e32 v21, v3
	v_pk_add_f32 v[2:3], v[16:17], v[20:21]
	v_mov_b32_e32 v16, v195
	v_pk_mul_f32 v[16:17], v[4:5], v[16:17] op_sel:[1,0] op_sel_hi:[0,0]
	v_pk_fma_f32 v[18:19], v[4:5], v[194:195], v[16:17] neg_lo:[0,0,1] neg_hi:[0,0,1]
	v_pk_fma_f32 v[4:5], v[4:5], v[194:195], v[16:17] op_sel_hi:[1,0,1]
	s_nop 0
	v_mov_b32_e32 v19, v5
	s_waitcnt vmcnt(2) lgkmcnt(2)
	v_pk_mul_f32 v[4:5], v[6:7], v[196:197] op_sel:[1,1] op_sel_hi:[0,1]
	v_pk_fma_f32 v[16:17], v[6:7], v[196:197], v[4:5] neg_lo:[0,0,1] neg_hi:[0,0,1]
	v_pk_fma_f32 v[4:5], v[6:7], v[196:197], v[4:5] op_sel_hi:[1,0,1]
	v_pk_add_f32 v[2:3], v[2:3], v[18:19]
	v_mov_b32_e32 v4, v199
	v_mov_b32_e32 v17, v5
	v_pk_mul_f32 v[4:5], v[8:9], v[4:5] op_sel:[1,0] op_sel_hi:[0,0]
	v_pk_fma_f32 v[6:7], v[8:9], v[198:199], v[4:5] neg_lo:[0,0,1] neg_hi:[0,0,1]
	v_pk_fma_f32 v[4:5], v[8:9], v[198:199], v[4:5] op_sel_hi:[1,0,1]
	v_pk_add_f32 v[2:3], v[2:3], v[16:17]
	v_mov_b32_e32 v7, v5
	s_waitcnt vmcnt(1) lgkmcnt(1)
	v_pk_mul_f32 v[4:5], v[10:11], v[200:201] op_sel:[1,1] op_sel_hi:[0,1]
	v_pk_add_f32 v[2:3], v[2:3], v[6:7]
	v_pk_fma_f32 v[6:7], v[10:11], v[200:201], v[4:5] neg_lo:[0,0,1] neg_hi:[0,0,1]
	v_pk_fma_f32 v[4:5], v[10:11], v[200:201], v[4:5] op_sel_hi:[1,0,1]
	s_nop 0
	v_mov_b32_e32 v4, v203
	v_mov_b32_e32 v7, v5
	v_pk_mul_f32 v[4:5], v[12:13], v[4:5] op_sel:[1,0] op_sel_hi:[0,0]
	v_pk_add_f32 v[2:3], v[2:3], v[6:7]
	v_pk_fma_f32 v[6:7], v[12:13], v[202:203], v[4:5] neg_lo:[0,0,1] neg_hi:[0,0,1]
	v_pk_fma_f32 v[4:5], v[12:13], v[202:203], v[4:5] op_sel_hi:[1,0,1]
	s_nop 0
	v_mov_b32_e32 v7, v5
	s_waitcnt vmcnt(0) lgkmcnt(0)
	v_pk_mul_f32 v[4:5], v[14:15], v[208:209] op_sel:[1,1] op_sel_hi:[0,1]
	v_pk_add_f32 v[2:3], v[2:3], v[6:7]
	v_pk_fma_f32 v[6:7], v[14:15], v[208:209], v[4:5] neg_lo:[0,0,1] neg_hi:[0,0,1]
	v_pk_fma_f32 v[4:5], v[14:15], v[208:209], v[4:5] op_sel_hi:[1,0,1]
	s_nop 0
	v_mov_b32_e32 v7, v5
	scratch_load_dwordx2 v[4:5], off, off offset:88
	v_pk_add_f32 v[2:3], v[2:3], v[6:7]
	s_waitcnt vmcnt(0)
	v_pk_add_f32 v[2:3], v[4:5], v[2:3] neg_lo:[0,1] neg_hi:[0,1]
	scratch_store_dwordx2 off, v[2:3], off offset:88
	s_and_saveexec_b64 s[0:1], vcc
	s_cbranch_execz .LBB124_359
; %bb.358:
	scratch_load_dwordx2 v[2:3], off, off offset:80
	v_mov_b32_e32 v135, v134
	scratch_store_dwordx2 off, v[134:135], off offset:80
	s_waitcnt vmcnt(1)
	ds_write_b64 v1, v[2:3]
.LBB124_359:
	s_or_b64 exec, exec, s[0:1]
	s_waitcnt lgkmcnt(0)
	; wave barrier
	scratch_load_dwordx4 v[6:9], off, off offset:88
	scratch_load_dwordx4 v[14:17], off, off offset:104
	;; [unrolled: 1-line block ×10, first 2 shown]
	ds_read2_b64 v[2:5], v134 offset0:73 offset1:74
	ds_read2_b64 v[168:171], v134 offset0:109 offset1:110
	scratch_load_dwordx4 v[86:89], off, off offset:248
	scratch_load_dwordx4 v[94:97], off, off offset:264
	;; [unrolled: 1-line block ×11, first 2 shown]
	v_cmp_lt_u32_e32 vcc, 9, v0
	ds_read2_b64 v[176:179], v134 offset0:111 offset1:112
	ds_read2_b64 v[184:187], v134 offset0:113 offset1:114
	s_waitcnt vmcnt(20) lgkmcnt(3)
	v_mul_f32_e32 v10, v2, v7
	v_fmac_f32_e32 v10, v3, v6
	v_mul_f32_e32 v11, v4, v9
	v_add_f32_e32 v10, 0, v10
	v_fmac_f32_e32 v11, v5, v8
	v_add_f32_e32 v18, v10, v11
	ds_read2_b64 v[10:13], v134 offset0:75 offset1:76
	v_mul_f32_e32 v3, v3, v7
	v_fma_f32 v2, v2, v6, -v3
	v_mul_f32_e32 v3, v5, v9
	v_add_f32_e32 v2, 0, v2
	s_waitcnt vmcnt(19) lgkmcnt(0)
	v_mul_f32_e32 v19, v10, v15
	v_fmac_f32_e32 v19, v11, v14
	v_add_f32_e32 v18, v18, v19
	v_mul_f32_e32 v19, v12, v17
	v_fmac_f32_e32 v19, v13, v16
	v_add_f32_e32 v26, v18, v19
	ds_read2_b64 v[18:21], v134 offset0:77 offset1:78
	v_fma_f32 v3, v4, v8, -v3
	v_add_f32_e32 v2, v2, v3
	v_mul_f32_e32 v3, v11, v15
	v_fma_f32 v3, v10, v14, -v3
	s_waitcnt vmcnt(18) lgkmcnt(0)
	v_mul_f32_e32 v27, v18, v23
	v_fmac_f32_e32 v27, v19, v22
	v_add_f32_e32 v26, v26, v27
	v_mul_f32_e32 v27, v20, v25
	v_fmac_f32_e32 v27, v21, v24
	v_add_f32_e32 v34, v26, v27
	ds_read2_b64 v[26:29], v134 offset0:79 offset1:80
	v_add_f32_e32 v2, v2, v3
	v_mul_f32_e32 v3, v13, v17
	v_fma_f32 v3, v12, v16, -v3
	v_add_f32_e32 v2, v2, v3
	s_waitcnt vmcnt(17) lgkmcnt(0)
	v_mul_f32_e32 v35, v26, v31
	v_fmac_f32_e32 v35, v27, v30
	v_add_f32_e32 v34, v34, v35
	v_mul_f32_e32 v35, v28, v33
	v_fmac_f32_e32 v35, v29, v32
	v_add_f32_e32 v42, v34, v35
	ds_read2_b64 v[34:37], v134 offset0:81 offset1:82
	v_mul_f32_e32 v3, v19, v23
	v_fma_f32 v3, v18, v22, -v3
	v_add_f32_e32 v2, v2, v3
	v_mul_f32_e32 v3, v21, v25
	s_waitcnt vmcnt(16) lgkmcnt(0)
	v_mul_f32_e32 v43, v34, v39
	v_fmac_f32_e32 v43, v35, v38
	v_add_f32_e32 v42, v42, v43
	v_mul_f32_e32 v43, v36, v41
	v_fmac_f32_e32 v43, v37, v40
	v_add_f32_e32 v50, v42, v43
	ds_read2_b64 v[42:45], v134 offset0:83 offset1:84
	v_fma_f32 v3, v20, v24, -v3
	v_add_f32_e32 v2, v2, v3
	v_mul_f32_e32 v3, v27, v31
	v_fma_f32 v3, v26, v30, -v3
	s_waitcnt vmcnt(15) lgkmcnt(0)
	v_mul_f32_e32 v51, v42, v47
	v_fmac_f32_e32 v51, v43, v46
	v_add_f32_e32 v50, v50, v51
	v_mul_f32_e32 v51, v44, v49
	v_fmac_f32_e32 v51, v45, v48
	v_add_f32_e32 v58, v50, v51
	ds_read2_b64 v[50:53], v134 offset0:85 offset1:86
	v_add_f32_e32 v2, v2, v3
	v_mul_f32_e32 v3, v29, v33
	v_fma_f32 v3, v28, v32, -v3
	v_add_f32_e32 v2, v2, v3
	s_waitcnt vmcnt(14) lgkmcnt(0)
	v_mul_f32_e32 v59, v50, v55
	v_fmac_f32_e32 v59, v51, v54
	v_add_f32_e32 v58, v58, v59
	v_mul_f32_e32 v59, v52, v57
	v_fmac_f32_e32 v59, v53, v56
	v_add_f32_e32 v66, v58, v59
	ds_read2_b64 v[58:61], v134 offset0:87 offset1:88
	v_mul_f32_e32 v3, v35, v39
	v_fma_f32 v3, v34, v38, -v3
	v_add_f32_e32 v2, v2, v3
	v_mul_f32_e32 v3, v37, v41
	;; [unrolled: 36-line block ×5, first 2 shown]
	s_waitcnt vmcnt(4) lgkmcnt(0)
	v_mul_f32_e32 v140, v130, v137
	v_fmac_f32_e32 v140, v131, v136
	v_add_f32_e32 v135, v135, v140
	v_mul_f32_e32 v140, v132, v139
	v_fmac_f32_e32 v140, v133, v138
	v_add_f32_e32 v135, v135, v140
	ds_read2_b64 v[140:143], v134 offset0:107 offset1:108
	scratch_load_dwordx4 v[192:195], off, off offset:424
	scratch_load_dwordx4 v[196:199], off, off offset:440
	;; [unrolled: 1-line block ×4, first 2 shown]
	v_fma_f32 v3, v84, v88, -v3
	v_add_f32_e32 v2, v2, v3
	v_mul_f32_e32 v3, v91, v95
	v_fma_f32 v3, v90, v94, -v3
	v_add_f32_e32 v2, v2, v3
	v_mul_f32_e32 v3, v93, v97
	;; [unrolled: 3-line block ×12, first 2 shown]
	v_fma_f32 v3, v132, v138, -v3
	s_waitcnt vmcnt(7) lgkmcnt(0)
	v_mul_f32_e32 v148, v140, v145
	v_add_f32_e32 v2, v2, v3
	v_mul_f32_e32 v3, v141, v145
	v_fmac_f32_e32 v148, v141, v144
	v_fma_f32 v3, v140, v144, -v3
	v_add_f32_e32 v135, v135, v148
	v_mul_f32_e32 v148, v142, v147
	v_add_f32_e32 v2, v2, v3
	v_mul_f32_e32 v3, v143, v147
	v_fmac_f32_e32 v148, v143, v146
	v_fma_f32 v3, v142, v146, -v3
	v_add_f32_e32 v135, v135, v148
	s_waitcnt vmcnt(6)
	v_mul_f32_e32 v148, v168, v173
	v_add_f32_e32 v2, v2, v3
	v_mul_f32_e32 v3, v169, v173
	v_fmac_f32_e32 v148, v169, v172
	v_fma_f32 v3, v168, v172, -v3
	v_add_f32_e32 v135, v135, v148
	v_mul_f32_e32 v148, v170, v175
	v_add_f32_e32 v2, v2, v3
	v_mul_f32_e32 v3, v171, v175
	v_fmac_f32_e32 v148, v171, v174
	v_fma_f32 v3, v170, v174, -v3
	v_add_f32_e32 v135, v135, v148
	s_waitcnt vmcnt(5)
	v_mul_f32_e32 v148, v176, v181
	v_add_f32_e32 v2, v2, v3
	v_mul_f32_e32 v3, v177, v181
	v_fmac_f32_e32 v148, v177, v180
	v_fma_f32 v3, v176, v180, -v3
	v_add_f32_e32 v135, v135, v148
	v_mul_f32_e32 v148, v178, v183
	v_add_f32_e32 v2, v2, v3
	v_mul_f32_e32 v3, v179, v183
	v_fmac_f32_e32 v148, v179, v182
	v_fma_f32 v3, v178, v182, -v3
	v_add_f32_e32 v149, v135, v148
	v_add_f32_e32 v148, v2, v3
	s_waitcnt vmcnt(4)
	v_mul_f32_e32 v2, v185, v189
	v_fma_f32 v208, v184, v188, -v2
	v_mul_f32_e32 v2, v187, v191
	v_fma_f32 v210, v186, v190, -v2
	ds_read2_b64 v[2:5], v134 offset0:115 offset1:116
	ds_read2_b64 v[6:9], v134 offset0:117 offset1:118
	;; [unrolled: 1-line block ×4, first 2 shown]
	v_mul_f32_e32 v209, v184, v189
	v_fmac_f32_e32 v209, v185, v188
	v_mul_f32_e32 v211, v186, v191
	s_waitcnt vmcnt(3) lgkmcnt(3)
	v_pk_mul_f32 v[20:21], v[2:3], v[192:193] op_sel:[1,1] op_sel_hi:[0,1]
	v_fmac_f32_e32 v211, v187, v190
	v_pk_add_f32 v[18:19], v[148:149], v[208:209]
	v_pk_fma_f32 v[22:23], v[2:3], v[192:193], v[20:21] neg_lo:[0,0,1] neg_hi:[0,0,1]
	v_pk_fma_f32 v[2:3], v[2:3], v[192:193], v[20:21] op_sel_hi:[1,0,1]
	v_pk_add_f32 v[18:19], v[18:19], v[210:211]
	v_mov_b32_e32 v23, v3
	v_pk_add_f32 v[2:3], v[18:19], v[22:23]
	v_mov_b32_e32 v18, v195
	v_pk_mul_f32 v[18:19], v[4:5], v[18:19] op_sel:[1,0] op_sel_hi:[0,0]
	v_pk_fma_f32 v[20:21], v[4:5], v[194:195], v[18:19] neg_lo:[0,0,1] neg_hi:[0,0,1]
	v_pk_fma_f32 v[4:5], v[4:5], v[194:195], v[18:19] op_sel_hi:[1,0,1]
	s_nop 0
	v_mov_b32_e32 v21, v5
	s_waitcnt vmcnt(2) lgkmcnt(2)
	v_pk_mul_f32 v[4:5], v[6:7], v[196:197] op_sel:[1,1] op_sel_hi:[0,1]
	v_pk_fma_f32 v[18:19], v[6:7], v[196:197], v[4:5] neg_lo:[0,0,1] neg_hi:[0,0,1]
	v_pk_fma_f32 v[4:5], v[6:7], v[196:197], v[4:5] op_sel_hi:[1,0,1]
	v_pk_add_f32 v[2:3], v[2:3], v[20:21]
	v_mov_b32_e32 v4, v199
	v_mov_b32_e32 v19, v5
	v_pk_mul_f32 v[4:5], v[8:9], v[4:5] op_sel:[1,0] op_sel_hi:[0,0]
	v_pk_fma_f32 v[6:7], v[8:9], v[198:199], v[4:5] neg_lo:[0,0,1] neg_hi:[0,0,1]
	v_pk_fma_f32 v[4:5], v[8:9], v[198:199], v[4:5] op_sel_hi:[1,0,1]
	v_pk_add_f32 v[2:3], v[2:3], v[18:19]
	v_mov_b32_e32 v7, v5
	s_waitcnt vmcnt(1) lgkmcnt(1)
	v_pk_mul_f32 v[4:5], v[10:11], v[200:201] op_sel:[1,1] op_sel_hi:[0,1]
	v_pk_add_f32 v[2:3], v[2:3], v[6:7]
	v_pk_fma_f32 v[6:7], v[10:11], v[200:201], v[4:5] neg_lo:[0,0,1] neg_hi:[0,0,1]
	v_pk_fma_f32 v[4:5], v[10:11], v[200:201], v[4:5] op_sel_hi:[1,0,1]
	s_nop 0
	v_mov_b32_e32 v4, v203
	v_mov_b32_e32 v7, v5
	v_pk_mul_f32 v[4:5], v[12:13], v[4:5] op_sel:[1,0] op_sel_hi:[0,0]
	v_pk_add_f32 v[2:3], v[2:3], v[6:7]
	v_pk_fma_f32 v[6:7], v[12:13], v[202:203], v[4:5] neg_lo:[0,0,1] neg_hi:[0,0,1]
	v_pk_fma_f32 v[4:5], v[12:13], v[202:203], v[4:5] op_sel_hi:[1,0,1]
	s_nop 0
	v_mov_b32_e32 v7, v5
	s_waitcnt vmcnt(0) lgkmcnt(0)
	v_pk_mul_f32 v[4:5], v[14:15], v[204:205] op_sel:[1,1] op_sel_hi:[0,1]
	v_pk_add_f32 v[2:3], v[2:3], v[6:7]
	v_pk_fma_f32 v[6:7], v[14:15], v[204:205], v[4:5] neg_lo:[0,0,1] neg_hi:[0,0,1]
	v_pk_fma_f32 v[4:5], v[14:15], v[204:205], v[4:5] op_sel_hi:[1,0,1]
	s_nop 0
	v_mov_b32_e32 v4, v207
	v_mov_b32_e32 v7, v5
	v_pk_mul_f32 v[4:5], v[16:17], v[4:5] op_sel:[1,0] op_sel_hi:[0,0]
	v_pk_add_f32 v[2:3], v[2:3], v[6:7]
	v_pk_fma_f32 v[6:7], v[16:17], v[206:207], v[4:5] neg_lo:[0,0,1] neg_hi:[0,0,1]
	v_pk_fma_f32 v[4:5], v[16:17], v[206:207], v[4:5] op_sel_hi:[1,0,1]
	s_nop 0
	v_mov_b32_e32 v7, v5
	scratch_load_dwordx2 v[4:5], off, off offset:80
	v_pk_add_f32 v[2:3], v[2:3], v[6:7]
	s_waitcnt vmcnt(0)
	v_pk_add_f32 v[2:3], v[4:5], v[2:3] neg_lo:[0,1] neg_hi:[0,1]
	scratch_store_dwordx2 off, v[2:3], off offset:80
	s_and_saveexec_b64 s[0:1], vcc
	s_cbranch_execz .LBB124_361
; %bb.360:
	scratch_load_dwordx2 v[2:3], off, off offset:72
	v_mov_b32_e32 v4, 0
	v_mov_b32_e32 v5, v4
	scratch_store_dwordx2 off, v[4:5], off offset:72
	s_waitcnt vmcnt(1)
	ds_write_b64 v1, v[2:3]
.LBB124_361:
	s_or_b64 exec, exec, s[0:1]
	v_mov_b32_e32 v142, 0
	s_waitcnt lgkmcnt(0)
	; wave barrier
	ds_read_b128 v[14:17], v142 offset:576
	ds_read_b128 v[10:13], v142 offset:592
	;; [unrolled: 1-line block ×4, first 2 shown]
	scratch_load_dwordx4 v[18:21], off, off offset:80
	scratch_load_dwordx4 v[38:41], off, off offset:144
	;; [unrolled: 1-line block ×16, first 2 shown]
	v_cmp_lt_u32_e32 vcc, 8, v0
	scratch_load_dwordx4 v[46:49], off, off offset:160
	scratch_load_dwordx4 v[54:57], off, off offset:176
	scratch_load_dwordx4 v[62:65], off, off offset:192
	ds_read_b128 v[168:171], v142 offset:864
	ds_read_b128 v[176:179], v142 offset:880
	;; [unrolled: 1-line block ×4, first 2 shown]
	s_waitcnt vmcnt(18) lgkmcnt(7)
	v_mul_f32_e32 v22, v14, v19
	v_fmac_f32_e32 v22, v15, v18
	v_mul_f32_e32 v23, v16, v21
	v_add_f32_e32 v22, 0, v22
	v_fmac_f32_e32 v23, v17, v20
	v_add_f32_e32 v26, v22, v23
	scratch_load_dwordx4 v[22:25], off, off offset:96
	v_mul_f32_e32 v15, v15, v19
	v_fma_f32 v14, v14, v18, -v15
	v_mul_f32_e32 v15, v17, v21
	v_add_f32_e32 v14, 0, v14
	v_fma_f32 v15, v16, v20, -v15
	v_add_f32_e32 v14, v14, v15
	s_waitcnt vmcnt(5) lgkmcnt(1)
	v_mul_f32_e32 v213, v186, v191
	s_waitcnt vmcnt(4)
	v_mov_b32_e32 v18, v199
	v_fmac_f32_e32 v213, v187, v190
	s_waitcnt lgkmcnt(0)
	v_mul_f32_e32 v215, v192, v197
	v_pk_mul_f32 v[18:19], v[194:195], v[18:19] op_sel:[1,0] op_sel_hi:[0,0]
	v_fmac_f32_e32 v215, v193, v196
	v_pk_fma_f32 v[20:21], v[194:195], v[198:199], v[18:19] neg_lo:[0,0,1] neg_hi:[0,0,1]
	v_pk_fma_f32 v[18:19], v[194:195], v[198:199], v[18:19] op_sel_hi:[1,0,1]
	s_waitcnt vmcnt(0)
	v_mul_f32_e32 v27, v10, v23
	v_fmac_f32_e32 v27, v11, v22
	v_add_f32_e32 v26, v26, v27
	v_mul_f32_e32 v27, v12, v25
	v_fmac_f32_e32 v27, v13, v24
	v_add_f32_e32 v30, v26, v27
	scratch_load_dwordx4 v[26:29], off, off offset:112
	v_mul_f32_e32 v11, v11, v23
	v_fma_f32 v10, v10, v22, -v11
	v_mul_f32_e32 v11, v13, v25
	v_add_f32_e32 v10, v14, v10
	v_fma_f32 v11, v12, v24, -v11
	v_add_f32_e32 v10, v10, v11
	v_mov_b32_e32 v21, v19
	s_waitcnt vmcnt(0)
	v_mul_f32_e32 v31, v6, v27
	v_fmac_f32_e32 v31, v7, v26
	v_add_f32_e32 v30, v30, v31
	v_mul_f32_e32 v31, v8, v29
	v_fmac_f32_e32 v31, v9, v28
	v_add_f32_e32 v34, v30, v31
	scratch_load_dwordx4 v[30:33], off, off offset:128
	v_mul_f32_e32 v7, v7, v27
	v_fma_f32 v6, v6, v26, -v7
	v_mul_f32_e32 v7, v9, v29
	v_add_f32_e32 v6, v10, v6
	v_fma_f32 v7, v8, v28, -v7
	v_add_f32_e32 v6, v6, v7
	s_waitcnt vmcnt(0)
	v_mul_f32_e32 v35, v2, v31
	v_fmac_f32_e32 v35, v3, v30
	v_add_f32_e32 v34, v34, v35
	v_mul_f32_e32 v35, v4, v33
	v_fmac_f32_e32 v35, v5, v32
	v_add_f32_e32 v42, v34, v35
	ds_read_b128 v[34:37], v142 offset:640
	v_mul_f32_e32 v3, v3, v31
	v_fma_f32 v2, v2, v30, -v3
	v_mul_f32_e32 v3, v5, v33
	v_add_f32_e32 v2, v6, v2
	s_waitcnt lgkmcnt(0)
	v_mul_f32_e32 v43, v34, v39
	v_fmac_f32_e32 v43, v35, v38
	v_add_f32_e32 v42, v42, v43
	v_mul_f32_e32 v43, v36, v41
	v_fmac_f32_e32 v43, v37, v40
	v_add_f32_e32 v50, v42, v43
	ds_read_b128 v[42:45], v142 offset:656
	v_fma_f32 v3, v4, v32, -v3
	v_add_f32_e32 v2, v2, v3
	v_mul_f32_e32 v3, v35, v39
	v_fma_f32 v3, v34, v38, -v3
	s_waitcnt lgkmcnt(0)
	v_mul_f32_e32 v51, v42, v47
	v_fmac_f32_e32 v51, v43, v46
	v_add_f32_e32 v50, v50, v51
	v_mul_f32_e32 v51, v44, v49
	v_fmac_f32_e32 v51, v45, v48
	v_add_f32_e32 v58, v50, v51
	ds_read_b128 v[50:53], v142 offset:672
	v_add_f32_e32 v2, v2, v3
	v_mul_f32_e32 v3, v37, v41
	v_fma_f32 v3, v36, v40, -v3
	v_add_f32_e32 v2, v2, v3
	s_waitcnt lgkmcnt(0)
	v_mul_f32_e32 v59, v50, v55
	v_fmac_f32_e32 v59, v51, v54
	v_add_f32_e32 v58, v58, v59
	v_mul_f32_e32 v59, v52, v57
	v_fmac_f32_e32 v59, v53, v56
	v_add_f32_e32 v66, v58, v59
	ds_read_b128 v[58:61], v142 offset:688
	v_mul_f32_e32 v3, v43, v47
	v_fma_f32 v3, v42, v46, -v3
	v_add_f32_e32 v2, v2, v3
	v_mul_f32_e32 v3, v45, v49
	s_waitcnt lgkmcnt(0)
	v_mul_f32_e32 v67, v58, v63
	v_fmac_f32_e32 v67, v59, v62
	v_add_f32_e32 v66, v66, v67
	v_mul_f32_e32 v67, v60, v65
	v_fmac_f32_e32 v67, v61, v64
	v_add_f32_e32 v74, v66, v67
	ds_read_b128 v[66:69], v142 offset:704
	v_fma_f32 v3, v44, v48, -v3
	v_add_f32_e32 v2, v2, v3
	v_mul_f32_e32 v3, v51, v55
	v_fma_f32 v3, v50, v54, -v3
	s_waitcnt lgkmcnt(0)
	v_mul_f32_e32 v75, v66, v71
	v_fmac_f32_e32 v75, v67, v70
	v_add_f32_e32 v74, v74, v75
	v_mul_f32_e32 v75, v68, v73
	v_fmac_f32_e32 v75, v69, v72
	v_add_f32_e32 v82, v74, v75
	ds_read_b128 v[74:77], v142 offset:720
	v_add_f32_e32 v2, v2, v3
	v_mul_f32_e32 v3, v53, v57
	v_fma_f32 v3, v52, v56, -v3
	v_add_f32_e32 v2, v2, v3
	s_waitcnt lgkmcnt(0)
	v_mul_f32_e32 v83, v74, v79
	v_fmac_f32_e32 v83, v75, v78
	v_add_f32_e32 v82, v82, v83
	v_mul_f32_e32 v83, v76, v81
	v_fmac_f32_e32 v83, v77, v80
	v_add_f32_e32 v90, v82, v83
	ds_read_b128 v[82:85], v142 offset:736
	v_mul_f32_e32 v3, v59, v63
	v_fma_f32 v3, v58, v62, -v3
	v_add_f32_e32 v2, v2, v3
	v_mul_f32_e32 v3, v61, v65
	;; [unrolled: 36-line block ×4, first 2 shown]
	s_waitcnt lgkmcnt(0)
	v_mul_f32_e32 v139, v130, v135
	v_fmac_f32_e32 v139, v131, v134
	v_add_f32_e32 v138, v138, v139
	v_mul_f32_e32 v139, v132, v137
	v_fmac_f32_e32 v139, v133, v136
	v_add_f32_e32 v143, v138, v139
	ds_read_b128 v[138:141], v142 offset:848
	scratch_load_dwordx4 v[200:203], off, off offset:432
	scratch_load_dwordx4 v[204:207], off, off offset:448
	;; [unrolled: 1-line block ×3, first 2 shown]
	scratch_load_dwordx2 v[216:217], off, off offset:480
	v_fma_f32 v3, v92, v96, -v3
	v_add_f32_e32 v2, v2, v3
	v_mul_f32_e32 v3, v99, v103
	v_fma_f32 v3, v98, v102, -v3
	v_add_f32_e32 v2, v2, v3
	v_mul_f32_e32 v3, v101, v105
	;; [unrolled: 3-line block ×10, first 2 shown]
	v_fma_f32 v3, v132, v136, -v3
	s_waitcnt lgkmcnt(0)
	v_mul_f32_e32 v148, v138, v145
	v_add_f32_e32 v2, v2, v3
	v_mul_f32_e32 v3, v139, v145
	v_fmac_f32_e32 v148, v139, v144
	v_fma_f32 v3, v138, v144, -v3
	v_add_f32_e32 v143, v143, v148
	v_mul_f32_e32 v148, v140, v147
	v_add_f32_e32 v2, v2, v3
	v_mul_f32_e32 v3, v141, v147
	v_fmac_f32_e32 v148, v141, v146
	v_fma_f32 v3, v140, v146, -v3
	v_add_f32_e32 v143, v143, v148
	;; [unrolled: 6-line block ×7, first 2 shown]
	v_add_f32_e32 v148, v2, v3
	v_mul_f32_e32 v2, v187, v191
	v_fma_f32 v212, v186, v190, -v2
	v_mul_f32_e32 v2, v193, v197
	v_fma_f32 v214, v192, v196, -v2
	ds_read_b128 v[2:5], v142 offset:928
	ds_read_b128 v[6:9], v142 offset:944
	;; [unrolled: 1-line block ×3, first 2 shown]
	ds_read_b64 v[14:15], v142 offset:976
	v_pk_add_f32 v[16:17], v[148:149], v[212:213]
	s_waitcnt vmcnt(3) lgkmcnt(3)
	v_pk_mul_f32 v[18:19], v[2:3], v[200:201] op_sel:[1,1] op_sel_hi:[0,1]
	v_pk_add_f32 v[16:17], v[16:17], v[214:215]
	s_nop 0
	v_pk_add_f32 v[16:17], v[16:17], v[20:21]
	v_pk_fma_f32 v[20:21], v[2:3], v[200:201], v[18:19] neg_lo:[0,0,1] neg_hi:[0,0,1]
	v_pk_fma_f32 v[2:3], v[2:3], v[200:201], v[18:19] op_sel_hi:[1,0,1]
	s_nop 0
	v_mov_b32_e32 v21, v3
	v_pk_add_f32 v[2:3], v[16:17], v[20:21]
	v_mov_b32_e32 v16, v203
	v_pk_mul_f32 v[16:17], v[4:5], v[16:17] op_sel:[1,0] op_sel_hi:[0,0]
	v_pk_fma_f32 v[18:19], v[4:5], v[202:203], v[16:17] neg_lo:[0,0,1] neg_hi:[0,0,1]
	v_pk_fma_f32 v[4:5], v[4:5], v[202:203], v[16:17] op_sel_hi:[1,0,1]
	s_nop 0
	v_mov_b32_e32 v19, v5
	s_waitcnt vmcnt(2) lgkmcnt(2)
	v_pk_mul_f32 v[4:5], v[6:7], v[204:205] op_sel:[1,1] op_sel_hi:[0,1]
	v_pk_fma_f32 v[16:17], v[6:7], v[204:205], v[4:5] neg_lo:[0,0,1] neg_hi:[0,0,1]
	v_pk_fma_f32 v[4:5], v[6:7], v[204:205], v[4:5] op_sel_hi:[1,0,1]
	v_pk_add_f32 v[2:3], v[2:3], v[18:19]
	v_mov_b32_e32 v4, v207
	v_mov_b32_e32 v17, v5
	v_pk_mul_f32 v[4:5], v[8:9], v[4:5] op_sel:[1,0] op_sel_hi:[0,0]
	v_pk_fma_f32 v[6:7], v[8:9], v[206:207], v[4:5] neg_lo:[0,0,1] neg_hi:[0,0,1]
	v_pk_fma_f32 v[4:5], v[8:9], v[206:207], v[4:5] op_sel_hi:[1,0,1]
	v_pk_add_f32 v[2:3], v[2:3], v[16:17]
	v_mov_b32_e32 v7, v5
	s_waitcnt vmcnt(1) lgkmcnt(1)
	v_pk_mul_f32 v[4:5], v[10:11], v[208:209] op_sel:[1,1] op_sel_hi:[0,1]
	v_pk_add_f32 v[2:3], v[2:3], v[6:7]
	v_pk_fma_f32 v[6:7], v[10:11], v[208:209], v[4:5] neg_lo:[0,0,1] neg_hi:[0,0,1]
	v_pk_fma_f32 v[4:5], v[10:11], v[208:209], v[4:5] op_sel_hi:[1,0,1]
	s_nop 0
	v_mov_b32_e32 v4, v211
	v_mov_b32_e32 v7, v5
	v_pk_mul_f32 v[4:5], v[12:13], v[4:5] op_sel:[1,0] op_sel_hi:[0,0]
	v_pk_add_f32 v[2:3], v[2:3], v[6:7]
	v_pk_fma_f32 v[6:7], v[12:13], v[210:211], v[4:5] neg_lo:[0,0,1] neg_hi:[0,0,1]
	v_pk_fma_f32 v[4:5], v[12:13], v[210:211], v[4:5] op_sel_hi:[1,0,1]
	s_nop 0
	v_mov_b32_e32 v7, v5
	s_waitcnt vmcnt(0) lgkmcnt(0)
	v_pk_mul_f32 v[4:5], v[14:15], v[216:217] op_sel:[1,1] op_sel_hi:[0,1]
	v_pk_add_f32 v[2:3], v[2:3], v[6:7]
	v_pk_fma_f32 v[6:7], v[14:15], v[216:217], v[4:5] neg_lo:[0,0,1] neg_hi:[0,0,1]
	v_pk_fma_f32 v[4:5], v[14:15], v[216:217], v[4:5] op_sel_hi:[1,0,1]
	s_nop 0
	v_mov_b32_e32 v7, v5
	scratch_load_dwordx2 v[4:5], off, off offset:72
	v_pk_add_f32 v[2:3], v[2:3], v[6:7]
	s_waitcnt vmcnt(0)
	v_pk_add_f32 v[2:3], v[4:5], v[2:3] neg_lo:[0,1] neg_hi:[0,1]
	scratch_store_dwordx2 off, v[2:3], off offset:72
	s_and_saveexec_b64 s[0:1], vcc
	s_cbranch_execz .LBB124_363
; %bb.362:
	scratch_load_dwordx2 v[2:3], off, off offset:64
	v_mov_b32_e32 v143, v142
	scratch_store_dwordx2 off, v[142:143], off offset:64
	s_waitcnt vmcnt(1)
	ds_write_b64 v1, v[2:3]
.LBB124_363:
	s_or_b64 exec, exec, s[0:1]
	s_waitcnt lgkmcnt(0)
	; wave barrier
	scratch_load_dwordx4 v[6:9], off, off offset:72
	scratch_load_dwordx4 v[14:17], off, off offset:88
	;; [unrolled: 1-line block ×10, first 2 shown]
	ds_read2_b64 v[2:5], v142 offset0:71 offset1:72
	ds_read2_b64 v[168:171], v142 offset0:107 offset1:108
	scratch_load_dwordx4 v[86:89], off, off offset:232
	scratch_load_dwordx4 v[94:97], off, off offset:248
	;; [unrolled: 1-line block ×12, first 2 shown]
	v_cmp_lt_u32_e32 vcc, 7, v0
	ds_read2_b64 v[176:179], v142 offset0:109 offset1:110
	ds_read2_b64 v[184:187], v142 offset0:111 offset1:112
	;; [unrolled: 1-line block ×3, first 2 shown]
	s_waitcnt vmcnt(21) lgkmcnt(4)
	v_mul_f32_e32 v10, v2, v7
	v_fmac_f32_e32 v10, v3, v6
	v_mul_f32_e32 v11, v4, v9
	v_add_f32_e32 v10, 0, v10
	v_fmac_f32_e32 v11, v5, v8
	v_add_f32_e32 v18, v10, v11
	ds_read2_b64 v[10:13], v142 offset0:73 offset1:74
	v_mul_f32_e32 v3, v3, v7
	v_fma_f32 v2, v2, v6, -v3
	v_mul_f32_e32 v3, v5, v9
	v_add_f32_e32 v2, 0, v2
	s_waitcnt vmcnt(20) lgkmcnt(0)
	v_mul_f32_e32 v19, v10, v15
	v_fmac_f32_e32 v19, v11, v14
	v_add_f32_e32 v18, v18, v19
	v_mul_f32_e32 v19, v12, v17
	v_fmac_f32_e32 v19, v13, v16
	v_add_f32_e32 v26, v18, v19
	ds_read2_b64 v[18:21], v142 offset0:75 offset1:76
	v_fma_f32 v3, v4, v8, -v3
	v_add_f32_e32 v2, v2, v3
	v_mul_f32_e32 v3, v11, v15
	v_fma_f32 v3, v10, v14, -v3
	s_waitcnt vmcnt(19) lgkmcnt(0)
	v_mul_f32_e32 v27, v18, v23
	v_fmac_f32_e32 v27, v19, v22
	v_add_f32_e32 v26, v26, v27
	v_mul_f32_e32 v27, v20, v25
	v_fmac_f32_e32 v27, v21, v24
	v_add_f32_e32 v34, v26, v27
	ds_read2_b64 v[26:29], v142 offset0:77 offset1:78
	v_add_f32_e32 v2, v2, v3
	v_mul_f32_e32 v3, v13, v17
	v_fma_f32 v3, v12, v16, -v3
	v_add_f32_e32 v2, v2, v3
	s_waitcnt vmcnt(18) lgkmcnt(0)
	v_mul_f32_e32 v35, v26, v31
	v_fmac_f32_e32 v35, v27, v30
	v_add_f32_e32 v34, v34, v35
	v_mul_f32_e32 v35, v28, v33
	v_fmac_f32_e32 v35, v29, v32
	v_add_f32_e32 v42, v34, v35
	ds_read2_b64 v[34:37], v142 offset0:79 offset1:80
	v_mul_f32_e32 v3, v19, v23
	v_fma_f32 v3, v18, v22, -v3
	v_add_f32_e32 v2, v2, v3
	v_mul_f32_e32 v3, v21, v25
	s_waitcnt vmcnt(17) lgkmcnt(0)
	v_mul_f32_e32 v43, v34, v39
	v_fmac_f32_e32 v43, v35, v38
	v_add_f32_e32 v42, v42, v43
	v_mul_f32_e32 v43, v36, v41
	v_fmac_f32_e32 v43, v37, v40
	v_add_f32_e32 v50, v42, v43
	ds_read2_b64 v[42:45], v142 offset0:81 offset1:82
	v_fma_f32 v3, v20, v24, -v3
	v_add_f32_e32 v2, v2, v3
	v_mul_f32_e32 v3, v27, v31
	v_fma_f32 v3, v26, v30, -v3
	s_waitcnt vmcnt(16) lgkmcnt(0)
	v_mul_f32_e32 v51, v42, v47
	v_fmac_f32_e32 v51, v43, v46
	v_add_f32_e32 v50, v50, v51
	v_mul_f32_e32 v51, v44, v49
	v_fmac_f32_e32 v51, v45, v48
	v_add_f32_e32 v58, v50, v51
	ds_read2_b64 v[50:53], v142 offset0:83 offset1:84
	v_add_f32_e32 v2, v2, v3
	v_mul_f32_e32 v3, v29, v33
	v_fma_f32 v3, v28, v32, -v3
	v_add_f32_e32 v2, v2, v3
	s_waitcnt vmcnt(15) lgkmcnt(0)
	v_mul_f32_e32 v59, v50, v55
	v_fmac_f32_e32 v59, v51, v54
	v_add_f32_e32 v58, v58, v59
	v_mul_f32_e32 v59, v52, v57
	v_fmac_f32_e32 v59, v53, v56
	v_add_f32_e32 v66, v58, v59
	ds_read2_b64 v[58:61], v142 offset0:85 offset1:86
	v_mul_f32_e32 v3, v35, v39
	v_fma_f32 v3, v34, v38, -v3
	v_add_f32_e32 v2, v2, v3
	v_mul_f32_e32 v3, v37, v41
	;; [unrolled: 36-line block ×5, first 2 shown]
	s_waitcnt vmcnt(5) lgkmcnt(0)
	v_mul_f32_e32 v139, v130, v135
	v_fmac_f32_e32 v139, v131, v134
	v_add_f32_e32 v138, v138, v139
	v_mul_f32_e32 v139, v132, v137
	v_fmac_f32_e32 v139, v133, v136
	v_add_f32_e32 v143, v138, v139
	ds_read2_b64 v[138:141], v142 offset0:105 offset1:106
	scratch_load_dwordx4 v[200:203], off, off offset:424
	scratch_load_dwordx4 v[204:207], off, off offset:440
	scratch_load_dwordx4 v[208:211], off, off offset:456
	scratch_load_dwordx4 v[212:215], off, off offset:472
	v_fma_f32 v3, v84, v88, -v3
	v_add_f32_e32 v2, v2, v3
	v_mul_f32_e32 v3, v91, v95
	v_fma_f32 v3, v90, v94, -v3
	v_add_f32_e32 v2, v2, v3
	v_mul_f32_e32 v3, v93, v97
	;; [unrolled: 3-line block ×12, first 2 shown]
	v_fma_f32 v3, v132, v136, -v3
	s_waitcnt vmcnt(8) lgkmcnt(0)
	v_mul_f32_e32 v148, v138, v145
	v_add_f32_e32 v2, v2, v3
	v_mul_f32_e32 v3, v139, v145
	v_fmac_f32_e32 v148, v139, v144
	v_fma_f32 v3, v138, v144, -v3
	v_add_f32_e32 v143, v143, v148
	v_mul_f32_e32 v148, v140, v147
	v_add_f32_e32 v2, v2, v3
	v_mul_f32_e32 v3, v141, v147
	v_fmac_f32_e32 v148, v141, v146
	v_fma_f32 v3, v140, v146, -v3
	v_add_f32_e32 v143, v143, v148
	s_waitcnt vmcnt(7)
	v_mul_f32_e32 v148, v168, v173
	v_add_f32_e32 v2, v2, v3
	v_mul_f32_e32 v3, v169, v173
	v_fmac_f32_e32 v148, v169, v172
	v_fma_f32 v3, v168, v172, -v3
	v_add_f32_e32 v143, v143, v148
	v_mul_f32_e32 v148, v170, v175
	v_add_f32_e32 v2, v2, v3
	v_mul_f32_e32 v3, v171, v175
	v_fmac_f32_e32 v148, v171, v174
	v_fma_f32 v3, v170, v174, -v3
	v_add_f32_e32 v143, v143, v148
	s_waitcnt vmcnt(6)
	;; [unrolled: 13-line block ×3, first 2 shown]
	v_mul_f32_e32 v148, v184, v189
	v_add_f32_e32 v2, v2, v3
	v_mul_f32_e32 v3, v185, v189
	v_fmac_f32_e32 v148, v185, v188
	v_fma_f32 v3, v184, v188, -v3
	v_add_f32_e32 v143, v143, v148
	v_mul_f32_e32 v148, v186, v191
	v_add_f32_e32 v2, v2, v3
	v_mul_f32_e32 v3, v187, v191
	v_fmac_f32_e32 v148, v187, v190
	v_fma_f32 v3, v186, v190, -v3
	v_add_f32_e32 v149, v143, v148
	v_add_f32_e32 v148, v2, v3
	s_waitcnt vmcnt(4)
	v_mul_f32_e32 v2, v193, v197
	v_fma_f32 v216, v192, v196, -v2
	v_mul_f32_e32 v2, v195, v199
	v_fma_f32 v218, v194, v198, -v2
	ds_read2_b64 v[2:5], v142 offset0:115 offset1:116
	ds_read2_b64 v[6:9], v142 offset0:117 offset1:118
	;; [unrolled: 1-line block ×4, first 2 shown]
	v_mul_f32_e32 v217, v192, v197
	v_fmac_f32_e32 v217, v193, v196
	v_mul_f32_e32 v219, v194, v199
	s_waitcnt vmcnt(3) lgkmcnt(3)
	v_pk_mul_f32 v[20:21], v[2:3], v[200:201] op_sel:[1,1] op_sel_hi:[0,1]
	v_fmac_f32_e32 v219, v195, v198
	v_pk_add_f32 v[18:19], v[148:149], v[216:217]
	v_pk_fma_f32 v[22:23], v[2:3], v[200:201], v[20:21] neg_lo:[0,0,1] neg_hi:[0,0,1]
	v_pk_fma_f32 v[2:3], v[2:3], v[200:201], v[20:21] op_sel_hi:[1,0,1]
	v_pk_add_f32 v[18:19], v[18:19], v[218:219]
	v_mov_b32_e32 v23, v3
	v_pk_add_f32 v[2:3], v[18:19], v[22:23]
	v_mov_b32_e32 v18, v203
	v_pk_mul_f32 v[18:19], v[4:5], v[18:19] op_sel:[1,0] op_sel_hi:[0,0]
	v_pk_fma_f32 v[20:21], v[4:5], v[202:203], v[18:19] neg_lo:[0,0,1] neg_hi:[0,0,1]
	v_pk_fma_f32 v[4:5], v[4:5], v[202:203], v[18:19] op_sel_hi:[1,0,1]
	s_nop 0
	v_mov_b32_e32 v21, v5
	s_waitcnt vmcnt(2) lgkmcnt(2)
	v_pk_mul_f32 v[4:5], v[6:7], v[204:205] op_sel:[1,1] op_sel_hi:[0,1]
	v_pk_fma_f32 v[18:19], v[6:7], v[204:205], v[4:5] neg_lo:[0,0,1] neg_hi:[0,0,1]
	v_pk_fma_f32 v[4:5], v[6:7], v[204:205], v[4:5] op_sel_hi:[1,0,1]
	v_pk_add_f32 v[2:3], v[2:3], v[20:21]
	v_mov_b32_e32 v4, v207
	v_mov_b32_e32 v19, v5
	v_pk_mul_f32 v[4:5], v[8:9], v[4:5] op_sel:[1,0] op_sel_hi:[0,0]
	v_pk_fma_f32 v[6:7], v[8:9], v[206:207], v[4:5] neg_lo:[0,0,1] neg_hi:[0,0,1]
	v_pk_fma_f32 v[4:5], v[8:9], v[206:207], v[4:5] op_sel_hi:[1,0,1]
	v_pk_add_f32 v[2:3], v[2:3], v[18:19]
	v_mov_b32_e32 v7, v5
	s_waitcnt vmcnt(1) lgkmcnt(1)
	v_pk_mul_f32 v[4:5], v[10:11], v[208:209] op_sel:[1,1] op_sel_hi:[0,1]
	v_pk_add_f32 v[2:3], v[2:3], v[6:7]
	v_pk_fma_f32 v[6:7], v[10:11], v[208:209], v[4:5] neg_lo:[0,0,1] neg_hi:[0,0,1]
	v_pk_fma_f32 v[4:5], v[10:11], v[208:209], v[4:5] op_sel_hi:[1,0,1]
	s_nop 0
	v_mov_b32_e32 v4, v211
	v_mov_b32_e32 v7, v5
	v_pk_mul_f32 v[4:5], v[12:13], v[4:5] op_sel:[1,0] op_sel_hi:[0,0]
	v_pk_add_f32 v[2:3], v[2:3], v[6:7]
	v_pk_fma_f32 v[6:7], v[12:13], v[210:211], v[4:5] neg_lo:[0,0,1] neg_hi:[0,0,1]
	v_pk_fma_f32 v[4:5], v[12:13], v[210:211], v[4:5] op_sel_hi:[1,0,1]
	s_nop 0
	v_mov_b32_e32 v7, v5
	s_waitcnt vmcnt(0) lgkmcnt(0)
	v_pk_mul_f32 v[4:5], v[14:15], v[212:213] op_sel:[1,1] op_sel_hi:[0,1]
	v_pk_add_f32 v[2:3], v[2:3], v[6:7]
	v_pk_fma_f32 v[6:7], v[14:15], v[212:213], v[4:5] neg_lo:[0,0,1] neg_hi:[0,0,1]
	v_pk_fma_f32 v[4:5], v[14:15], v[212:213], v[4:5] op_sel_hi:[1,0,1]
	s_nop 0
	v_mov_b32_e32 v4, v215
	v_mov_b32_e32 v7, v5
	v_pk_mul_f32 v[4:5], v[16:17], v[4:5] op_sel:[1,0] op_sel_hi:[0,0]
	v_pk_add_f32 v[2:3], v[2:3], v[6:7]
	v_pk_fma_f32 v[6:7], v[16:17], v[214:215], v[4:5] neg_lo:[0,0,1] neg_hi:[0,0,1]
	v_pk_fma_f32 v[4:5], v[16:17], v[214:215], v[4:5] op_sel_hi:[1,0,1]
	s_nop 0
	v_mov_b32_e32 v7, v5
	scratch_load_dwordx2 v[4:5], off, off offset:64
	v_pk_add_f32 v[2:3], v[2:3], v[6:7]
	s_waitcnt vmcnt(0)
	v_pk_add_f32 v[2:3], v[4:5], v[2:3] neg_lo:[0,1] neg_hi:[0,1]
	scratch_store_dwordx2 off, v[2:3], off offset:64
	s_and_saveexec_b64 s[0:1], vcc
	s_cbranch_execz .LBB124_365
; %bb.364:
	scratch_load_dwordx2 v[2:3], off, off offset:56
	v_mov_b32_e32 v4, 0
	v_mov_b32_e32 v5, v4
	scratch_store_dwordx2 off, v[4:5], off offset:56
	s_waitcnt vmcnt(1)
	ds_write_b64 v1, v[2:3]
.LBB124_365:
	s_or_b64 exec, exec, s[0:1]
	v_mov_b32_e32 v168, 0
	s_waitcnt lgkmcnt(0)
	; wave barrier
	ds_read_b128 v[14:17], v168 offset:560
	ds_read_b128 v[10:13], v168 offset:576
	;; [unrolled: 1-line block ×4, first 2 shown]
	scratch_load_dwordx4 v[18:21], off, off offset:64
	scratch_load_dwordx4 v[38:41], off, off offset:128
	;; [unrolled: 1-line block ×17, first 2 shown]
	v_cmp_lt_u32_e32 vcc, 6, v0
	scratch_load_dwordx4 v[46:49], off, off offset:144
	scratch_load_dwordx4 v[54:57], off, off offset:160
	;; [unrolled: 1-line block ×3, first 2 shown]
	s_waitcnt vmcnt(19) lgkmcnt(3)
	v_mul_f32_e32 v22, v14, v19
	v_fmac_f32_e32 v22, v15, v18
	v_mul_f32_e32 v23, v16, v21
	v_add_f32_e32 v22, 0, v22
	v_fmac_f32_e32 v23, v17, v20
	v_add_f32_e32 v26, v22, v23
	scratch_load_dwordx4 v[22:25], off, off offset:80
	v_mul_f32_e32 v15, v15, v19
	v_fma_f32 v14, v14, v18, -v15
	v_mul_f32_e32 v15, v17, v21
	v_add_f32_e32 v14, 0, v14
	v_fma_f32 v15, v16, v20, -v15
	v_add_f32_e32 v14, v14, v15
	s_waitcnt vmcnt(4)
	v_mov_b32_e32 v18, v205
	s_waitcnt vmcnt(0) lgkmcnt(2)
	v_mul_f32_e32 v27, v10, v23
	v_fmac_f32_e32 v27, v11, v22
	v_add_f32_e32 v26, v26, v27
	v_mul_f32_e32 v27, v12, v25
	v_fmac_f32_e32 v27, v13, v24
	v_add_f32_e32 v30, v26, v27
	scratch_load_dwordx4 v[26:29], off, off offset:96
	v_mul_f32_e32 v11, v11, v23
	v_fma_f32 v10, v10, v22, -v11
	v_mul_f32_e32 v11, v13, v25
	v_add_f32_e32 v10, v14, v10
	v_fma_f32 v11, v12, v24, -v11
	v_add_f32_e32 v10, v10, v11
	s_waitcnt vmcnt(0) lgkmcnt(1)
	v_mul_f32_e32 v31, v6, v27
	v_fmac_f32_e32 v31, v7, v26
	v_add_f32_e32 v30, v30, v31
	v_mul_f32_e32 v31, v8, v29
	v_fmac_f32_e32 v31, v9, v28
	v_add_f32_e32 v34, v30, v31
	scratch_load_dwordx4 v[30:33], off, off offset:112
	v_mul_f32_e32 v7, v7, v27
	v_fma_f32 v6, v6, v26, -v7
	v_mul_f32_e32 v7, v9, v29
	v_add_f32_e32 v6, v10, v6
	v_fma_f32 v7, v8, v28, -v7
	v_add_f32_e32 v6, v6, v7
	s_waitcnt vmcnt(0) lgkmcnt(0)
	v_mul_f32_e32 v35, v2, v31
	v_fmac_f32_e32 v35, v3, v30
	v_add_f32_e32 v34, v34, v35
	v_mul_f32_e32 v35, v4, v33
	v_fmac_f32_e32 v35, v5, v32
	v_add_f32_e32 v42, v34, v35
	ds_read_b128 v[34:37], v168 offset:624
	v_mul_f32_e32 v3, v3, v31
	v_fma_f32 v2, v2, v30, -v3
	v_mul_f32_e32 v3, v5, v33
	v_add_f32_e32 v2, v6, v2
	s_waitcnt lgkmcnt(0)
	v_mul_f32_e32 v43, v34, v39
	v_fmac_f32_e32 v43, v35, v38
	v_add_f32_e32 v42, v42, v43
	v_mul_f32_e32 v43, v36, v41
	v_fmac_f32_e32 v43, v37, v40
	v_add_f32_e32 v50, v42, v43
	ds_read_b128 v[42:45], v168 offset:640
	v_fma_f32 v3, v4, v32, -v3
	v_add_f32_e32 v2, v2, v3
	v_mul_f32_e32 v3, v35, v39
	v_fma_f32 v3, v34, v38, -v3
	s_waitcnt lgkmcnt(0)
	v_mul_f32_e32 v51, v42, v47
	v_fmac_f32_e32 v51, v43, v46
	v_add_f32_e32 v50, v50, v51
	v_mul_f32_e32 v51, v44, v49
	v_fmac_f32_e32 v51, v45, v48
	v_add_f32_e32 v58, v50, v51
	ds_read_b128 v[50:53], v168 offset:656
	v_add_f32_e32 v2, v2, v3
	v_mul_f32_e32 v3, v37, v41
	v_fma_f32 v3, v36, v40, -v3
	v_add_f32_e32 v2, v2, v3
	s_waitcnt lgkmcnt(0)
	v_mul_f32_e32 v59, v50, v55
	v_fmac_f32_e32 v59, v51, v54
	v_add_f32_e32 v58, v58, v59
	v_mul_f32_e32 v59, v52, v57
	v_fmac_f32_e32 v59, v53, v56
	v_add_f32_e32 v66, v58, v59
	ds_read_b128 v[58:61], v168 offset:672
	v_mul_f32_e32 v3, v43, v47
	v_fma_f32 v3, v42, v46, -v3
	v_add_f32_e32 v2, v2, v3
	v_mul_f32_e32 v3, v45, v49
	s_waitcnt lgkmcnt(0)
	v_mul_f32_e32 v67, v58, v63
	v_fmac_f32_e32 v67, v59, v62
	v_add_f32_e32 v66, v66, v67
	v_mul_f32_e32 v67, v60, v65
	v_fmac_f32_e32 v67, v61, v64
	v_add_f32_e32 v74, v66, v67
	ds_read_b128 v[66:69], v168 offset:688
	v_fma_f32 v3, v44, v48, -v3
	v_add_f32_e32 v2, v2, v3
	v_mul_f32_e32 v3, v51, v55
	v_fma_f32 v3, v50, v54, -v3
	s_waitcnt lgkmcnt(0)
	v_mul_f32_e32 v75, v66, v71
	v_fmac_f32_e32 v75, v67, v70
	v_add_f32_e32 v74, v74, v75
	v_mul_f32_e32 v75, v68, v73
	v_fmac_f32_e32 v75, v69, v72
	v_add_f32_e32 v82, v74, v75
	ds_read_b128 v[74:77], v168 offset:704
	v_add_f32_e32 v2, v2, v3
	v_mul_f32_e32 v3, v53, v57
	v_fma_f32 v3, v52, v56, -v3
	v_add_f32_e32 v2, v2, v3
	s_waitcnt lgkmcnt(0)
	v_mul_f32_e32 v83, v74, v79
	v_fmac_f32_e32 v83, v75, v78
	v_add_f32_e32 v82, v82, v83
	v_mul_f32_e32 v83, v76, v81
	v_fmac_f32_e32 v83, v77, v80
	v_add_f32_e32 v90, v82, v83
	ds_read_b128 v[82:85], v168 offset:720
	v_mul_f32_e32 v3, v59, v63
	v_fma_f32 v3, v58, v62, -v3
	v_add_f32_e32 v2, v2, v3
	v_mul_f32_e32 v3, v61, v65
	;; [unrolled: 36-line block ×5, first 2 shown]
	s_waitcnt lgkmcnt(0)
	v_mul_f32_e32 v182, v174, v179
	v_fmac_f32_e32 v182, v175, v178
	v_add_f32_e32 v169, v169, v182
	v_mul_f32_e32 v182, v176, v181
	v_fmac_f32_e32 v182, v177, v180
	v_add_f32_e32 v169, v169, v182
	ds_read_b128 v[182:185], v168 offset:880
	v_fma_f32 v3, v108, v112, -v3
	v_add_f32_e32 v2, v2, v3
	v_mul_f32_e32 v3, v115, v119
	v_fma_f32 v3, v114, v118, -v3
	s_waitcnt lgkmcnt(0)
	v_mul_f32_e32 v190, v182, v187
	v_fmac_f32_e32 v190, v183, v186
	v_add_f32_e32 v169, v169, v190
	v_mul_f32_e32 v190, v184, v189
	v_fmac_f32_e32 v190, v185, v188
	v_add_f32_e32 v169, v169, v190
	ds_read_b128 v[190:193], v168 offset:896
	v_add_f32_e32 v2, v2, v3
	v_mul_f32_e32 v3, v117, v121
	v_fma_f32 v3, v116, v120, -v3
	v_add_f32_e32 v2, v2, v3
	s_waitcnt lgkmcnt(0)
	v_mul_f32_e32 v198, v190, v195
	v_fmac_f32_e32 v198, v191, v194
	v_add_f32_e32 v219, v169, v198
	ds_read_b128 v[198:201], v168 offset:912
	scratch_load_dwordx4 v[206:209], off, off offset:432
	scratch_load_dwordx4 v[210:213], off, off offset:448
	;; [unrolled: 1-line block ×3, first 2 shown]
	scratch_load_dwordx2 v[224:225], off, off offset:480
	v_mul_f32_e32 v3, v123, v127
	v_fma_f32 v3, v122, v126, -v3
	v_add_f32_e32 v2, v2, v3
	v_mul_f32_e32 v3, v125, v129
	v_fma_f32 v3, v124, v128, -v3
	v_add_f32_e32 v2, v2, v3
	;; [unrolled: 3-line block ×13, first 2 shown]
	v_mul_f32_e32 v2, v193, v197
	v_mul_f32_e32 v221, v192, v197
	v_fma_f32 v220, v192, v196, -v2
	s_waitcnt lgkmcnt(0)
	v_mul_f32_e32 v2, v199, v203
	v_fmac_f32_e32 v221, v193, v196
	v_mul_f32_e32 v223, v198, v203
	v_fma_f32 v222, v198, v202, -v2
	ds_read_b128 v[2:5], v168 offset:928
	ds_read_b128 v[6:9], v168 offset:944
	ds_read_b128 v[10:13], v168 offset:960
	ds_read_b64 v[14:15], v168 offset:976
	v_pk_mul_f32 v[18:19], v[200:201], v[18:19] op_sel:[1,0] op_sel_hi:[0,0]
	v_fmac_f32_e32 v223, v199, v202
	v_pk_add_f32 v[16:17], v[218:219], v[220:221]
	v_pk_fma_f32 v[20:21], v[200:201], v[204:205], v[18:19] neg_lo:[0,0,1] neg_hi:[0,0,1]
	v_pk_fma_f32 v[18:19], v[200:201], v[204:205], v[18:19] op_sel_hi:[1,0,1]
	v_pk_add_f32 v[16:17], v[16:17], v[222:223]
	v_mov_b32_e32 v21, v19
	v_pk_add_f32 v[16:17], v[16:17], v[20:21]
	s_waitcnt vmcnt(3) lgkmcnt(3)
	v_pk_mul_f32 v[18:19], v[2:3], v[206:207] op_sel:[1,1] op_sel_hi:[0,1]
	v_pk_fma_f32 v[20:21], v[2:3], v[206:207], v[18:19] neg_lo:[0,0,1] neg_hi:[0,0,1]
	v_pk_fma_f32 v[2:3], v[2:3], v[206:207], v[18:19] op_sel_hi:[1,0,1]
	s_nop 0
	v_mov_b32_e32 v21, v3
	v_pk_add_f32 v[2:3], v[16:17], v[20:21]
	v_mov_b32_e32 v16, v209
	v_pk_mul_f32 v[16:17], v[4:5], v[16:17] op_sel:[1,0] op_sel_hi:[0,0]
	v_pk_fma_f32 v[18:19], v[4:5], v[208:209], v[16:17] neg_lo:[0,0,1] neg_hi:[0,0,1]
	v_pk_fma_f32 v[4:5], v[4:5], v[208:209], v[16:17] op_sel_hi:[1,0,1]
	s_nop 0
	v_mov_b32_e32 v19, v5
	s_waitcnt vmcnt(2) lgkmcnt(2)
	v_pk_mul_f32 v[4:5], v[6:7], v[210:211] op_sel:[1,1] op_sel_hi:[0,1]
	v_pk_fma_f32 v[16:17], v[6:7], v[210:211], v[4:5] neg_lo:[0,0,1] neg_hi:[0,0,1]
	v_pk_fma_f32 v[4:5], v[6:7], v[210:211], v[4:5] op_sel_hi:[1,0,1]
	v_pk_add_f32 v[2:3], v[2:3], v[18:19]
	v_mov_b32_e32 v4, v213
	v_mov_b32_e32 v17, v5
	v_pk_mul_f32 v[4:5], v[8:9], v[4:5] op_sel:[1,0] op_sel_hi:[0,0]
	v_pk_fma_f32 v[6:7], v[8:9], v[212:213], v[4:5] neg_lo:[0,0,1] neg_hi:[0,0,1]
	v_pk_fma_f32 v[4:5], v[8:9], v[212:213], v[4:5] op_sel_hi:[1,0,1]
	v_pk_add_f32 v[2:3], v[2:3], v[16:17]
	v_mov_b32_e32 v7, v5
	s_waitcnt vmcnt(1) lgkmcnt(1)
	v_pk_mul_f32 v[4:5], v[10:11], v[214:215] op_sel:[1,1] op_sel_hi:[0,1]
	v_pk_add_f32 v[2:3], v[2:3], v[6:7]
	v_pk_fma_f32 v[6:7], v[10:11], v[214:215], v[4:5] neg_lo:[0,0,1] neg_hi:[0,0,1]
	v_pk_fma_f32 v[4:5], v[10:11], v[214:215], v[4:5] op_sel_hi:[1,0,1]
	s_nop 0
	v_mov_b32_e32 v4, v217
	v_mov_b32_e32 v7, v5
	v_pk_mul_f32 v[4:5], v[12:13], v[4:5] op_sel:[1,0] op_sel_hi:[0,0]
	v_pk_add_f32 v[2:3], v[2:3], v[6:7]
	v_pk_fma_f32 v[6:7], v[12:13], v[216:217], v[4:5] neg_lo:[0,0,1] neg_hi:[0,0,1]
	v_pk_fma_f32 v[4:5], v[12:13], v[216:217], v[4:5] op_sel_hi:[1,0,1]
	s_nop 0
	v_mov_b32_e32 v7, v5
	s_waitcnt vmcnt(0) lgkmcnt(0)
	v_pk_mul_f32 v[4:5], v[14:15], v[224:225] op_sel:[1,1] op_sel_hi:[0,1]
	v_pk_add_f32 v[2:3], v[2:3], v[6:7]
	v_pk_fma_f32 v[6:7], v[14:15], v[224:225], v[4:5] neg_lo:[0,0,1] neg_hi:[0,0,1]
	v_pk_fma_f32 v[4:5], v[14:15], v[224:225], v[4:5] op_sel_hi:[1,0,1]
	s_nop 0
	v_mov_b32_e32 v7, v5
	scratch_load_dwordx2 v[4:5], off, off offset:56
	v_pk_add_f32 v[2:3], v[2:3], v[6:7]
	s_waitcnt vmcnt(0)
	v_pk_add_f32 v[2:3], v[4:5], v[2:3] neg_lo:[0,1] neg_hi:[0,1]
	scratch_store_dwordx2 off, v[2:3], off offset:56
	s_and_saveexec_b64 s[0:1], vcc
	s_cbranch_execz .LBB124_367
; %bb.366:
	scratch_load_dwordx2 v[2:3], off, off offset:48
	v_mov_b32_e32 v169, v168
	scratch_store_dwordx2 off, v[168:169], off offset:48
	s_waitcnt vmcnt(1)
	ds_write_b64 v1, v[2:3]
.LBB124_367:
	s_or_b64 exec, exec, s[0:1]
	s_waitcnt lgkmcnt(0)
	; wave barrier
	scratch_load_dwordx4 v[6:9], off, off offset:56
	scratch_load_dwordx4 v[14:17], off, off offset:72
	;; [unrolled: 1-line block ×10, first 2 shown]
	ds_read2_b64 v[2:5], v168 offset0:69 offset1:70
	scratch_load_dwordx4 v[86:89], off, off offset:216
	scratch_load_dwordx4 v[94:97], off, off offset:232
	;; [unrolled: 1-line block ×13, first 2 shown]
	v_cmp_lt_u32_e32 vcc, 5, v0
	s_waitcnt vmcnt(22) lgkmcnt(0)
	v_mul_f32_e32 v10, v2, v7
	v_fmac_f32_e32 v10, v3, v6
	v_mul_f32_e32 v11, v4, v9
	v_add_f32_e32 v10, 0, v10
	v_fmac_f32_e32 v11, v5, v8
	v_add_f32_e32 v18, v10, v11
	ds_read2_b64 v[10:13], v168 offset0:71 offset1:72
	v_mul_f32_e32 v3, v3, v7
	v_fma_f32 v2, v2, v6, -v3
	v_mul_f32_e32 v3, v5, v9
	v_add_f32_e32 v2, 0, v2
	s_waitcnt vmcnt(21) lgkmcnt(0)
	v_mul_f32_e32 v19, v10, v15
	v_fmac_f32_e32 v19, v11, v14
	v_add_f32_e32 v18, v18, v19
	v_mul_f32_e32 v19, v12, v17
	v_fmac_f32_e32 v19, v13, v16
	v_add_f32_e32 v26, v18, v19
	ds_read2_b64 v[18:21], v168 offset0:73 offset1:74
	v_fma_f32 v3, v4, v8, -v3
	v_add_f32_e32 v2, v2, v3
	v_mul_f32_e32 v3, v11, v15
	v_fma_f32 v3, v10, v14, -v3
	s_waitcnt vmcnt(20) lgkmcnt(0)
	v_mul_f32_e32 v27, v18, v23
	v_fmac_f32_e32 v27, v19, v22
	v_add_f32_e32 v26, v26, v27
	v_mul_f32_e32 v27, v20, v25
	v_fmac_f32_e32 v27, v21, v24
	v_add_f32_e32 v34, v26, v27
	ds_read2_b64 v[26:29], v168 offset0:75 offset1:76
	v_add_f32_e32 v2, v2, v3
	v_mul_f32_e32 v3, v13, v17
	v_fma_f32 v3, v12, v16, -v3
	v_add_f32_e32 v2, v2, v3
	s_waitcnt vmcnt(19) lgkmcnt(0)
	v_mul_f32_e32 v35, v26, v31
	v_fmac_f32_e32 v35, v27, v30
	v_add_f32_e32 v34, v34, v35
	v_mul_f32_e32 v35, v28, v33
	v_fmac_f32_e32 v35, v29, v32
	v_add_f32_e32 v42, v34, v35
	ds_read2_b64 v[34:37], v168 offset0:77 offset1:78
	v_mul_f32_e32 v3, v19, v23
	v_fma_f32 v3, v18, v22, -v3
	v_add_f32_e32 v2, v2, v3
	v_mul_f32_e32 v3, v21, v25
	s_waitcnt vmcnt(18) lgkmcnt(0)
	v_mul_f32_e32 v43, v34, v39
	v_fmac_f32_e32 v43, v35, v38
	v_add_f32_e32 v42, v42, v43
	v_mul_f32_e32 v43, v36, v41
	v_fmac_f32_e32 v43, v37, v40
	v_add_f32_e32 v50, v42, v43
	ds_read2_b64 v[42:45], v168 offset0:79 offset1:80
	v_fma_f32 v3, v20, v24, -v3
	v_add_f32_e32 v2, v2, v3
	v_mul_f32_e32 v3, v27, v31
	v_fma_f32 v3, v26, v30, -v3
	s_waitcnt vmcnt(17) lgkmcnt(0)
	v_mul_f32_e32 v51, v42, v47
	v_fmac_f32_e32 v51, v43, v46
	v_add_f32_e32 v50, v50, v51
	v_mul_f32_e32 v51, v44, v49
	v_fmac_f32_e32 v51, v45, v48
	v_add_f32_e32 v58, v50, v51
	ds_read2_b64 v[50:53], v168 offset0:81 offset1:82
	v_add_f32_e32 v2, v2, v3
	v_mul_f32_e32 v3, v29, v33
	v_fma_f32 v3, v28, v32, -v3
	v_add_f32_e32 v2, v2, v3
	s_waitcnt vmcnt(16) lgkmcnt(0)
	v_mul_f32_e32 v59, v50, v55
	v_fmac_f32_e32 v59, v51, v54
	v_add_f32_e32 v58, v58, v59
	v_mul_f32_e32 v59, v52, v57
	v_fmac_f32_e32 v59, v53, v56
	v_add_f32_e32 v66, v58, v59
	ds_read2_b64 v[58:61], v168 offset0:83 offset1:84
	v_mul_f32_e32 v3, v35, v39
	v_fma_f32 v3, v34, v38, -v3
	v_add_f32_e32 v2, v2, v3
	v_mul_f32_e32 v3, v37, v41
	;; [unrolled: 36-line block ×6, first 2 shown]
	s_waitcnt vmcnt(3) lgkmcnt(0)
	v_mul_f32_e32 v182, v174, v179
	v_fmac_f32_e32 v182, v175, v178
	v_add_f32_e32 v169, v169, v182
	v_mul_f32_e32 v182, v176, v181
	v_fmac_f32_e32 v182, v177, v180
	v_add_f32_e32 v169, v169, v182
	ds_read2_b64 v[182:185], v168 offset0:109 offset1:110
	v_fma_f32 v3, v100, v104, -v3
	v_add_f32_e32 v2, v2, v3
	v_mul_f32_e32 v3, v107, v111
	v_fma_f32 v3, v106, v110, -v3
	s_waitcnt vmcnt(2) lgkmcnt(0)
	v_mul_f32_e32 v190, v182, v187
	v_fmac_f32_e32 v190, v183, v186
	v_add_f32_e32 v169, v169, v190
	v_mul_f32_e32 v190, v184, v189
	v_fmac_f32_e32 v190, v185, v188
	v_add_f32_e32 v169, v169, v190
	ds_read2_b64 v[190:193], v168 offset0:111 offset1:112
	v_add_f32_e32 v2, v2, v3
	v_mul_f32_e32 v3, v109, v113
	v_fma_f32 v3, v108, v112, -v3
	v_add_f32_e32 v2, v2, v3
	s_waitcnt vmcnt(1) lgkmcnt(0)
	v_mul_f32_e32 v198, v190, v195
	v_fmac_f32_e32 v198, v191, v194
	v_add_f32_e32 v169, v169, v198
	v_mul_f32_e32 v198, v192, v197
	v_fmac_f32_e32 v198, v193, v196
	v_add_f32_e32 v223, v169, v198
	ds_read2_b64 v[198:201], v168 offset0:113 offset1:114
	scratch_load_dwordx4 v[206:209], off, off offset:424
	scratch_load_dwordx4 v[210:213], off, off offset:440
	scratch_load_dwordx4 v[214:217], off, off offset:456
	scratch_load_dwordx4 v[218:221], off, off offset:472
	v_mul_f32_e32 v3, v115, v119
	v_fma_f32 v3, v114, v118, -v3
	v_add_f32_e32 v2, v2, v3
	v_mul_f32_e32 v3, v117, v121
	v_fma_f32 v3, v116, v120, -v3
	v_add_f32_e32 v2, v2, v3
	;; [unrolled: 3-line block ×16, first 2 shown]
	s_waitcnt vmcnt(4) lgkmcnt(0)
	v_mul_f32_e32 v2, v199, v203
	v_fma_f32 v224, v198, v202, -v2
	v_mul_f32_e32 v2, v201, v205
	v_fma_f32 v226, v200, v204, -v2
	ds_read2_b64 v[2:5], v168 offset0:115 offset1:116
	ds_read2_b64 v[6:9], v168 offset0:117 offset1:118
	;; [unrolled: 1-line block ×4, first 2 shown]
	v_mul_f32_e32 v225, v198, v203
	v_fmac_f32_e32 v225, v199, v202
	v_mul_f32_e32 v227, v200, v205
	v_fmac_f32_e32 v227, v201, v204
	v_pk_add_f32 v[18:19], v[222:223], v[224:225]
	s_waitcnt vmcnt(3) lgkmcnt(3)
	v_pk_mul_f32 v[20:21], v[2:3], v[206:207] op_sel:[1,1] op_sel_hi:[0,1]
	v_pk_fma_f32 v[22:23], v[2:3], v[206:207], v[20:21] neg_lo:[0,0,1] neg_hi:[0,0,1]
	v_pk_fma_f32 v[2:3], v[2:3], v[206:207], v[20:21] op_sel_hi:[1,0,1]
	v_pk_add_f32 v[18:19], v[18:19], v[226:227]
	v_mov_b32_e32 v23, v3
	v_pk_add_f32 v[2:3], v[18:19], v[22:23]
	v_mov_b32_e32 v18, v209
	v_pk_mul_f32 v[18:19], v[4:5], v[18:19] op_sel:[1,0] op_sel_hi:[0,0]
	v_pk_fma_f32 v[20:21], v[4:5], v[208:209], v[18:19] neg_lo:[0,0,1] neg_hi:[0,0,1]
	v_pk_fma_f32 v[4:5], v[4:5], v[208:209], v[18:19] op_sel_hi:[1,0,1]
	s_nop 0
	v_mov_b32_e32 v21, v5
	s_waitcnt vmcnt(2) lgkmcnt(2)
	v_pk_mul_f32 v[4:5], v[6:7], v[210:211] op_sel:[1,1] op_sel_hi:[0,1]
	v_pk_fma_f32 v[18:19], v[6:7], v[210:211], v[4:5] neg_lo:[0,0,1] neg_hi:[0,0,1]
	v_pk_fma_f32 v[4:5], v[6:7], v[210:211], v[4:5] op_sel_hi:[1,0,1]
	v_pk_add_f32 v[2:3], v[2:3], v[20:21]
	v_mov_b32_e32 v4, v213
	v_mov_b32_e32 v19, v5
	v_pk_mul_f32 v[4:5], v[8:9], v[4:5] op_sel:[1,0] op_sel_hi:[0,0]
	v_pk_fma_f32 v[6:7], v[8:9], v[212:213], v[4:5] neg_lo:[0,0,1] neg_hi:[0,0,1]
	v_pk_fma_f32 v[4:5], v[8:9], v[212:213], v[4:5] op_sel_hi:[1,0,1]
	v_pk_add_f32 v[2:3], v[2:3], v[18:19]
	v_mov_b32_e32 v7, v5
	s_waitcnt vmcnt(1) lgkmcnt(1)
	v_pk_mul_f32 v[4:5], v[10:11], v[214:215] op_sel:[1,1] op_sel_hi:[0,1]
	v_pk_add_f32 v[2:3], v[2:3], v[6:7]
	v_pk_fma_f32 v[6:7], v[10:11], v[214:215], v[4:5] neg_lo:[0,0,1] neg_hi:[0,0,1]
	v_pk_fma_f32 v[4:5], v[10:11], v[214:215], v[4:5] op_sel_hi:[1,0,1]
	s_nop 0
	v_mov_b32_e32 v4, v217
	v_mov_b32_e32 v7, v5
	v_pk_mul_f32 v[4:5], v[12:13], v[4:5] op_sel:[1,0] op_sel_hi:[0,0]
	v_pk_add_f32 v[2:3], v[2:3], v[6:7]
	v_pk_fma_f32 v[6:7], v[12:13], v[216:217], v[4:5] neg_lo:[0,0,1] neg_hi:[0,0,1]
	v_pk_fma_f32 v[4:5], v[12:13], v[216:217], v[4:5] op_sel_hi:[1,0,1]
	s_nop 0
	v_mov_b32_e32 v7, v5
	s_waitcnt vmcnt(0) lgkmcnt(0)
	v_pk_mul_f32 v[4:5], v[14:15], v[218:219] op_sel:[1,1] op_sel_hi:[0,1]
	v_pk_add_f32 v[2:3], v[2:3], v[6:7]
	v_pk_fma_f32 v[6:7], v[14:15], v[218:219], v[4:5] neg_lo:[0,0,1] neg_hi:[0,0,1]
	v_pk_fma_f32 v[4:5], v[14:15], v[218:219], v[4:5] op_sel_hi:[1,0,1]
	s_nop 0
	v_mov_b32_e32 v4, v221
	v_mov_b32_e32 v7, v5
	v_pk_mul_f32 v[4:5], v[16:17], v[4:5] op_sel:[1,0] op_sel_hi:[0,0]
	v_pk_add_f32 v[2:3], v[2:3], v[6:7]
	v_pk_fma_f32 v[6:7], v[16:17], v[220:221], v[4:5] neg_lo:[0,0,1] neg_hi:[0,0,1]
	v_pk_fma_f32 v[4:5], v[16:17], v[220:221], v[4:5] op_sel_hi:[1,0,1]
	s_nop 0
	v_mov_b32_e32 v7, v5
	scratch_load_dwordx2 v[4:5], off, off offset:48
	v_pk_add_f32 v[2:3], v[2:3], v[6:7]
	s_waitcnt vmcnt(0)
	v_pk_add_f32 v[2:3], v[4:5], v[2:3] neg_lo:[0,1] neg_hi:[0,1]
	scratch_store_dwordx2 off, v[2:3], off offset:48
	s_and_saveexec_b64 s[0:1], vcc
	s_cbranch_execz .LBB124_369
; %bb.368:
	scratch_load_dwordx2 v[2:3], off, off offset:40
	v_mov_b32_e32 v4, 0
	v_mov_b32_e32 v5, v4
	scratch_store_dwordx2 off, v[4:5], off offset:40
	s_waitcnt vmcnt(1)
	ds_write_b64 v1, v[2:3]
.LBB124_369:
	s_or_b64 exec, exec, s[0:1]
	v_mov_b32_e32 v168, 0
	s_waitcnt lgkmcnt(0)
	; wave barrier
	ds_read_b128 v[14:17], v168 offset:544
	ds_read_b128 v[10:13], v168 offset:560
	;; [unrolled: 1-line block ×4, first 2 shown]
	scratch_load_dwordx4 v[18:21], off, off offset:48
	scratch_load_dwordx4 v[38:41], off, off offset:112
	;; [unrolled: 1-line block ×18, first 2 shown]
	v_cmp_lt_u32_e32 vcc, 4, v0
	scratch_load_dwordx4 v[46:49], off, off offset:128
	scratch_load_dwordx4 v[54:57], off, off offset:144
	;; [unrolled: 1-line block ×3, first 2 shown]
	s_waitcnt vmcnt(20) lgkmcnt(3)
	v_mul_f32_e32 v22, v14, v19
	v_fmac_f32_e32 v22, v15, v18
	v_mul_f32_e32 v23, v16, v21
	v_add_f32_e32 v22, 0, v22
	v_fmac_f32_e32 v23, v17, v20
	v_add_f32_e32 v26, v22, v23
	scratch_load_dwordx4 v[22:25], off, off offset:64
	v_mul_f32_e32 v15, v15, v19
	v_fma_f32 v14, v14, v18, -v15
	v_mul_f32_e32 v15, v17, v21
	v_add_f32_e32 v14, 0, v14
	v_fma_f32 v15, v16, v20, -v15
	v_add_f32_e32 v14, v14, v15
	s_waitcnt vmcnt(4)
	v_mov_b32_e32 v18, v213
	s_waitcnt vmcnt(0) lgkmcnt(2)
	v_mul_f32_e32 v27, v10, v23
	v_fmac_f32_e32 v27, v11, v22
	v_add_f32_e32 v26, v26, v27
	v_mul_f32_e32 v27, v12, v25
	v_fmac_f32_e32 v27, v13, v24
	v_add_f32_e32 v30, v26, v27
	scratch_load_dwordx4 v[26:29], off, off offset:80
	v_mul_f32_e32 v11, v11, v23
	v_fma_f32 v10, v10, v22, -v11
	v_mul_f32_e32 v11, v13, v25
	v_add_f32_e32 v10, v14, v10
	v_fma_f32 v11, v12, v24, -v11
	v_add_f32_e32 v10, v10, v11
	s_waitcnt vmcnt(0) lgkmcnt(1)
	v_mul_f32_e32 v31, v6, v27
	v_fmac_f32_e32 v31, v7, v26
	v_add_f32_e32 v30, v30, v31
	v_mul_f32_e32 v31, v8, v29
	v_fmac_f32_e32 v31, v9, v28
	v_add_f32_e32 v34, v30, v31
	scratch_load_dwordx4 v[30:33], off, off offset:96
	v_mul_f32_e32 v7, v7, v27
	v_fma_f32 v6, v6, v26, -v7
	v_mul_f32_e32 v7, v9, v29
	v_add_f32_e32 v6, v10, v6
	v_fma_f32 v7, v8, v28, -v7
	v_add_f32_e32 v6, v6, v7
	s_waitcnt vmcnt(0) lgkmcnt(0)
	v_mul_f32_e32 v35, v2, v31
	v_fmac_f32_e32 v35, v3, v30
	v_add_f32_e32 v34, v34, v35
	v_mul_f32_e32 v35, v4, v33
	v_fmac_f32_e32 v35, v5, v32
	v_add_f32_e32 v42, v34, v35
	ds_read_b128 v[34:37], v168 offset:608
	v_mul_f32_e32 v3, v3, v31
	v_fma_f32 v2, v2, v30, -v3
	v_mul_f32_e32 v3, v5, v33
	v_add_f32_e32 v2, v6, v2
	s_waitcnt lgkmcnt(0)
	v_mul_f32_e32 v43, v34, v39
	v_fmac_f32_e32 v43, v35, v38
	v_add_f32_e32 v42, v42, v43
	v_mul_f32_e32 v43, v36, v41
	v_fmac_f32_e32 v43, v37, v40
	v_add_f32_e32 v50, v42, v43
	ds_read_b128 v[42:45], v168 offset:624
	v_fma_f32 v3, v4, v32, -v3
	v_add_f32_e32 v2, v2, v3
	v_mul_f32_e32 v3, v35, v39
	v_fma_f32 v3, v34, v38, -v3
	s_waitcnt lgkmcnt(0)
	v_mul_f32_e32 v51, v42, v47
	v_fmac_f32_e32 v51, v43, v46
	v_add_f32_e32 v50, v50, v51
	v_mul_f32_e32 v51, v44, v49
	v_fmac_f32_e32 v51, v45, v48
	v_add_f32_e32 v58, v50, v51
	ds_read_b128 v[50:53], v168 offset:640
	v_add_f32_e32 v2, v2, v3
	v_mul_f32_e32 v3, v37, v41
	v_fma_f32 v3, v36, v40, -v3
	v_add_f32_e32 v2, v2, v3
	s_waitcnt lgkmcnt(0)
	v_mul_f32_e32 v59, v50, v55
	v_fmac_f32_e32 v59, v51, v54
	v_add_f32_e32 v58, v58, v59
	v_mul_f32_e32 v59, v52, v57
	v_fmac_f32_e32 v59, v53, v56
	v_add_f32_e32 v66, v58, v59
	ds_read_b128 v[58:61], v168 offset:656
	v_mul_f32_e32 v3, v43, v47
	v_fma_f32 v3, v42, v46, -v3
	v_add_f32_e32 v2, v2, v3
	v_mul_f32_e32 v3, v45, v49
	s_waitcnt lgkmcnt(0)
	v_mul_f32_e32 v67, v58, v63
	v_fmac_f32_e32 v67, v59, v62
	v_add_f32_e32 v66, v66, v67
	v_mul_f32_e32 v67, v60, v65
	v_fmac_f32_e32 v67, v61, v64
	v_add_f32_e32 v74, v66, v67
	ds_read_b128 v[66:69], v168 offset:672
	v_fma_f32 v3, v44, v48, -v3
	v_add_f32_e32 v2, v2, v3
	v_mul_f32_e32 v3, v51, v55
	v_fma_f32 v3, v50, v54, -v3
	s_waitcnt lgkmcnt(0)
	v_mul_f32_e32 v75, v66, v71
	v_fmac_f32_e32 v75, v67, v70
	v_add_f32_e32 v74, v74, v75
	v_mul_f32_e32 v75, v68, v73
	v_fmac_f32_e32 v75, v69, v72
	v_add_f32_e32 v82, v74, v75
	ds_read_b128 v[74:77], v168 offset:688
	v_add_f32_e32 v2, v2, v3
	v_mul_f32_e32 v3, v53, v57
	v_fma_f32 v3, v52, v56, -v3
	v_add_f32_e32 v2, v2, v3
	s_waitcnt lgkmcnt(0)
	v_mul_f32_e32 v83, v74, v79
	v_fmac_f32_e32 v83, v75, v78
	v_add_f32_e32 v82, v82, v83
	v_mul_f32_e32 v83, v76, v81
	v_fmac_f32_e32 v83, v77, v80
	v_add_f32_e32 v90, v82, v83
	ds_read_b128 v[82:85], v168 offset:704
	v_mul_f32_e32 v3, v59, v63
	v_fma_f32 v3, v58, v62, -v3
	v_add_f32_e32 v2, v2, v3
	v_mul_f32_e32 v3, v61, v65
	;; [unrolled: 36-line block ×6, first 2 shown]
	s_waitcnt lgkmcnt(0)
	v_mul_f32_e32 v206, v198, v203
	v_fmac_f32_e32 v206, v199, v202
	v_add_f32_e32 v227, v169, v206
	ds_read_b128 v[206:209], v168 offset:912
	scratch_load_dwordx4 v[214:217], off, off offset:432
	scratch_load_dwordx4 v[218:221], off, off offset:448
	;; [unrolled: 1-line block ×3, first 2 shown]
	scratch_load_dwordx2 v[232:233], off, off offset:480
	v_fma_f32 v3, v124, v128, -v3
	v_add_f32_e32 v2, v2, v3
	v_mul_f32_e32 v3, v131, v135
	v_fma_f32 v3, v130, v134, -v3
	v_add_f32_e32 v2, v2, v3
	v_mul_f32_e32 v3, v133, v137
	;; [unrolled: 3-line block ×14, first 2 shown]
	v_mul_f32_e32 v229, v200, v205
	v_fma_f32 v228, v200, v204, -v2
	s_waitcnt lgkmcnt(0)
	v_mul_f32_e32 v2, v207, v211
	v_fmac_f32_e32 v229, v201, v204
	v_mul_f32_e32 v231, v206, v211
	v_fma_f32 v230, v206, v210, -v2
	ds_read_b128 v[2:5], v168 offset:928
	ds_read_b128 v[6:9], v168 offset:944
	;; [unrolled: 1-line block ×3, first 2 shown]
	ds_read_b64 v[14:15], v168 offset:976
	v_pk_mul_f32 v[18:19], v[208:209], v[18:19] op_sel:[1,0] op_sel_hi:[0,0]
	v_fmac_f32_e32 v231, v207, v210
	v_pk_add_f32 v[16:17], v[226:227], v[228:229]
	v_pk_fma_f32 v[20:21], v[208:209], v[212:213], v[18:19] neg_lo:[0,0,1] neg_hi:[0,0,1]
	v_pk_fma_f32 v[18:19], v[208:209], v[212:213], v[18:19] op_sel_hi:[1,0,1]
	v_pk_add_f32 v[16:17], v[16:17], v[230:231]
	v_mov_b32_e32 v21, v19
	v_pk_add_f32 v[16:17], v[16:17], v[20:21]
	s_waitcnt vmcnt(3) lgkmcnt(3)
	v_pk_mul_f32 v[18:19], v[2:3], v[214:215] op_sel:[1,1] op_sel_hi:[0,1]
	v_pk_fma_f32 v[20:21], v[2:3], v[214:215], v[18:19] neg_lo:[0,0,1] neg_hi:[0,0,1]
	v_pk_fma_f32 v[2:3], v[2:3], v[214:215], v[18:19] op_sel_hi:[1,0,1]
	s_nop 0
	v_mov_b32_e32 v21, v3
	v_pk_add_f32 v[2:3], v[16:17], v[20:21]
	v_mov_b32_e32 v16, v217
	v_pk_mul_f32 v[16:17], v[4:5], v[16:17] op_sel:[1,0] op_sel_hi:[0,0]
	v_pk_fma_f32 v[18:19], v[4:5], v[216:217], v[16:17] neg_lo:[0,0,1] neg_hi:[0,0,1]
	v_pk_fma_f32 v[4:5], v[4:5], v[216:217], v[16:17] op_sel_hi:[1,0,1]
	s_nop 0
	v_mov_b32_e32 v19, v5
	s_waitcnt vmcnt(2) lgkmcnt(2)
	v_pk_mul_f32 v[4:5], v[6:7], v[218:219] op_sel:[1,1] op_sel_hi:[0,1]
	v_pk_fma_f32 v[16:17], v[6:7], v[218:219], v[4:5] neg_lo:[0,0,1] neg_hi:[0,0,1]
	v_pk_fma_f32 v[4:5], v[6:7], v[218:219], v[4:5] op_sel_hi:[1,0,1]
	v_pk_add_f32 v[2:3], v[2:3], v[18:19]
	v_mov_b32_e32 v4, v221
	v_mov_b32_e32 v17, v5
	v_pk_mul_f32 v[4:5], v[8:9], v[4:5] op_sel:[1,0] op_sel_hi:[0,0]
	v_pk_fma_f32 v[6:7], v[8:9], v[220:221], v[4:5] neg_lo:[0,0,1] neg_hi:[0,0,1]
	v_pk_fma_f32 v[4:5], v[8:9], v[220:221], v[4:5] op_sel_hi:[1,0,1]
	v_pk_add_f32 v[2:3], v[2:3], v[16:17]
	v_mov_b32_e32 v7, v5
	s_waitcnt vmcnt(1) lgkmcnt(1)
	v_pk_mul_f32 v[4:5], v[10:11], v[222:223] op_sel:[1,1] op_sel_hi:[0,1]
	v_pk_add_f32 v[2:3], v[2:3], v[6:7]
	v_pk_fma_f32 v[6:7], v[10:11], v[222:223], v[4:5] neg_lo:[0,0,1] neg_hi:[0,0,1]
	v_pk_fma_f32 v[4:5], v[10:11], v[222:223], v[4:5] op_sel_hi:[1,0,1]
	s_nop 0
	v_mov_b32_e32 v4, v225
	v_mov_b32_e32 v7, v5
	v_pk_mul_f32 v[4:5], v[12:13], v[4:5] op_sel:[1,0] op_sel_hi:[0,0]
	v_pk_add_f32 v[2:3], v[2:3], v[6:7]
	v_pk_fma_f32 v[6:7], v[12:13], v[224:225], v[4:5] neg_lo:[0,0,1] neg_hi:[0,0,1]
	v_pk_fma_f32 v[4:5], v[12:13], v[224:225], v[4:5] op_sel_hi:[1,0,1]
	s_nop 0
	v_mov_b32_e32 v7, v5
	s_waitcnt vmcnt(0) lgkmcnt(0)
	v_pk_mul_f32 v[4:5], v[14:15], v[232:233] op_sel:[1,1] op_sel_hi:[0,1]
	v_pk_add_f32 v[2:3], v[2:3], v[6:7]
	v_pk_fma_f32 v[6:7], v[14:15], v[232:233], v[4:5] neg_lo:[0,0,1] neg_hi:[0,0,1]
	v_pk_fma_f32 v[4:5], v[14:15], v[232:233], v[4:5] op_sel_hi:[1,0,1]
	s_nop 0
	v_mov_b32_e32 v7, v5
	scratch_load_dwordx2 v[4:5], off, off offset:40
	v_pk_add_f32 v[2:3], v[2:3], v[6:7]
	s_waitcnt vmcnt(0)
	v_pk_add_f32 v[2:3], v[4:5], v[2:3] neg_lo:[0,1] neg_hi:[0,1]
	scratch_store_dwordx2 off, v[2:3], off offset:40
	s_and_saveexec_b64 s[0:1], vcc
	s_cbranch_execz .LBB124_371
; %bb.370:
	scratch_load_dwordx2 v[2:3], off, off offset:32
	v_mov_b32_e32 v169, v168
	scratch_store_dwordx2 off, v[168:169], off offset:32
	s_waitcnt vmcnt(1)
	ds_write_b64 v1, v[2:3]
.LBB124_371:
	s_or_b64 exec, exec, s[0:1]
	s_waitcnt lgkmcnt(0)
	; wave barrier
	scratch_load_dwordx4 v[6:9], off, off offset:40
	scratch_load_dwordx4 v[14:17], off, off offset:56
	scratch_load_dwordx4 v[22:25], off, off offset:72
	scratch_load_dwordx4 v[30:33], off, off offset:88
	scratch_load_dwordx4 v[38:41], off, off offset:104
	scratch_load_dwordx4 v[46:49], off, off offset:120
	scratch_load_dwordx4 v[54:57], off, off offset:136
	scratch_load_dwordx4 v[62:65], off, off offset:152
	scratch_load_dwordx4 v[70:73], off, off offset:168
	scratch_load_dwordx4 v[78:81], off, off offset:184
	ds_read2_b64 v[2:5], v168 offset0:67 offset1:68
	scratch_load_dwordx4 v[86:89], off, off offset:200
	scratch_load_dwordx4 v[94:97], off, off offset:216
	;; [unrolled: 1-line block ×14, first 2 shown]
	v_cmp_lt_u32_e32 vcc, 3, v0
	s_waitcnt vmcnt(23) lgkmcnt(0)
	v_mul_f32_e32 v10, v2, v7
	v_fmac_f32_e32 v10, v3, v6
	v_mul_f32_e32 v11, v4, v9
	v_add_f32_e32 v10, 0, v10
	v_fmac_f32_e32 v11, v5, v8
	v_add_f32_e32 v18, v10, v11
	ds_read2_b64 v[10:13], v168 offset0:69 offset1:70
	v_mul_f32_e32 v3, v3, v7
	v_fma_f32 v2, v2, v6, -v3
	v_mul_f32_e32 v3, v5, v9
	v_add_f32_e32 v2, 0, v2
	s_waitcnt vmcnt(22) lgkmcnt(0)
	v_mul_f32_e32 v19, v10, v15
	v_fmac_f32_e32 v19, v11, v14
	v_add_f32_e32 v18, v18, v19
	v_mul_f32_e32 v19, v12, v17
	v_fmac_f32_e32 v19, v13, v16
	v_add_f32_e32 v26, v18, v19
	ds_read2_b64 v[18:21], v168 offset0:71 offset1:72
	v_fma_f32 v3, v4, v8, -v3
	v_add_f32_e32 v2, v2, v3
	v_mul_f32_e32 v3, v11, v15
	v_fma_f32 v3, v10, v14, -v3
	s_waitcnt vmcnt(21) lgkmcnt(0)
	v_mul_f32_e32 v27, v18, v23
	v_fmac_f32_e32 v27, v19, v22
	v_add_f32_e32 v26, v26, v27
	v_mul_f32_e32 v27, v20, v25
	v_fmac_f32_e32 v27, v21, v24
	v_add_f32_e32 v34, v26, v27
	ds_read2_b64 v[26:29], v168 offset0:73 offset1:74
	v_add_f32_e32 v2, v2, v3
	v_mul_f32_e32 v3, v13, v17
	v_fma_f32 v3, v12, v16, -v3
	v_add_f32_e32 v2, v2, v3
	s_waitcnt vmcnt(20) lgkmcnt(0)
	v_mul_f32_e32 v35, v26, v31
	v_fmac_f32_e32 v35, v27, v30
	v_add_f32_e32 v34, v34, v35
	v_mul_f32_e32 v35, v28, v33
	v_fmac_f32_e32 v35, v29, v32
	v_add_f32_e32 v42, v34, v35
	ds_read2_b64 v[34:37], v168 offset0:75 offset1:76
	v_mul_f32_e32 v3, v19, v23
	v_fma_f32 v3, v18, v22, -v3
	v_add_f32_e32 v2, v2, v3
	v_mul_f32_e32 v3, v21, v25
	s_waitcnt vmcnt(19) lgkmcnt(0)
	v_mul_f32_e32 v43, v34, v39
	v_fmac_f32_e32 v43, v35, v38
	v_add_f32_e32 v42, v42, v43
	v_mul_f32_e32 v43, v36, v41
	v_fmac_f32_e32 v43, v37, v40
	v_add_f32_e32 v50, v42, v43
	ds_read2_b64 v[42:45], v168 offset0:77 offset1:78
	v_fma_f32 v3, v20, v24, -v3
	v_add_f32_e32 v2, v2, v3
	v_mul_f32_e32 v3, v27, v31
	v_fma_f32 v3, v26, v30, -v3
	s_waitcnt vmcnt(18) lgkmcnt(0)
	v_mul_f32_e32 v51, v42, v47
	v_fmac_f32_e32 v51, v43, v46
	v_add_f32_e32 v50, v50, v51
	v_mul_f32_e32 v51, v44, v49
	v_fmac_f32_e32 v51, v45, v48
	v_add_f32_e32 v58, v50, v51
	ds_read2_b64 v[50:53], v168 offset0:79 offset1:80
	v_add_f32_e32 v2, v2, v3
	v_mul_f32_e32 v3, v29, v33
	v_fma_f32 v3, v28, v32, -v3
	v_add_f32_e32 v2, v2, v3
	s_waitcnt vmcnt(17) lgkmcnt(0)
	v_mul_f32_e32 v59, v50, v55
	v_fmac_f32_e32 v59, v51, v54
	v_add_f32_e32 v58, v58, v59
	v_mul_f32_e32 v59, v52, v57
	v_fmac_f32_e32 v59, v53, v56
	v_add_f32_e32 v66, v58, v59
	ds_read2_b64 v[58:61], v168 offset0:81 offset1:82
	v_mul_f32_e32 v3, v35, v39
	v_fma_f32 v3, v34, v38, -v3
	v_add_f32_e32 v2, v2, v3
	v_mul_f32_e32 v3, v37, v41
	;; [unrolled: 36-line block ×7, first 2 shown]
	s_waitcnt vmcnt(1) lgkmcnt(0)
	v_mul_f32_e32 v206, v198, v203
	v_fmac_f32_e32 v206, v199, v202
	v_add_f32_e32 v169, v169, v206
	v_mul_f32_e32 v206, v200, v205
	v_fmac_f32_e32 v206, v201, v204
	v_add_f32_e32 v231, v169, v206
	ds_read2_b64 v[206:209], v168 offset0:113 offset1:114
	scratch_load_dwordx4 v[214:217], off, off offset:424
	scratch_load_dwordx4 v[218:221], off, off offset:440
	;; [unrolled: 1-line block ×4, first 2 shown]
	v_fma_f32 v3, v116, v120, -v3
	v_add_f32_e32 v2, v2, v3
	v_mul_f32_e32 v3, v123, v127
	v_fma_f32 v3, v122, v126, -v3
	v_add_f32_e32 v2, v2, v3
	v_mul_f32_e32 v3, v125, v129
	;; [unrolled: 3-line block ×16, first 2 shown]
	v_fma_f32 v3, v200, v204, -v3
	v_add_f32_e32 v230, v2, v3
	s_waitcnt vmcnt(4) lgkmcnt(0)
	v_mul_f32_e32 v2, v207, v211
	v_fma_f32 v232, v206, v210, -v2
	v_mul_f32_e32 v2, v209, v213
	v_fma_f32 v234, v208, v212, -v2
	ds_read2_b64 v[2:5], v168 offset0:115 offset1:116
	ds_read2_b64 v[6:9], v168 offset0:117 offset1:118
	;; [unrolled: 1-line block ×4, first 2 shown]
	v_mul_f32_e32 v233, v206, v211
	v_fmac_f32_e32 v233, v207, v210
	v_mul_f32_e32 v235, v208, v213
	v_fmac_f32_e32 v235, v209, v212
	v_pk_add_f32 v[18:19], v[230:231], v[232:233]
	s_waitcnt vmcnt(3) lgkmcnt(3)
	v_pk_mul_f32 v[20:21], v[2:3], v[214:215] op_sel:[1,1] op_sel_hi:[0,1]
	v_pk_fma_f32 v[22:23], v[2:3], v[214:215], v[20:21] neg_lo:[0,0,1] neg_hi:[0,0,1]
	v_pk_fma_f32 v[2:3], v[2:3], v[214:215], v[20:21] op_sel_hi:[1,0,1]
	v_pk_add_f32 v[18:19], v[18:19], v[234:235]
	v_mov_b32_e32 v23, v3
	v_pk_add_f32 v[2:3], v[18:19], v[22:23]
	v_mov_b32_e32 v18, v217
	v_pk_mul_f32 v[18:19], v[4:5], v[18:19] op_sel:[1,0] op_sel_hi:[0,0]
	v_pk_fma_f32 v[20:21], v[4:5], v[216:217], v[18:19] neg_lo:[0,0,1] neg_hi:[0,0,1]
	v_pk_fma_f32 v[4:5], v[4:5], v[216:217], v[18:19] op_sel_hi:[1,0,1]
	s_nop 0
	v_mov_b32_e32 v21, v5
	s_waitcnt vmcnt(2) lgkmcnt(2)
	v_pk_mul_f32 v[4:5], v[6:7], v[218:219] op_sel:[1,1] op_sel_hi:[0,1]
	v_pk_fma_f32 v[18:19], v[6:7], v[218:219], v[4:5] neg_lo:[0,0,1] neg_hi:[0,0,1]
	v_pk_fma_f32 v[4:5], v[6:7], v[218:219], v[4:5] op_sel_hi:[1,0,1]
	v_pk_add_f32 v[2:3], v[2:3], v[20:21]
	v_mov_b32_e32 v4, v221
	v_mov_b32_e32 v19, v5
	v_pk_mul_f32 v[4:5], v[8:9], v[4:5] op_sel:[1,0] op_sel_hi:[0,0]
	v_pk_fma_f32 v[6:7], v[8:9], v[220:221], v[4:5] neg_lo:[0,0,1] neg_hi:[0,0,1]
	v_pk_fma_f32 v[4:5], v[8:9], v[220:221], v[4:5] op_sel_hi:[1,0,1]
	v_pk_add_f32 v[2:3], v[2:3], v[18:19]
	v_mov_b32_e32 v7, v5
	s_waitcnt vmcnt(1) lgkmcnt(1)
	v_pk_mul_f32 v[4:5], v[10:11], v[222:223] op_sel:[1,1] op_sel_hi:[0,1]
	v_pk_add_f32 v[2:3], v[2:3], v[6:7]
	v_pk_fma_f32 v[6:7], v[10:11], v[222:223], v[4:5] neg_lo:[0,0,1] neg_hi:[0,0,1]
	v_pk_fma_f32 v[4:5], v[10:11], v[222:223], v[4:5] op_sel_hi:[1,0,1]
	s_nop 0
	v_mov_b32_e32 v4, v225
	v_mov_b32_e32 v7, v5
	v_pk_mul_f32 v[4:5], v[12:13], v[4:5] op_sel:[1,0] op_sel_hi:[0,0]
	v_pk_add_f32 v[2:3], v[2:3], v[6:7]
	v_pk_fma_f32 v[6:7], v[12:13], v[224:225], v[4:5] neg_lo:[0,0,1] neg_hi:[0,0,1]
	v_pk_fma_f32 v[4:5], v[12:13], v[224:225], v[4:5] op_sel_hi:[1,0,1]
	s_nop 0
	v_mov_b32_e32 v7, v5
	s_waitcnt vmcnt(0) lgkmcnt(0)
	v_pk_mul_f32 v[4:5], v[14:15], v[226:227] op_sel:[1,1] op_sel_hi:[0,1]
	v_pk_add_f32 v[2:3], v[2:3], v[6:7]
	v_pk_fma_f32 v[6:7], v[14:15], v[226:227], v[4:5] neg_lo:[0,0,1] neg_hi:[0,0,1]
	v_pk_fma_f32 v[4:5], v[14:15], v[226:227], v[4:5] op_sel_hi:[1,0,1]
	s_nop 0
	v_mov_b32_e32 v4, v229
	v_mov_b32_e32 v7, v5
	v_pk_mul_f32 v[4:5], v[16:17], v[4:5] op_sel:[1,0] op_sel_hi:[0,0]
	v_pk_add_f32 v[2:3], v[2:3], v[6:7]
	v_pk_fma_f32 v[6:7], v[16:17], v[228:229], v[4:5] neg_lo:[0,0,1] neg_hi:[0,0,1]
	v_pk_fma_f32 v[4:5], v[16:17], v[228:229], v[4:5] op_sel_hi:[1,0,1]
	s_nop 0
	v_mov_b32_e32 v7, v5
	scratch_load_dwordx2 v[4:5], off, off offset:32
	v_pk_add_f32 v[2:3], v[2:3], v[6:7]
	s_waitcnt vmcnt(0)
	v_pk_add_f32 v[2:3], v[4:5], v[2:3] neg_lo:[0,1] neg_hi:[0,1]
	scratch_store_dwordx2 off, v[2:3], off offset:32
	s_and_saveexec_b64 s[0:1], vcc
	s_cbranch_execz .LBB124_373
; %bb.372:
	scratch_load_dwordx2 v[2:3], off, off offset:24
	v_mov_b32_e32 v4, 0
	v_mov_b32_e32 v5, v4
	scratch_store_dwordx2 off, v[4:5], off offset:24
	s_waitcnt vmcnt(1)
	ds_write_b64 v1, v[2:3]
.LBB124_373:
	s_or_b64 exec, exec, s[0:1]
	v_mov_b32_e32 v168, 0
	s_waitcnt lgkmcnt(0)
	; wave barrier
	ds_read_b128 v[14:17], v168 offset:528
	ds_read_b128 v[10:13], v168 offset:544
	ds_read_b128 v[6:9], v168 offset:560
	ds_read_b128 v[2:5], v168 offset:576
	scratch_load_dwordx4 v[18:21], off, off offset:32
	scratch_load_dwordx4 v[38:41], off, off offset:96
	;; [unrolled: 1-line block ×19, first 2 shown]
	v_cmp_lt_u32_e32 vcc, 2, v0
	scratch_load_dwordx4 v[46:49], off, off offset:112
	scratch_load_dwordx4 v[54:57], off, off offset:128
	;; [unrolled: 1-line block ×3, first 2 shown]
	s_waitcnt vmcnt(21) lgkmcnt(3)
	v_mul_f32_e32 v22, v14, v19
	v_fmac_f32_e32 v22, v15, v18
	v_mul_f32_e32 v23, v16, v21
	v_add_f32_e32 v22, 0, v22
	v_fmac_f32_e32 v23, v17, v20
	v_add_f32_e32 v26, v22, v23
	scratch_load_dwordx4 v[22:25], off, off offset:48
	v_mul_f32_e32 v15, v15, v19
	v_fma_f32 v14, v14, v18, -v15
	v_mul_f32_e32 v15, v17, v21
	v_add_f32_e32 v14, 0, v14
	v_fma_f32 v15, v16, v20, -v15
	v_add_f32_e32 v14, v14, v15
	s_waitcnt vmcnt(4)
	v_mov_b32_e32 v18, v221
	s_waitcnt vmcnt(0) lgkmcnt(2)
	v_mul_f32_e32 v27, v10, v23
	v_fmac_f32_e32 v27, v11, v22
	v_add_f32_e32 v26, v26, v27
	v_mul_f32_e32 v27, v12, v25
	v_fmac_f32_e32 v27, v13, v24
	v_add_f32_e32 v30, v26, v27
	scratch_load_dwordx4 v[26:29], off, off offset:64
	v_mul_f32_e32 v11, v11, v23
	v_fma_f32 v10, v10, v22, -v11
	v_mul_f32_e32 v11, v13, v25
	v_add_f32_e32 v10, v14, v10
	v_fma_f32 v11, v12, v24, -v11
	v_add_f32_e32 v10, v10, v11
	s_waitcnt vmcnt(0) lgkmcnt(1)
	v_mul_f32_e32 v31, v6, v27
	v_fmac_f32_e32 v31, v7, v26
	v_add_f32_e32 v30, v30, v31
	v_mul_f32_e32 v31, v8, v29
	v_fmac_f32_e32 v31, v9, v28
	v_add_f32_e32 v34, v30, v31
	scratch_load_dwordx4 v[30:33], off, off offset:80
	v_mul_f32_e32 v7, v7, v27
	v_fma_f32 v6, v6, v26, -v7
	v_mul_f32_e32 v7, v9, v29
	v_add_f32_e32 v6, v10, v6
	v_fma_f32 v7, v8, v28, -v7
	v_add_f32_e32 v6, v6, v7
	s_waitcnt vmcnt(0) lgkmcnt(0)
	v_mul_f32_e32 v35, v2, v31
	v_fmac_f32_e32 v35, v3, v30
	v_add_f32_e32 v34, v34, v35
	v_mul_f32_e32 v35, v4, v33
	v_fmac_f32_e32 v35, v5, v32
	v_add_f32_e32 v42, v34, v35
	ds_read_b128 v[34:37], v168 offset:592
	v_mul_f32_e32 v3, v3, v31
	v_fma_f32 v2, v2, v30, -v3
	v_mul_f32_e32 v3, v5, v33
	v_add_f32_e32 v2, v6, v2
	s_waitcnt lgkmcnt(0)
	v_mul_f32_e32 v43, v34, v39
	v_fmac_f32_e32 v43, v35, v38
	v_add_f32_e32 v42, v42, v43
	v_mul_f32_e32 v43, v36, v41
	v_fmac_f32_e32 v43, v37, v40
	v_add_f32_e32 v50, v42, v43
	ds_read_b128 v[42:45], v168 offset:608
	v_fma_f32 v3, v4, v32, -v3
	v_add_f32_e32 v2, v2, v3
	v_mul_f32_e32 v3, v35, v39
	v_fma_f32 v3, v34, v38, -v3
	s_waitcnt lgkmcnt(0)
	v_mul_f32_e32 v51, v42, v47
	v_fmac_f32_e32 v51, v43, v46
	v_add_f32_e32 v50, v50, v51
	v_mul_f32_e32 v51, v44, v49
	v_fmac_f32_e32 v51, v45, v48
	v_add_f32_e32 v58, v50, v51
	ds_read_b128 v[50:53], v168 offset:624
	v_add_f32_e32 v2, v2, v3
	v_mul_f32_e32 v3, v37, v41
	v_fma_f32 v3, v36, v40, -v3
	v_add_f32_e32 v2, v2, v3
	s_waitcnt lgkmcnt(0)
	v_mul_f32_e32 v59, v50, v55
	v_fmac_f32_e32 v59, v51, v54
	v_add_f32_e32 v58, v58, v59
	v_mul_f32_e32 v59, v52, v57
	v_fmac_f32_e32 v59, v53, v56
	v_add_f32_e32 v66, v58, v59
	ds_read_b128 v[58:61], v168 offset:640
	v_mul_f32_e32 v3, v43, v47
	v_fma_f32 v3, v42, v46, -v3
	v_add_f32_e32 v2, v2, v3
	v_mul_f32_e32 v3, v45, v49
	s_waitcnt lgkmcnt(0)
	v_mul_f32_e32 v67, v58, v63
	v_fmac_f32_e32 v67, v59, v62
	v_add_f32_e32 v66, v66, v67
	v_mul_f32_e32 v67, v60, v65
	v_fmac_f32_e32 v67, v61, v64
	v_add_f32_e32 v74, v66, v67
	ds_read_b128 v[66:69], v168 offset:656
	v_fma_f32 v3, v44, v48, -v3
	v_add_f32_e32 v2, v2, v3
	v_mul_f32_e32 v3, v51, v55
	v_fma_f32 v3, v50, v54, -v3
	s_waitcnt lgkmcnt(0)
	v_mul_f32_e32 v75, v66, v71
	v_fmac_f32_e32 v75, v67, v70
	v_add_f32_e32 v74, v74, v75
	v_mul_f32_e32 v75, v68, v73
	v_fmac_f32_e32 v75, v69, v72
	v_add_f32_e32 v82, v74, v75
	ds_read_b128 v[74:77], v168 offset:672
	v_add_f32_e32 v2, v2, v3
	v_mul_f32_e32 v3, v53, v57
	v_fma_f32 v3, v52, v56, -v3
	v_add_f32_e32 v2, v2, v3
	s_waitcnt lgkmcnt(0)
	v_mul_f32_e32 v83, v74, v79
	v_fmac_f32_e32 v83, v75, v78
	v_add_f32_e32 v82, v82, v83
	v_mul_f32_e32 v83, v76, v81
	v_fmac_f32_e32 v83, v77, v80
	v_add_f32_e32 v90, v82, v83
	ds_read_b128 v[82:85], v168 offset:688
	v_mul_f32_e32 v3, v59, v63
	v_fma_f32 v3, v58, v62, -v3
	v_add_f32_e32 v2, v2, v3
	v_mul_f32_e32 v3, v61, v65
	;; [unrolled: 36-line block ×6, first 2 shown]
	s_waitcnt lgkmcnt(0)
	v_mul_f32_e32 v206, v198, v203
	v_fmac_f32_e32 v206, v199, v202
	v_add_f32_e32 v169, v169, v206
	v_mul_f32_e32 v206, v200, v205
	v_fmac_f32_e32 v206, v201, v204
	v_add_f32_e32 v169, v169, v206
	ds_read_b128 v[206:209], v168 offset:896
	v_fma_f32 v3, v124, v128, -v3
	v_add_f32_e32 v2, v2, v3
	v_mul_f32_e32 v3, v131, v135
	v_fma_f32 v3, v130, v134, -v3
	s_waitcnt lgkmcnt(0)
	v_mul_f32_e32 v214, v206, v211
	v_fmac_f32_e32 v214, v207, v210
	v_add_f32_e32 v235, v169, v214
	ds_read_b128 v[214:217], v168 offset:912
	scratch_load_dwordx4 v[222:225], off, off offset:432
	scratch_load_dwordx4 v[226:229], off, off offset:448
	;; [unrolled: 1-line block ×3, first 2 shown]
	scratch_load_dwordx2 v[240:241], off, off offset:480
	v_add_f32_e32 v2, v2, v3
	v_mul_f32_e32 v3, v133, v137
	v_fma_f32 v3, v132, v136, -v3
	v_add_f32_e32 v2, v2, v3
	v_mul_f32_e32 v3, v139, v143
	v_fma_f32 v3, v138, v142, -v3
	;; [unrolled: 3-line block ×14, first 2 shown]
	v_add_f32_e32 v234, v2, v3
	v_mul_f32_e32 v2, v209, v213
	v_mul_f32_e32 v237, v208, v213
	v_fma_f32 v236, v208, v212, -v2
	s_waitcnt lgkmcnt(0)
	v_mul_f32_e32 v2, v215, v219
	v_fmac_f32_e32 v237, v209, v212
	v_mul_f32_e32 v239, v214, v219
	v_fma_f32 v238, v214, v218, -v2
	ds_read_b128 v[2:5], v168 offset:928
	ds_read_b128 v[6:9], v168 offset:944
	ds_read_b128 v[10:13], v168 offset:960
	ds_read_b64 v[14:15], v168 offset:976
	v_pk_mul_f32 v[18:19], v[216:217], v[18:19] op_sel:[1,0] op_sel_hi:[0,0]
	v_fmac_f32_e32 v239, v215, v218
	v_pk_add_f32 v[16:17], v[234:235], v[236:237]
	v_pk_fma_f32 v[20:21], v[216:217], v[220:221], v[18:19] neg_lo:[0,0,1] neg_hi:[0,0,1]
	v_pk_fma_f32 v[18:19], v[216:217], v[220:221], v[18:19] op_sel_hi:[1,0,1]
	v_pk_add_f32 v[16:17], v[16:17], v[238:239]
	v_mov_b32_e32 v21, v19
	v_pk_add_f32 v[16:17], v[16:17], v[20:21]
	s_waitcnt vmcnt(3) lgkmcnt(3)
	v_pk_mul_f32 v[18:19], v[2:3], v[222:223] op_sel:[1,1] op_sel_hi:[0,1]
	v_pk_fma_f32 v[20:21], v[2:3], v[222:223], v[18:19] neg_lo:[0,0,1] neg_hi:[0,0,1]
	v_pk_fma_f32 v[2:3], v[2:3], v[222:223], v[18:19] op_sel_hi:[1,0,1]
	s_nop 0
	v_mov_b32_e32 v21, v3
	v_pk_add_f32 v[2:3], v[16:17], v[20:21]
	v_mov_b32_e32 v16, v225
	v_pk_mul_f32 v[16:17], v[4:5], v[16:17] op_sel:[1,0] op_sel_hi:[0,0]
	v_pk_fma_f32 v[18:19], v[4:5], v[224:225], v[16:17] neg_lo:[0,0,1] neg_hi:[0,0,1]
	v_pk_fma_f32 v[4:5], v[4:5], v[224:225], v[16:17] op_sel_hi:[1,0,1]
	s_nop 0
	v_mov_b32_e32 v19, v5
	s_waitcnt vmcnt(2) lgkmcnt(2)
	v_pk_mul_f32 v[4:5], v[6:7], v[226:227] op_sel:[1,1] op_sel_hi:[0,1]
	v_pk_fma_f32 v[16:17], v[6:7], v[226:227], v[4:5] neg_lo:[0,0,1] neg_hi:[0,0,1]
	v_pk_fma_f32 v[4:5], v[6:7], v[226:227], v[4:5] op_sel_hi:[1,0,1]
	v_pk_add_f32 v[2:3], v[2:3], v[18:19]
	v_mov_b32_e32 v4, v229
	v_mov_b32_e32 v17, v5
	v_pk_mul_f32 v[4:5], v[8:9], v[4:5] op_sel:[1,0] op_sel_hi:[0,0]
	v_pk_fma_f32 v[6:7], v[8:9], v[228:229], v[4:5] neg_lo:[0,0,1] neg_hi:[0,0,1]
	v_pk_fma_f32 v[4:5], v[8:9], v[228:229], v[4:5] op_sel_hi:[1,0,1]
	v_pk_add_f32 v[2:3], v[2:3], v[16:17]
	v_mov_b32_e32 v7, v5
	s_waitcnt vmcnt(1) lgkmcnt(1)
	v_pk_mul_f32 v[4:5], v[10:11], v[230:231] op_sel:[1,1] op_sel_hi:[0,1]
	v_pk_add_f32 v[2:3], v[2:3], v[6:7]
	v_pk_fma_f32 v[6:7], v[10:11], v[230:231], v[4:5] neg_lo:[0,0,1] neg_hi:[0,0,1]
	v_pk_fma_f32 v[4:5], v[10:11], v[230:231], v[4:5] op_sel_hi:[1,0,1]
	s_nop 0
	v_mov_b32_e32 v4, v233
	v_mov_b32_e32 v7, v5
	v_pk_mul_f32 v[4:5], v[12:13], v[4:5] op_sel:[1,0] op_sel_hi:[0,0]
	v_pk_add_f32 v[2:3], v[2:3], v[6:7]
	v_pk_fma_f32 v[6:7], v[12:13], v[232:233], v[4:5] neg_lo:[0,0,1] neg_hi:[0,0,1]
	v_pk_fma_f32 v[4:5], v[12:13], v[232:233], v[4:5] op_sel_hi:[1,0,1]
	s_nop 0
	v_mov_b32_e32 v7, v5
	s_waitcnt vmcnt(0) lgkmcnt(0)
	v_pk_mul_f32 v[4:5], v[14:15], v[240:241] op_sel:[1,1] op_sel_hi:[0,1]
	v_pk_add_f32 v[2:3], v[2:3], v[6:7]
	v_pk_fma_f32 v[6:7], v[14:15], v[240:241], v[4:5] neg_lo:[0,0,1] neg_hi:[0,0,1]
	v_pk_fma_f32 v[4:5], v[14:15], v[240:241], v[4:5] op_sel_hi:[1,0,1]
	s_nop 0
	v_mov_b32_e32 v7, v5
	scratch_load_dwordx2 v[4:5], off, off offset:24
	v_pk_add_f32 v[2:3], v[2:3], v[6:7]
	s_waitcnt vmcnt(0)
	v_pk_add_f32 v[2:3], v[4:5], v[2:3] neg_lo:[0,1] neg_hi:[0,1]
	scratch_store_dwordx2 off, v[2:3], off offset:24
	s_and_saveexec_b64 s[0:1], vcc
	s_cbranch_execz .LBB124_375
; %bb.374:
	scratch_load_dwordx2 v[2:3], off, off offset:16
	v_mov_b32_e32 v169, v168
	scratch_store_dwordx2 off, v[168:169], off offset:16
	s_waitcnt vmcnt(1)
	ds_write_b64 v1, v[2:3]
.LBB124_375:
	s_or_b64 exec, exec, s[0:1]
	s_waitcnt lgkmcnt(0)
	; wave barrier
	scratch_load_dwordx4 v[6:9], off, off offset:24
	scratch_load_dwordx4 v[14:17], off, off offset:40
	;; [unrolled: 1-line block ×10, first 2 shown]
	ds_read2_b64 v[2:5], v168 offset0:65 offset1:66
	scratch_load_dwordx4 v[86:89], off, off offset:184
	scratch_load_dwordx4 v[94:97], off, off offset:200
	;; [unrolled: 1-line block ×15, first 2 shown]
	v_cmp_lt_u32_e32 vcc, 1, v0
	s_waitcnt vmcnt(24) lgkmcnt(0)
	v_mul_f32_e32 v10, v2, v7
	v_fmac_f32_e32 v10, v3, v6
	v_mul_f32_e32 v11, v4, v9
	v_add_f32_e32 v10, 0, v10
	v_fmac_f32_e32 v11, v5, v8
	v_add_f32_e32 v18, v10, v11
	ds_read2_b64 v[10:13], v168 offset0:67 offset1:68
	v_mul_f32_e32 v3, v3, v7
	v_fma_f32 v2, v2, v6, -v3
	v_mul_f32_e32 v3, v5, v9
	v_add_f32_e32 v2, 0, v2
	s_waitcnt vmcnt(23) lgkmcnt(0)
	v_mul_f32_e32 v19, v10, v15
	v_fmac_f32_e32 v19, v11, v14
	v_add_f32_e32 v18, v18, v19
	v_mul_f32_e32 v19, v12, v17
	v_fmac_f32_e32 v19, v13, v16
	v_add_f32_e32 v26, v18, v19
	ds_read2_b64 v[18:21], v168 offset0:69 offset1:70
	v_fma_f32 v3, v4, v8, -v3
	v_add_f32_e32 v2, v2, v3
	v_mul_f32_e32 v3, v11, v15
	v_fma_f32 v3, v10, v14, -v3
	s_waitcnt vmcnt(22) lgkmcnt(0)
	v_mul_f32_e32 v27, v18, v23
	v_fmac_f32_e32 v27, v19, v22
	v_add_f32_e32 v26, v26, v27
	v_mul_f32_e32 v27, v20, v25
	v_fmac_f32_e32 v27, v21, v24
	v_add_f32_e32 v34, v26, v27
	ds_read2_b64 v[26:29], v168 offset0:71 offset1:72
	v_add_f32_e32 v2, v2, v3
	v_mul_f32_e32 v3, v13, v17
	v_fma_f32 v3, v12, v16, -v3
	v_add_f32_e32 v2, v2, v3
	s_waitcnt vmcnt(21) lgkmcnt(0)
	v_mul_f32_e32 v35, v26, v31
	v_fmac_f32_e32 v35, v27, v30
	v_add_f32_e32 v34, v34, v35
	v_mul_f32_e32 v35, v28, v33
	v_fmac_f32_e32 v35, v29, v32
	v_add_f32_e32 v42, v34, v35
	ds_read2_b64 v[34:37], v168 offset0:73 offset1:74
	v_mul_f32_e32 v3, v19, v23
	v_fma_f32 v3, v18, v22, -v3
	v_add_f32_e32 v2, v2, v3
	v_mul_f32_e32 v3, v21, v25
	s_waitcnt vmcnt(20) lgkmcnt(0)
	v_mul_f32_e32 v43, v34, v39
	v_fmac_f32_e32 v43, v35, v38
	v_add_f32_e32 v42, v42, v43
	v_mul_f32_e32 v43, v36, v41
	v_fmac_f32_e32 v43, v37, v40
	v_add_f32_e32 v50, v42, v43
	ds_read2_b64 v[42:45], v168 offset0:75 offset1:76
	v_fma_f32 v3, v20, v24, -v3
	v_add_f32_e32 v2, v2, v3
	v_mul_f32_e32 v3, v27, v31
	v_fma_f32 v3, v26, v30, -v3
	s_waitcnt vmcnt(19) lgkmcnt(0)
	v_mul_f32_e32 v51, v42, v47
	v_fmac_f32_e32 v51, v43, v46
	v_add_f32_e32 v50, v50, v51
	v_mul_f32_e32 v51, v44, v49
	v_fmac_f32_e32 v51, v45, v48
	v_add_f32_e32 v58, v50, v51
	ds_read2_b64 v[50:53], v168 offset0:77 offset1:78
	v_add_f32_e32 v2, v2, v3
	v_mul_f32_e32 v3, v29, v33
	v_fma_f32 v3, v28, v32, -v3
	v_add_f32_e32 v2, v2, v3
	s_waitcnt vmcnt(18) lgkmcnt(0)
	v_mul_f32_e32 v59, v50, v55
	v_fmac_f32_e32 v59, v51, v54
	v_add_f32_e32 v58, v58, v59
	v_mul_f32_e32 v59, v52, v57
	v_fmac_f32_e32 v59, v53, v56
	v_add_f32_e32 v66, v58, v59
	ds_read2_b64 v[58:61], v168 offset0:79 offset1:80
	v_mul_f32_e32 v3, v35, v39
	v_fma_f32 v3, v34, v38, -v3
	v_add_f32_e32 v2, v2, v3
	v_mul_f32_e32 v3, v37, v41
	;; [unrolled: 36-line block ×7, first 2 shown]
	s_waitcnt vmcnt(2) lgkmcnt(0)
	v_mul_f32_e32 v206, v198, v203
	v_fmac_f32_e32 v206, v199, v202
	v_add_f32_e32 v169, v169, v206
	v_mul_f32_e32 v206, v200, v205
	v_fmac_f32_e32 v206, v201, v204
	v_add_f32_e32 v169, v169, v206
	ds_read2_b64 v[206:209], v168 offset0:111 offset1:112
	v_fma_f32 v3, v116, v120, -v3
	v_add_f32_e32 v2, v2, v3
	v_mul_f32_e32 v3, v123, v127
	v_fma_f32 v3, v122, v126, -v3
	s_waitcnt vmcnt(1) lgkmcnt(0)
	v_mul_f32_e32 v214, v206, v211
	v_fmac_f32_e32 v214, v207, v210
	v_add_f32_e32 v169, v169, v214
	v_mul_f32_e32 v214, v208, v213
	v_fmac_f32_e32 v214, v209, v212
	v_add_f32_e32 v239, v169, v214
	ds_read2_b64 v[214:217], v168 offset0:113 offset1:114
	scratch_load_dwordx4 v[222:225], off, off offset:424
	scratch_load_dwordx4 v[226:229], off, off offset:440
	;; [unrolled: 1-line block ×4, first 2 shown]
	v_add_f32_e32 v2, v2, v3
	v_mul_f32_e32 v3, v125, v129
	v_fma_f32 v3, v124, v128, -v3
	v_add_f32_e32 v2, v2, v3
	v_mul_f32_e32 v3, v131, v135
	v_fma_f32 v3, v130, v134, -v3
	;; [unrolled: 3-line block ×17, first 2 shown]
	v_add_f32_e32 v238, v2, v3
	s_waitcnt vmcnt(4) lgkmcnt(0)
	v_mul_f32_e32 v2, v215, v219
	v_fma_f32 v240, v214, v218, -v2
	v_mul_f32_e32 v2, v217, v221
	v_fma_f32 v242, v216, v220, -v2
	ds_read2_b64 v[2:5], v168 offset0:115 offset1:116
	ds_read2_b64 v[6:9], v168 offset0:117 offset1:118
	;; [unrolled: 1-line block ×4, first 2 shown]
	v_mul_f32_e32 v241, v214, v219
	v_fmac_f32_e32 v241, v215, v218
	v_mul_f32_e32 v243, v216, v221
	v_fmac_f32_e32 v243, v217, v220
	v_pk_add_f32 v[18:19], v[238:239], v[240:241]
	s_waitcnt vmcnt(3) lgkmcnt(3)
	v_pk_mul_f32 v[20:21], v[2:3], v[222:223] op_sel:[1,1] op_sel_hi:[0,1]
	v_pk_fma_f32 v[22:23], v[2:3], v[222:223], v[20:21] neg_lo:[0,0,1] neg_hi:[0,0,1]
	v_pk_fma_f32 v[2:3], v[2:3], v[222:223], v[20:21] op_sel_hi:[1,0,1]
	v_pk_add_f32 v[18:19], v[18:19], v[242:243]
	v_mov_b32_e32 v23, v3
	v_pk_add_f32 v[2:3], v[18:19], v[22:23]
	v_mov_b32_e32 v18, v225
	v_pk_mul_f32 v[18:19], v[4:5], v[18:19] op_sel:[1,0] op_sel_hi:[0,0]
	v_pk_fma_f32 v[20:21], v[4:5], v[224:225], v[18:19] neg_lo:[0,0,1] neg_hi:[0,0,1]
	v_pk_fma_f32 v[4:5], v[4:5], v[224:225], v[18:19] op_sel_hi:[1,0,1]
	s_nop 0
	v_mov_b32_e32 v21, v5
	s_waitcnt vmcnt(2) lgkmcnt(2)
	v_pk_mul_f32 v[4:5], v[6:7], v[226:227] op_sel:[1,1] op_sel_hi:[0,1]
	v_pk_fma_f32 v[18:19], v[6:7], v[226:227], v[4:5] neg_lo:[0,0,1] neg_hi:[0,0,1]
	v_pk_fma_f32 v[4:5], v[6:7], v[226:227], v[4:5] op_sel_hi:[1,0,1]
	v_pk_add_f32 v[2:3], v[2:3], v[20:21]
	v_mov_b32_e32 v4, v229
	v_mov_b32_e32 v19, v5
	v_pk_mul_f32 v[4:5], v[8:9], v[4:5] op_sel:[1,0] op_sel_hi:[0,0]
	v_pk_fma_f32 v[6:7], v[8:9], v[228:229], v[4:5] neg_lo:[0,0,1] neg_hi:[0,0,1]
	v_pk_fma_f32 v[4:5], v[8:9], v[228:229], v[4:5] op_sel_hi:[1,0,1]
	v_pk_add_f32 v[2:3], v[2:3], v[18:19]
	v_mov_b32_e32 v7, v5
	s_waitcnt vmcnt(1) lgkmcnt(1)
	v_pk_mul_f32 v[4:5], v[10:11], v[230:231] op_sel:[1,1] op_sel_hi:[0,1]
	v_pk_add_f32 v[2:3], v[2:3], v[6:7]
	v_pk_fma_f32 v[6:7], v[10:11], v[230:231], v[4:5] neg_lo:[0,0,1] neg_hi:[0,0,1]
	v_pk_fma_f32 v[4:5], v[10:11], v[230:231], v[4:5] op_sel_hi:[1,0,1]
	s_nop 0
	v_mov_b32_e32 v4, v233
	v_mov_b32_e32 v7, v5
	v_pk_mul_f32 v[4:5], v[12:13], v[4:5] op_sel:[1,0] op_sel_hi:[0,0]
	v_pk_add_f32 v[2:3], v[2:3], v[6:7]
	v_pk_fma_f32 v[6:7], v[12:13], v[232:233], v[4:5] neg_lo:[0,0,1] neg_hi:[0,0,1]
	v_pk_fma_f32 v[4:5], v[12:13], v[232:233], v[4:5] op_sel_hi:[1,0,1]
	s_nop 0
	v_mov_b32_e32 v7, v5
	s_waitcnt vmcnt(0) lgkmcnt(0)
	v_pk_mul_f32 v[4:5], v[14:15], v[234:235] op_sel:[1,1] op_sel_hi:[0,1]
	v_pk_add_f32 v[2:3], v[2:3], v[6:7]
	v_pk_fma_f32 v[6:7], v[14:15], v[234:235], v[4:5] neg_lo:[0,0,1] neg_hi:[0,0,1]
	v_pk_fma_f32 v[4:5], v[14:15], v[234:235], v[4:5] op_sel_hi:[1,0,1]
	s_nop 0
	v_mov_b32_e32 v4, v237
	v_mov_b32_e32 v7, v5
	v_pk_mul_f32 v[4:5], v[16:17], v[4:5] op_sel:[1,0] op_sel_hi:[0,0]
	v_pk_add_f32 v[2:3], v[2:3], v[6:7]
	v_pk_fma_f32 v[6:7], v[16:17], v[236:237], v[4:5] neg_lo:[0,0,1] neg_hi:[0,0,1]
	v_pk_fma_f32 v[4:5], v[16:17], v[236:237], v[4:5] op_sel_hi:[1,0,1]
	s_nop 0
	v_mov_b32_e32 v7, v5
	scratch_load_dwordx2 v[4:5], off, off offset:16
	v_pk_add_f32 v[2:3], v[2:3], v[6:7]
	s_waitcnt vmcnt(0)
	v_pk_add_f32 v[2:3], v[4:5], v[2:3] neg_lo:[0,1] neg_hi:[0,1]
	scratch_store_dwordx2 off, v[2:3], off offset:16
	s_and_saveexec_b64 s[0:1], vcc
	s_cbranch_execz .LBB124_377
; %bb.376:
	scratch_load_dwordx2 v[2:3], off, off offset:8
	v_mov_b32_e32 v4, 0
	v_mov_b32_e32 v5, v4
	scratch_store_dwordx2 off, v[4:5], off offset:8
	s_waitcnt vmcnt(1)
	ds_write_b64 v1, v[2:3]
.LBB124_377:
	s_or_b64 exec, exec, s[0:1]
	v_mov_b32_e32 v168, 0
	s_waitcnt lgkmcnt(0)
	; wave barrier
	ds_read_b128 v[14:17], v168 offset:512
	ds_read_b128 v[10:13], v168 offset:528
	;; [unrolled: 1-line block ×4, first 2 shown]
	scratch_load_dwordx4 v[18:21], off, off offset:16
	scratch_load_dwordx4 v[38:41], off, off offset:80
	;; [unrolled: 1-line block ×20, first 2 shown]
	v_cmp_ne_u32_e32 vcc, 0, v0
	scratch_load_dwordx4 v[46:49], off, off offset:96
	scratch_load_dwordx4 v[54:57], off, off offset:112
	;; [unrolled: 1-line block ×3, first 2 shown]
	s_waitcnt vmcnt(22) lgkmcnt(3)
	v_mul_f32_e32 v22, v14, v19
	v_fmac_f32_e32 v22, v15, v18
	v_mul_f32_e32 v23, v16, v21
	v_add_f32_e32 v22, 0, v22
	v_fmac_f32_e32 v23, v17, v20
	v_add_f32_e32 v26, v22, v23
	scratch_load_dwordx4 v[22:25], off, off offset:32
	v_mul_f32_e32 v15, v15, v19
	v_fma_f32 v14, v14, v18, -v15
	v_mul_f32_e32 v15, v17, v21
	v_add_f32_e32 v14, 0, v14
	v_fma_f32 v15, v16, v20, -v15
	v_add_f32_e32 v14, v14, v15
	s_waitcnt vmcnt(4)
	v_mov_b32_e32 v18, v229
	s_waitcnt vmcnt(0) lgkmcnt(2)
	v_mul_f32_e32 v27, v10, v23
	v_fmac_f32_e32 v27, v11, v22
	v_add_f32_e32 v26, v26, v27
	v_mul_f32_e32 v27, v12, v25
	v_fmac_f32_e32 v27, v13, v24
	v_add_f32_e32 v30, v26, v27
	scratch_load_dwordx4 v[26:29], off, off offset:48
	v_mul_f32_e32 v11, v11, v23
	v_fma_f32 v10, v10, v22, -v11
	v_mul_f32_e32 v11, v13, v25
	v_add_f32_e32 v10, v14, v10
	v_fma_f32 v11, v12, v24, -v11
	v_add_f32_e32 v10, v10, v11
	s_waitcnt vmcnt(0) lgkmcnt(1)
	v_mul_f32_e32 v31, v6, v27
	v_fmac_f32_e32 v31, v7, v26
	v_add_f32_e32 v30, v30, v31
	v_mul_f32_e32 v31, v8, v29
	v_fmac_f32_e32 v31, v9, v28
	v_add_f32_e32 v34, v30, v31
	scratch_load_dwordx4 v[30:33], off, off offset:64
	v_mul_f32_e32 v7, v7, v27
	v_fma_f32 v6, v6, v26, -v7
	v_mul_f32_e32 v7, v9, v29
	v_add_f32_e32 v6, v10, v6
	v_fma_f32 v7, v8, v28, -v7
	v_add_f32_e32 v6, v6, v7
	s_waitcnt vmcnt(0) lgkmcnt(0)
	v_mul_f32_e32 v35, v2, v31
	v_fmac_f32_e32 v35, v3, v30
	v_add_f32_e32 v34, v34, v35
	v_mul_f32_e32 v35, v4, v33
	v_fmac_f32_e32 v35, v5, v32
	v_add_f32_e32 v42, v34, v35
	ds_read_b128 v[34:37], v168 offset:576
	v_mul_f32_e32 v3, v3, v31
	v_fma_f32 v2, v2, v30, -v3
	v_mul_f32_e32 v3, v5, v33
	v_add_f32_e32 v2, v6, v2
	s_waitcnt lgkmcnt(0)
	v_mul_f32_e32 v43, v34, v39
	v_fmac_f32_e32 v43, v35, v38
	v_add_f32_e32 v42, v42, v43
	v_mul_f32_e32 v43, v36, v41
	v_fmac_f32_e32 v43, v37, v40
	v_add_f32_e32 v50, v42, v43
	ds_read_b128 v[42:45], v168 offset:592
	v_fma_f32 v3, v4, v32, -v3
	v_add_f32_e32 v2, v2, v3
	v_mul_f32_e32 v3, v35, v39
	v_fma_f32 v3, v34, v38, -v3
	s_waitcnt lgkmcnt(0)
	v_mul_f32_e32 v51, v42, v47
	v_fmac_f32_e32 v51, v43, v46
	v_add_f32_e32 v50, v50, v51
	v_mul_f32_e32 v51, v44, v49
	v_fmac_f32_e32 v51, v45, v48
	v_add_f32_e32 v58, v50, v51
	ds_read_b128 v[50:53], v168 offset:608
	v_add_f32_e32 v2, v2, v3
	v_mul_f32_e32 v3, v37, v41
	v_fma_f32 v3, v36, v40, -v3
	v_add_f32_e32 v2, v2, v3
	s_waitcnt lgkmcnt(0)
	v_mul_f32_e32 v59, v50, v55
	v_fmac_f32_e32 v59, v51, v54
	v_add_f32_e32 v58, v58, v59
	v_mul_f32_e32 v59, v52, v57
	v_fmac_f32_e32 v59, v53, v56
	v_add_f32_e32 v66, v58, v59
	ds_read_b128 v[58:61], v168 offset:624
	v_mul_f32_e32 v3, v43, v47
	v_fma_f32 v3, v42, v46, -v3
	v_add_f32_e32 v2, v2, v3
	v_mul_f32_e32 v3, v45, v49
	s_waitcnt lgkmcnt(0)
	v_mul_f32_e32 v67, v58, v63
	v_fmac_f32_e32 v67, v59, v62
	v_add_f32_e32 v66, v66, v67
	v_mul_f32_e32 v67, v60, v65
	v_fmac_f32_e32 v67, v61, v64
	v_add_f32_e32 v74, v66, v67
	ds_read_b128 v[66:69], v168 offset:640
	v_fma_f32 v3, v44, v48, -v3
	v_add_f32_e32 v2, v2, v3
	v_mul_f32_e32 v3, v51, v55
	v_fma_f32 v3, v50, v54, -v3
	s_waitcnt lgkmcnt(0)
	v_mul_f32_e32 v75, v66, v71
	v_fmac_f32_e32 v75, v67, v70
	v_add_f32_e32 v74, v74, v75
	v_mul_f32_e32 v75, v68, v73
	v_fmac_f32_e32 v75, v69, v72
	v_add_f32_e32 v82, v74, v75
	ds_read_b128 v[74:77], v168 offset:656
	v_add_f32_e32 v2, v2, v3
	v_mul_f32_e32 v3, v53, v57
	v_fma_f32 v3, v52, v56, -v3
	v_add_f32_e32 v2, v2, v3
	s_waitcnt lgkmcnt(0)
	v_mul_f32_e32 v83, v74, v79
	v_fmac_f32_e32 v83, v75, v78
	v_add_f32_e32 v82, v82, v83
	v_mul_f32_e32 v83, v76, v81
	v_fmac_f32_e32 v83, v77, v80
	v_add_f32_e32 v90, v82, v83
	ds_read_b128 v[82:85], v168 offset:672
	v_mul_f32_e32 v3, v59, v63
	v_fma_f32 v3, v58, v62, -v3
	v_add_f32_e32 v2, v2, v3
	v_mul_f32_e32 v3, v61, v65
	;; [unrolled: 36-line block ×6, first 2 shown]
	s_waitcnt lgkmcnt(0)
	v_mul_f32_e32 v206, v198, v203
	v_fmac_f32_e32 v206, v199, v202
	v_add_f32_e32 v169, v169, v206
	v_mul_f32_e32 v206, v200, v205
	v_fmac_f32_e32 v206, v201, v204
	v_add_f32_e32 v169, v169, v206
	ds_read_b128 v[206:209], v168 offset:880
	v_fma_f32 v3, v124, v128, -v3
	v_add_f32_e32 v2, v2, v3
	v_mul_f32_e32 v3, v131, v135
	v_fma_f32 v3, v130, v134, -v3
	s_waitcnt lgkmcnt(0)
	v_mul_f32_e32 v214, v206, v211
	v_fmac_f32_e32 v214, v207, v210
	v_add_f32_e32 v169, v169, v214
	v_mul_f32_e32 v214, v208, v213
	v_fmac_f32_e32 v214, v209, v212
	v_add_f32_e32 v169, v169, v214
	ds_read_b128 v[214:217], v168 offset:896
	v_add_f32_e32 v2, v2, v3
	v_mul_f32_e32 v3, v133, v137
	v_fma_f32 v3, v132, v136, -v3
	v_add_f32_e32 v2, v2, v3
	s_waitcnt lgkmcnt(0)
	v_mul_f32_e32 v222, v214, v219
	v_fmac_f32_e32 v222, v215, v218
	v_add_f32_e32 v243, v169, v222
	ds_read_b128 v[222:225], v168 offset:912
	scratch_load_dwordx4 v[230:233], off, off offset:432
	scratch_load_dwordx4 v[234:237], off, off offset:448
	;; [unrolled: 1-line block ×3, first 2 shown]
	scratch_load_dwordx2 v[248:249], off, off offset:480
	v_mul_f32_e32 v3, v139, v143
	v_fma_f32 v3, v138, v142, -v3
	v_add_f32_e32 v2, v2, v3
	v_mul_f32_e32 v3, v141, v145
	v_fma_f32 v3, v140, v144, -v3
	v_add_f32_e32 v2, v2, v3
	;; [unrolled: 3-line block ×15, first 2 shown]
	v_mul_f32_e32 v2, v217, v221
	v_mul_f32_e32 v245, v216, v221
	v_fma_f32 v244, v216, v220, -v2
	s_waitcnt lgkmcnt(0)
	v_mul_f32_e32 v2, v223, v227
	v_fmac_f32_e32 v245, v217, v220
	v_mul_f32_e32 v247, v222, v227
	v_fma_f32 v246, v222, v226, -v2
	ds_read_b128 v[2:5], v168 offset:928
	ds_read_b128 v[6:9], v168 offset:944
	;; [unrolled: 1-line block ×3, first 2 shown]
	ds_read_b64 v[14:15], v168 offset:976
	v_pk_mul_f32 v[18:19], v[224:225], v[18:19] op_sel:[1,0] op_sel_hi:[0,0]
	v_fmac_f32_e32 v247, v223, v226
	v_pk_add_f32 v[16:17], v[242:243], v[244:245]
	v_pk_fma_f32 v[20:21], v[224:225], v[228:229], v[18:19] neg_lo:[0,0,1] neg_hi:[0,0,1]
	v_pk_fma_f32 v[18:19], v[224:225], v[228:229], v[18:19] op_sel_hi:[1,0,1]
	v_pk_add_f32 v[16:17], v[16:17], v[246:247]
	v_mov_b32_e32 v21, v19
	v_pk_add_f32 v[16:17], v[16:17], v[20:21]
	s_waitcnt vmcnt(3) lgkmcnt(3)
	v_pk_mul_f32 v[18:19], v[2:3], v[230:231] op_sel:[1,1] op_sel_hi:[0,1]
	v_pk_fma_f32 v[20:21], v[2:3], v[230:231], v[18:19] neg_lo:[0,0,1] neg_hi:[0,0,1]
	v_pk_fma_f32 v[2:3], v[2:3], v[230:231], v[18:19] op_sel_hi:[1,0,1]
	s_nop 0
	v_mov_b32_e32 v21, v3
	v_pk_add_f32 v[2:3], v[16:17], v[20:21]
	v_mov_b32_e32 v16, v233
	v_pk_mul_f32 v[16:17], v[4:5], v[16:17] op_sel:[1,0] op_sel_hi:[0,0]
	v_pk_fma_f32 v[18:19], v[4:5], v[232:233], v[16:17] neg_lo:[0,0,1] neg_hi:[0,0,1]
	v_pk_fma_f32 v[4:5], v[4:5], v[232:233], v[16:17] op_sel_hi:[1,0,1]
	s_nop 0
	v_mov_b32_e32 v19, v5
	s_waitcnt vmcnt(2) lgkmcnt(2)
	v_pk_mul_f32 v[4:5], v[6:7], v[234:235] op_sel:[1,1] op_sel_hi:[0,1]
	v_pk_fma_f32 v[16:17], v[6:7], v[234:235], v[4:5] neg_lo:[0,0,1] neg_hi:[0,0,1]
	v_pk_fma_f32 v[4:5], v[6:7], v[234:235], v[4:5] op_sel_hi:[1,0,1]
	v_pk_add_f32 v[2:3], v[2:3], v[18:19]
	v_mov_b32_e32 v4, v237
	v_mov_b32_e32 v17, v5
	v_pk_mul_f32 v[4:5], v[8:9], v[4:5] op_sel:[1,0] op_sel_hi:[0,0]
	v_pk_fma_f32 v[6:7], v[8:9], v[236:237], v[4:5] neg_lo:[0,0,1] neg_hi:[0,0,1]
	v_pk_fma_f32 v[4:5], v[8:9], v[236:237], v[4:5] op_sel_hi:[1,0,1]
	v_pk_add_f32 v[2:3], v[2:3], v[16:17]
	v_mov_b32_e32 v7, v5
	s_waitcnt vmcnt(1) lgkmcnt(1)
	v_pk_mul_f32 v[4:5], v[10:11], v[238:239] op_sel:[1,1] op_sel_hi:[0,1]
	v_pk_add_f32 v[2:3], v[2:3], v[6:7]
	v_pk_fma_f32 v[6:7], v[10:11], v[238:239], v[4:5] neg_lo:[0,0,1] neg_hi:[0,0,1]
	v_pk_fma_f32 v[4:5], v[10:11], v[238:239], v[4:5] op_sel_hi:[1,0,1]
	s_nop 0
	v_mov_b32_e32 v4, v241
	v_mov_b32_e32 v7, v5
	v_pk_mul_f32 v[4:5], v[12:13], v[4:5] op_sel:[1,0] op_sel_hi:[0,0]
	v_pk_add_f32 v[2:3], v[2:3], v[6:7]
	v_pk_fma_f32 v[6:7], v[12:13], v[240:241], v[4:5] neg_lo:[0,0,1] neg_hi:[0,0,1]
	v_pk_fma_f32 v[4:5], v[12:13], v[240:241], v[4:5] op_sel_hi:[1,0,1]
	s_nop 0
	v_mov_b32_e32 v7, v5
	s_waitcnt vmcnt(0) lgkmcnt(0)
	v_pk_mul_f32 v[4:5], v[14:15], v[248:249] op_sel:[1,1] op_sel_hi:[0,1]
	v_pk_add_f32 v[2:3], v[2:3], v[6:7]
	v_pk_fma_f32 v[6:7], v[14:15], v[248:249], v[4:5] neg_lo:[0,0,1] neg_hi:[0,0,1]
	v_pk_fma_f32 v[4:5], v[14:15], v[248:249], v[4:5] op_sel_hi:[1,0,1]
	s_nop 0
	v_mov_b32_e32 v7, v5
	scratch_load_dwordx2 v[4:5], off, off offset:8
	v_pk_add_f32 v[2:3], v[2:3], v[6:7]
	s_waitcnt vmcnt(0)
	v_pk_add_f32 v[2:3], v[4:5], v[2:3] neg_lo:[0,1] neg_hi:[0,1]
	scratch_store_dwordx2 off, v[2:3], off offset:8
	s_and_saveexec_b64 s[0:1], vcc
	s_cbranch_execz .LBB124_379
; %bb.378:
	scratch_load_dwordx2 v[2:3], off, off
	v_mov_b32_e32 v169, v168
	scratch_store_dwordx2 off, v[168:169], off
	s_waitcnt vmcnt(1)
	ds_write_b64 v1, v[2:3]
.LBB124_379:
	s_or_b64 exec, exec, s[0:1]
	s_waitcnt lgkmcnt(0)
	; wave barrier
	scratch_load_dwordx4 v[4:7], off, off offset:8
	scratch_load_dwordx4 v[12:15], off, off offset:24
	;; [unrolled: 1-line block ×10, first 2 shown]
	ds_read2_b64 v[0:3], v168 offset0:63 offset1:64
	ds_read2_b64 v[174:177], v168 offset0:101 offset1:102
	scratch_load_dwordx4 v[84:87], off, off offset:168
	scratch_load_dwordx4 v[92:95], off, off offset:184
	;; [unrolled: 1-line block ×16, first 2 shown]
	s_and_b64 vcc, exec, s[10:11]
	ds_read2_b64 v[182:185], v168 offset0:103 offset1:104
	ds_read2_b64 v[190:193], v168 offset0:105 offset1:106
	;; [unrolled: 1-line block ×6, first 2 shown]
	s_waitcnt vmcnt(25) lgkmcnt(7)
	v_mul_f32_e32 v8, v0, v5
	v_fmac_f32_e32 v8, v1, v4
	v_mul_f32_e32 v9, v2, v7
	v_add_f32_e32 v8, 0, v8
	v_fmac_f32_e32 v9, v3, v6
	v_add_f32_e32 v16, v8, v9
	ds_read2_b64 v[8:11], v168 offset0:65 offset1:66
	v_mul_f32_e32 v1, v1, v5
	v_fma_f32 v0, v0, v4, -v1
	v_mul_f32_e32 v1, v3, v7
	v_add_f32_e32 v0, 0, v0
	s_waitcnt vmcnt(24) lgkmcnt(0)
	v_mul_f32_e32 v17, v8, v13
	v_fmac_f32_e32 v17, v9, v12
	v_add_f32_e32 v16, v16, v17
	v_mul_f32_e32 v17, v10, v15
	v_fmac_f32_e32 v17, v11, v14
	v_add_f32_e32 v24, v16, v17
	ds_read2_b64 v[16:19], v168 offset0:67 offset1:68
	v_fma_f32 v1, v2, v6, -v1
	v_add_f32_e32 v0, v0, v1
	v_mul_f32_e32 v1, v9, v13
	v_fma_f32 v1, v8, v12, -v1
	s_waitcnt vmcnt(23) lgkmcnt(0)
	v_mul_f32_e32 v25, v16, v21
	v_fmac_f32_e32 v25, v17, v20
	v_add_f32_e32 v24, v24, v25
	v_mul_f32_e32 v25, v18, v23
	v_fmac_f32_e32 v25, v19, v22
	v_add_f32_e32 v32, v24, v25
	ds_read2_b64 v[24:27], v168 offset0:69 offset1:70
	v_add_f32_e32 v0, v0, v1
	v_mul_f32_e32 v1, v11, v15
	v_fma_f32 v1, v10, v14, -v1
	v_add_f32_e32 v0, v0, v1
	s_waitcnt vmcnt(22) lgkmcnt(0)
	v_mul_f32_e32 v33, v24, v29
	v_fmac_f32_e32 v33, v25, v28
	v_add_f32_e32 v32, v32, v33
	v_mul_f32_e32 v33, v26, v31
	v_fmac_f32_e32 v33, v27, v30
	v_add_f32_e32 v40, v32, v33
	ds_read2_b64 v[32:35], v168 offset0:71 offset1:72
	v_mul_f32_e32 v1, v17, v21
	v_fma_f32 v1, v16, v20, -v1
	v_add_f32_e32 v0, v0, v1
	v_mul_f32_e32 v1, v19, v23
	s_waitcnt vmcnt(21) lgkmcnt(0)
	v_mul_f32_e32 v41, v32, v37
	v_fmac_f32_e32 v41, v33, v36
	v_add_f32_e32 v40, v40, v41
	v_mul_f32_e32 v41, v34, v39
	v_fmac_f32_e32 v41, v35, v38
	v_add_f32_e32 v48, v40, v41
	ds_read2_b64 v[40:43], v168 offset0:73 offset1:74
	v_fma_f32 v1, v18, v22, -v1
	v_add_f32_e32 v0, v0, v1
	v_mul_f32_e32 v1, v25, v29
	v_fma_f32 v1, v24, v28, -v1
	s_waitcnt vmcnt(20) lgkmcnt(0)
	v_mul_f32_e32 v49, v40, v45
	v_fmac_f32_e32 v49, v41, v44
	v_add_f32_e32 v48, v48, v49
	v_mul_f32_e32 v49, v42, v47
	v_fmac_f32_e32 v49, v43, v46
	v_add_f32_e32 v56, v48, v49
	ds_read2_b64 v[48:51], v168 offset0:75 offset1:76
	v_add_f32_e32 v0, v0, v1
	v_mul_f32_e32 v1, v27, v31
	v_fma_f32 v1, v26, v30, -v1
	v_add_f32_e32 v0, v0, v1
	s_waitcnt vmcnt(19) lgkmcnt(0)
	v_mul_f32_e32 v57, v48, v53
	v_fmac_f32_e32 v57, v49, v52
	v_add_f32_e32 v56, v56, v57
	v_mul_f32_e32 v57, v50, v55
	v_fmac_f32_e32 v57, v51, v54
	v_add_f32_e32 v64, v56, v57
	ds_read2_b64 v[56:59], v168 offset0:77 offset1:78
	v_mul_f32_e32 v1, v33, v37
	v_fma_f32 v1, v32, v36, -v1
	v_add_f32_e32 v0, v0, v1
	v_mul_f32_e32 v1, v35, v39
	;; [unrolled: 36-line block ×5, first 2 shown]
	s_waitcnt vmcnt(9) lgkmcnt(0)
	v_mul_f32_e32 v137, v128, v133
	v_fmac_f32_e32 v137, v129, v132
	v_add_f32_e32 v136, v136, v137
	v_mul_f32_e32 v137, v130, v135
	v_fmac_f32_e32 v137, v131, v134
	v_add_f32_e32 v144, v136, v137
	ds_read2_b64 v[136:139], v168 offset0:97 offset1:98
	v_fma_f32 v1, v82, v86, -v1
	v_add_f32_e32 v0, v0, v1
	v_mul_f32_e32 v1, v89, v93
	v_fma_f32 v1, v88, v92, -v1
	s_waitcnt vmcnt(8) lgkmcnt(0)
	v_mul_f32_e32 v145, v136, v141
	v_fmac_f32_e32 v145, v137, v140
	v_add_f32_e32 v144, v144, v145
	v_mul_f32_e32 v145, v138, v143
	v_fmac_f32_e32 v145, v139, v142
	v_add_f32_e32 v148, v144, v145
	ds_read2_b64 v[144:147], v168 offset0:99 offset1:100
	scratch_load_dwordx4 v[230:233], off, off offset:424
	scratch_load_dwordx4 v[234:237], off, off offset:440
	;; [unrolled: 1-line block ×4, first 2 shown]
	v_add_f32_e32 v0, v0, v1
	v_mul_f32_e32 v1, v91, v95
	v_fma_f32 v1, v90, v94, -v1
	v_add_f32_e32 v0, v0, v1
	v_mul_f32_e32 v1, v97, v101
	v_fma_f32 v1, v96, v100, -v1
	;; [unrolled: 3-line block ×13, first 2 shown]
	s_waitcnt vmcnt(11) lgkmcnt(0)
	v_mul_f32_e32 v149, v144, v171
	v_add_f32_e32 v0, v0, v1
	v_mul_f32_e32 v1, v145, v171
	v_fmac_f32_e32 v149, v145, v170
	v_fma_f32 v1, v144, v170, -v1
	v_add_f32_e32 v148, v148, v149
	v_mul_f32_e32 v149, v146, v173
	v_add_f32_e32 v0, v0, v1
	v_mul_f32_e32 v1, v147, v173
	v_fmac_f32_e32 v149, v147, v172
	v_fma_f32 v1, v146, v172, -v1
	v_add_f32_e32 v148, v148, v149
	s_waitcnt vmcnt(10)
	v_mul_f32_e32 v149, v174, v179
	v_add_f32_e32 v0, v0, v1
	v_mul_f32_e32 v1, v175, v179
	v_fmac_f32_e32 v149, v175, v178
	v_fma_f32 v1, v174, v178, -v1
	v_add_f32_e32 v148, v148, v149
	v_mul_f32_e32 v149, v176, v181
	v_add_f32_e32 v0, v0, v1
	v_mul_f32_e32 v1, v177, v181
	v_fmac_f32_e32 v149, v177, v180
	v_fma_f32 v1, v176, v180, -v1
	v_add_f32_e32 v148, v148, v149
	s_waitcnt vmcnt(9)
	;; [unrolled: 13-line block ×6, first 2 shown]
	v_mul_f32_e32 v149, v214, v219
	v_add_f32_e32 v0, v0, v1
	v_mul_f32_e32 v1, v215, v219
	v_fmac_f32_e32 v149, v215, v218
	v_fma_f32 v1, v214, v218, -v1
	v_add_f32_e32 v148, v148, v149
	v_mul_f32_e32 v149, v216, v221
	v_add_f32_e32 v0, v0, v1
	v_mul_f32_e32 v1, v217, v221
	v_fmac_f32_e32 v149, v217, v220
	v_fma_f32 v1, v216, v220, -v1
	v_add_f32_e32 v149, v148, v149
	v_add_f32_e32 v148, v0, v1
	s_waitcnt vmcnt(4)
	v_mul_f32_e32 v0, v223, v227
	v_fma_f32 v246, v222, v226, -v0
	v_mul_f32_e32 v0, v225, v229
	v_fma_f32 v248, v224, v228, -v0
	ds_read2_b64 v[0:3], v168 offset0:115 offset1:116
	ds_read2_b64 v[4:7], v168 offset0:117 offset1:118
	;; [unrolled: 1-line block ×4, first 2 shown]
	v_mul_f32_e32 v247, v222, v227
	v_fmac_f32_e32 v247, v223, v226
	v_mul_f32_e32 v249, v224, v229
	s_waitcnt vmcnt(3) lgkmcnt(3)
	v_pk_mul_f32 v[18:19], v[0:1], v[230:231] op_sel:[1,1] op_sel_hi:[0,1]
	v_fmac_f32_e32 v249, v225, v228
	v_pk_add_f32 v[16:17], v[148:149], v[246:247]
	v_pk_fma_f32 v[20:21], v[0:1], v[230:231], v[18:19] neg_lo:[0,0,1] neg_hi:[0,0,1]
	v_pk_fma_f32 v[0:1], v[0:1], v[230:231], v[18:19] op_sel_hi:[1,0,1]
	v_pk_add_f32 v[16:17], v[16:17], v[248:249]
	v_mov_b32_e32 v21, v1
	v_pk_add_f32 v[0:1], v[16:17], v[20:21]
	v_mov_b32_e32 v16, v233
	v_pk_mul_f32 v[16:17], v[2:3], v[16:17] op_sel:[1,0] op_sel_hi:[0,0]
	v_pk_fma_f32 v[18:19], v[2:3], v[232:233], v[16:17] neg_lo:[0,0,1] neg_hi:[0,0,1]
	v_pk_fma_f32 v[2:3], v[2:3], v[232:233], v[16:17] op_sel_hi:[1,0,1]
	s_nop 0
	v_mov_b32_e32 v19, v3
	s_waitcnt vmcnt(2) lgkmcnt(2)
	v_pk_mul_f32 v[2:3], v[4:5], v[234:235] op_sel:[1,1] op_sel_hi:[0,1]
	v_pk_fma_f32 v[16:17], v[4:5], v[234:235], v[2:3] neg_lo:[0,0,1] neg_hi:[0,0,1]
	v_pk_fma_f32 v[2:3], v[4:5], v[234:235], v[2:3] op_sel_hi:[1,0,1]
	v_pk_add_f32 v[0:1], v[0:1], v[18:19]
	v_mov_b32_e32 v2, v237
	v_mov_b32_e32 v17, v3
	v_pk_mul_f32 v[2:3], v[6:7], v[2:3] op_sel:[1,0] op_sel_hi:[0,0]
	v_pk_fma_f32 v[4:5], v[6:7], v[236:237], v[2:3] neg_lo:[0,0,1] neg_hi:[0,0,1]
	v_pk_fma_f32 v[2:3], v[6:7], v[236:237], v[2:3] op_sel_hi:[1,0,1]
	v_pk_add_f32 v[0:1], v[0:1], v[16:17]
	v_mov_b32_e32 v5, v3
	s_waitcnt vmcnt(1) lgkmcnt(1)
	v_pk_mul_f32 v[2:3], v[8:9], v[238:239] op_sel:[1,1] op_sel_hi:[0,1]
	v_pk_add_f32 v[0:1], v[0:1], v[4:5]
	v_pk_fma_f32 v[4:5], v[8:9], v[238:239], v[2:3] neg_lo:[0,0,1] neg_hi:[0,0,1]
	v_pk_fma_f32 v[2:3], v[8:9], v[238:239], v[2:3] op_sel_hi:[1,0,1]
	s_nop 0
	v_mov_b32_e32 v2, v241
	v_mov_b32_e32 v5, v3
	v_pk_mul_f32 v[2:3], v[10:11], v[2:3] op_sel:[1,0] op_sel_hi:[0,0]
	v_pk_add_f32 v[0:1], v[0:1], v[4:5]
	v_pk_fma_f32 v[4:5], v[10:11], v[240:241], v[2:3] neg_lo:[0,0,1] neg_hi:[0,0,1]
	v_pk_fma_f32 v[2:3], v[10:11], v[240:241], v[2:3] op_sel_hi:[1,0,1]
	s_nop 0
	v_mov_b32_e32 v5, v3
	s_waitcnt vmcnt(0) lgkmcnt(0)
	v_pk_mul_f32 v[2:3], v[12:13], v[242:243] op_sel:[1,1] op_sel_hi:[0,1]
	v_pk_add_f32 v[0:1], v[0:1], v[4:5]
	v_pk_fma_f32 v[4:5], v[12:13], v[242:243], v[2:3] neg_lo:[0,0,1] neg_hi:[0,0,1]
	v_pk_fma_f32 v[2:3], v[12:13], v[242:243], v[2:3] op_sel_hi:[1,0,1]
	s_nop 0
	v_mov_b32_e32 v2, v245
	v_mov_b32_e32 v5, v3
	v_pk_mul_f32 v[2:3], v[14:15], v[2:3] op_sel:[1,0] op_sel_hi:[0,0]
	v_pk_add_f32 v[0:1], v[0:1], v[4:5]
	v_pk_fma_f32 v[4:5], v[14:15], v[244:245], v[2:3] neg_lo:[0,0,1] neg_hi:[0,0,1]
	v_pk_fma_f32 v[2:3], v[14:15], v[244:245], v[2:3] op_sel_hi:[1,0,1]
	s_nop 0
	v_mov_b32_e32 v5, v3
	scratch_load_dwordx2 v[2:3], off, off
	v_pk_add_f32 v[0:1], v[0:1], v[4:5]
	s_waitcnt vmcnt(0)
	v_pk_add_f32 v[0:1], v[2:3], v[0:1] neg_lo:[0,1] neg_hi:[0,1]
	scratch_store_dwordx2 off, v[0:1], off
	s_cbranch_vccz .LBB124_500
; %bb.380:
	v_mov_b32_e32 v0, 0
	global_load_dword v1, v0, s[8:9] offset:236
	s_waitcnt vmcnt(0)
	v_readfirstlane_b32 s0, v1
	s_add_i32 s0, s0, -1
	s_cmp_lg_u32 s0, 59
	s_cbranch_scc0 .LBB124_382
; %bb.381:
	s_lshl_b32 s0, s0, 3
	s_nop 0
	scratch_load_dwordx2 v[2:3], off, s0
	scratch_load_dwordx2 v[4:5], off, off offset:472
	s_waitcnt vmcnt(1)
	scratch_store_dwordx2 off, v[2:3], off offset:472
	s_waitcnt vmcnt(1)
	scratch_store_dwordx2 off, v[4:5], s0
.LBB124_382:
	global_load_dword v0, v0, s[8:9] offset:232
	s_waitcnt vmcnt(0)
	v_readfirstlane_b32 s0, v0
	s_add_i32 s0, s0, -1
	s_cmp_eq_u32 s0, 58
	s_cbranch_scc1 .LBB124_384
; %bb.383:
	s_lshl_b32 s0, s0, 3
	s_nop 0
	scratch_load_dwordx2 v[0:1], off, s0
	scratch_load_dwordx2 v[2:3], off, off offset:464
	s_waitcnt vmcnt(1)
	scratch_store_dwordx2 off, v[0:1], off offset:464
	s_waitcnt vmcnt(1)
	scratch_store_dwordx2 off, v[2:3], s0
.LBB124_384:
	v_mov_b32_e32 v0, 0
	global_load_dword v1, v0, s[8:9] offset:228
	s_waitcnt vmcnt(0)
	v_readfirstlane_b32 s0, v1
	s_add_i32 s0, s0, -1
	s_cmp_eq_u32 s0, 57
	s_cbranch_scc1 .LBB124_386
; %bb.385:
	s_lshl_b32 s0, s0, 3
	s_nop 0
	scratch_load_dwordx2 v[2:3], off, s0
	scratch_load_dwordx2 v[4:5], off, off offset:456
	s_waitcnt vmcnt(1)
	scratch_store_dwordx2 off, v[2:3], off offset:456
	s_waitcnt vmcnt(1)
	scratch_store_dwordx2 off, v[4:5], s0
.LBB124_386:
	global_load_dword v0, v0, s[8:9] offset:224
	s_waitcnt vmcnt(0)
	v_readfirstlane_b32 s0, v0
	s_add_i32 s0, s0, -1
	s_cmp_eq_u32 s0, 56
	s_cbranch_scc1 .LBB124_388
; %bb.387:
	s_lshl_b32 s0, s0, 3
	s_nop 0
	scratch_load_dwordx2 v[0:1], off, s0
	scratch_load_dwordx2 v[2:3], off, off offset:448
	s_waitcnt vmcnt(1)
	scratch_store_dwordx2 off, v[0:1], off offset:448
	s_waitcnt vmcnt(1)
	scratch_store_dwordx2 off, v[2:3], s0
.LBB124_388:
	v_mov_b32_e32 v0, 0
	global_load_dword v1, v0, s[8:9] offset:220
	s_waitcnt vmcnt(0)
	v_readfirstlane_b32 s0, v1
	s_add_i32 s0, s0, -1
	s_cmp_eq_u32 s0, 55
	s_cbranch_scc1 .LBB124_390
; %bb.389:
	s_lshl_b32 s0, s0, 3
	s_nop 0
	scratch_load_dwordx2 v[2:3], off, s0
	scratch_load_dwordx2 v[4:5], off, off offset:440
	s_waitcnt vmcnt(1)
	scratch_store_dwordx2 off, v[2:3], off offset:440
	s_waitcnt vmcnt(1)
	scratch_store_dwordx2 off, v[4:5], s0
.LBB124_390:
	;; [unrolled: 33-line block ×29, first 2 shown]
	global_load_dword v2, v0, s[8:9]
	s_nop 0
	scratch_load_dwordx2 v[0:1], off, off
	s_waitcnt vmcnt(1)
	v_readfirstlane_b32 s0, v2
	s_add_i32 s0, s0, -1
	s_cmp_eq_u32 s0, 0
	s_cbranch_scc1 .LBB124_500
; %bb.499:
	s_lshl_b32 s0, s0, 3
	s_nop 0
	scratch_load_dwordx2 v[2:3], off, s0
	s_waitcnt vmcnt(0)
	scratch_store_dwordx2 off, v[2:3], off
	scratch_store_dwordx2 off, v[0:1], s0
	scratch_load_dwordx2 v[0:1], off, off
.LBB124_500:
	s_waitcnt vmcnt(0)
	flat_store_dwordx2 v[150:151], v[0:1]
	scratch_load_dwordx2 v[0:1], off, off offset:8
	v_accvgpr_read_b32 v3, a1
	v_accvgpr_read_b32 v2, a0
	s_waitcnt vmcnt(0)
	flat_store_dwordx2 v[2:3], v[0:1]
	scratch_load_dwordx2 v[0:1], off, off offset:16
	v_accvgpr_read_b32 v2, a2
	v_accvgpr_read_b32 v3, a3
	;; [unrolled: 5-line block ×49, first 2 shown]
	s_waitcnt vmcnt(0)
	flat_store_dwordx2 v[2:3], v[0:1]
	scratch_load_dwordx2 v[0:1], off, off offset:400
	s_waitcnt vmcnt(0)
	flat_store_dwordx2 v[250:251], v[0:1]
	scratch_load_dwordx2 v[0:1], off, off offset:408
	;; [unrolled: 3-line block ×11, first 2 shown]
	s_waitcnt vmcnt(0)
	flat_store_dwordx2 v[166:167], v[0:1]
	s_endpgm
	.section	.rodata,"a",@progbits
	.p2align	6, 0x0
	.amdhsa_kernel _ZN9rocsolver6v33100L18getri_kernel_smallILi61E19rocblas_complex_numIfEPKPS3_EEvT1_iilPiilS8_bb
		.amdhsa_group_segment_fixed_size 984
		.amdhsa_private_segment_fixed_size 496
		.amdhsa_kernarg_size 60
		.amdhsa_user_sgpr_count 2
		.amdhsa_user_sgpr_dispatch_ptr 0
		.amdhsa_user_sgpr_queue_ptr 0
		.amdhsa_user_sgpr_kernarg_segment_ptr 1
		.amdhsa_user_sgpr_dispatch_id 0
		.amdhsa_user_sgpr_kernarg_preload_length 0
		.amdhsa_user_sgpr_kernarg_preload_offset 0
		.amdhsa_user_sgpr_private_segment_size 0
		.amdhsa_uses_dynamic_stack 0
		.amdhsa_enable_private_segment 1
		.amdhsa_system_sgpr_workgroup_id_x 1
		.amdhsa_system_sgpr_workgroup_id_y 0
		.amdhsa_system_sgpr_workgroup_id_z 0
		.amdhsa_system_sgpr_workgroup_info 0
		.amdhsa_system_vgpr_workitem_id 0
		.amdhsa_next_free_vgpr 354
		.amdhsa_next_free_sgpr 17
		.amdhsa_accum_offset 256
		.amdhsa_reserve_vcc 1
		.amdhsa_float_round_mode_32 0
		.amdhsa_float_round_mode_16_64 0
		.amdhsa_float_denorm_mode_32 3
		.amdhsa_float_denorm_mode_16_64 3
		.amdhsa_dx10_clamp 1
		.amdhsa_ieee_mode 1
		.amdhsa_fp16_overflow 0
		.amdhsa_tg_split 0
		.amdhsa_exception_fp_ieee_invalid_op 0
		.amdhsa_exception_fp_denorm_src 0
		.amdhsa_exception_fp_ieee_div_zero 0
		.amdhsa_exception_fp_ieee_overflow 0
		.amdhsa_exception_fp_ieee_underflow 0
		.amdhsa_exception_fp_ieee_inexact 0
		.amdhsa_exception_int_div_zero 0
	.end_amdhsa_kernel
	.section	.text._ZN9rocsolver6v33100L18getri_kernel_smallILi61E19rocblas_complex_numIfEPKPS3_EEvT1_iilPiilS8_bb,"axG",@progbits,_ZN9rocsolver6v33100L18getri_kernel_smallILi61E19rocblas_complex_numIfEPKPS3_EEvT1_iilPiilS8_bb,comdat
.Lfunc_end124:
	.size	_ZN9rocsolver6v33100L18getri_kernel_smallILi61E19rocblas_complex_numIfEPKPS3_EEvT1_iilPiilS8_bb, .Lfunc_end124-_ZN9rocsolver6v33100L18getri_kernel_smallILi61E19rocblas_complex_numIfEPKPS3_EEvT1_iilPiilS8_bb
                                        ; -- End function
	.set _ZN9rocsolver6v33100L18getri_kernel_smallILi61E19rocblas_complex_numIfEPKPS3_EEvT1_iilPiilS8_bb.num_vgpr, 256
	.set _ZN9rocsolver6v33100L18getri_kernel_smallILi61E19rocblas_complex_numIfEPKPS3_EEvT1_iilPiilS8_bb.num_agpr, 98
	.set _ZN9rocsolver6v33100L18getri_kernel_smallILi61E19rocblas_complex_numIfEPKPS3_EEvT1_iilPiilS8_bb.numbered_sgpr, 17
	.set _ZN9rocsolver6v33100L18getri_kernel_smallILi61E19rocblas_complex_numIfEPKPS3_EEvT1_iilPiilS8_bb.num_named_barrier, 0
	.set _ZN9rocsolver6v33100L18getri_kernel_smallILi61E19rocblas_complex_numIfEPKPS3_EEvT1_iilPiilS8_bb.private_seg_size, 496
	.set _ZN9rocsolver6v33100L18getri_kernel_smallILi61E19rocblas_complex_numIfEPKPS3_EEvT1_iilPiilS8_bb.uses_vcc, 1
	.set _ZN9rocsolver6v33100L18getri_kernel_smallILi61E19rocblas_complex_numIfEPKPS3_EEvT1_iilPiilS8_bb.uses_flat_scratch, 0
	.set _ZN9rocsolver6v33100L18getri_kernel_smallILi61E19rocblas_complex_numIfEPKPS3_EEvT1_iilPiilS8_bb.has_dyn_sized_stack, 0
	.set _ZN9rocsolver6v33100L18getri_kernel_smallILi61E19rocblas_complex_numIfEPKPS3_EEvT1_iilPiilS8_bb.has_recursion, 0
	.set _ZN9rocsolver6v33100L18getri_kernel_smallILi61E19rocblas_complex_numIfEPKPS3_EEvT1_iilPiilS8_bb.has_indirect_call, 0
	.section	.AMDGPU.csdata,"",@progbits
; Kernel info:
; codeLenInByte = 103912
; TotalNumSgprs: 23
; NumVgprs: 256
; NumAgprs: 98
; TotalNumVgprs: 354
; ScratchSize: 496
; MemoryBound: 0
; FloatMode: 240
; IeeeMode: 1
; LDSByteSize: 984 bytes/workgroup (compile time only)
; SGPRBlocks: 2
; VGPRBlocks: 44
; NumSGPRsForWavesPerEU: 23
; NumVGPRsForWavesPerEU: 354
; AccumOffset: 256
; Occupancy: 1
; WaveLimiterHint : 1
; COMPUTE_PGM_RSRC2:SCRATCH_EN: 1
; COMPUTE_PGM_RSRC2:USER_SGPR: 2
; COMPUTE_PGM_RSRC2:TRAP_HANDLER: 0
; COMPUTE_PGM_RSRC2:TGID_X_EN: 1
; COMPUTE_PGM_RSRC2:TGID_Y_EN: 0
; COMPUTE_PGM_RSRC2:TGID_Z_EN: 0
; COMPUTE_PGM_RSRC2:TIDIG_COMP_CNT: 0
; COMPUTE_PGM_RSRC3_GFX90A:ACCUM_OFFSET: 63
; COMPUTE_PGM_RSRC3_GFX90A:TG_SPLIT: 0
	.section	.text._ZN9rocsolver6v33100L18getri_kernel_smallILi62E19rocblas_complex_numIfEPKPS3_EEvT1_iilPiilS8_bb,"axG",@progbits,_ZN9rocsolver6v33100L18getri_kernel_smallILi62E19rocblas_complex_numIfEPKPS3_EEvT1_iilPiilS8_bb,comdat
	.globl	_ZN9rocsolver6v33100L18getri_kernel_smallILi62E19rocblas_complex_numIfEPKPS3_EEvT1_iilPiilS8_bb ; -- Begin function _ZN9rocsolver6v33100L18getri_kernel_smallILi62E19rocblas_complex_numIfEPKPS3_EEvT1_iilPiilS8_bb
	.p2align	8
	.type	_ZN9rocsolver6v33100L18getri_kernel_smallILi62E19rocblas_complex_numIfEPKPS3_EEvT1_iilPiilS8_bb,@function
_ZN9rocsolver6v33100L18getri_kernel_smallILi62E19rocblas_complex_numIfEPKPS3_EEvT1_iilPiilS8_bb: ; @_ZN9rocsolver6v33100L18getri_kernel_smallILi62E19rocblas_complex_numIfEPKPS3_EEvT1_iilPiilS8_bb
; %bb.0:
	v_cmp_gt_u32_e32 vcc, 62, v0
	s_and_saveexec_b64 s[4:5], vcc
	s_cbranch_execz .LBB125_262
; %bb.1:
	s_load_dword s14, s[0:1], 0x38
	s_load_dwordx2 s[8:9], s[0:1], 0x0
	s_load_dwordx4 s[4:7], s[0:1], 0x28
	s_waitcnt lgkmcnt(0)
	s_bitcmp1_b32 s14, 8
	s_cselect_b64 s[10:11], -1, 0
	s_ashr_i32 s3, s2, 31
	s_lshl_b64 s[12:13], s[2:3], 3
	s_add_u32 s8, s8, s12
	s_addc_u32 s9, s9, s13
	s_load_dwordx2 s[12:13], s[8:9], 0x0
	s_bfe_u32 s8, s14, 0x10008
	s_cmp_eq_u32 s8, 0
                                        ; implicit-def: $sgpr8_sgpr9
	s_cbranch_scc1 .LBB125_3
; %bb.2:
	s_load_dword s8, s[0:1], 0x20
	s_load_dwordx2 s[14:15], s[0:1], 0x18
	s_mul_i32 s9, s4, s3
	s_mul_hi_u32 s16, s4, s2
	s_add_i32 s16, s16, s9
	s_mul_i32 s5, s5, s2
	s_add_i32 s5, s16, s5
	s_mul_i32 s4, s4, s2
	s_waitcnt lgkmcnt(0)
	s_ashr_i32 s9, s8, 31
	s_lshl_b64 s[4:5], s[4:5], 2
	s_add_u32 s14, s14, s4
	s_addc_u32 s15, s15, s5
	s_lshl_b64 s[4:5], s[8:9], 2
	s_add_u32 s8, s14, s4
	s_addc_u32 s9, s15, s5
.LBB125_3:
	s_load_dwordx2 s[4:5], s[0:1], 0x8
	s_load_dword s14, s[0:1], 0x38
	v_lshlrev_b32_e32 v2, 3, v0
	v_mov_b32_e32 v3, 0
	s_waitcnt lgkmcnt(0)
	s_ashr_i32 s1, s4, 31
	s_mov_b32 s0, s4
	s_lshl_b64 s[0:1], s[0:1], 3
	s_add_u32 s0, s12, s0
	s_addc_u32 s1, s13, s1
	v_lshl_add_u64 v[150:151], s[0:1], 0, v[2:3]
	flat_load_dwordx2 v[4:5], v[150:151]
	s_mov_b32 s12, s5
	s_ashr_i32 s13, s5, 31
	v_lshl_add_u64 v[6:7], s[12:13], 3, v[150:151]
	v_accvgpr_write_b32 a0, v6
	s_add_i32 s4, s5, s5
	v_accvgpr_write_b32 a1, v7
	s_bitcmp0_b32 s14, 0
	s_waitcnt vmcnt(0) lgkmcnt(0)
	scratch_store_dwordx2 off, v[4:5], off
	flat_load_dwordx2 v[4:5], v[6:7]
	v_add_u32_e32 v6, s4, v0
	v_ashrrev_i32_e32 v7, 31, v6
	v_lshl_add_u64 v[8:9], v[6:7], 3, s[0:1]
	v_add_u32_e32 v6, s5, v6
	v_accvgpr_write_b32 a2, v8
	v_ashrrev_i32_e32 v7, 31, v6
	v_accvgpr_write_b32 a3, v9
	s_waitcnt vmcnt(0) lgkmcnt(0)
	scratch_store_dwordx2 off, v[4:5], off offset:8
	flat_load_dwordx2 v[4:5], v[8:9]
	v_lshl_add_u64 v[8:9], v[6:7], 3, s[0:1]
	v_add_u32_e32 v6, s5, v6
	v_accvgpr_write_b32 a4, v8
	v_ashrrev_i32_e32 v7, 31, v6
	v_accvgpr_write_b32 a5, v9
	s_waitcnt vmcnt(0) lgkmcnt(0)
	scratch_store_dwordx2 off, v[4:5], off offset:16
	flat_load_dwordx2 v[4:5], v[8:9]
	;; [unrolled: 8-line block ×51, first 2 shown]
	v_lshl_add_u64 v[8:9], v[6:7], 3, s[0:1]
	v_add_u32_e32 v6, s5, v6
	v_ashrrev_i32_e32 v7, 31, v6
	v_lshl_add_u64 v[154:155], v[6:7], 3, s[0:1]
	v_add_u32_e32 v6, s5, v6
	v_ashrrev_i32_e32 v7, 31, v6
	;; [unrolled: 3-line block ×8, first 2 shown]
	v_lshl_add_u64 v[168:169], v[6:7], 3, s[0:1]
	v_accvgpr_write_b32 a105, v9
	v_accvgpr_write_b32 a104, v8
	s_mov_b64 s[4:5], -1
	s_waitcnt vmcnt(0) lgkmcnt(0)
	scratch_store_dwordx2 off, v[4:5], off offset:416
	flat_load_dwordx2 v[4:5], v[8:9]
	s_waitcnt vmcnt(0) lgkmcnt(0)
	scratch_store_dwordx2 off, v[4:5], off offset:424
	flat_load_dwordx2 v[4:5], v[154:155]
	;; [unrolled: 3-line block ×9, first 2 shown]
	s_waitcnt vmcnt(0) lgkmcnt(0)
	scratch_store_dwordx2 off, v[4:5], off offset:488
	s_cbranch_scc1 .LBB125_260
; %bb.4:
	v_cmp_eq_u32_e64 s[0:1], 0, v0
	s_and_saveexec_b64 s[4:5], s[0:1]
; %bb.5:
	v_mov_b32_e32 v1, 0
	ds_write_b32 v1, v1 offset:992
; %bb.6:
	s_or_b64 exec, exec, s[4:5]
	s_waitcnt lgkmcnt(0)
	; wave barrier
	scratch_load_dwordx2 v[4:5], v2, off
	s_waitcnt vmcnt(0)
	v_cmp_eq_f32_e32 vcc, 0, v4
	v_cmp_eq_f32_e64 s[4:5], 0, v5
	s_and_b64 s[4:5], vcc, s[4:5]
	s_and_saveexec_b64 s[12:13], s[4:5]
	s_cbranch_execz .LBB125_10
; %bb.7:
	v_mov_b32_e32 v1, 0
	ds_read_b32 v3, v1 offset:992
	s_waitcnt lgkmcnt(0)
	v_readfirstlane_b32 s4, v3
	v_add_u32_e32 v3, 1, v0
	s_cmp_eq_u32 s4, 0
	s_cselect_b64 s[14:15], -1, 0
	v_cmp_gt_i32_e32 vcc, s4, v3
	s_or_b64 s[14:15], s[14:15], vcc
	s_and_b64 exec, exec, s[14:15]
	s_cbranch_execz .LBB125_10
; %bb.8:
	s_mov_b64 s[14:15], 0
	v_mov_b32_e32 v4, s4
.LBB125_9:                              ; =>This Inner Loop Header: Depth=1
	ds_cmpst_rtn_b32 v4, v1, v4, v3 offset:992
	s_waitcnt lgkmcnt(0)
	v_cmp_ne_u32_e32 vcc, 0, v4
	v_cmp_le_i32_e64 s[4:5], v4, v3
	s_and_b64 s[4:5], vcc, s[4:5]
	s_and_b64 s[4:5], exec, s[4:5]
	s_or_b64 s[14:15], s[4:5], s[14:15]
	s_andn2_b64 exec, exec, s[14:15]
	s_cbranch_execnz .LBB125_9
.LBB125_10:
	s_or_b64 exec, exec, s[12:13]
	v_mov_b32_e32 v3, 0
	; wave barrier
	ds_read_b32 v1, v3 offset:992
	s_and_saveexec_b64 s[4:5], s[0:1]
	s_cbranch_execz .LBB125_12
; %bb.11:
	s_lshl_b64 s[12:13], s[2:3], 2
	s_add_u32 s12, s6, s12
	s_addc_u32 s13, s7, s13
	s_waitcnt lgkmcnt(0)
	global_store_dword v3, v1, s[12:13]
.LBB125_12:
	s_or_b64 exec, exec, s[4:5]
	s_waitcnt lgkmcnt(0)
	v_cmp_ne_u32_e32 vcc, 0, v1
	s_mov_b64 s[4:5], 0
	s_cbranch_vccnz .LBB125_260
; %bb.13:
	v_mov_b32_e32 v3, v2
	scratch_load_dwordx2 v[4:5], v3, off
                                        ; implicit-def: $vgpr7
                                        ; implicit-def: $vgpr8
	s_waitcnt vmcnt(0)
	v_cmp_ngt_f32_e64 s[4:5], |v4|, |v5|
	s_and_saveexec_b64 s[12:13], s[4:5]
	s_xor_b64 s[4:5], exec, s[12:13]
	s_cbranch_execz .LBB125_15
; %bb.14:
	v_div_scale_f32 v1, s[12:13], v5, v5, v4
	v_rcp_f32_e32 v6, v1
	v_div_scale_f32 v7, vcc, v4, v5, v4
	v_fma_f32 v8, -v1, v6, 1.0
	v_fmac_f32_e32 v6, v8, v6
	v_mul_f32_e32 v8, v7, v6
	v_fma_f32 v9, -v1, v8, v7
	v_fmac_f32_e32 v8, v9, v6
	v_fma_f32 v1, -v1, v8, v7
	v_div_fmas_f32 v1, v1, v6, v8
	v_div_fixup_f32 v1, v1, v5, v4
	v_fmac_f32_e32 v5, v4, v1
	v_div_scale_f32 v4, s[12:13], v5, v5, -1.0
	v_rcp_f32_e32 v6, v4
	s_nop 0
	v_fma_f32 v7, -v4, v6, 1.0
	v_fmac_f32_e32 v6, v7, v6
	v_div_scale_f32 v7, vcc, -1.0, v5, -1.0
	v_mul_f32_e32 v8, v7, v6
	v_fma_f32 v9, -v4, v8, v7
	v_fmac_f32_e32 v8, v9, v6
	v_fma_f32 v4, -v4, v8, v7
	v_div_fmas_f32 v4, v4, v6, v8
	v_div_fixup_f32 v7, v4, v5, -1.0
	v_mul_f32_e32 v8, v1, v7
	v_xor_b32_e32 v6, 0x80000000, v8
                                        ; implicit-def: $vgpr4_vgpr5
.LBB125_15:
	s_andn2_saveexec_b64 s[4:5], s[4:5]
	s_cbranch_execz .LBB125_17
; %bb.16:
	v_div_scale_f32 v1, s[12:13], v4, v4, v5
	v_rcp_f32_e32 v6, v1
	v_div_scale_f32 v7, vcc, v5, v4, v5
	v_fma_f32 v8, -v1, v6, 1.0
	v_fmac_f32_e32 v6, v8, v6
	v_mul_f32_e32 v8, v7, v6
	v_fma_f32 v9, -v1, v8, v7
	v_fmac_f32_e32 v8, v9, v6
	v_fma_f32 v1, -v1, v8, v7
	v_div_fmas_f32 v1, v1, v6, v8
	v_div_fixup_f32 v1, v1, v4, v5
	v_fmac_f32_e32 v4, v5, v1
	v_div_scale_f32 v5, s[12:13], v4, v4, 1.0
	v_rcp_f32_e32 v6, v5
	s_nop 0
	v_fma_f32 v7, -v5, v6, 1.0
	v_fmac_f32_e32 v6, v7, v6
	v_div_scale_f32 v7, vcc, 1.0, v4, 1.0
	v_mul_f32_e32 v8, v7, v6
	v_fma_f32 v9, -v5, v8, v7
	v_fmac_f32_e32 v8, v9, v6
	v_fma_f32 v5, -v5, v8, v7
	v_div_fmas_f32 v5, v5, v6, v8
	v_div_fixup_f32 v6, v5, v4, 1.0
	v_xor_b32_e32 v8, 0x80000000, v6
	v_mul_f32_e64 v7, v1, -v6
.LBB125_17:
	s_or_b64 exec, exec, s[4:5]
	scratch_store_dwordx2 v3, v[6:7], off
	scratch_load_dwordx2 v[4:5], off, off offset:8
	v_xor_b32_e32 v9, 0x80000000, v7
	v_add_u32_e32 v1, 0x1f0, v2
	s_waitcnt vmcnt(0)
	ds_write2_b64 v2, v[8:9], v[4:5] offset1:62
	s_waitcnt lgkmcnt(0)
	; wave barrier
	s_and_saveexec_b64 s[4:5], s[0:1]
	s_cbranch_execz .LBB125_19
; %bb.18:
	scratch_load_dwordx2 v[4:5], v3, off
	ds_read_b64 v[6:7], v1
	v_mov_b32_e32 v8, 0
	ds_read_b64 v[8:9], v8 offset:8
	s_waitcnt vmcnt(0) lgkmcnt(1)
	v_pk_mul_f32 v[10:11], v[6:7], v[4:5] op_sel:[1,1] op_sel_hi:[0,1]
	v_pk_fma_f32 v[12:13], v[6:7], v[4:5], v[10:11] neg_lo:[0,0,1] neg_hi:[0,0,1]
	v_pk_fma_f32 v[4:5], v[6:7], v[4:5], v[10:11] op_sel_hi:[1,0,1]
	s_nop 0
	v_mov_b32_e32 v13, v5
	v_pk_add_f32 v[4:5], v[12:13], 0 op_sel_hi:[1,0]
	s_waitcnt lgkmcnt(0)
	v_pk_mul_f32 v[6:7], v[4:5], v[8:9] op_sel:[1,1] op_sel_hi:[0,1]
	v_pk_fma_f32 v[10:11], v[4:5], v[8:9], v[6:7] neg_lo:[0,0,1] neg_hi:[0,0,1]
	v_pk_fma_f32 v[4:5], v[4:5], v[8:9], v[6:7] op_sel_hi:[1,0,1]
	s_nop 0
	v_mov_b32_e32 v11, v5
	scratch_store_dwordx2 off, v[10:11], off offset:8
.LBB125_19:
	s_or_b64 exec, exec, s[4:5]
	; wave barrier
	scratch_load_dwordx2 v[4:5], off, off offset:16
	v_cmp_gt_u32_e32 vcc, 2, v0
	s_waitcnt vmcnt(0)
	ds_write_b64 v1, v[4:5]
	s_waitcnt lgkmcnt(0)
	; wave barrier
	s_and_saveexec_b64 s[4:5], vcc
	s_cbranch_execz .LBB125_23
; %bb.20:
	scratch_load_dwordx2 v[4:5], v3, off
	ds_read_b64 v[6:7], v1
	s_waitcnt vmcnt(0) lgkmcnt(0)
	v_pk_mul_f32 v[8:9], v[6:7], v[4:5] op_sel:[1,1] op_sel_hi:[0,1]
	v_pk_fma_f32 v[10:11], v[6:7], v[4:5], v[8:9] neg_lo:[0,0,1] neg_hi:[0,0,1]
	v_pk_fma_f32 v[4:5], v[6:7], v[4:5], v[8:9] op_sel_hi:[1,0,1]
	s_nop 0
	v_mov_b32_e32 v11, v5
	v_pk_add_f32 v[4:5], v[10:11], 0 op_sel_hi:[1,0]
	s_and_saveexec_b64 s[12:13], s[0:1]
	s_cbranch_execz .LBB125_22
; %bb.21:
	scratch_load_dwordx2 v[6:7], off, off offset:8
	v_mov_b32_e32 v3, 0
	ds_read_b64 v[8:9], v3 offset:504
	s_waitcnt vmcnt(0) lgkmcnt(0)
	v_pk_mul_f32 v[10:11], v[8:9], v[6:7] op_sel:[1,1] op_sel_hi:[0,1]
	v_pk_fma_f32 v[12:13], v[8:9], v[6:7], v[10:11] neg_lo:[0,0,1] neg_hi:[0,0,1]
	v_pk_fma_f32 v[6:7], v[8:9], v[6:7], v[10:11] op_sel_hi:[1,0,1]
	s_nop 0
	v_mov_b32_e32 v13, v7
	v_pk_add_f32 v[4:5], v[4:5], v[12:13]
.LBB125_22:
	s_or_b64 exec, exec, s[12:13]
	v_mov_b32_e32 v3, 0
	ds_read_b64 v[6:7], v3 offset:16
	s_waitcnt lgkmcnt(0)
	v_pk_mul_f32 v[8:9], v[4:5], v[6:7] op_sel:[1,1] op_sel_hi:[0,1]
	v_pk_fma_f32 v[10:11], v[4:5], v[6:7], v[8:9] neg_lo:[0,0,1] neg_hi:[0,0,1]
	v_pk_fma_f32 v[4:5], v[4:5], v[6:7], v[8:9] op_sel_hi:[1,0,1]
	s_nop 0
	v_mov_b32_e32 v11, v5
	scratch_store_dwordx2 off, v[10:11], off offset:16
.LBB125_23:
	s_or_b64 exec, exec, s[4:5]
	; wave barrier
	scratch_load_dwordx2 v[4:5], off, off offset:24
	v_cmp_gt_u32_e32 vcc, 3, v0
	v_add_u32_e32 v6, -1, v0
	s_waitcnt vmcnt(0)
	ds_write_b64 v1, v[4:5]
	s_waitcnt lgkmcnt(0)
	; wave barrier
	s_and_saveexec_b64 s[0:1], vcc
	s_cbranch_execz .LBB125_27
; %bb.24:
	v_mov_b32_e32 v4, 0
	v_add_u32_e32 v3, -1, v0
	v_add_u32_e32 v7, 0x1f0, v2
	v_mov_b32_e32 v8, v2
	s_mov_b64 s[4:5], 0
	v_mov_b32_e32 v5, v4
.LBB125_25:                             ; =>This Inner Loop Header: Depth=1
	scratch_load_dwordx2 v[10:11], v8, off
	ds_read_b64 v[12:13], v7
	v_add_u32_e32 v3, 1, v3
	v_cmp_lt_u32_e32 vcc, 1, v3
	v_add_u32_e32 v7, 8, v7
	v_add_u32_e32 v8, 8, v8
	s_or_b64 s[4:5], vcc, s[4:5]
	s_waitcnt vmcnt(0) lgkmcnt(0)
	v_pk_mul_f32 v[14:15], v[12:13], v[10:11] op_sel:[1,1] op_sel_hi:[0,1]
	v_pk_fma_f32 v[16:17], v[12:13], v[10:11], v[14:15] neg_lo:[0,0,1] neg_hi:[0,0,1]
	v_pk_fma_f32 v[10:11], v[12:13], v[10:11], v[14:15] op_sel_hi:[1,0,1]
	s_nop 0
	v_mov_b32_e32 v17, v11
	v_pk_add_f32 v[4:5], v[4:5], v[16:17]
	s_andn2_b64 exec, exec, s[4:5]
	s_cbranch_execnz .LBB125_25
; %bb.26:
	s_or_b64 exec, exec, s[4:5]
	v_mov_b32_e32 v3, 0
	ds_read_b64 v[8:9], v3 offset:24
	s_waitcnt lgkmcnt(0)
	v_pk_mul_f32 v[10:11], v[4:5], v[8:9] op_sel:[1,1] op_sel_hi:[0,1]
	v_pk_fma_f32 v[12:13], v[4:5], v[8:9], v[10:11] neg_lo:[0,0,1] neg_hi:[0,0,1]
	v_pk_fma_f32 v[4:5], v[4:5], v[8:9], v[10:11] op_sel_hi:[1,0,1]
	s_nop 0
	v_mov_b32_e32 v13, v5
	scratch_store_dwordx2 off, v[12:13], off offset:24
.LBB125_27:
	s_or_b64 exec, exec, s[0:1]
	; wave barrier
	scratch_load_dwordx2 v[4:5], off, off offset:32
	v_cmp_gt_u32_e32 vcc, 4, v0
	s_waitcnt vmcnt(0)
	ds_write_b64 v1, v[4:5]
	s_waitcnt lgkmcnt(0)
	; wave barrier
	s_and_saveexec_b64 s[0:1], vcc
	s_cbranch_execz .LBB125_31
; %bb.28:
	v_mov_b32_e32 v4, 0
	v_add_u32_e32 v3, -1, v0
	v_add_u32_e32 v7, 0x1f0, v2
	v_mov_b32_e32 v8, v2
	s_mov_b64 s[4:5], 0
	v_mov_b32_e32 v5, v4
.LBB125_29:                             ; =>This Inner Loop Header: Depth=1
	scratch_load_dwordx2 v[10:11], v8, off
	ds_read_b64 v[12:13], v7
	v_add_u32_e32 v3, 1, v3
	v_cmp_lt_u32_e32 vcc, 2, v3
	v_add_u32_e32 v7, 8, v7
	v_add_u32_e32 v8, 8, v8
	s_or_b64 s[4:5], vcc, s[4:5]
	s_waitcnt vmcnt(0) lgkmcnt(0)
	v_pk_mul_f32 v[14:15], v[12:13], v[10:11] op_sel:[1,1] op_sel_hi:[0,1]
	v_pk_fma_f32 v[16:17], v[12:13], v[10:11], v[14:15] neg_lo:[0,0,1] neg_hi:[0,0,1]
	v_pk_fma_f32 v[10:11], v[12:13], v[10:11], v[14:15] op_sel_hi:[1,0,1]
	s_nop 0
	v_mov_b32_e32 v17, v11
	v_pk_add_f32 v[4:5], v[4:5], v[16:17]
	s_andn2_b64 exec, exec, s[4:5]
	s_cbranch_execnz .LBB125_29
; %bb.30:
	s_or_b64 exec, exec, s[4:5]
	v_mov_b32_e32 v3, 0
	ds_read_b64 v[8:9], v3 offset:32
	s_waitcnt lgkmcnt(0)
	v_pk_mul_f32 v[10:11], v[4:5], v[8:9] op_sel:[1,1] op_sel_hi:[0,1]
	v_pk_fma_f32 v[12:13], v[4:5], v[8:9], v[10:11] neg_lo:[0,0,1] neg_hi:[0,0,1]
	v_pk_fma_f32 v[4:5], v[4:5], v[8:9], v[10:11] op_sel_hi:[1,0,1]
	s_nop 0
	v_mov_b32_e32 v13, v5
	scratch_store_dwordx2 off, v[12:13], off offset:32
.LBB125_31:
	s_or_b64 exec, exec, s[0:1]
	; wave barrier
	scratch_load_dwordx2 v[4:5], off, off offset:40
	v_cmp_gt_u32_e32 vcc, 5, v0
	;; [unrolled: 46-line block ×19, first 2 shown]
	s_waitcnt vmcnt(0)
	ds_write_b64 v1, v[4:5]
	s_waitcnt lgkmcnt(0)
	; wave barrier
	s_and_saveexec_b64 s[0:1], vcc
	s_cbranch_execz .LBB125_103
; %bb.100:
	v_mov_b32_e32 v4, 0
	v_add_u32_e32 v3, -1, v0
	v_add_u32_e32 v7, 0x1f0, v2
	v_mov_b32_e32 v8, v2
	s_mov_b64 s[4:5], 0
	v_mov_b32_e32 v5, v4
.LBB125_101:                            ; =>This Inner Loop Header: Depth=1
	scratch_load_dwordx2 v[10:11], v8, off
	ds_read_b64 v[12:13], v7
	v_add_u32_e32 v3, 1, v3
	v_cmp_lt_u32_e32 vcc, 20, v3
	v_add_u32_e32 v7, 8, v7
	v_add_u32_e32 v8, 8, v8
	s_or_b64 s[4:5], vcc, s[4:5]
	s_waitcnt vmcnt(0) lgkmcnt(0)
	v_pk_mul_f32 v[14:15], v[12:13], v[10:11] op_sel:[1,1] op_sel_hi:[0,1]
	v_pk_fma_f32 v[16:17], v[12:13], v[10:11], v[14:15] neg_lo:[0,0,1] neg_hi:[0,0,1]
	v_pk_fma_f32 v[10:11], v[12:13], v[10:11], v[14:15] op_sel_hi:[1,0,1]
	s_nop 0
	v_mov_b32_e32 v17, v11
	v_pk_add_f32 v[4:5], v[4:5], v[16:17]
	s_andn2_b64 exec, exec, s[4:5]
	s_cbranch_execnz .LBB125_101
; %bb.102:
	s_or_b64 exec, exec, s[4:5]
	v_mov_b32_e32 v3, 0
	ds_read_b64 v[8:9], v3 offset:176
	s_waitcnt lgkmcnt(0)
	v_pk_mul_f32 v[10:11], v[4:5], v[8:9] op_sel:[1,1] op_sel_hi:[0,1]
	v_pk_fma_f32 v[12:13], v[4:5], v[8:9], v[10:11] neg_lo:[0,0,1] neg_hi:[0,0,1]
	v_pk_fma_f32 v[4:5], v[4:5], v[8:9], v[10:11] op_sel_hi:[1,0,1]
	s_nop 0
	v_mov_b32_e32 v13, v5
	scratch_store_dwordx2 off, v[12:13], off offset:176
.LBB125_103:
	s_or_b64 exec, exec, s[0:1]
	; wave barrier
	scratch_load_dwordx2 v[4:5], off, off offset:184
	v_cmp_gt_u32_e32 vcc, 23, v0
	s_waitcnt vmcnt(0)
	ds_write_b64 v1, v[4:5]
	s_waitcnt lgkmcnt(0)
	; wave barrier
	s_and_saveexec_b64 s[0:1], vcc
	s_cbranch_execz .LBB125_107
; %bb.104:
	v_mov_b32_e32 v4, 0
	v_add_u32_e32 v3, -1, v0
	v_add_u32_e32 v7, 0x1f0, v2
	v_mov_b32_e32 v8, v2
	s_mov_b64 s[4:5], 0
	v_mov_b32_e32 v5, v4
.LBB125_105:                            ; =>This Inner Loop Header: Depth=1
	scratch_load_dwordx2 v[10:11], v8, off
	ds_read_b64 v[12:13], v7
	v_add_u32_e32 v3, 1, v3
	v_cmp_lt_u32_e32 vcc, 21, v3
	v_add_u32_e32 v7, 8, v7
	v_add_u32_e32 v8, 8, v8
	s_or_b64 s[4:5], vcc, s[4:5]
	s_waitcnt vmcnt(0) lgkmcnt(0)
	v_pk_mul_f32 v[14:15], v[12:13], v[10:11] op_sel:[1,1] op_sel_hi:[0,1]
	v_pk_fma_f32 v[16:17], v[12:13], v[10:11], v[14:15] neg_lo:[0,0,1] neg_hi:[0,0,1]
	v_pk_fma_f32 v[10:11], v[12:13], v[10:11], v[14:15] op_sel_hi:[1,0,1]
	s_nop 0
	v_mov_b32_e32 v17, v11
	v_pk_add_f32 v[4:5], v[4:5], v[16:17]
	s_andn2_b64 exec, exec, s[4:5]
	s_cbranch_execnz .LBB125_105
; %bb.106:
	s_or_b64 exec, exec, s[4:5]
	v_mov_b32_e32 v3, 0
	ds_read_b64 v[8:9], v3 offset:184
	s_waitcnt lgkmcnt(0)
	v_pk_mul_f32 v[10:11], v[4:5], v[8:9] op_sel:[1,1] op_sel_hi:[0,1]
	v_pk_fma_f32 v[12:13], v[4:5], v[8:9], v[10:11] neg_lo:[0,0,1] neg_hi:[0,0,1]
	v_pk_fma_f32 v[4:5], v[4:5], v[8:9], v[10:11] op_sel_hi:[1,0,1]
	s_nop 0
	v_mov_b32_e32 v13, v5
	scratch_store_dwordx2 off, v[12:13], off offset:184
.LBB125_107:
	s_or_b64 exec, exec, s[0:1]
	; wave barrier
	scratch_load_dwordx2 v[4:5], off, off offset:192
	v_cmp_gt_u32_e32 vcc, 24, v0
	;; [unrolled: 46-line block ×38, first 2 shown]
	s_waitcnt vmcnt(0)
	ds_write_b64 v1, v[4:5]
	s_waitcnt lgkmcnt(0)
	; wave barrier
	s_and_saveexec_b64 s[0:1], vcc
	s_cbranch_execz .LBB125_255
; %bb.252:
	v_mov_b32_e32 v4, 0
	v_add_u32_e32 v3, -1, v0
	v_add_u32_e32 v7, 0x1f0, v2
	v_mov_b32_e32 v8, v2
	s_mov_b64 s[4:5], 0
	v_mov_b32_e32 v5, v4
.LBB125_253:                            ; =>This Inner Loop Header: Depth=1
	scratch_load_dwordx2 v[10:11], v8, off
	ds_read_b64 v[12:13], v7
	v_add_u32_e32 v3, 1, v3
	v_cmp_lt_u32_e32 vcc, 58, v3
	v_add_u32_e32 v7, 8, v7
	v_add_u32_e32 v8, 8, v8
	s_or_b64 s[4:5], vcc, s[4:5]
	s_waitcnt vmcnt(0) lgkmcnt(0)
	v_pk_mul_f32 v[14:15], v[12:13], v[10:11] op_sel:[1,1] op_sel_hi:[0,1]
	v_pk_fma_f32 v[16:17], v[12:13], v[10:11], v[14:15] neg_lo:[0,0,1] neg_hi:[0,0,1]
	v_pk_fma_f32 v[10:11], v[12:13], v[10:11], v[14:15] op_sel_hi:[1,0,1]
	s_nop 0
	v_mov_b32_e32 v17, v11
	v_pk_add_f32 v[4:5], v[4:5], v[16:17]
	s_andn2_b64 exec, exec, s[4:5]
	s_cbranch_execnz .LBB125_253
; %bb.254:
	s_or_b64 exec, exec, s[4:5]
	v_mov_b32_e32 v3, 0
	ds_read_b64 v[8:9], v3 offset:480
	s_waitcnt lgkmcnt(0)
	v_pk_mul_f32 v[10:11], v[4:5], v[8:9] op_sel:[1,1] op_sel_hi:[0,1]
	v_pk_fma_f32 v[12:13], v[4:5], v[8:9], v[10:11] neg_lo:[0,0,1] neg_hi:[0,0,1]
	v_pk_fma_f32 v[4:5], v[4:5], v[8:9], v[10:11] op_sel_hi:[1,0,1]
	s_nop 0
	v_mov_b32_e32 v13, v5
	scratch_store_dwordx2 off, v[12:13], off offset:480
.LBB125_255:
	s_or_b64 exec, exec, s[0:1]
	; wave barrier
	scratch_load_dwordx2 v[4:5], off, off offset:488
	v_cmp_ne_u32_e32 vcc, 61, v0
	s_waitcnt vmcnt(0)
	ds_write_b64 v1, v[4:5]
	s_waitcnt lgkmcnt(0)
	; wave barrier
	s_and_saveexec_b64 s[0:1], vcc
	s_cbranch_execz .LBB125_259
; %bb.256:
	v_add_u32_e32 v1, 0x1f0, v2
	v_mov_b32_e32 v4, v2
	v_mov_b32_e32 v2, 0
	s_mov_b64 s[4:5], 0
	v_mov_b32_e32 v3, v2
.LBB125_257:                            ; =>This Inner Loop Header: Depth=1
	scratch_load_dwordx2 v[8:9], v4, off
	ds_read_b64 v[10:11], v1
	v_add_u32_e32 v6, 1, v6
	v_cmp_lt_u32_e32 vcc, 59, v6
	v_add_u32_e32 v1, 8, v1
	v_add_u32_e32 v4, 8, v4
	s_or_b64 s[4:5], vcc, s[4:5]
	s_waitcnt vmcnt(0) lgkmcnt(0)
	v_pk_mul_f32 v[12:13], v[10:11], v[8:9] op_sel:[1,1] op_sel_hi:[0,1]
	v_pk_fma_f32 v[14:15], v[10:11], v[8:9], v[12:13] neg_lo:[0,0,1] neg_hi:[0,0,1]
	v_pk_fma_f32 v[8:9], v[10:11], v[8:9], v[12:13] op_sel_hi:[1,0,1]
	s_nop 0
	v_mov_b32_e32 v15, v9
	v_pk_add_f32 v[2:3], v[2:3], v[14:15]
	s_andn2_b64 exec, exec, s[4:5]
	s_cbranch_execnz .LBB125_257
; %bb.258:
	s_or_b64 exec, exec, s[4:5]
	v_mov_b32_e32 v1, 0
	ds_read_b64 v[4:5], v1 offset:488
	s_waitcnt lgkmcnt(0)
	v_pk_mul_f32 v[6:7], v[2:3], v[4:5] op_sel:[1,1] op_sel_hi:[0,1]
	v_pk_fma_f32 v[8:9], v[2:3], v[4:5], v[6:7] neg_lo:[0,0,1] neg_hi:[0,0,1]
	v_pk_fma_f32 v[2:3], v[2:3], v[4:5], v[6:7] op_sel_hi:[1,0,1]
	s_nop 0
	v_mov_b32_e32 v9, v3
	scratch_store_dwordx2 off, v[8:9], off offset:488
.LBB125_259:
	s_or_b64 exec, exec, s[0:1]
	s_mov_b64 s[4:5], -1
	; wave barrier
.LBB125_260:
	s_and_b64 vcc, exec, s[4:5]
	s_cbranch_vccz .LBB125_262
; %bb.261:
	s_lshl_b64 s[0:1], s[2:3], 2
	s_add_u32 s0, s6, s0
	s_addc_u32 s1, s7, s1
	v_mov_b32_e32 v1, 0
	global_load_dword v1, v1, s[0:1]
	s_waitcnt vmcnt(0)
	v_cmp_ne_u32_e32 vcc, 0, v1
	s_cbranch_vccz .LBB125_263
.LBB125_262:
	s_endpgm
.LBB125_263:
	v_mov_b32_e32 v1, 0x1f0
	v_lshl_add_u32 v1, v0, 3, v1
	v_cmp_eq_u32_e32 vcc, 61, v0
	s_and_saveexec_b64 s[0:1], vcc
	s_cbranch_execz .LBB125_265
; %bb.264:
	scratch_load_dwordx2 v[2:3], off, off offset:480
	v_mov_b32_e32 v4, 0
	v_mov_b32_e32 v5, v4
	scratch_store_dwordx2 off, v[4:5], off offset:480
	s_waitcnt vmcnt(1)
	ds_write_b64 v1, v[2:3]
.LBB125_265:
	s_or_b64 exec, exec, s[0:1]
	s_waitcnt lgkmcnt(0)
	; wave barrier
	scratch_load_dwordx2 v[4:5], off, off offset:488
	scratch_load_dwordx2 v[6:7], off, off offset:480
	v_mov_b32_e32 v2, 0
	ds_read_b64 v[8:9], v2 offset:984
	v_cmp_lt_u32_e32 vcc, 59, v0
	s_waitcnt vmcnt(1) lgkmcnt(0)
	v_pk_mul_f32 v[10:11], v[8:9], v[4:5] op_sel:[1,1] op_sel_hi:[0,1]
	v_pk_fma_f32 v[12:13], v[8:9], v[4:5], v[10:11] neg_lo:[0,0,1] neg_hi:[0,0,1]
	v_pk_fma_f32 v[4:5], v[8:9], v[4:5], v[10:11] op_sel_hi:[1,0,1]
	s_nop 0
	v_mov_b32_e32 v13, v5
	v_pk_add_f32 v[4:5], v[12:13], 0 op_sel_hi:[1,0]
	s_waitcnt vmcnt(0)
	v_pk_add_f32 v[4:5], v[6:7], v[4:5] neg_lo:[0,1] neg_hi:[0,1]
	scratch_store_dwordx2 off, v[4:5], off offset:480
	s_and_saveexec_b64 s[0:1], vcc
	s_cbranch_execz .LBB125_267
; %bb.266:
	scratch_load_dwordx2 v[4:5], off, off offset:472
	v_mov_b32_e32 v3, v2
	scratch_store_dwordx2 off, v[2:3], off offset:472
	s_waitcnt vmcnt(1)
	ds_write_b64 v1, v[4:5]
.LBB125_267:
	s_or_b64 exec, exec, s[0:1]
	s_waitcnt lgkmcnt(0)
	; wave barrier
	scratch_load_dwordx4 v[4:7], off, off offset:480
	scratch_load_dwordx2 v[12:13], off, off offset:472
	ds_read_b128 v[8:11], v2 offset:976
	v_cmp_lt_u32_e32 vcc, 58, v0
	s_waitcnt vmcnt(1) lgkmcnt(0)
	v_pk_mul_f32 v[2:3], v[8:9], v[4:5] op_sel:[1,1] op_sel_hi:[0,1]
	v_mov_b32_e32 v14, v7
	v_pk_fma_f32 v[16:17], v[8:9], v[4:5], v[2:3] neg_lo:[0,0,1] neg_hi:[0,0,1]
	v_pk_fma_f32 v[2:3], v[8:9], v[4:5], v[2:3] op_sel_hi:[1,0,1]
	v_pk_mul_f32 v[4:5], v[10:11], v[14:15] op_sel:[1,0] op_sel_hi:[0,0]
	v_mov_b32_e32 v17, v3
	v_pk_fma_f32 v[2:3], v[10:11], v[6:7], v[4:5] neg_lo:[0,0,1] neg_hi:[0,0,1]
	v_pk_fma_f32 v[4:5], v[10:11], v[6:7], v[4:5] op_sel_hi:[1,0,1]
	v_pk_add_f32 v[6:7], v[16:17], 0 op_sel_hi:[1,0]
	v_mov_b32_e32 v3, v5
	v_pk_add_f32 v[2:3], v[6:7], v[2:3]
	s_waitcnt vmcnt(0)
	v_pk_add_f32 v[2:3], v[12:13], v[2:3] neg_lo:[0,1] neg_hi:[0,1]
	scratch_store_dwordx2 off, v[2:3], off offset:472
	s_and_saveexec_b64 s[0:1], vcc
	s_cbranch_execz .LBB125_269
; %bb.268:
	scratch_load_dwordx2 v[2:3], off, off offset:464
	v_mov_b32_e32 v4, 0
	v_mov_b32_e32 v5, v4
	scratch_store_dwordx2 off, v[4:5], off offset:464
	s_waitcnt vmcnt(1)
	ds_write_b64 v1, v[2:3]
.LBB125_269:
	s_or_b64 exec, exec, s[0:1]
	s_waitcnt lgkmcnt(0)
	; wave barrier
	scratch_load_dwordx4 v[4:7], off, off offset:472
	scratch_load_dwordx2 v[12:13], off, off offset:488
	scratch_load_dwordx2 v[14:15], off, off offset:464
	v_mov_b32_e32 v2, 0
	ds_read2_b64 v[8:11], v2 offset0:121 offset1:122
	ds_read_b64 v[16:17], v2 offset:984
	v_cmp_lt_u32_e32 vcc, 57, v0
	s_waitcnt vmcnt(2) lgkmcnt(1)
	v_pk_mul_f32 v[18:19], v[8:9], v[4:5] op_sel:[1,1] op_sel_hi:[0,1]
	v_mov_b32_e32 v20, v7
	v_pk_fma_f32 v[24:25], v[8:9], v[4:5], v[18:19] neg_lo:[0,0,1] neg_hi:[0,0,1]
	v_pk_fma_f32 v[4:5], v[8:9], v[4:5], v[18:19] op_sel_hi:[1,0,1]
	v_pk_mul_f32 v[8:9], v[10:11], v[20:21] op_sel:[1,0] op_sel_hi:[0,0]
	s_waitcnt vmcnt(1) lgkmcnt(0)
	v_pk_mul_f32 v[22:23], v[16:17], v[12:13] op_sel:[1,1] op_sel_hi:[0,1]
	v_mov_b32_e32 v25, v5
	v_pk_fma_f32 v[4:5], v[10:11], v[6:7], v[8:9] neg_lo:[0,0,1] neg_hi:[0,0,1]
	v_pk_fma_f32 v[6:7], v[10:11], v[6:7], v[8:9] op_sel_hi:[1,0,1]
	v_pk_fma_f32 v[18:19], v[16:17], v[12:13], v[22:23] neg_lo:[0,0,1] neg_hi:[0,0,1]
	v_pk_fma_f32 v[12:13], v[16:17], v[12:13], v[22:23] op_sel_hi:[1,0,1]
	v_pk_add_f32 v[8:9], v[24:25], 0 op_sel_hi:[1,0]
	v_mov_b32_e32 v5, v7
	v_mov_b32_e32 v19, v13
	v_pk_add_f32 v[4:5], v[8:9], v[4:5]
	s_nop 0
	v_pk_add_f32 v[4:5], v[4:5], v[18:19]
	s_waitcnt vmcnt(0)
	v_pk_add_f32 v[4:5], v[14:15], v[4:5] neg_lo:[0,1] neg_hi:[0,1]
	scratch_store_dwordx2 off, v[4:5], off offset:464
	s_and_saveexec_b64 s[0:1], vcc
	s_cbranch_execz .LBB125_271
; %bb.270:
	scratch_load_dwordx2 v[4:5], off, off offset:456
	v_mov_b32_e32 v3, v2
	scratch_store_dwordx2 off, v[2:3], off offset:456
	s_waitcnt vmcnt(1)
	ds_write_b64 v1, v[4:5]
.LBB125_271:
	s_or_b64 exec, exec, s[0:1]
	s_waitcnt lgkmcnt(0)
	; wave barrier
	scratch_load_dwordx4 v[4:7], off, off offset:464
	scratch_load_dwordx4 v[8:11], off, off offset:480
	scratch_load_dwordx2 v[20:21], off, off offset:456
	ds_read_b128 v[12:15], v2 offset:960
	ds_read_b128 v[16:19], v2 offset:976
	v_cmp_lt_u32_e32 vcc, 56, v0
	s_waitcnt vmcnt(2) lgkmcnt(1)
	v_pk_mul_f32 v[2:3], v[12:13], v[4:5] op_sel:[1,1] op_sel_hi:[0,1]
	v_mov_b32_e32 v22, v7
	s_waitcnt vmcnt(1) lgkmcnt(0)
	v_pk_mul_f32 v[24:25], v[16:17], v[8:9] op_sel:[1,1] op_sel_hi:[0,1]
	v_mov_b32_e32 v26, v11
	v_pk_fma_f32 v[28:29], v[12:13], v[4:5], v[2:3] neg_lo:[0,0,1] neg_hi:[0,0,1]
	v_pk_fma_f32 v[2:3], v[12:13], v[4:5], v[2:3] op_sel_hi:[1,0,1]
	v_pk_mul_f32 v[4:5], v[14:15], v[22:23] op_sel:[1,0] op_sel_hi:[0,0]
	v_pk_fma_f32 v[12:13], v[16:17], v[8:9], v[24:25] neg_lo:[0,0,1] neg_hi:[0,0,1]
	v_pk_fma_f32 v[8:9], v[16:17], v[8:9], v[24:25] op_sel_hi:[1,0,1]
	v_pk_mul_f32 v[16:17], v[18:19], v[26:27] op_sel:[1,0] op_sel_hi:[0,0]
	v_mov_b32_e32 v29, v3
	v_pk_fma_f32 v[2:3], v[14:15], v[6:7], v[4:5] neg_lo:[0,0,1] neg_hi:[0,0,1]
	v_pk_fma_f32 v[4:5], v[14:15], v[6:7], v[4:5] op_sel_hi:[1,0,1]
	v_mov_b32_e32 v13, v9
	v_pk_fma_f32 v[6:7], v[18:19], v[10:11], v[16:17] neg_lo:[0,0,1] neg_hi:[0,0,1]
	v_pk_fma_f32 v[8:9], v[18:19], v[10:11], v[16:17] op_sel_hi:[1,0,1]
	v_pk_add_f32 v[10:11], v[28:29], 0 op_sel_hi:[1,0]
	v_mov_b32_e32 v3, v5
	v_pk_add_f32 v[2:3], v[10:11], v[2:3]
	v_mov_b32_e32 v7, v9
	v_pk_add_f32 v[2:3], v[2:3], v[12:13]
	s_nop 0
	v_pk_add_f32 v[2:3], v[2:3], v[6:7]
	s_waitcnt vmcnt(0)
	v_pk_add_f32 v[2:3], v[20:21], v[2:3] neg_lo:[0,1] neg_hi:[0,1]
	scratch_store_dwordx2 off, v[2:3], off offset:456
	s_and_saveexec_b64 s[0:1], vcc
	s_cbranch_execz .LBB125_273
; %bb.272:
	scratch_load_dwordx2 v[2:3], off, off offset:448
	v_mov_b32_e32 v4, 0
	v_mov_b32_e32 v5, v4
	scratch_store_dwordx2 off, v[4:5], off offset:448
	s_waitcnt vmcnt(1)
	ds_write_b64 v1, v[2:3]
.LBB125_273:
	s_or_b64 exec, exec, s[0:1]
	s_waitcnt lgkmcnt(0)
	; wave barrier
	scratch_load_dwordx4 v[4:7], off, off offset:456
	scratch_load_dwordx4 v[8:11], off, off offset:472
	scratch_load_dwordx2 v[20:21], off, off offset:488
	scratch_load_dwordx2 v[22:23], off, off offset:448
	v_mov_b32_e32 v2, 0
	ds_read2_b64 v[12:15], v2 offset0:119 offset1:120
	ds_read2_b64 v[16:19], v2 offset0:121 offset1:122
	ds_read_b64 v[24:25], v2 offset:984
	v_cmp_lt_u32_e32 vcc, 55, v0
	s_waitcnt vmcnt(3) lgkmcnt(2)
	v_pk_mul_f32 v[26:27], v[12:13], v[4:5] op_sel:[1,1] op_sel_hi:[0,1]
	v_mov_b32_e32 v28, v7
	v_pk_fma_f32 v[36:37], v[12:13], v[4:5], v[26:27] neg_lo:[0,0,1] neg_hi:[0,0,1]
	v_pk_fma_f32 v[4:5], v[12:13], v[4:5], v[26:27] op_sel_hi:[1,0,1]
	v_pk_mul_f32 v[12:13], v[14:15], v[28:29] op_sel:[1,0] op_sel_hi:[0,0]
	s_waitcnt vmcnt(2) lgkmcnt(1)
	v_pk_mul_f32 v[30:31], v[16:17], v[8:9] op_sel:[1,1] op_sel_hi:[0,1]
	v_mov_b32_e32 v32, v11
	v_mov_b32_e32 v37, v5
	v_pk_fma_f32 v[4:5], v[14:15], v[6:7], v[12:13] neg_lo:[0,0,1] neg_hi:[0,0,1]
	v_pk_fma_f32 v[6:7], v[14:15], v[6:7], v[12:13] op_sel_hi:[1,0,1]
	v_pk_fma_f32 v[26:27], v[16:17], v[8:9], v[30:31] neg_lo:[0,0,1] neg_hi:[0,0,1]
	v_pk_fma_f32 v[8:9], v[16:17], v[8:9], v[30:31] op_sel_hi:[1,0,1]
	v_pk_mul_f32 v[16:17], v[18:19], v[32:33] op_sel:[1,0] op_sel_hi:[0,0]
	v_pk_add_f32 v[12:13], v[36:37], 0 op_sel_hi:[1,0]
	v_mov_b32_e32 v5, v7
	s_waitcnt vmcnt(1) lgkmcnt(0)
	v_pk_mul_f32 v[34:35], v[24:25], v[20:21] op_sel:[1,1] op_sel_hi:[0,1]
	v_mov_b32_e32 v27, v9
	v_pk_fma_f32 v[8:9], v[18:19], v[10:11], v[16:17] neg_lo:[0,0,1] neg_hi:[0,0,1]
	v_pk_fma_f32 v[10:11], v[18:19], v[10:11], v[16:17] op_sel_hi:[1,0,1]
	v_pk_add_f32 v[4:5], v[12:13], v[4:5]
	v_pk_fma_f32 v[28:29], v[24:25], v[20:21], v[34:35] neg_lo:[0,0,1] neg_hi:[0,0,1]
	v_pk_fma_f32 v[20:21], v[24:25], v[20:21], v[34:35] op_sel_hi:[1,0,1]
	v_mov_b32_e32 v9, v11
	v_pk_add_f32 v[4:5], v[4:5], v[26:27]
	v_mov_b32_e32 v29, v21
	v_pk_add_f32 v[4:5], v[4:5], v[8:9]
	s_nop 0
	v_pk_add_f32 v[4:5], v[4:5], v[28:29]
	s_waitcnt vmcnt(0)
	v_pk_add_f32 v[4:5], v[22:23], v[4:5] neg_lo:[0,1] neg_hi:[0,1]
	scratch_store_dwordx2 off, v[4:5], off offset:448
	s_and_saveexec_b64 s[0:1], vcc
	s_cbranch_execz .LBB125_275
; %bb.274:
	scratch_load_dwordx2 v[4:5], off, off offset:440
	v_mov_b32_e32 v3, v2
	scratch_store_dwordx2 off, v[2:3], off offset:440
	s_waitcnt vmcnt(1)
	ds_write_b64 v1, v[4:5]
.LBB125_275:
	s_or_b64 exec, exec, s[0:1]
	s_waitcnt lgkmcnt(0)
	; wave barrier
	scratch_load_dwordx4 v[4:7], off, off offset:448
	scratch_load_dwordx4 v[8:11], off, off offset:464
	;; [unrolled: 1-line block ×3, first 2 shown]
	scratch_load_dwordx2 v[28:29], off, off offset:440
	ds_read_b128 v[16:19], v2 offset:944
	ds_read_b128 v[20:23], v2 offset:960
	;; [unrolled: 1-line block ×3, first 2 shown]
	v_cmp_lt_u32_e32 vcc, 54, v0
	s_waitcnt vmcnt(3) lgkmcnt(2)
	v_pk_mul_f32 v[2:3], v[16:17], v[4:5] op_sel:[1,1] op_sel_hi:[0,1]
	v_mov_b32_e32 v30, v7
	s_waitcnt vmcnt(2) lgkmcnt(1)
	v_pk_mul_f32 v[32:33], v[20:21], v[8:9] op_sel:[1,1] op_sel_hi:[0,1]
	v_mov_b32_e32 v34, v11
	;; [unrolled: 3-line block ×3, first 2 shown]
	v_pk_fma_f32 v[40:41], v[16:17], v[4:5], v[2:3] neg_lo:[0,0,1] neg_hi:[0,0,1]
	v_pk_fma_f32 v[2:3], v[16:17], v[4:5], v[2:3] op_sel_hi:[1,0,1]
	v_pk_mul_f32 v[4:5], v[18:19], v[30:31] op_sel:[1,0] op_sel_hi:[0,0]
	v_pk_fma_f32 v[16:17], v[20:21], v[8:9], v[32:33] neg_lo:[0,0,1] neg_hi:[0,0,1]
	v_pk_fma_f32 v[8:9], v[20:21], v[8:9], v[32:33] op_sel_hi:[1,0,1]
	v_pk_mul_f32 v[20:21], v[22:23], v[34:35] op_sel:[1,0] op_sel_hi:[0,0]
	;; [unrolled: 3-line block ×3, first 2 shown]
	v_mov_b32_e32 v41, v3
	v_pk_fma_f32 v[2:3], v[18:19], v[6:7], v[4:5] neg_lo:[0,0,1] neg_hi:[0,0,1]
	v_pk_fma_f32 v[4:5], v[18:19], v[6:7], v[4:5] op_sel_hi:[1,0,1]
	v_mov_b32_e32 v17, v9
	v_pk_fma_f32 v[6:7], v[22:23], v[10:11], v[20:21] neg_lo:[0,0,1] neg_hi:[0,0,1]
	v_pk_fma_f32 v[8:9], v[22:23], v[10:11], v[20:21] op_sel_hi:[1,0,1]
	;; [unrolled: 3-line block ×3, first 2 shown]
	v_pk_add_f32 v[14:15], v[40:41], 0 op_sel_hi:[1,0]
	v_mov_b32_e32 v3, v5
	v_pk_add_f32 v[2:3], v[14:15], v[2:3]
	v_mov_b32_e32 v7, v9
	v_pk_add_f32 v[2:3], v[2:3], v[16:17]
	v_mov_b32_e32 v11, v13
	v_pk_add_f32 v[2:3], v[2:3], v[6:7]
	s_nop 0
	v_pk_add_f32 v[2:3], v[2:3], v[30:31]
	s_nop 0
	v_pk_add_f32 v[2:3], v[2:3], v[10:11]
	s_waitcnt vmcnt(0)
	v_pk_add_f32 v[2:3], v[28:29], v[2:3] neg_lo:[0,1] neg_hi:[0,1]
	scratch_store_dwordx2 off, v[2:3], off offset:440
	s_and_saveexec_b64 s[0:1], vcc
	s_cbranch_execz .LBB125_277
; %bb.276:
	scratch_load_dwordx2 v[2:3], off, off offset:432
	v_mov_b32_e32 v4, 0
	v_mov_b32_e32 v5, v4
	scratch_store_dwordx2 off, v[4:5], off offset:432
	s_waitcnt vmcnt(1)
	ds_write_b64 v1, v[2:3]
.LBB125_277:
	s_or_b64 exec, exec, s[0:1]
	s_waitcnt lgkmcnt(0)
	; wave barrier
	scratch_load_dwordx4 v[4:7], off, off offset:440
	scratch_load_dwordx4 v[8:11], off, off offset:456
	scratch_load_dwordx4 v[12:15], off, off offset:472
	scratch_load_dwordx2 v[28:29], off, off offset:488
	v_mov_b32_e32 v2, 0
	ds_read2_b64 v[16:19], v2 offset0:117 offset1:118
	ds_read2_b64 v[20:23], v2 offset0:119 offset1:120
	;; [unrolled: 1-line block ×3, first 2 shown]
	ds_read_b64 v[30:31], v2 offset:984
	v_cmp_lt_u32_e32 vcc, 53, v0
	s_waitcnt vmcnt(3) lgkmcnt(3)
	v_pk_mul_f32 v[32:33], v[16:17], v[4:5] op_sel:[1,1] op_sel_hi:[0,1]
	v_pk_fma_f32 v[34:35], v[16:17], v[4:5], v[32:33] neg_lo:[0,0,1] neg_hi:[0,0,1]
	v_pk_fma_f32 v[4:5], v[16:17], v[4:5], v[32:33] op_sel_hi:[1,0,1]
	v_mov_b32_e32 v16, v7
	v_pk_mul_f32 v[16:17], v[18:19], v[16:17] op_sel:[1,0] op_sel_hi:[0,0]
	v_pk_fma_f32 v[32:33], v[18:19], v[6:7], v[16:17] neg_lo:[0,0,1] neg_hi:[0,0,1]
	v_pk_fma_f32 v[6:7], v[18:19], v[6:7], v[16:17] op_sel_hi:[1,0,1]
	v_mov_b32_e32 v35, v5
	v_mov_b32_e32 v33, v7
	s_waitcnt vmcnt(2) lgkmcnt(2)
	v_pk_mul_f32 v[6:7], v[20:21], v[8:9] op_sel:[1,1] op_sel_hi:[0,1]
	v_pk_fma_f32 v[16:17], v[20:21], v[8:9], v[6:7] neg_lo:[0,0,1] neg_hi:[0,0,1]
	v_pk_fma_f32 v[6:7], v[20:21], v[8:9], v[6:7] op_sel_hi:[1,0,1]
	v_pk_add_f32 v[4:5], v[34:35], 0 op_sel_hi:[1,0]
	v_mov_b32_e32 v6, v11
	v_mov_b32_e32 v17, v7
	v_pk_mul_f32 v[6:7], v[22:23], v[6:7] op_sel:[1,0] op_sel_hi:[0,0]
	v_pk_add_f32 v[4:5], v[4:5], v[32:33]
	v_pk_fma_f32 v[8:9], v[22:23], v[10:11], v[6:7] neg_lo:[0,0,1] neg_hi:[0,0,1]
	v_pk_fma_f32 v[6:7], v[22:23], v[10:11], v[6:7] op_sel_hi:[1,0,1]
	v_pk_add_f32 v[4:5], v[4:5], v[16:17]
	v_mov_b32_e32 v9, v7
	s_waitcnt vmcnt(1) lgkmcnt(1)
	v_pk_mul_f32 v[6:7], v[24:25], v[12:13] op_sel:[1,1] op_sel_hi:[0,1]
	v_pk_add_f32 v[4:5], v[4:5], v[8:9]
	v_pk_fma_f32 v[8:9], v[24:25], v[12:13], v[6:7] neg_lo:[0,0,1] neg_hi:[0,0,1]
	v_pk_fma_f32 v[6:7], v[24:25], v[12:13], v[6:7] op_sel_hi:[1,0,1]
	s_nop 0
	v_mov_b32_e32 v6, v15
	v_mov_b32_e32 v9, v7
	v_pk_mul_f32 v[6:7], v[26:27], v[6:7] op_sel:[1,0] op_sel_hi:[0,0]
	v_pk_add_f32 v[4:5], v[4:5], v[8:9]
	v_pk_fma_f32 v[8:9], v[26:27], v[14:15], v[6:7] neg_lo:[0,0,1] neg_hi:[0,0,1]
	v_pk_fma_f32 v[6:7], v[26:27], v[14:15], v[6:7] op_sel_hi:[1,0,1]
	s_nop 0
	v_mov_b32_e32 v9, v7
	s_waitcnt vmcnt(0) lgkmcnt(0)
	v_pk_mul_f32 v[6:7], v[30:31], v[28:29] op_sel:[1,1] op_sel_hi:[0,1]
	v_pk_add_f32 v[4:5], v[4:5], v[8:9]
	v_pk_fma_f32 v[8:9], v[30:31], v[28:29], v[6:7] neg_lo:[0,0,1] neg_hi:[0,0,1]
	v_pk_fma_f32 v[6:7], v[30:31], v[28:29], v[6:7] op_sel_hi:[1,0,1]
	s_nop 0
	v_mov_b32_e32 v9, v7
	scratch_load_dwordx2 v[6:7], off, off offset:432
	v_pk_add_f32 v[4:5], v[4:5], v[8:9]
	s_waitcnt vmcnt(0)
	v_pk_add_f32 v[4:5], v[6:7], v[4:5] neg_lo:[0,1] neg_hi:[0,1]
	scratch_store_dwordx2 off, v[4:5], off offset:432
	s_and_saveexec_b64 s[0:1], vcc
	s_cbranch_execz .LBB125_279
; %bb.278:
	scratch_load_dwordx2 v[4:5], off, off offset:424
	v_mov_b32_e32 v3, v2
	scratch_store_dwordx2 off, v[2:3], off offset:424
	s_waitcnt vmcnt(1)
	ds_write_b64 v1, v[4:5]
.LBB125_279:
	s_or_b64 exec, exec, s[0:1]
	s_waitcnt lgkmcnt(0)
	; wave barrier
	scratch_load_dwordx4 v[4:7], off, off offset:432
	scratch_load_dwordx4 v[8:11], off, off offset:448
	;; [unrolled: 1-line block ×4, first 2 shown]
	ds_read_b128 v[20:23], v2 offset:928
	ds_read_b128 v[24:27], v2 offset:944
	;; [unrolled: 1-line block ×4, first 2 shown]
	v_cmp_lt_u32_e32 vcc, 52, v0
	s_waitcnt vmcnt(3) lgkmcnt(3)
	v_pk_mul_f32 v[2:3], v[20:21], v[4:5] op_sel:[1,1] op_sel_hi:[0,1]
	v_pk_fma_f32 v[36:37], v[20:21], v[4:5], v[2:3] neg_lo:[0,0,1] neg_hi:[0,0,1]
	v_pk_fma_f32 v[2:3], v[20:21], v[4:5], v[2:3] op_sel_hi:[1,0,1]
	v_mov_b32_e32 v4, v7
	v_pk_mul_f32 v[4:5], v[22:23], v[4:5] op_sel:[1,0] op_sel_hi:[0,0]
	v_pk_fma_f32 v[20:21], v[22:23], v[6:7], v[4:5] neg_lo:[0,0,1] neg_hi:[0,0,1]
	v_pk_fma_f32 v[4:5], v[22:23], v[6:7], v[4:5] op_sel_hi:[1,0,1]
	v_mov_b32_e32 v37, v3
	v_mov_b32_e32 v21, v5
	s_waitcnt vmcnt(2) lgkmcnt(2)
	v_pk_mul_f32 v[4:5], v[24:25], v[8:9] op_sel:[1,1] op_sel_hi:[0,1]
	v_pk_fma_f32 v[6:7], v[24:25], v[8:9], v[4:5] neg_lo:[0,0,1] neg_hi:[0,0,1]
	v_pk_fma_f32 v[4:5], v[24:25], v[8:9], v[4:5] op_sel_hi:[1,0,1]
	v_pk_add_f32 v[2:3], v[36:37], 0 op_sel_hi:[1,0]
	v_mov_b32_e32 v4, v11
	v_pk_add_f32 v[2:3], v[2:3], v[20:21]
	v_mov_b32_e32 v7, v5
	v_pk_mul_f32 v[4:5], v[26:27], v[4:5] op_sel:[1,0] op_sel_hi:[0,0]
	v_pk_add_f32 v[2:3], v[2:3], v[6:7]
	v_pk_fma_f32 v[6:7], v[26:27], v[10:11], v[4:5] neg_lo:[0,0,1] neg_hi:[0,0,1]
	v_pk_fma_f32 v[4:5], v[26:27], v[10:11], v[4:5] op_sel_hi:[1,0,1]
	s_nop 0
	v_mov_b32_e32 v7, v5
	s_waitcnt vmcnt(1) lgkmcnt(1)
	v_pk_mul_f32 v[4:5], v[28:29], v[12:13] op_sel:[1,1] op_sel_hi:[0,1]
	v_pk_add_f32 v[2:3], v[2:3], v[6:7]
	v_pk_fma_f32 v[6:7], v[28:29], v[12:13], v[4:5] neg_lo:[0,0,1] neg_hi:[0,0,1]
	v_pk_fma_f32 v[4:5], v[28:29], v[12:13], v[4:5] op_sel_hi:[1,0,1]
	s_nop 0
	v_mov_b32_e32 v4, v15
	v_mov_b32_e32 v7, v5
	v_pk_mul_f32 v[4:5], v[30:31], v[4:5] op_sel:[1,0] op_sel_hi:[0,0]
	v_pk_add_f32 v[2:3], v[2:3], v[6:7]
	v_pk_fma_f32 v[6:7], v[30:31], v[14:15], v[4:5] neg_lo:[0,0,1] neg_hi:[0,0,1]
	v_pk_fma_f32 v[4:5], v[30:31], v[14:15], v[4:5] op_sel_hi:[1,0,1]
	s_nop 0
	v_mov_b32_e32 v7, v5
	s_waitcnt vmcnt(0) lgkmcnt(0)
	v_pk_mul_f32 v[4:5], v[32:33], v[16:17] op_sel:[1,1] op_sel_hi:[0,1]
	v_pk_add_f32 v[2:3], v[2:3], v[6:7]
	v_pk_fma_f32 v[6:7], v[32:33], v[16:17], v[4:5] neg_lo:[0,0,1] neg_hi:[0,0,1]
	v_pk_fma_f32 v[4:5], v[32:33], v[16:17], v[4:5] op_sel_hi:[1,0,1]
	s_nop 0
	v_mov_b32_e32 v4, v19
	v_mov_b32_e32 v7, v5
	v_pk_mul_f32 v[4:5], v[34:35], v[4:5] op_sel:[1,0] op_sel_hi:[0,0]
	v_pk_add_f32 v[2:3], v[2:3], v[6:7]
	v_pk_fma_f32 v[6:7], v[34:35], v[18:19], v[4:5] neg_lo:[0,0,1] neg_hi:[0,0,1]
	v_pk_fma_f32 v[4:5], v[34:35], v[18:19], v[4:5] op_sel_hi:[1,0,1]
	s_nop 0
	v_mov_b32_e32 v7, v5
	scratch_load_dwordx2 v[4:5], off, off offset:424
	v_pk_add_f32 v[2:3], v[2:3], v[6:7]
	s_waitcnt vmcnt(0)
	v_pk_add_f32 v[2:3], v[4:5], v[2:3] neg_lo:[0,1] neg_hi:[0,1]
	scratch_store_dwordx2 off, v[2:3], off offset:424
	s_and_saveexec_b64 s[0:1], vcc
	s_cbranch_execz .LBB125_281
; %bb.280:
	scratch_load_dwordx2 v[2:3], off, off offset:416
	v_mov_b32_e32 v4, 0
	v_mov_b32_e32 v5, v4
	scratch_store_dwordx2 off, v[4:5], off offset:416
	s_waitcnt vmcnt(1)
	ds_write_b64 v1, v[2:3]
.LBB125_281:
	s_or_b64 exec, exec, s[0:1]
	s_waitcnt lgkmcnt(0)
	; wave barrier
	scratch_load_dwordx4 v[8:11], off, off offset:424
	v_mov_b32_e32 v2, 0
	ds_read2_b64 v[4:7], v2 offset0:115 offset1:116
	scratch_load_dwordx4 v[12:15], off, off offset:440
	scratch_load_dwordx4 v[16:19], off, off offset:456
	;; [unrolled: 1-line block ×3, first 2 shown]
	scratch_load_dwordx2 v[38:39], off, off offset:488
	v_cmp_lt_u32_e32 vcc, 51, v0
	s_waitcnt vmcnt(4) lgkmcnt(0)
	v_mul_f32_e32 v37, v4, v9
	v_mul_f32_e32 v3, v5, v9
	v_fmac_f32_e32 v37, v5, v8
	v_fma_f32 v36, v4, v8, -v3
	v_pk_add_f32 v[8:9], v[36:37], 0 op_sel_hi:[1,0]
	v_mov_b32_e32 v36, v11
	v_pk_mul_f32 v[36:37], v[6:7], v[36:37] op_sel:[1,0] op_sel_hi:[0,0]
	ds_read2_b64 v[24:27], v2 offset0:117 offset1:118
	ds_read2_b64 v[28:31], v2 offset0:119 offset1:120
	;; [unrolled: 1-line block ×3, first 2 shown]
	ds_read_b64 v[4:5], v2 offset:984
	v_pk_fma_f32 v[40:41], v[6:7], v[10:11], v[36:37] neg_lo:[0,0,1] neg_hi:[0,0,1]
	v_pk_fma_f32 v[6:7], v[6:7], v[10:11], v[36:37] op_sel_hi:[1,0,1]
	s_nop 0
	v_mov_b32_e32 v41, v7
	v_pk_add_f32 v[6:7], v[8:9], v[40:41]
	s_waitcnt vmcnt(3) lgkmcnt(3)
	v_pk_mul_f32 v[8:9], v[24:25], v[12:13] op_sel:[1,1] op_sel_hi:[0,1]
	v_pk_fma_f32 v[10:11], v[24:25], v[12:13], v[8:9] neg_lo:[0,0,1] neg_hi:[0,0,1]
	v_pk_fma_f32 v[8:9], v[24:25], v[12:13], v[8:9] op_sel_hi:[1,0,1]
	s_nop 0
	v_mov_b32_e32 v8, v15
	v_mov_b32_e32 v11, v9
	v_pk_mul_f32 v[8:9], v[26:27], v[8:9] op_sel:[1,0] op_sel_hi:[0,0]
	v_pk_add_f32 v[6:7], v[6:7], v[10:11]
	v_pk_fma_f32 v[10:11], v[26:27], v[14:15], v[8:9] neg_lo:[0,0,1] neg_hi:[0,0,1]
	v_pk_fma_f32 v[8:9], v[26:27], v[14:15], v[8:9] op_sel_hi:[1,0,1]
	s_nop 0
	v_mov_b32_e32 v11, v9
	s_waitcnt vmcnt(2) lgkmcnt(2)
	v_pk_mul_f32 v[8:9], v[28:29], v[16:17] op_sel:[1,1] op_sel_hi:[0,1]
	v_pk_add_f32 v[6:7], v[6:7], v[10:11]
	v_pk_fma_f32 v[10:11], v[28:29], v[16:17], v[8:9] neg_lo:[0,0,1] neg_hi:[0,0,1]
	v_pk_fma_f32 v[8:9], v[28:29], v[16:17], v[8:9] op_sel_hi:[1,0,1]
	s_nop 0
	v_mov_b32_e32 v8, v19
	v_mov_b32_e32 v11, v9
	v_pk_mul_f32 v[8:9], v[30:31], v[8:9] op_sel:[1,0] op_sel_hi:[0,0]
	v_pk_add_f32 v[6:7], v[6:7], v[10:11]
	v_pk_fma_f32 v[10:11], v[30:31], v[18:19], v[8:9] neg_lo:[0,0,1] neg_hi:[0,0,1]
	v_pk_fma_f32 v[8:9], v[30:31], v[18:19], v[8:9] op_sel_hi:[1,0,1]
	s_nop 0
	v_mov_b32_e32 v11, v9
	s_waitcnt vmcnt(1) lgkmcnt(1)
	v_pk_mul_f32 v[8:9], v[32:33], v[20:21] op_sel:[1,1] op_sel_hi:[0,1]
	v_pk_add_f32 v[6:7], v[6:7], v[10:11]
	;; [unrolled: 14-line block ×3, first 2 shown]
	v_pk_fma_f32 v[10:11], v[4:5], v[38:39], v[8:9] neg_lo:[0,0,1] neg_hi:[0,0,1]
	v_pk_fma_f32 v[4:5], v[4:5], v[38:39], v[8:9] op_sel_hi:[1,0,1]
	s_nop 0
	v_mov_b32_e32 v11, v5
	v_pk_add_f32 v[4:5], v[6:7], v[10:11]
	scratch_load_dwordx2 v[6:7], off, off offset:416
	s_waitcnt vmcnt(0)
	v_pk_add_f32 v[4:5], v[6:7], v[4:5] neg_lo:[0,1] neg_hi:[0,1]
	scratch_store_dwordx2 off, v[4:5], off offset:416
	s_and_saveexec_b64 s[0:1], vcc
	s_cbranch_execz .LBB125_283
; %bb.282:
	scratch_load_dwordx2 v[4:5], off, off offset:408
	v_mov_b32_e32 v3, v2
	scratch_store_dwordx2 off, v[2:3], off offset:408
	s_waitcnt vmcnt(1)
	ds_write_b64 v1, v[4:5]
.LBB125_283:
	s_or_b64 exec, exec, s[0:1]
	s_waitcnt lgkmcnt(0)
	; wave barrier
	ds_read_b128 v[4:7], v2 offset:912
	ds_read_b128 v[8:11], v2 offset:928
	;; [unrolled: 1-line block ×4, first 2 shown]
	scratch_load_dwordx4 v[20:23], off, off offset:416
	scratch_load_dwordx4 v[24:27], off, off offset:432
	;; [unrolled: 1-line block ×5, first 2 shown]
	v_cmp_lt_u32_e32 vcc, 50, v0
	s_waitcnt vmcnt(4) lgkmcnt(3)
	v_mul_f32_e32 v41, v4, v21
	v_mul_f32_e32 v3, v5, v21
	v_fmac_f32_e32 v41, v5, v20
	v_mul_f32_e32 v43, v6, v23
	v_fma_f32 v40, v4, v20, -v3
	v_mul_f32_e32 v3, v7, v23
	s_waitcnt vmcnt(3) lgkmcnt(2)
	v_pk_mul_f32 v[20:21], v[8:9], v[24:25] op_sel:[1,1] op_sel_hi:[0,1]
	v_fmac_f32_e32 v43, v7, v22
	v_fma_f32 v42, v6, v22, -v3
	v_pk_fma_f32 v[22:23], v[8:9], v[24:25], v[20:21] neg_lo:[0,0,1] neg_hi:[0,0,1]
	v_pk_fma_f32 v[8:9], v[8:9], v[24:25], v[20:21] op_sel_hi:[1,0,1]
	v_pk_add_f32 v[6:7], v[40:41], 0 op_sel_hi:[1,0]
	v_mov_b32_e32 v8, v27
	v_mov_b32_e32 v23, v9
	v_pk_mul_f32 v[8:9], v[10:11], v[8:9] op_sel:[1,0] op_sel_hi:[0,0]
	v_pk_fma_f32 v[20:21], v[10:11], v[26:27], v[8:9] neg_lo:[0,0,1] neg_hi:[0,0,1]
	v_pk_fma_f32 v[8:9], v[10:11], v[26:27], v[8:9] op_sel_hi:[1,0,1]
	v_pk_add_f32 v[6:7], v[6:7], v[42:43]
	v_mov_b32_e32 v21, v9
	s_waitcnt vmcnt(2) lgkmcnt(1)
	v_pk_mul_f32 v[8:9], v[12:13], v[28:29] op_sel:[1,1] op_sel_hi:[0,1]
	v_pk_fma_f32 v[10:11], v[12:13], v[28:29], v[8:9] neg_lo:[0,0,1] neg_hi:[0,0,1]
	v_pk_fma_f32 v[8:9], v[12:13], v[28:29], v[8:9] op_sel_hi:[1,0,1]
	v_pk_add_f32 v[6:7], v[6:7], v[22:23]
	v_mov_b32_e32 v8, v31
	v_pk_add_f32 v[6:7], v[6:7], v[20:21]
	v_mov_b32_e32 v11, v9
	v_pk_mul_f32 v[8:9], v[14:15], v[8:9] op_sel:[1,0] op_sel_hi:[0,0]
	v_pk_add_f32 v[6:7], v[6:7], v[10:11]
	v_pk_fma_f32 v[10:11], v[14:15], v[30:31], v[8:9] neg_lo:[0,0,1] neg_hi:[0,0,1]
	v_pk_fma_f32 v[8:9], v[14:15], v[30:31], v[8:9] op_sel_hi:[1,0,1]
	ds_read_b128 v[2:5], v2 offset:976
	v_mov_b32_e32 v11, v9
	s_waitcnt vmcnt(1) lgkmcnt(1)
	v_pk_mul_f32 v[8:9], v[16:17], v[32:33] op_sel:[1,1] op_sel_hi:[0,1]
	v_pk_add_f32 v[6:7], v[6:7], v[10:11]
	v_pk_fma_f32 v[10:11], v[16:17], v[32:33], v[8:9] neg_lo:[0,0,1] neg_hi:[0,0,1]
	v_pk_fma_f32 v[8:9], v[16:17], v[32:33], v[8:9] op_sel_hi:[1,0,1]
	s_nop 0
	v_mov_b32_e32 v8, v35
	v_mov_b32_e32 v11, v9
	v_pk_mul_f32 v[8:9], v[18:19], v[8:9] op_sel:[1,0] op_sel_hi:[0,0]
	v_pk_add_f32 v[6:7], v[6:7], v[10:11]
	v_pk_fma_f32 v[10:11], v[18:19], v[34:35], v[8:9] neg_lo:[0,0,1] neg_hi:[0,0,1]
	v_pk_fma_f32 v[8:9], v[18:19], v[34:35], v[8:9] op_sel_hi:[1,0,1]
	s_nop 0
	v_mov_b32_e32 v11, v9
	s_waitcnt vmcnt(0) lgkmcnt(0)
	v_pk_mul_f32 v[8:9], v[2:3], v[36:37] op_sel:[1,1] op_sel_hi:[0,1]
	v_pk_add_f32 v[6:7], v[6:7], v[10:11]
	v_pk_fma_f32 v[10:11], v[2:3], v[36:37], v[8:9] neg_lo:[0,0,1] neg_hi:[0,0,1]
	v_pk_fma_f32 v[2:3], v[2:3], v[36:37], v[8:9] op_sel_hi:[1,0,1]
	s_nop 0
	v_mov_b32_e32 v11, v3
	v_pk_add_f32 v[2:3], v[6:7], v[10:11]
	v_mov_b32_e32 v6, v39
	v_pk_mul_f32 v[6:7], v[4:5], v[6:7] op_sel:[1,0] op_sel_hi:[0,0]
	v_pk_fma_f32 v[8:9], v[4:5], v[38:39], v[6:7] neg_lo:[0,0,1] neg_hi:[0,0,1]
	v_pk_fma_f32 v[4:5], v[4:5], v[38:39], v[6:7] op_sel_hi:[1,0,1]
	s_nop 0
	v_mov_b32_e32 v9, v5
	scratch_load_dwordx2 v[4:5], off, off offset:408
	v_pk_add_f32 v[2:3], v[2:3], v[8:9]
	s_waitcnt vmcnt(0)
	v_pk_add_f32 v[2:3], v[4:5], v[2:3] neg_lo:[0,1] neg_hi:[0,1]
	scratch_store_dwordx2 off, v[2:3], off offset:408
	s_and_saveexec_b64 s[0:1], vcc
	s_cbranch_execz .LBB125_285
; %bb.284:
	scratch_load_dwordx2 v[2:3], off, off offset:400
	v_mov_b32_e32 v4, 0
	v_mov_b32_e32 v5, v4
	scratch_store_dwordx2 off, v[4:5], off offset:400
	s_waitcnt vmcnt(1)
	ds_write_b64 v1, v[2:3]
.LBB125_285:
	s_or_b64 exec, exec, s[0:1]
	s_waitcnt lgkmcnt(0)
	; wave barrier
	scratch_load_dwordx4 v[8:11], off, off offset:408
	scratch_load_dwordx4 v[16:19], off, off offset:424
	v_mov_b32_e32 v2, 0
	ds_read2_b64 v[4:7], v2 offset0:113 offset1:114
	ds_read2_b64 v[12:15], v2 offset0:115 offset1:116
	scratch_load_dwordx4 v[20:23], off, off offset:440
	scratch_load_dwordx4 v[24:27], off, off offset:456
	;; [unrolled: 1-line block ×3, first 2 shown]
	scratch_load_dwordx2 v[42:43], off, off offset:488
	v_cmp_lt_u32_e32 vcc, 49, v0
	s_waitcnt vmcnt(5) lgkmcnt(1)
	v_mul_f32_e32 v3, v4, v9
	v_fmac_f32_e32 v3, v5, v8
	v_add_f32_e32 v37, 0, v3
	v_mul_f32_e32 v3, v5, v9
	v_fma_f32 v3, v4, v8, -v3
	v_mul_f32_e32 v39, v6, v11
	v_add_f32_e32 v36, 0, v3
	v_mul_f32_e32 v3, v7, v11
	v_fmac_f32_e32 v39, v7, v10
	s_waitcnt vmcnt(4) lgkmcnt(0)
	v_mul_f32_e32 v41, v12, v17
	v_fma_f32 v38, v6, v10, -v3
	v_mul_f32_e32 v3, v13, v17
	v_fmac_f32_e32 v41, v13, v16
	v_fma_f32 v40, v12, v16, -v3
	v_pk_add_f32 v[16:17], v[36:37], v[38:39]
	v_mov_b32_e32 v36, v19
	v_pk_mul_f32 v[36:37], v[14:15], v[36:37] op_sel:[1,0] op_sel_hi:[0,0]
	ds_read2_b64 v[4:7], v2 offset0:117 offset1:118
	ds_read2_b64 v[8:11], v2 offset0:119 offset1:120
	;; [unrolled: 1-line block ×3, first 2 shown]
	ds_read_b64 v[12:13], v2 offset:984
	v_pk_fma_f32 v[38:39], v[14:15], v[18:19], v[36:37] neg_lo:[0,0,1] neg_hi:[0,0,1]
	v_pk_fma_f32 v[14:15], v[14:15], v[18:19], v[36:37] op_sel_hi:[1,0,1]
	v_pk_add_f32 v[16:17], v[16:17], v[40:41]
	v_mov_b32_e32 v39, v15
	v_pk_add_f32 v[14:15], v[16:17], v[38:39]
	s_waitcnt vmcnt(3) lgkmcnt(3)
	v_pk_mul_f32 v[16:17], v[4:5], v[20:21] op_sel:[1,1] op_sel_hi:[0,1]
	v_pk_fma_f32 v[18:19], v[4:5], v[20:21], v[16:17] neg_lo:[0,0,1] neg_hi:[0,0,1]
	v_pk_fma_f32 v[4:5], v[4:5], v[20:21], v[16:17] op_sel_hi:[1,0,1]
	s_nop 0
	v_mov_b32_e32 v19, v5
	v_pk_add_f32 v[4:5], v[14:15], v[18:19]
	v_mov_b32_e32 v14, v23
	v_pk_mul_f32 v[14:15], v[6:7], v[14:15] op_sel:[1,0] op_sel_hi:[0,0]
	v_pk_fma_f32 v[16:17], v[6:7], v[22:23], v[14:15] neg_lo:[0,0,1] neg_hi:[0,0,1]
	v_pk_fma_f32 v[6:7], v[6:7], v[22:23], v[14:15] op_sel_hi:[1,0,1]
	s_nop 0
	v_mov_b32_e32 v17, v7
	s_waitcnt vmcnt(2) lgkmcnt(2)
	v_pk_mul_f32 v[6:7], v[8:9], v[24:25] op_sel:[1,1] op_sel_hi:[0,1]
	v_pk_fma_f32 v[14:15], v[8:9], v[24:25], v[6:7] neg_lo:[0,0,1] neg_hi:[0,0,1]
	v_pk_fma_f32 v[6:7], v[8:9], v[24:25], v[6:7] op_sel_hi:[1,0,1]
	v_pk_add_f32 v[4:5], v[4:5], v[16:17]
	v_mov_b32_e32 v6, v27
	v_mov_b32_e32 v15, v7
	v_pk_mul_f32 v[6:7], v[10:11], v[6:7] op_sel:[1,0] op_sel_hi:[0,0]
	v_pk_fma_f32 v[8:9], v[10:11], v[26:27], v[6:7] neg_lo:[0,0,1] neg_hi:[0,0,1]
	v_pk_fma_f32 v[6:7], v[10:11], v[26:27], v[6:7] op_sel_hi:[1,0,1]
	v_pk_add_f32 v[4:5], v[4:5], v[14:15]
	v_mov_b32_e32 v9, v7
	s_waitcnt vmcnt(1) lgkmcnt(1)
	v_pk_mul_f32 v[6:7], v[32:33], v[28:29] op_sel:[1,1] op_sel_hi:[0,1]
	v_pk_add_f32 v[4:5], v[4:5], v[8:9]
	v_pk_fma_f32 v[8:9], v[32:33], v[28:29], v[6:7] neg_lo:[0,0,1] neg_hi:[0,0,1]
	v_pk_fma_f32 v[6:7], v[32:33], v[28:29], v[6:7] op_sel_hi:[1,0,1]
	s_nop 0
	v_mov_b32_e32 v6, v31
	v_mov_b32_e32 v9, v7
	v_pk_mul_f32 v[6:7], v[34:35], v[6:7] op_sel:[1,0] op_sel_hi:[0,0]
	v_pk_add_f32 v[4:5], v[4:5], v[8:9]
	v_pk_fma_f32 v[8:9], v[34:35], v[30:31], v[6:7] neg_lo:[0,0,1] neg_hi:[0,0,1]
	v_pk_fma_f32 v[6:7], v[34:35], v[30:31], v[6:7] op_sel_hi:[1,0,1]
	s_nop 0
	v_mov_b32_e32 v9, v7
	s_waitcnt vmcnt(0) lgkmcnt(0)
	v_pk_mul_f32 v[6:7], v[12:13], v[42:43] op_sel:[1,1] op_sel_hi:[0,1]
	v_pk_add_f32 v[4:5], v[4:5], v[8:9]
	v_pk_fma_f32 v[8:9], v[12:13], v[42:43], v[6:7] neg_lo:[0,0,1] neg_hi:[0,0,1]
	v_pk_fma_f32 v[6:7], v[12:13], v[42:43], v[6:7] op_sel_hi:[1,0,1]
	s_nop 0
	v_mov_b32_e32 v9, v7
	scratch_load_dwordx2 v[6:7], off, off offset:400
	v_pk_add_f32 v[4:5], v[4:5], v[8:9]
	s_waitcnt vmcnt(0)
	v_pk_add_f32 v[4:5], v[6:7], v[4:5] neg_lo:[0,1] neg_hi:[0,1]
	scratch_store_dwordx2 off, v[4:5], off offset:400
	s_and_saveexec_b64 s[0:1], vcc
	s_cbranch_execz .LBB125_287
; %bb.286:
	scratch_load_dwordx2 v[4:5], off, off offset:392
	v_mov_b32_e32 v3, v2
	scratch_store_dwordx2 off, v[2:3], off offset:392
	s_waitcnt vmcnt(1)
	ds_write_b64 v1, v[4:5]
.LBB125_287:
	s_or_b64 exec, exec, s[0:1]
	s_waitcnt lgkmcnt(0)
	; wave barrier
	scratch_load_dwordx4 v[4:7], off, off offset:400
	scratch_load_dwordx4 v[8:11], off, off offset:416
	;; [unrolled: 1-line block ×6, first 2 shown]
	scratch_load_dwordx2 v[52:53], off, off offset:392
	ds_read_b128 v[28:31], v2 offset:896
	ds_read_b128 v[32:35], v2 offset:912
	;; [unrolled: 1-line block ×6, first 2 shown]
	v_cmp_lt_u32_e32 vcc, 48, v0
	s_waitcnt vmcnt(6) lgkmcnt(5)
	v_mul_f32_e32 v59, v28, v5
	v_mul_f32_e32 v63, v30, v7
	s_waitcnt vmcnt(5) lgkmcnt(4)
	v_mul_f32_e32 v3, v32, v9
	v_mul_f32_e32 v2, v29, v5
	;; [unrolled: 1-line block ×4, first 2 shown]
	s_waitcnt vmcnt(1) lgkmcnt(0)
	v_pk_mul_f32 v[68:69], v[48:49], v[24:25] op_sel:[1,1] op_sel_hi:[0,1]
	v_pk_mul_f32 v[56:57], v[36:37], v[12:13] op_sel:[1,1] op_sel_hi:[0,1]
	v_fmac_f32_e32 v59, v29, v4
	v_fmac_f32_e32 v3, v33, v8
	v_fma_f32 v67, v28, v4, -v2
	v_fma_f32 v2, v32, v8, -v7
	v_pk_fma_f32 v[32:33], v[48:49], v[24:25], v[68:69] neg_lo:[0,0,1] neg_hi:[0,0,1]
	v_pk_fma_f32 v[24:25], v[48:49], v[24:25], v[68:69] op_sel_hi:[1,0,1]
	v_fmac_f32_e32 v63, v31, v6
	v_fma_f32 v71, v30, v6, -v5
	v_pk_fma_f32 v[4:5], v[36:37], v[12:13], v[56:57] neg_lo:[0,0,1] neg_hi:[0,0,1]
	v_pk_fma_f32 v[6:7], v[36:37], v[12:13], v[56:57] op_sel_hi:[1,0,1]
	v_add_f32_e32 v24, 0, v59
	v_add_f32_e32 v36, 0, v67
	v_mul_f32_e32 v55, v34, v11
	v_mul_f32_e32 v9, v35, v11
	v_mov_b32_e32 v58, v15
	v_mov_b32_e32 v33, v25
	v_add_f32_e32 v25, v24, v63
	v_add_f32_e32 v24, v36, v71
	v_fmac_f32_e32 v55, v35, v10
	v_fma_f32 v54, v34, v10, -v9
	v_pk_mul_f32 v[8:9], v[38:39], v[58:59] op_sel:[1,0] op_sel_hi:[0,0]
	v_pk_add_f32 v[2:3], v[24:25], v[2:3]
	v_pk_mul_f32 v[60:61], v[40:41], v[16:17] op_sel:[1,1] op_sel_hi:[0,1]
	v_mov_b32_e32 v62, v19
	v_mov_b32_e32 v5, v7
	v_pk_fma_f32 v[6:7], v[38:39], v[14:15], v[8:9] neg_lo:[0,0,1] neg_hi:[0,0,1]
	v_pk_fma_f32 v[8:9], v[38:39], v[14:15], v[8:9] op_sel_hi:[1,0,1]
	v_pk_add_f32 v[2:3], v[2:3], v[54:55]
	v_pk_fma_f32 v[10:11], v[40:41], v[16:17], v[60:61] neg_lo:[0,0,1] neg_hi:[0,0,1]
	v_pk_fma_f32 v[12:13], v[40:41], v[16:17], v[60:61] op_sel_hi:[1,0,1]
	v_pk_mul_f32 v[16:17], v[42:43], v[62:63] op_sel:[1,0] op_sel_hi:[0,0]
	v_mov_b32_e32 v7, v9
	v_pk_add_f32 v[2:3], v[2:3], v[4:5]
	v_pk_mul_f32 v[64:65], v[44:45], v[20:21] op_sel:[1,1] op_sel_hi:[0,1]
	v_mov_b32_e32 v66, v23
	v_mov_b32_e32 v11, v13
	v_pk_fma_f32 v[12:13], v[42:43], v[18:19], v[16:17] neg_lo:[0,0,1] neg_hi:[0,0,1]
	v_pk_fma_f32 v[14:15], v[42:43], v[18:19], v[16:17] op_sel_hi:[1,0,1]
	v_pk_add_f32 v[2:3], v[2:3], v[6:7]
	v_pk_fma_f32 v[28:29], v[44:45], v[20:21], v[64:65] neg_lo:[0,0,1] neg_hi:[0,0,1]
	v_pk_fma_f32 v[20:21], v[44:45], v[20:21], v[64:65] op_sel_hi:[1,0,1]
	v_pk_mul_f32 v[30:31], v[46:47], v[66:67] op_sel:[1,0] op_sel_hi:[0,0]
	v_mov_b32_e32 v13, v15
	v_pk_add_f32 v[2:3], v[2:3], v[10:11]
	v_mov_b32_e32 v70, v27
	v_mov_b32_e32 v29, v21
	v_pk_fma_f32 v[16:17], v[46:47], v[22:23], v[30:31] neg_lo:[0,0,1] neg_hi:[0,0,1]
	v_pk_fma_f32 v[18:19], v[46:47], v[22:23], v[30:31] op_sel_hi:[1,0,1]
	v_pk_add_f32 v[2:3], v[2:3], v[12:13]
	v_pk_mul_f32 v[34:35], v[50:51], v[70:71] op_sel:[1,0] op_sel_hi:[0,0]
	v_mov_b32_e32 v17, v19
	v_pk_add_f32 v[2:3], v[2:3], v[28:29]
	v_pk_fma_f32 v[20:21], v[50:51], v[26:27], v[34:35] neg_lo:[0,0,1] neg_hi:[0,0,1]
	v_pk_fma_f32 v[22:23], v[50:51], v[26:27], v[34:35] op_sel_hi:[1,0,1]
	v_pk_add_f32 v[2:3], v[2:3], v[16:17]
	v_mov_b32_e32 v21, v23
	v_pk_add_f32 v[2:3], v[2:3], v[32:33]
	s_nop 0
	v_pk_add_f32 v[2:3], v[2:3], v[20:21]
	s_waitcnt vmcnt(0)
	v_pk_add_f32 v[2:3], v[52:53], v[2:3] neg_lo:[0,1] neg_hi:[0,1]
	scratch_store_dwordx2 off, v[2:3], off offset:392
	s_and_saveexec_b64 s[0:1], vcc
	s_cbranch_execz .LBB125_289
; %bb.288:
	scratch_load_dwordx2 v[2:3], off, off offset:384
	v_mov_b32_e32 v4, 0
	v_mov_b32_e32 v5, v4
	scratch_store_dwordx2 off, v[4:5], off offset:384
	s_waitcnt vmcnt(1)
	ds_write_b64 v1, v[2:3]
.LBB125_289:
	s_or_b64 exec, exec, s[0:1]
	s_waitcnt lgkmcnt(0)
	; wave barrier
	scratch_load_dwordx4 v[4:7], off, off offset:392
	scratch_load_dwordx4 v[8:11], off, off offset:408
	;; [unrolled: 1-line block ×6, first 2 shown]
	scratch_load_dwordx2 v[52:53], off, off offset:488
	scratch_load_dwordx2 v[54:55], off, off offset:384
	v_mov_b32_e32 v2, 0
	ds_read2_b64 v[28:31], v2 offset0:111 offset1:112
	ds_read2_b64 v[32:35], v2 offset0:113 offset1:114
	;; [unrolled: 1-line block ×6, first 2 shown]
	ds_read_b64 v[56:57], v2 offset:984
	v_cmp_lt_u32_e32 vcc, 47, v0
	s_waitcnt vmcnt(7) lgkmcnt(6)
	v_mul_f32_e32 v63, v30, v7
	v_mul_f32_e32 v3, v28, v5
	s_waitcnt vmcnt(5) lgkmcnt(4)
	v_mul_f32_e32 v61, v36, v13
	v_mul_f32_e32 v5, v29, v5
	v_mov_b32_e32 v62, v15
	s_waitcnt vmcnt(2) lgkmcnt(1)
	v_pk_mul_f32 v[72:73], v[48:49], v[24:25] op_sel:[1,1] op_sel_hi:[0,1]
	v_fmac_f32_e32 v63, v31, v6
	v_mul_f32_e32 v7, v31, v7
	v_mul_f32_e32 v13, v37, v13
	v_fmac_f32_e32 v3, v29, v4
	v_fmac_f32_e32 v61, v37, v12
	v_fma_f32 v37, v28, v4, -v5
	v_pk_mul_f32 v[4:5], v[38:39], v[62:63] op_sel:[1,0] op_sel_hi:[0,0]
	v_pk_fma_f32 v[28:29], v[48:49], v[24:25], v[72:73] neg_lo:[0,0,1] neg_hi:[0,0,1]
	v_pk_fma_f32 v[24:25], v[48:49], v[24:25], v[72:73] op_sel_hi:[1,0,1]
	v_mul_f32_e32 v67, v32, v9
	v_mul_f32_e32 v9, v33, v9
	v_fma_f32 v71, v30, v6, -v7
	v_fma_f32 v60, v36, v12, -v13
	v_add_f32_e32 v3, 0, v3
	v_add_f32_e32 v24, 0, v37
	v_pk_fma_f32 v[36:37], v[38:39], v[14:15], v[4:5] neg_lo:[0,0,1] neg_hi:[0,0,1]
	v_pk_fma_f32 v[4:5], v[38:39], v[14:15], v[4:5] op_sel_hi:[1,0,1]
	v_mul_f32_e32 v59, v34, v11
	v_mul_f32_e32 v11, v35, v11
	v_fmac_f32_e32 v67, v33, v8
	v_fma_f32 v75, v32, v8, -v9
	v_add_f32_e32 v3, v3, v63
	v_add_f32_e32 v4, v24, v71
	v_fmac_f32_e32 v59, v35, v10
	v_fma_f32 v58, v34, v10, -v11
	v_mov_b32_e32 v37, v5
	v_add_f32_e32 v5, v3, v67
	v_add_f32_e32 v4, v4, v75
	v_pk_mul_f32 v[64:65], v[40:41], v[16:17] op_sel:[1,1] op_sel_hi:[0,1]
	v_mov_b32_e32 v66, v19
	v_pk_add_f32 v[4:5], v[4:5], v[58:59]
	v_pk_fma_f32 v[6:7], v[40:41], v[16:17], v[64:65] neg_lo:[0,0,1] neg_hi:[0,0,1]
	v_pk_fma_f32 v[8:9], v[40:41], v[16:17], v[64:65] op_sel_hi:[1,0,1]
	v_pk_mul_f32 v[10:11], v[42:43], v[66:67] op_sel:[1,0] op_sel_hi:[0,0]
	v_pk_add_f32 v[4:5], v[4:5], v[60:61]
	v_pk_mul_f32 v[68:69], v[44:45], v[20:21] op_sel:[1,1] op_sel_hi:[0,1]
	v_mov_b32_e32 v70, v23
	v_mov_b32_e32 v7, v9
	v_pk_fma_f32 v[8:9], v[42:43], v[18:19], v[10:11] neg_lo:[0,0,1] neg_hi:[0,0,1]
	v_pk_fma_f32 v[10:11], v[42:43], v[18:19], v[10:11] op_sel_hi:[1,0,1]
	v_pk_add_f32 v[4:5], v[4:5], v[36:37]
	v_pk_fma_f32 v[12:13], v[44:45], v[20:21], v[68:69] neg_lo:[0,0,1] neg_hi:[0,0,1]
	v_pk_fma_f32 v[16:17], v[44:45], v[20:21], v[68:69] op_sel_hi:[1,0,1]
	v_pk_mul_f32 v[20:21], v[46:47], v[70:71] op_sel:[1,0] op_sel_hi:[0,0]
	v_mov_b32_e32 v9, v11
	v_pk_add_f32 v[4:5], v[4:5], v[6:7]
	v_mov_b32_e32 v74, v27
	v_mov_b32_e32 v13, v17
	v_pk_fma_f32 v[14:15], v[46:47], v[22:23], v[20:21] neg_lo:[0,0,1] neg_hi:[0,0,1]
	v_pk_fma_f32 v[16:17], v[46:47], v[22:23], v[20:21] op_sel_hi:[1,0,1]
	v_pk_add_f32 v[4:5], v[4:5], v[8:9]
	v_pk_mul_f32 v[30:31], v[50:51], v[74:75] op_sel:[1,0] op_sel_hi:[0,0]
	v_mov_b32_e32 v15, v17
	v_pk_add_f32 v[4:5], v[4:5], v[12:13]
	s_waitcnt vmcnt(1) lgkmcnt(0)
	v_pk_mul_f32 v[76:77], v[56:57], v[52:53] op_sel:[1,1] op_sel_hi:[0,1]
	v_mov_b32_e32 v29, v25
	v_pk_fma_f32 v[18:19], v[50:51], v[26:27], v[30:31] neg_lo:[0,0,1] neg_hi:[0,0,1]
	v_pk_fma_f32 v[20:21], v[50:51], v[26:27], v[30:31] op_sel_hi:[1,0,1]
	v_pk_add_f32 v[4:5], v[4:5], v[14:15]
	v_pk_fma_f32 v[32:33], v[56:57], v[52:53], v[76:77] neg_lo:[0,0,1] neg_hi:[0,0,1]
	v_pk_fma_f32 v[34:35], v[56:57], v[52:53], v[76:77] op_sel_hi:[1,0,1]
	v_mov_b32_e32 v19, v21
	v_pk_add_f32 v[4:5], v[4:5], v[28:29]
	v_mov_b32_e32 v33, v35
	v_pk_add_f32 v[4:5], v[4:5], v[18:19]
	s_nop 0
	v_pk_add_f32 v[4:5], v[4:5], v[32:33]
	s_waitcnt vmcnt(0)
	v_pk_add_f32 v[4:5], v[54:55], v[4:5] neg_lo:[0,1] neg_hi:[0,1]
	scratch_store_dwordx2 off, v[4:5], off offset:384
	s_and_saveexec_b64 s[0:1], vcc
	s_cbranch_execz .LBB125_291
; %bb.290:
	scratch_load_dwordx2 v[4:5], off, off offset:376
	v_mov_b32_e32 v3, v2
	scratch_store_dwordx2 off, v[2:3], off offset:376
	s_waitcnt vmcnt(1)
	ds_write_b64 v1, v[4:5]
.LBB125_291:
	s_or_b64 exec, exec, s[0:1]
	s_waitcnt lgkmcnt(0)
	; wave barrier
	scratch_load_dwordx4 v[4:7], off, off offset:384
	scratch_load_dwordx4 v[8:11], off, off offset:400
	scratch_load_dwordx4 v[12:15], off, off offset:416
	scratch_load_dwordx4 v[16:19], off, off offset:432
	scratch_load_dwordx4 v[20:23], off, off offset:448
	scratch_load_dwordx4 v[24:27], off, off offset:464
	scratch_load_dwordx4 v[28:31], off, off offset:480
	ds_read_b128 v[32:35], v2 offset:880
	ds_read_b128 v[36:39], v2 offset:896
	;; [unrolled: 1-line block ×6, first 2 shown]
	scratch_load_dwordx2 v[60:61], off, off offset:376
	ds_read_b128 v[56:59], v2 offset:976
	v_cmp_lt_u32_e32 vcc, 46, v0
	s_waitcnt vmcnt(7) lgkmcnt(6)
	v_mul_f32_e32 v67, v32, v5
	v_mul_f32_e32 v71, v34, v7
	s_waitcnt vmcnt(6) lgkmcnt(5)
	v_mul_f32_e32 v75, v36, v9
	v_mul_f32_e32 v79, v38, v11
	s_waitcnt vmcnt(5) lgkmcnt(4)
	v_mul_f32_e32 v3, v40, v13
	v_mul_f32_e32 v63, v42, v15
	v_mul_f32_e32 v2, v33, v5
	v_mul_f32_e32 v5, v35, v7
	;; [unrolled: 1-line block ×6, first 2 shown]
	s_waitcnt vmcnt(4) lgkmcnt(3)
	v_pk_mul_f32 v[64:65], v[44:45], v[16:17] op_sel:[1,1] op_sel_hi:[0,1]
	v_mov_b32_e32 v66, v19
	s_waitcnt vmcnt(3) lgkmcnt(2)
	v_pk_mul_f32 v[68:69], v[48:49], v[20:21] op_sel:[1,1] op_sel_hi:[0,1]
	v_mov_b32_e32 v70, v23
	s_waitcnt vmcnt(1) lgkmcnt(0)
	v_pk_mul_f32 v[76:77], v[56:57], v[28:29] op_sel:[1,1] op_sel_hi:[0,1]
	v_fmac_f32_e32 v67, v33, v4
	v_fmac_f32_e32 v71, v35, v6
	;; [unrolled: 1-line block ×6, first 2 shown]
	v_fma_f32 v37, v32, v4, -v2
	v_fma_f32 v39, v34, v6, -v5
	;; [unrolled: 1-line block ×6, first 2 shown]
	v_pk_fma_f32 v[4:5], v[44:45], v[16:17], v[64:65] neg_lo:[0,0,1] neg_hi:[0,0,1]
	v_pk_fma_f32 v[6:7], v[44:45], v[16:17], v[64:65] op_sel_hi:[1,0,1]
	v_pk_mul_f32 v[8:9], v[46:47], v[66:67] op_sel:[1,0] op_sel_hi:[0,0]
	v_pk_fma_f32 v[10:11], v[48:49], v[20:21], v[68:69] neg_lo:[0,0,1] neg_hi:[0,0,1]
	v_pk_fma_f32 v[12:13], v[48:49], v[20:21], v[68:69] op_sel_hi:[1,0,1]
	v_pk_mul_f32 v[14:15], v[50:51], v[70:71] op_sel:[1,0] op_sel_hi:[0,0]
	v_pk_fma_f32 v[32:33], v[56:57], v[28:29], v[76:77] neg_lo:[0,0,1] neg_hi:[0,0,1]
	v_pk_fma_f32 v[28:29], v[56:57], v[28:29], v[76:77] op_sel_hi:[1,0,1]
	v_add_f32_e32 v37, 0, v37
	v_add_f32_e32 v28, 0, v67
	v_mov_b32_e32 v5, v7
	v_pk_fma_f32 v[6:7], v[46:47], v[18:19], v[8:9] neg_lo:[0,0,1] neg_hi:[0,0,1]
	v_pk_fma_f32 v[8:9], v[46:47], v[18:19], v[8:9] op_sel_hi:[1,0,1]
	v_mov_b32_e32 v11, v13
	v_pk_fma_f32 v[12:13], v[50:51], v[22:23], v[14:15] neg_lo:[0,0,1] neg_hi:[0,0,1]
	v_pk_fma_f32 v[14:15], v[50:51], v[22:23], v[14:15] op_sel_hi:[1,0,1]
	v_add_f32_e32 v8, v28, v71
	v_add_f32_e32 v14, v37, v39
	;; [unrolled: 1-line block ×4, first 2 shown]
	v_mov_b32_e32 v7, v9
	v_add_f32_e32 v9, v8, v79
	v_add_f32_e32 v8, v14, v38
	v_pk_add_f32 v[2:3], v[8:9], v[2:3]
	v_pk_mul_f32 v[72:73], v[52:53], v[24:25] op_sel:[1,1] op_sel_hi:[0,1]
	v_pk_add_f32 v[2:3], v[2:3], v[62:63]
	v_mov_b32_e32 v74, v27
	v_pk_add_f32 v[2:3], v[2:3], v[4:5]
	v_pk_fma_f32 v[16:17], v[52:53], v[24:25], v[72:73] neg_lo:[0,0,1] neg_hi:[0,0,1]
	v_pk_add_f32 v[2:3], v[2:3], v[6:7]
	v_pk_fma_f32 v[20:21], v[52:53], v[24:25], v[72:73] op_sel_hi:[1,0,1]
	v_pk_mul_f32 v[24:25], v[54:55], v[74:75] op_sel:[1,0] op_sel_hi:[0,0]
	v_mov_b32_e32 v13, v15
	v_pk_add_f32 v[2:3], v[2:3], v[10:11]
	v_mov_b32_e32 v78, v31
	v_mov_b32_e32 v17, v21
	v_pk_fma_f32 v[18:19], v[54:55], v[26:27], v[24:25] neg_lo:[0,0,1] neg_hi:[0,0,1]
	v_pk_fma_f32 v[20:21], v[54:55], v[26:27], v[24:25] op_sel_hi:[1,0,1]
	v_pk_add_f32 v[2:3], v[2:3], v[12:13]
	v_pk_mul_f32 v[34:35], v[58:59], v[78:79] op_sel:[1,0] op_sel_hi:[0,0]
	v_mov_b32_e32 v19, v21
	v_pk_add_f32 v[2:3], v[2:3], v[16:17]
	v_mov_b32_e32 v33, v29
	v_pk_fma_f32 v[22:23], v[58:59], v[30:31], v[34:35] neg_lo:[0,0,1] neg_hi:[0,0,1]
	v_pk_fma_f32 v[24:25], v[58:59], v[30:31], v[34:35] op_sel_hi:[1,0,1]
	v_pk_add_f32 v[2:3], v[2:3], v[18:19]
	v_mov_b32_e32 v23, v25
	v_pk_add_f32 v[2:3], v[2:3], v[32:33]
	s_nop 0
	v_pk_add_f32 v[2:3], v[2:3], v[22:23]
	s_waitcnt vmcnt(0)
	v_pk_add_f32 v[2:3], v[60:61], v[2:3] neg_lo:[0,1] neg_hi:[0,1]
	scratch_store_dwordx2 off, v[2:3], off offset:376
	s_and_saveexec_b64 s[0:1], vcc
	s_cbranch_execz .LBB125_293
; %bb.292:
	scratch_load_dwordx2 v[2:3], off, off offset:368
	v_mov_b32_e32 v4, 0
	v_mov_b32_e32 v5, v4
	scratch_store_dwordx2 off, v[4:5], off offset:368
	s_waitcnt vmcnt(1)
	ds_write_b64 v1, v[2:3]
.LBB125_293:
	s_or_b64 exec, exec, s[0:1]
	s_waitcnt lgkmcnt(0)
	; wave barrier
	scratch_load_dwordx4 v[4:7], off, off offset:376
	scratch_load_dwordx4 v[8:11], off, off offset:392
	;; [unrolled: 1-line block ×7, first 2 shown]
	scratch_load_dwordx2 v[60:61], off, off offset:488
	scratch_load_dwordx2 v[62:63], off, off offset:368
	v_mov_b32_e32 v2, 0
	ds_read2_b64 v[32:35], v2 offset0:109 offset1:110
	ds_read2_b64 v[36:39], v2 offset0:111 offset1:112
	;; [unrolled: 1-line block ×7, first 2 shown]
	ds_read_b64 v[64:65], v2 offset:984
	v_cmp_lt_u32_e32 vcc, 45, v0
	s_waitcnt vmcnt(8) lgkmcnt(7)
	v_mul_f32_e32 v71, v34, v7
	v_mul_f32_e32 v3, v32, v5
	s_waitcnt vmcnt(7) lgkmcnt(6)
	v_mul_f32_e32 v75, v36, v9
	s_waitcnt vmcnt(6) lgkmcnt(5)
	v_mul_f32_e32 v83, v40, v13
	v_mul_f32_e32 v67, v42, v15
	;; [unrolled: 1-line block ×5, first 2 shown]
	s_waitcnt vmcnt(5)
	v_mov_b32_e32 v70, v19
	s_waitcnt vmcnt(3) lgkmcnt(2)
	v_pk_mul_f32 v[76:77], v[52:53], v[24:25] op_sel:[1,1] op_sel_hi:[0,1]
	s_waitcnt vmcnt(2) lgkmcnt(1)
	v_pk_mul_f32 v[80:81], v[56:57], v[28:29] op_sel:[1,1] op_sel_hi:[0,1]
	v_fmac_f32_e32 v71, v35, v6
	v_mul_f32_e32 v7, v35, v7
	v_mul_f32_e32 v9, v37, v9
	v_fmac_f32_e32 v3, v33, v4
	v_fmac_f32_e32 v75, v37, v8
	;; [unrolled: 1-line block ×4, first 2 shown]
	v_fma_f32 v32, v32, v4, -v5
	v_fma_f32 v37, v40, v12, -v13
	;; [unrolled: 1-line block ×3, first 2 shown]
	v_pk_mul_f32 v[4:5], v[46:47], v[70:71] op_sel:[1,0] op_sel_hi:[0,0]
	v_pk_fma_f32 v[12:13], v[52:53], v[24:25], v[76:77] neg_lo:[0,0,1] neg_hi:[0,0,1]
	v_pk_fma_f32 v[14:15], v[52:53], v[24:25], v[76:77] op_sel_hi:[1,0,1]
	v_pk_fma_f32 v[24:25], v[56:57], v[28:29], v[80:81] op_sel_hi:[1,0,1]
	v_fma_f32 v34, v34, v6, -v7
	v_add_f32_e32 v3, 0, v3
	v_add_f32_e32 v24, 0, v32
	v_pk_fma_f32 v[32:33], v[46:47], v[18:19], v[4:5] neg_lo:[0,0,1] neg_hi:[0,0,1]
	v_pk_fma_f32 v[4:5], v[46:47], v[18:19], v[4:5] op_sel_hi:[1,0,1]
	v_mul_f32_e32 v79, v38, v11
	v_mul_f32_e32 v11, v39, v11
	v_fma_f32 v35, v36, v8, -v9
	v_add_f32_e32 v3, v3, v71
	v_add_f32_e32 v4, v24, v34
	v_fmac_f32_e32 v79, v39, v10
	v_fma_f32 v36, v38, v10, -v11
	v_add_f32_e32 v3, v3, v75
	v_add_f32_e32 v4, v4, v35
	;; [unrolled: 1-line block ×4, first 2 shown]
	v_mul_f32_e32 v69, v44, v17
	v_mul_f32_e32 v17, v45, v17
	v_mov_b32_e32 v33, v5
	v_add_f32_e32 v5, v3, v83
	v_add_f32_e32 v4, v4, v37
	v_pk_mul_f32 v[72:73], v[48:49], v[20:21] op_sel:[1,1] op_sel_hi:[0,1]
	v_mov_b32_e32 v74, v23
	v_fmac_f32_e32 v69, v45, v16
	v_fma_f32 v68, v44, v16, -v17
	v_pk_add_f32 v[4:5], v[4:5], v[66:67]
	v_pk_fma_f32 v[6:7], v[48:49], v[20:21], v[72:73] neg_lo:[0,0,1] neg_hi:[0,0,1]
	v_pk_fma_f32 v[8:9], v[48:49], v[20:21], v[72:73] op_sel_hi:[1,0,1]
	v_pk_mul_f32 v[10:11], v[50:51], v[74:75] op_sel:[1,0] op_sel_hi:[0,0]
	v_pk_add_f32 v[4:5], v[4:5], v[68:69]
	v_mov_b32_e32 v78, v27
	v_mov_b32_e32 v7, v9
	v_pk_fma_f32 v[8:9], v[50:51], v[22:23], v[10:11] neg_lo:[0,0,1] neg_hi:[0,0,1]
	v_pk_fma_f32 v[10:11], v[50:51], v[22:23], v[10:11] op_sel_hi:[1,0,1]
	v_pk_add_f32 v[4:5], v[4:5], v[32:33]
	v_pk_mul_f32 v[16:17], v[54:55], v[78:79] op_sel:[1,0] op_sel_hi:[0,0]
	v_mov_b32_e32 v9, v11
	v_pk_add_f32 v[4:5], v[4:5], v[6:7]
	v_mov_b32_e32 v82, v31
	v_mov_b32_e32 v13, v15
	v_pk_fma_f32 v[14:15], v[54:55], v[26:27], v[16:17] neg_lo:[0,0,1] neg_hi:[0,0,1]
	v_pk_fma_f32 v[16:17], v[54:55], v[26:27], v[16:17] op_sel_hi:[1,0,1]
	v_pk_add_f32 v[4:5], v[4:5], v[8:9]
	v_pk_fma_f32 v[20:21], v[56:57], v[28:29], v[80:81] neg_lo:[0,0,1] neg_hi:[0,0,1]
	v_pk_mul_f32 v[28:29], v[58:59], v[82:83] op_sel:[1,0] op_sel_hi:[0,0]
	v_mov_b32_e32 v15, v17
	v_pk_add_f32 v[4:5], v[4:5], v[12:13]
	v_mov_b32_e32 v21, v25
	v_pk_add_f32 v[4:5], v[4:5], v[14:15]
	v_pk_fma_f32 v[6:7], v[58:59], v[30:31], v[28:29] neg_lo:[0,0,1] neg_hi:[0,0,1]
	v_pk_fma_f32 v[8:9], v[58:59], v[30:31], v[28:29] op_sel_hi:[1,0,1]
	v_pk_add_f32 v[4:5], v[4:5], v[20:21]
	v_mov_b32_e32 v7, v9
	v_pk_add_f32 v[4:5], v[4:5], v[6:7]
	s_waitcnt vmcnt(1) lgkmcnt(0)
	v_pk_mul_f32 v[6:7], v[64:65], v[60:61] op_sel:[1,1] op_sel_hi:[0,1]
	v_pk_fma_f32 v[8:9], v[64:65], v[60:61], v[6:7] neg_lo:[0,0,1] neg_hi:[0,0,1]
	v_pk_fma_f32 v[6:7], v[64:65], v[60:61], v[6:7] op_sel_hi:[1,0,1]
	s_nop 0
	v_mov_b32_e32 v9, v7
	v_pk_add_f32 v[4:5], v[4:5], v[8:9]
	s_waitcnt vmcnt(0)
	v_pk_add_f32 v[4:5], v[62:63], v[4:5] neg_lo:[0,1] neg_hi:[0,1]
	scratch_store_dwordx2 off, v[4:5], off offset:368
	s_and_saveexec_b64 s[0:1], vcc
	s_cbranch_execz .LBB125_295
; %bb.294:
	scratch_load_dwordx2 v[4:5], off, off offset:360
	v_mov_b32_e32 v3, v2
	scratch_store_dwordx2 off, v[2:3], off offset:360
	s_waitcnt vmcnt(1)
	ds_write_b64 v1, v[4:5]
.LBB125_295:
	s_or_b64 exec, exec, s[0:1]
	s_waitcnt lgkmcnt(0)
	; wave barrier
	scratch_load_dwordx4 v[4:7], off, off offset:368
	scratch_load_dwordx4 v[8:11], off, off offset:384
	;; [unrolled: 1-line block ×7, first 2 shown]
	ds_read_b128 v[32:35], v2 offset:864
	ds_read_b128 v[36:39], v2 offset:880
	;; [unrolled: 1-line block ×4, first 2 shown]
	scratch_load_dwordx4 v[48:51], off, off offset:480
	ds_read_b128 v[52:55], v2 offset:928
	ds_read_b128 v[56:59], v2 offset:944
	;; [unrolled: 1-line block ×4, first 2 shown]
	scratch_load_dwordx2 v[2:3], off, off offset:360
	v_cmp_lt_u32_e32 vcc, 44, v0
	s_waitcnt vmcnt(8) lgkmcnt(7)
	v_mul_f32_e32 v75, v32, v5
	v_mul_f32_e32 v79, v34, v7
	s_waitcnt vmcnt(7) lgkmcnt(6)
	v_mul_f32_e32 v83, v36, v9
	v_mul_f32_e32 v84, v38, v11
	;; [unrolled: 3-line block ×3, first 2 shown]
	v_mul_f32_e32 v5, v33, v5
	v_mul_f32_e32 v7, v35, v7
	;; [unrolled: 1-line block ×6, first 2 shown]
	s_waitcnt vmcnt(4) lgkmcnt(3)
	v_pk_mul_f32 v[72:73], v[52:53], v[20:21] op_sel:[1,1] op_sel_hi:[0,1]
	v_mov_b32_e32 v74, v23
	s_waitcnt vmcnt(3) lgkmcnt(2)
	v_pk_mul_f32 v[76:77], v[56:57], v[24:25] op_sel:[1,1] op_sel_hi:[0,1]
	v_mov_b32_e32 v78, v27
	v_fmac_f32_e32 v75, v33, v4
	v_fmac_f32_e32 v79, v35, v6
	;; [unrolled: 1-line block ×6, first 2 shown]
	v_fma_f32 v32, v32, v4, -v5
	v_fma_f32 v33, v34, v6, -v7
	;; [unrolled: 1-line block ×6, first 2 shown]
	v_pk_fma_f32 v[4:5], v[52:53], v[20:21], v[72:73] neg_lo:[0,0,1] neg_hi:[0,0,1]
	v_pk_fma_f32 v[6:7], v[52:53], v[20:21], v[72:73] op_sel_hi:[1,0,1]
	v_pk_mul_f32 v[8:9], v[54:55], v[74:75] op_sel:[1,0] op_sel_hi:[0,0]
	v_pk_fma_f32 v[10:11], v[56:57], v[24:25], v[76:77] neg_lo:[0,0,1] neg_hi:[0,0,1]
	v_pk_fma_f32 v[12:13], v[56:57], v[24:25], v[76:77] op_sel_hi:[1,0,1]
	v_pk_mul_f32 v[14:15], v[58:59], v[78:79] op_sel:[1,0] op_sel_hi:[0,0]
	v_add_f32_e32 v24, 0, v75
	v_add_f32_e32 v25, 0, v32
	v_mov_b32_e32 v5, v7
	v_pk_fma_f32 v[6:7], v[54:55], v[22:23], v[8:9] neg_lo:[0,0,1] neg_hi:[0,0,1]
	v_pk_fma_f32 v[8:9], v[54:55], v[22:23], v[8:9] op_sel_hi:[1,0,1]
	v_mov_b32_e32 v11, v13
	v_pk_fma_f32 v[12:13], v[58:59], v[26:27], v[14:15] neg_lo:[0,0,1] neg_hi:[0,0,1]
	v_pk_fma_f32 v[14:15], v[58:59], v[26:27], v[14:15] op_sel_hi:[1,0,1]
	v_add_f32_e32 v8, v24, v79
	v_add_f32_e32 v14, v25, v33
	v_mov_b32_e32 v7, v9
	v_add_f32_e32 v8, v8, v83
	v_add_f32_e32 v9, v14, v34
	;; [unrolled: 1-line block ×4, first 2 shown]
	v_mul_f32_e32 v69, v44, v17
	v_mul_f32_e32 v17, v45, v17
	v_add_f32_e32 v8, v8, v85
	v_add_f32_e32 v14, v9, v36
	v_mul_f32_e32 v71, v46, v19
	v_mul_f32_e32 v19, v47, v19
	v_fmac_f32_e32 v69, v45, v16
	v_fma_f32 v68, v44, v16, -v17
	v_add_f32_e32 v9, v8, v86
	v_add_f32_e32 v8, v14, v37
	v_fmac_f32_e32 v71, v47, v18
	v_fma_f32 v70, v46, v18, -v19
	v_pk_add_f32 v[8:9], v[8:9], v[68:69]
	s_waitcnt vmcnt(2) lgkmcnt(1)
	v_pk_mul_f32 v[80:81], v[60:61], v[28:29] op_sel:[1,1] op_sel_hi:[0,1]
	v_mov_b32_e32 v82, v31
	v_pk_add_f32 v[8:9], v[8:9], v[70:71]
	v_pk_fma_f32 v[16:17], v[60:61], v[28:29], v[80:81] neg_lo:[0,0,1] neg_hi:[0,0,1]
	v_pk_fma_f32 v[18:19], v[60:61], v[28:29], v[80:81] op_sel_hi:[1,0,1]
	v_pk_mul_f32 v[20:21], v[62:63], v[82:83] op_sel:[1,0] op_sel_hi:[0,0]
	v_pk_add_f32 v[4:5], v[8:9], v[4:5]
	v_mov_b32_e32 v17, v19
	v_pk_fma_f32 v[18:19], v[62:63], v[30:31], v[20:21] neg_lo:[0,0,1] neg_hi:[0,0,1]
	v_pk_add_f32 v[4:5], v[4:5], v[6:7]
	v_pk_fma_f32 v[6:7], v[62:63], v[30:31], v[20:21] op_sel_hi:[1,0,1]
	v_mov_b32_e32 v13, v15
	v_pk_add_f32 v[4:5], v[4:5], v[10:11]
	v_mov_b32_e32 v19, v7
	s_waitcnt vmcnt(1) lgkmcnt(0)
	v_pk_mul_f32 v[6:7], v[64:65], v[48:49] op_sel:[1,1] op_sel_hi:[0,1]
	v_pk_add_f32 v[4:5], v[4:5], v[12:13]
	v_pk_fma_f32 v[8:9], v[64:65], v[48:49], v[6:7] neg_lo:[0,0,1] neg_hi:[0,0,1]
	v_pk_fma_f32 v[6:7], v[64:65], v[48:49], v[6:7] op_sel_hi:[1,0,1]
	v_pk_add_f32 v[4:5], v[4:5], v[16:17]
	v_mov_b32_e32 v6, v51
	v_pk_add_f32 v[4:5], v[4:5], v[18:19]
	v_mov_b32_e32 v9, v7
	v_pk_mul_f32 v[6:7], v[66:67], v[6:7] op_sel:[1,0] op_sel_hi:[0,0]
	v_pk_add_f32 v[4:5], v[4:5], v[8:9]
	v_pk_fma_f32 v[8:9], v[66:67], v[50:51], v[6:7] neg_lo:[0,0,1] neg_hi:[0,0,1]
	v_pk_fma_f32 v[6:7], v[66:67], v[50:51], v[6:7] op_sel_hi:[1,0,1]
	s_nop 0
	v_mov_b32_e32 v9, v7
	v_pk_add_f32 v[4:5], v[4:5], v[8:9]
	s_waitcnt vmcnt(0)
	v_pk_add_f32 v[2:3], v[2:3], v[4:5] neg_lo:[0,1] neg_hi:[0,1]
	scratch_store_dwordx2 off, v[2:3], off offset:360
	s_and_saveexec_b64 s[0:1], vcc
	s_cbranch_execz .LBB125_297
; %bb.296:
	scratch_load_dwordx2 v[2:3], off, off offset:352
	v_mov_b32_e32 v4, 0
	v_mov_b32_e32 v5, v4
	scratch_store_dwordx2 off, v[4:5], off offset:352
	s_waitcnt vmcnt(1)
	ds_write_b64 v1, v[2:3]
.LBB125_297:
	s_or_b64 exec, exec, s[0:1]
	s_waitcnt lgkmcnt(0)
	; wave barrier
	scratch_load_dwordx4 v[4:7], off, off offset:360
	scratch_load_dwordx4 v[8:11], off, off offset:376
	;; [unrolled: 1-line block ×8, first 2 shown]
	scratch_load_dwordx2 v[68:69], off, off offset:488
	scratch_load_dwordx2 v[70:71], off, off offset:352
	v_mov_b32_e32 v2, 0
	ds_read2_b64 v[36:39], v2 offset0:107 offset1:108
	ds_read2_b64 v[40:43], v2 offset0:109 offset1:110
	;; [unrolled: 1-line block ×8, first 2 shown]
	ds_read_b64 v[72:73], v2 offset:984
	v_cmp_lt_u32_e32 vcc, 43, v0
	s_waitcnt vmcnt(9) lgkmcnt(8)
	v_mul_f32_e32 v79, v38, v7
	v_mul_f32_e32 v3, v36, v5
	s_waitcnt vmcnt(8) lgkmcnt(7)
	v_mul_f32_e32 v83, v40, v9
	s_waitcnt vmcnt(7) lgkmcnt(6)
	v_mul_f32_e32 v87, v44, v13
	v_mul_f32_e32 v5, v37, v5
	;; [unrolled: 1-line block ×5, first 2 shown]
	s_waitcnt vmcnt(5)
	v_mov_b32_e32 v78, v23
	s_waitcnt vmcnt(3) lgkmcnt(2)
	v_pk_mul_f32 v[84:85], v[60:61], v[28:29] op_sel:[1,1] op_sel_hi:[0,1]
	v_fmac_f32_e32 v79, v39, v6
	v_mul_f32_e32 v86, v42, v11
	v_mul_f32_e32 v89, v48, v17
	;; [unrolled: 1-line block ×4, first 2 shown]
	v_fmac_f32_e32 v3, v37, v4
	v_fmac_f32_e32 v87, v45, v12
	v_fma_f32 v36, v36, v4, -v5
	v_fma_f32 v37, v38, v6, -v7
	;; [unrolled: 1-line block ×4, first 2 shown]
	v_pk_mul_f32 v[4:5], v[54:55], v[78:79] op_sel:[1,0] op_sel_hi:[0,0]
	v_pk_fma_f32 v[12:13], v[60:61], v[28:29], v[84:85] neg_lo:[0,0,1] neg_hi:[0,0,1]
	v_fmac_f32_e32 v89, v49, v16
	v_fma_f32 v39, v42, v10, -v11
	v_fma_f32 v42, v48, v16, -v17
	v_add_f32_e32 v3, 0, v3
	v_add_f32_e32 v13, 0, v36
	v_pk_fma_f32 v[16:17], v[54:55], v[22:23], v[4:5] neg_lo:[0,0,1] neg_hi:[0,0,1]
	v_pk_fma_f32 v[4:5], v[54:55], v[22:23], v[4:5] op_sel_hi:[1,0,1]
	v_fmac_f32_e32 v83, v41, v8
	v_add_f32_e32 v3, v3, v79
	v_add_f32_e32 v4, v13, v37
	v_fmac_f32_e32 v86, v43, v10
	v_add_f32_e32 v3, v3, v83
	v_add_f32_e32 v4, v4, v38
	v_mul_f32_e32 v88, v46, v15
	v_mul_f32_e32 v15, v47, v15
	v_add_f32_e32 v3, v3, v86
	v_add_f32_e32 v4, v4, v39
	v_fmac_f32_e32 v88, v47, v14
	v_fma_f32 v41, v46, v14, -v15
	v_add_f32_e32 v3, v3, v87
	v_add_f32_e32 v4, v4, v40
	v_mul_f32_e32 v75, v50, v19
	v_mul_f32_e32 v19, v51, v19
	v_add_f32_e32 v3, v3, v88
	v_add_f32_e32 v4, v4, v41
	v_mul_f32_e32 v77, v52, v21
	v_mul_f32_e32 v21, v53, v21
	v_fmac_f32_e32 v75, v51, v18
	v_fma_f32 v74, v50, v18, -v19
	v_mov_b32_e32 v17, v5
	v_add_f32_e32 v5, v3, v89
	v_add_f32_e32 v4, v4, v42
	v_pk_mul_f32 v[80:81], v[56:57], v[24:25] op_sel:[1,1] op_sel_hi:[0,1]
	v_fmac_f32_e32 v77, v53, v20
	v_fma_f32 v76, v52, v20, -v21
	v_pk_add_f32 v[4:5], v[4:5], v[74:75]
	v_mov_b32_e32 v82, v27
	v_pk_fma_f32 v[6:7], v[56:57], v[24:25], v[80:81] neg_lo:[0,0,1] neg_hi:[0,0,1]
	v_pk_fma_f32 v[8:9], v[56:57], v[24:25], v[80:81] op_sel_hi:[1,0,1]
	v_pk_add_f32 v[4:5], v[4:5], v[76:77]
	v_pk_mul_f32 v[10:11], v[58:59], v[82:83] op_sel:[1,0] op_sel_hi:[0,0]
	v_mov_b32_e32 v7, v9
	v_pk_add_f32 v[4:5], v[4:5], v[16:17]
	v_pk_fma_f32 v[8:9], v[58:59], v[26:27], v[10:11] neg_lo:[0,0,1] neg_hi:[0,0,1]
	v_pk_fma_f32 v[10:11], v[58:59], v[26:27], v[10:11] op_sel_hi:[1,0,1]
	v_pk_add_f32 v[4:5], v[4:5], v[6:7]
	v_mov_b32_e32 v6, v31
	v_pk_fma_f32 v[14:15], v[60:61], v[28:29], v[84:85] op_sel_hi:[1,0,1]
	v_mov_b32_e32 v9, v11
	v_pk_mul_f32 v[6:7], v[62:63], v[6:7] op_sel:[1,0] op_sel_hi:[0,0]
	v_pk_add_f32 v[4:5], v[4:5], v[8:9]
	v_mov_b32_e32 v13, v15
	v_pk_fma_f32 v[8:9], v[62:63], v[30:31], v[6:7] neg_lo:[0,0,1] neg_hi:[0,0,1]
	v_pk_fma_f32 v[6:7], v[62:63], v[30:31], v[6:7] op_sel_hi:[1,0,1]
	v_pk_add_f32 v[4:5], v[4:5], v[12:13]
	v_mov_b32_e32 v9, v7
	s_waitcnt vmcnt(2) lgkmcnt(1)
	v_pk_mul_f32 v[6:7], v[64:65], v[32:33] op_sel:[1,1] op_sel_hi:[0,1]
	v_pk_add_f32 v[4:5], v[4:5], v[8:9]
	v_pk_fma_f32 v[8:9], v[64:65], v[32:33], v[6:7] neg_lo:[0,0,1] neg_hi:[0,0,1]
	v_pk_fma_f32 v[6:7], v[64:65], v[32:33], v[6:7] op_sel_hi:[1,0,1]
	s_nop 0
	v_mov_b32_e32 v6, v35
	v_mov_b32_e32 v9, v7
	v_pk_mul_f32 v[6:7], v[66:67], v[6:7] op_sel:[1,0] op_sel_hi:[0,0]
	v_pk_add_f32 v[4:5], v[4:5], v[8:9]
	v_pk_fma_f32 v[8:9], v[66:67], v[34:35], v[6:7] neg_lo:[0,0,1] neg_hi:[0,0,1]
	v_pk_fma_f32 v[6:7], v[66:67], v[34:35], v[6:7] op_sel_hi:[1,0,1]
	s_nop 0
	v_mov_b32_e32 v9, v7
	s_waitcnt vmcnt(1) lgkmcnt(0)
	v_pk_mul_f32 v[6:7], v[72:73], v[68:69] op_sel:[1,1] op_sel_hi:[0,1]
	v_pk_add_f32 v[4:5], v[4:5], v[8:9]
	v_pk_fma_f32 v[8:9], v[72:73], v[68:69], v[6:7] neg_lo:[0,0,1] neg_hi:[0,0,1]
	v_pk_fma_f32 v[6:7], v[72:73], v[68:69], v[6:7] op_sel_hi:[1,0,1]
	s_nop 0
	v_mov_b32_e32 v9, v7
	v_pk_add_f32 v[4:5], v[4:5], v[8:9]
	s_waitcnt vmcnt(0)
	v_pk_add_f32 v[4:5], v[70:71], v[4:5] neg_lo:[0,1] neg_hi:[0,1]
	scratch_store_dwordx2 off, v[4:5], off offset:352
	s_and_saveexec_b64 s[0:1], vcc
	s_cbranch_execz .LBB125_299
; %bb.298:
	scratch_load_dwordx2 v[4:5], off, off offset:344
	v_mov_b32_e32 v3, v2
	scratch_store_dwordx2 off, v[2:3], off offset:344
	s_waitcnt vmcnt(1)
	ds_write_b64 v1, v[4:5]
.LBB125_299:
	s_or_b64 exec, exec, s[0:1]
	s_waitcnt lgkmcnt(0)
	; wave barrier
	scratch_load_dwordx4 v[4:7], off, off offset:352
	scratch_load_dwordx4 v[8:11], off, off offset:368
	;; [unrolled: 1-line block ×7, first 2 shown]
	ds_read_b128 v[32:35], v2 offset:848
	ds_read_b128 v[36:39], v2 offset:864
	;; [unrolled: 1-line block ×4, first 2 shown]
	scratch_load_dwordx4 v[48:51], off, off offset:464
	scratch_load_dwordx4 v[52:55], off, off offset:480
	ds_read_b128 v[56:59], v2 offset:912
	ds_read_b128 v[60:63], v2 offset:928
	ds_read_b128 v[64:67], v2 offset:944
	ds_read_b128 v[68:71], v2 offset:960
	ds_read_b128 v[72:75], v2 offset:976
	scratch_load_dwordx2 v[2:3], off, off offset:344
	v_cmp_lt_u32_e32 vcc, 42, v0
	s_waitcnt vmcnt(9) lgkmcnt(8)
	v_mul_f32_e32 v83, v32, v5
	v_mul_f32_e32 v86, v34, v7
	s_waitcnt vmcnt(8) lgkmcnt(7)
	v_mul_f32_e32 v87, v36, v9
	s_waitcnt vmcnt(7) lgkmcnt(6)
	v_mul_f32_e32 v89, v40, v13
	v_mul_f32_e32 v5, v33, v5
	;; [unrolled: 1-line block ×5, first 2 shown]
	s_waitcnt vmcnt(4) lgkmcnt(3)
	v_pk_mul_f32 v[80:81], v[60:61], v[24:25] op_sel:[1,1] op_sel_hi:[0,1]
	v_mov_b32_e32 v82, v27
	s_waitcnt vmcnt(3) lgkmcnt(2)
	v_pk_mul_f32 v[84:85], v[64:65], v[28:29] op_sel:[1,1] op_sel_hi:[0,1]
	v_fmac_f32_e32 v83, v33, v4
	v_mul_f32_e32 v90, v42, v15
	v_mul_f32_e32 v91, v44, v17
	;; [unrolled: 1-line block ×4, first 2 shown]
	v_fmac_f32_e32 v86, v35, v6
	v_fmac_f32_e32 v87, v37, v8
	v_fmac_f32_e32 v89, v41, v12
	v_fma_f32 v32, v32, v4, -v5
	v_fma_f32 v33, v34, v6, -v7
	;; [unrolled: 1-line block ×4, first 2 shown]
	v_pk_fma_f32 v[4:5], v[60:61], v[24:25], v[80:81] neg_lo:[0,0,1] neg_hi:[0,0,1]
	v_pk_fma_f32 v[6:7], v[60:61], v[24:25], v[80:81] op_sel_hi:[1,0,1]
	v_pk_mul_f32 v[8:9], v[62:63], v[82:83] op_sel:[1,0] op_sel_hi:[0,0]
	v_pk_fma_f32 v[12:13], v[64:65], v[28:29], v[84:85] op_sel_hi:[1,0,1]
	v_fmac_f32_e32 v90, v43, v14
	v_fma_f32 v14, v42, v14, -v15
	v_fma_f32 v15, v44, v16, -v17
	v_add_f32_e32 v12, 0, v83
	v_add_f32_e32 v17, 0, v32
	v_mov_b32_e32 v5, v7
	v_pk_fma_f32 v[6:7], v[62:63], v[26:27], v[8:9] neg_lo:[0,0,1] neg_hi:[0,0,1]
	v_pk_fma_f32 v[8:9], v[62:63], v[26:27], v[8:9] op_sel_hi:[1,0,1]
	v_mul_f32_e32 v88, v38, v11
	v_mul_f32_e32 v11, v39, v11
	v_add_f32_e32 v8, v12, v86
	v_add_f32_e32 v12, v17, v33
	v_fmac_f32_e32 v88, v39, v10
	v_fma_f32 v35, v38, v10, -v11
	v_mov_b32_e32 v7, v9
	v_add_f32_e32 v8, v8, v87
	v_add_f32_e32 v9, v12, v34
	;; [unrolled: 1-line block ×6, first 2 shown]
	v_mul_f32_e32 v92, v46, v19
	v_mul_f32_e32 v19, v47, v19
	v_fmac_f32_e32 v91, v45, v16
	v_add_f32_e32 v8, v8, v90
	v_add_f32_e32 v9, v9, v14
	v_mul_f32_e32 v77, v56, v21
	v_mul_f32_e32 v21, v57, v21
	v_fmac_f32_e32 v92, v47, v18
	v_fma_f32 v16, v46, v18, -v19
	v_add_f32_e32 v8, v8, v91
	v_add_f32_e32 v12, v9, v15
	v_mul_f32_e32 v79, v58, v23
	v_mul_f32_e32 v23, v59, v23
	v_fmac_f32_e32 v77, v57, v20
	v_fma_f32 v76, v56, v20, -v21
	v_add_f32_e32 v9, v8, v92
	v_add_f32_e32 v8, v12, v16
	v_fmac_f32_e32 v79, v59, v22
	v_fma_f32 v78, v58, v22, -v23
	v_pk_add_f32 v[8:9], v[8:9], v[76:77]
	v_pk_fma_f32 v[10:11], v[64:65], v[28:29], v[84:85] neg_lo:[0,0,1] neg_hi:[0,0,1]
	v_pk_add_f32 v[8:9], v[8:9], v[78:79]
	v_mov_b32_e32 v11, v13
	v_pk_add_f32 v[4:5], v[8:9], v[4:5]
	s_nop 0
	v_pk_add_f32 v[4:5], v[4:5], v[6:7]
	v_mov_b32_e32 v6, v31
	v_pk_mul_f32 v[6:7], v[66:67], v[6:7] op_sel:[1,0] op_sel_hi:[0,0]
	v_pk_fma_f32 v[8:9], v[66:67], v[30:31], v[6:7] neg_lo:[0,0,1] neg_hi:[0,0,1]
	v_pk_fma_f32 v[6:7], v[66:67], v[30:31], v[6:7] op_sel_hi:[1,0,1]
	v_pk_add_f32 v[4:5], v[4:5], v[10:11]
	v_mov_b32_e32 v9, v7
	s_waitcnt vmcnt(2) lgkmcnt(1)
	v_pk_mul_f32 v[6:7], v[68:69], v[48:49] op_sel:[1,1] op_sel_hi:[0,1]
	v_pk_add_f32 v[4:5], v[4:5], v[8:9]
	v_pk_fma_f32 v[8:9], v[68:69], v[48:49], v[6:7] neg_lo:[0,0,1] neg_hi:[0,0,1]
	v_pk_fma_f32 v[6:7], v[68:69], v[48:49], v[6:7] op_sel_hi:[1,0,1]
	s_nop 0
	v_mov_b32_e32 v6, v51
	v_mov_b32_e32 v9, v7
	v_pk_mul_f32 v[6:7], v[70:71], v[6:7] op_sel:[1,0] op_sel_hi:[0,0]
	v_pk_add_f32 v[4:5], v[4:5], v[8:9]
	v_pk_fma_f32 v[8:9], v[70:71], v[50:51], v[6:7] neg_lo:[0,0,1] neg_hi:[0,0,1]
	v_pk_fma_f32 v[6:7], v[70:71], v[50:51], v[6:7] op_sel_hi:[1,0,1]
	s_nop 0
	v_mov_b32_e32 v9, v7
	s_waitcnt vmcnt(1) lgkmcnt(0)
	v_pk_mul_f32 v[6:7], v[72:73], v[52:53] op_sel:[1,1] op_sel_hi:[0,1]
	v_pk_add_f32 v[4:5], v[4:5], v[8:9]
	v_pk_fma_f32 v[8:9], v[72:73], v[52:53], v[6:7] neg_lo:[0,0,1] neg_hi:[0,0,1]
	v_pk_fma_f32 v[6:7], v[72:73], v[52:53], v[6:7] op_sel_hi:[1,0,1]
	s_nop 0
	v_mov_b32_e32 v6, v55
	v_mov_b32_e32 v9, v7
	v_pk_mul_f32 v[6:7], v[74:75], v[6:7] op_sel:[1,0] op_sel_hi:[0,0]
	v_pk_add_f32 v[4:5], v[4:5], v[8:9]
	v_pk_fma_f32 v[8:9], v[74:75], v[54:55], v[6:7] neg_lo:[0,0,1] neg_hi:[0,0,1]
	v_pk_fma_f32 v[6:7], v[74:75], v[54:55], v[6:7] op_sel_hi:[1,0,1]
	s_nop 0
	v_mov_b32_e32 v9, v7
	v_pk_add_f32 v[4:5], v[4:5], v[8:9]
	s_waitcnt vmcnt(0)
	v_pk_add_f32 v[2:3], v[2:3], v[4:5] neg_lo:[0,1] neg_hi:[0,1]
	scratch_store_dwordx2 off, v[2:3], off offset:344
	s_and_saveexec_b64 s[0:1], vcc
	s_cbranch_execz .LBB125_301
; %bb.300:
	scratch_load_dwordx2 v[2:3], off, off offset:336
	v_mov_b32_e32 v4, 0
	v_mov_b32_e32 v5, v4
	scratch_store_dwordx2 off, v[4:5], off offset:336
	s_waitcnt vmcnt(1)
	ds_write_b64 v1, v[2:3]
.LBB125_301:
	s_or_b64 exec, exec, s[0:1]
	s_waitcnt lgkmcnt(0)
	; wave barrier
	scratch_load_dwordx4 v[4:7], off, off offset:344
	scratch_load_dwordx4 v[8:11], off, off offset:360
	;; [unrolled: 1-line block ×9, first 2 shown]
	scratch_load_dwordx2 v[76:77], off, off offset:488
	scratch_load_dwordx2 v[78:79], off, off offset:336
	v_mov_b32_e32 v2, 0
	ds_read2_b64 v[40:43], v2 offset0:105 offset1:106
	ds_read2_b64 v[44:47], v2 offset0:107 offset1:108
	;; [unrolled: 1-line block ×9, first 2 shown]
	ds_read_b64 v[80:81], v2 offset:984
	v_cmp_lt_u32_e32 vcc, 41, v0
	s_waitcnt vmcnt(10) lgkmcnt(9)
	v_mul_f32_e32 v87, v42, v7
	v_mul_f32_e32 v3, v40, v5
	;; [unrolled: 1-line block ×3, first 2 shown]
	v_fmac_f32_e32 v87, v43, v6
	s_waitcnt vmcnt(9) lgkmcnt(8)
	v_mul_f32_e32 v88, v44, v9
	s_waitcnt vmcnt(5)
	v_mov_b32_e32 v86, v27
	v_mul_f32_e32 v89, v46, v11
	s_waitcnt lgkmcnt(7)
	v_mul_f32_e32 v91, v50, v15
	v_mul_f32_e32 v7, v43, v7
	;; [unrolled: 1-line block ×5, first 2 shown]
	v_fmac_f32_e32 v3, v41, v4
	v_fma_f32 v40, v40, v4, -v5
	s_waitcnt lgkmcnt(4)
	v_pk_mul_f32 v[4:5], v[62:63], v[86:87] op_sel:[1,0] op_sel_hi:[0,0]
	v_fmac_f32_e32 v88, v45, v8
	v_fma_f32 v41, v42, v6, -v7
	v_fma_f32 v8, v44, v8, -v9
	;; [unrolled: 1-line block ×4, first 2 shown]
	v_add_f32_e32 v3, 0, v3
	v_add_f32_e32 v15, 0, v40
	v_pk_fma_f32 v[6:7], v[62:63], v[26:27], v[4:5] neg_lo:[0,0,1] neg_hi:[0,0,1]
	v_pk_fma_f32 v[4:5], v[62:63], v[26:27], v[4:5] op_sel_hi:[1,0,1]
	v_add_f32_e32 v3, v3, v87
	v_add_f32_e32 v4, v15, v41
	v_mul_f32_e32 v90, v48, v13
	v_mul_f32_e32 v13, v49, v13
	v_fmac_f32_e32 v89, v47, v10
	v_add_f32_e32 v3, v3, v88
	v_add_f32_e32 v4, v4, v8
	v_fmac_f32_e32 v90, v49, v12
	v_fma_f32 v10, v48, v12, -v13
	v_add_f32_e32 v3, v3, v89
	v_add_f32_e32 v4, v4, v9
	v_mul_f32_e32 v92, v52, v17
	v_mul_f32_e32 v17, v53, v17
	v_fmac_f32_e32 v91, v51, v14
	v_add_f32_e32 v3, v3, v90
	v_add_f32_e32 v4, v4, v10
	v_mul_f32_e32 v93, v54, v19
	v_mul_f32_e32 v19, v55, v19
	v_fmac_f32_e32 v92, v53, v16
	v_fma_f32 v12, v52, v16, -v17
	v_add_f32_e32 v3, v3, v91
	v_add_f32_e32 v4, v4, v11
	v_mul_f32_e32 v94, v56, v21
	v_mul_f32_e32 v21, v57, v21
	v_fmac_f32_e32 v93, v55, v18
	v_fma_f32 v13, v54, v18, -v19
	;; [unrolled: 6-line block ×4, first 2 shown]
	v_mov_b32_e32 v7, v5
	v_add_f32_e32 v5, v3, v94
	v_add_f32_e32 v4, v4, v14
	v_fmac_f32_e32 v85, v61, v24
	v_fma_f32 v84, v60, v24, -v25
	v_pk_add_f32 v[4:5], v[4:5], v[82:83]
	s_nop 0
	v_pk_add_f32 v[4:5], v[4:5], v[84:85]
	s_nop 0
	v_pk_add_f32 v[4:5], v[4:5], v[6:7]
	s_waitcnt vmcnt(4) lgkmcnt(3)
	v_pk_mul_f32 v[6:7], v[64:65], v[28:29] op_sel:[1,1] op_sel_hi:[0,1]
	v_pk_fma_f32 v[8:9], v[64:65], v[28:29], v[6:7] neg_lo:[0,0,1] neg_hi:[0,0,1]
	v_pk_fma_f32 v[6:7], v[64:65], v[28:29], v[6:7] op_sel_hi:[1,0,1]
	s_nop 0
	v_mov_b32_e32 v6, v31
	v_mov_b32_e32 v9, v7
	v_pk_mul_f32 v[6:7], v[66:67], v[6:7] op_sel:[1,0] op_sel_hi:[0,0]
	v_pk_add_f32 v[4:5], v[4:5], v[8:9]
	v_pk_fma_f32 v[8:9], v[66:67], v[30:31], v[6:7] neg_lo:[0,0,1] neg_hi:[0,0,1]
	v_pk_fma_f32 v[6:7], v[66:67], v[30:31], v[6:7] op_sel_hi:[1,0,1]
	s_nop 0
	v_mov_b32_e32 v9, v7
	s_waitcnt vmcnt(3) lgkmcnt(2)
	v_pk_mul_f32 v[6:7], v[68:69], v[32:33] op_sel:[1,1] op_sel_hi:[0,1]
	v_pk_add_f32 v[4:5], v[4:5], v[8:9]
	v_pk_fma_f32 v[8:9], v[68:69], v[32:33], v[6:7] neg_lo:[0,0,1] neg_hi:[0,0,1]
	v_pk_fma_f32 v[6:7], v[68:69], v[32:33], v[6:7] op_sel_hi:[1,0,1]
	s_nop 0
	v_mov_b32_e32 v6, v35
	v_mov_b32_e32 v9, v7
	v_pk_mul_f32 v[6:7], v[70:71], v[6:7] op_sel:[1,0] op_sel_hi:[0,0]
	v_pk_add_f32 v[4:5], v[4:5], v[8:9]
	v_pk_fma_f32 v[8:9], v[70:71], v[34:35], v[6:7] neg_lo:[0,0,1] neg_hi:[0,0,1]
	v_pk_fma_f32 v[6:7], v[70:71], v[34:35], v[6:7] op_sel_hi:[1,0,1]
	s_nop 0
	v_mov_b32_e32 v9, v7
	s_waitcnt vmcnt(2) lgkmcnt(1)
	v_pk_mul_f32 v[6:7], v[72:73], v[36:37] op_sel:[1,1] op_sel_hi:[0,1]
	v_pk_add_f32 v[4:5], v[4:5], v[8:9]
	;; [unrolled: 14-line block ×3, first 2 shown]
	v_pk_fma_f32 v[8:9], v[80:81], v[76:77], v[6:7] neg_lo:[0,0,1] neg_hi:[0,0,1]
	v_pk_fma_f32 v[6:7], v[80:81], v[76:77], v[6:7] op_sel_hi:[1,0,1]
	s_nop 0
	v_mov_b32_e32 v9, v7
	v_pk_add_f32 v[4:5], v[4:5], v[8:9]
	s_waitcnt vmcnt(0)
	v_pk_add_f32 v[4:5], v[78:79], v[4:5] neg_lo:[0,1] neg_hi:[0,1]
	scratch_store_dwordx2 off, v[4:5], off offset:336
	s_and_saveexec_b64 s[0:1], vcc
	s_cbranch_execz .LBB125_303
; %bb.302:
	scratch_load_dwordx2 v[4:5], off, off offset:328
	v_mov_b32_e32 v3, v2
	scratch_store_dwordx2 off, v[2:3], off offset:328
	s_waitcnt vmcnt(1)
	ds_write_b64 v1, v[4:5]
.LBB125_303:
	s_or_b64 exec, exec, s[0:1]
	s_waitcnt lgkmcnt(0)
	; wave barrier
	scratch_load_dwordx4 v[4:7], off, off offset:336
	scratch_load_dwordx4 v[8:11], off, off offset:352
	;; [unrolled: 1-line block ×7, first 2 shown]
	ds_read_b128 v[32:35], v2 offset:832
	ds_read_b128 v[36:39], v2 offset:848
	;; [unrolled: 1-line block ×6, first 2 shown]
	scratch_load_dwordx4 v[56:59], off, off offset:448
	scratch_load_dwordx4 v[60:63], off, off offset:464
	;; [unrolled: 1-line block ×3, first 2 shown]
	ds_read_b128 v[68:71], v2 offset:928
	ds_read_b128 v[72:75], v2 offset:944
	;; [unrolled: 1-line block ×4, first 2 shown]
	scratch_load_dwordx2 v[2:3], off, off offset:328
	v_cmp_lt_u32_e32 vcc, 40, v0
	s_waitcnt vmcnt(10) lgkmcnt(9)
	v_mul_f32_e32 v90, v32, v5
	v_mul_f32_e32 v5, v33, v5
	;; [unrolled: 1-line block ×3, first 2 shown]
	s_waitcnt vmcnt(9) lgkmcnt(8)
	v_mul_f32_e32 v92, v36, v9
	s_waitcnt vmcnt(8) lgkmcnt(7)
	v_mul_f32_e32 v95, v42, v15
	v_mul_f32_e32 v7, v35, v7
	;; [unrolled: 1-line block ×4, first 2 shown]
	v_fmac_f32_e32 v90, v33, v4
	v_fma_f32 v4, v32, v4, -v5
	v_fmac_f32_e32 v91, v35, v6
	v_fmac_f32_e32 v95, v43, v14
	v_fma_f32 v5, v34, v6, -v7
	v_fma_f32 v6, v36, v8, -v9
	;; [unrolled: 1-line block ×3, first 2 shown]
	v_add_f32_e32 v14, 0, v90
	v_add_f32_e32 v4, 0, v4
	v_mul_f32_e32 v93, v38, v11
	v_mul_f32_e32 v11, v39, v11
	v_fmac_f32_e32 v92, v37, v8
	v_add_f32_e32 v14, v14, v91
	v_add_f32_e32 v4, v4, v5
	v_mul_f32_e32 v94, v40, v13
	v_mul_f32_e32 v13, v41, v13
	v_fmac_f32_e32 v93, v39, v10
	v_fma_f32 v7, v38, v10, -v11
	v_add_f32_e32 v5, v14, v92
	v_add_f32_e32 v4, v4, v6
	v_fmac_f32_e32 v94, v41, v12
	v_fma_f32 v8, v40, v12, -v13
	v_add_f32_e32 v5, v5, v93
	v_add_f32_e32 v4, v4, v7
	s_waitcnt vmcnt(7) lgkmcnt(6)
	v_mul_f32_e32 v96, v44, v17
	v_mul_f32_e32 v17, v45, v17
	v_add_f32_e32 v5, v5, v94
	v_add_f32_e32 v4, v4, v8
	v_mul_f32_e32 v97, v46, v19
	v_mul_f32_e32 v19, v47, v19
	v_fmac_f32_e32 v96, v45, v16
	v_fma_f32 v10, v44, v16, -v17
	v_add_f32_e32 v5, v5, v95
	v_add_f32_e32 v4, v4, v9
	s_waitcnt vmcnt(6) lgkmcnt(5)
	v_mul_f32_e32 v98, v48, v21
	v_mul_f32_e32 v21, v49, v21
	v_fmac_f32_e32 v97, v47, v18
	v_fma_f32 v11, v46, v18, -v19
	v_add_f32_e32 v5, v5, v96
	v_add_f32_e32 v4, v4, v10
	v_mul_f32_e32 v99, v50, v23
	v_mul_f32_e32 v23, v51, v23
	v_fmac_f32_e32 v98, v49, v20
	v_fma_f32 v12, v48, v20, -v21
	v_add_f32_e32 v5, v5, v97
	v_add_f32_e32 v4, v4, v11
	s_waitcnt vmcnt(5) lgkmcnt(4)
	v_mul_f32_e32 v85, v52, v25
	v_mul_f32_e32 v25, v53, v25
	v_fmac_f32_e32 v99, v51, v22
	v_fma_f32 v13, v50, v22, -v23
	v_add_f32_e32 v5, v5, v98
	v_add_f32_e32 v4, v4, v12
	v_mul_f32_e32 v87, v54, v27
	v_mul_f32_e32 v27, v55, v27
	s_waitcnt vmcnt(4) lgkmcnt(3)
	v_pk_mul_f32 v[88:89], v[68:69], v[28:29] op_sel:[1,1] op_sel_hi:[0,1]
	v_fmac_f32_e32 v85, v53, v24
	v_fma_f32 v84, v52, v24, -v25
	v_add_f32_e32 v5, v5, v99
	v_add_f32_e32 v4, v4, v13
	v_fmac_f32_e32 v87, v55, v26
	v_fma_f32 v86, v54, v26, -v27
	v_pk_add_f32 v[4:5], v[4:5], v[84:85]
	v_pk_fma_f32 v[6:7], v[68:69], v[28:29], v[88:89] neg_lo:[0,0,1] neg_hi:[0,0,1]
	v_pk_fma_f32 v[8:9], v[68:69], v[28:29], v[88:89] op_sel_hi:[1,0,1]
	v_pk_add_f32 v[4:5], v[4:5], v[86:87]
	v_mov_b32_e32 v7, v9
	v_pk_add_f32 v[4:5], v[4:5], v[6:7]
	v_mov_b32_e32 v6, v31
	v_pk_mul_f32 v[6:7], v[70:71], v[6:7] op_sel:[1,0] op_sel_hi:[0,0]
	v_pk_fma_f32 v[8:9], v[70:71], v[30:31], v[6:7] neg_lo:[0,0,1] neg_hi:[0,0,1]
	v_pk_fma_f32 v[6:7], v[70:71], v[30:31], v[6:7] op_sel_hi:[1,0,1]
	s_nop 0
	v_mov_b32_e32 v9, v7
	s_waitcnt vmcnt(3) lgkmcnt(2)
	v_pk_mul_f32 v[6:7], v[72:73], v[56:57] op_sel:[1,1] op_sel_hi:[0,1]
	v_pk_add_f32 v[4:5], v[4:5], v[8:9]
	v_pk_fma_f32 v[8:9], v[72:73], v[56:57], v[6:7] neg_lo:[0,0,1] neg_hi:[0,0,1]
	v_pk_fma_f32 v[6:7], v[72:73], v[56:57], v[6:7] op_sel_hi:[1,0,1]
	s_nop 0
	v_mov_b32_e32 v6, v59
	v_mov_b32_e32 v9, v7
	v_pk_mul_f32 v[6:7], v[74:75], v[6:7] op_sel:[1,0] op_sel_hi:[0,0]
	v_pk_add_f32 v[4:5], v[4:5], v[8:9]
	v_pk_fma_f32 v[8:9], v[74:75], v[58:59], v[6:7] neg_lo:[0,0,1] neg_hi:[0,0,1]
	v_pk_fma_f32 v[6:7], v[74:75], v[58:59], v[6:7] op_sel_hi:[1,0,1]
	s_nop 0
	v_mov_b32_e32 v9, v7
	s_waitcnt vmcnt(2) lgkmcnt(1)
	v_pk_mul_f32 v[6:7], v[76:77], v[60:61] op_sel:[1,1] op_sel_hi:[0,1]
	v_pk_add_f32 v[4:5], v[4:5], v[8:9]
	v_pk_fma_f32 v[8:9], v[76:77], v[60:61], v[6:7] neg_lo:[0,0,1] neg_hi:[0,0,1]
	v_pk_fma_f32 v[6:7], v[76:77], v[60:61], v[6:7] op_sel_hi:[1,0,1]
	s_nop 0
	v_mov_b32_e32 v6, v63
	v_mov_b32_e32 v9, v7
	v_pk_mul_f32 v[6:7], v[78:79], v[6:7] op_sel:[1,0] op_sel_hi:[0,0]
	v_pk_add_f32 v[4:5], v[4:5], v[8:9]
	;; [unrolled: 14-line block ×3, first 2 shown]
	v_pk_fma_f32 v[8:9], v[82:83], v[66:67], v[6:7] neg_lo:[0,0,1] neg_hi:[0,0,1]
	v_pk_fma_f32 v[6:7], v[82:83], v[66:67], v[6:7] op_sel_hi:[1,0,1]
	s_nop 0
	v_mov_b32_e32 v9, v7
	v_pk_add_f32 v[4:5], v[4:5], v[8:9]
	s_waitcnt vmcnt(0)
	v_pk_add_f32 v[2:3], v[2:3], v[4:5] neg_lo:[0,1] neg_hi:[0,1]
	scratch_store_dwordx2 off, v[2:3], off offset:328
	s_and_saveexec_b64 s[0:1], vcc
	s_cbranch_execz .LBB125_305
; %bb.304:
	scratch_load_dwordx2 v[2:3], off, off offset:320
	v_mov_b32_e32 v4, 0
	v_mov_b32_e32 v5, v4
	scratch_store_dwordx2 off, v[4:5], off offset:320
	s_waitcnt vmcnt(1)
	ds_write_b64 v1, v[2:3]
.LBB125_305:
	s_or_b64 exec, exec, s[0:1]
	s_waitcnt lgkmcnt(0)
	; wave barrier
	scratch_load_dwordx4 v[2:5], off, off offset:328
	scratch_load_dwordx4 v[8:11], off, off offset:344
	;; [unrolled: 1-line block ×10, first 2 shown]
	scratch_load_dwordx2 v[76:77], off, off offset:488
	scratch_load_dwordx2 v[78:79], off, off offset:320
	v_mov_b32_e32 v6, 0
	ds_read2_b64 v[44:47], v6 offset0:103 offset1:104
	ds_read2_b64 v[48:51], v6 offset0:105 offset1:106
	ds_read2_b64 v[52:55], v6 offset0:107 offset1:108
	ds_read2_b64 v[56:59], v6 offset0:109 offset1:110
	ds_read2_b64 v[60:63], v6 offset0:111 offset1:112
	ds_read2_b64 v[64:67], v6 offset0:113 offset1:114
	ds_read2_b64 v[68:71], v6 offset0:115 offset1:116
	ds_read2_b64 v[72:75], v6 offset0:117 offset1:118
	v_cmp_lt_u32_e32 vcc, 39, v0
	s_waitcnt vmcnt(11) lgkmcnt(7)
	v_mul_f32_e32 v7, v44, v3
	v_mul_f32_e32 v3, v45, v3
	;; [unrolled: 1-line block ×4, first 2 shown]
	v_fmac_f32_e32 v7, v45, v2
	v_fma_f32 v2, v44, v2, -v3
	s_waitcnt vmcnt(10) lgkmcnt(6)
	v_mul_f32_e32 v82, v48, v9
	v_mul_f32_e32 v9, v49, v9
	v_fma_f32 v3, v46, v4, -v5
	v_add_f32_e32 v2, 0, v2
	v_mul_f32_e32 v84, v50, v11
	v_mul_f32_e32 v11, v51, v11
	v_fmac_f32_e32 v80, v47, v4
	v_fma_f32 v4, v48, v8, -v9
	v_add_f32_e32 v7, 0, v7
	v_add_f32_e32 v2, v2, v3
	s_waitcnt vmcnt(9) lgkmcnt(5)
	v_mul_f32_e32 v85, v52, v13
	v_mul_f32_e32 v13, v53, v13
	v_fmac_f32_e32 v82, v49, v8
	v_fma_f32 v5, v50, v10, -v11
	v_add_f32_e32 v7, v7, v80
	v_add_f32_e32 v2, v2, v4
	v_mul_f32_e32 v86, v54, v15
	v_mul_f32_e32 v15, v55, v15
	v_fmac_f32_e32 v84, v51, v10
	v_fma_f32 v8, v52, v12, -v13
	v_add_f32_e32 v3, v7, v82
	v_add_f32_e32 v2, v2, v5
	s_waitcnt vmcnt(8) lgkmcnt(4)
	v_mul_f32_e32 v87, v56, v17
	v_mul_f32_e32 v17, v57, v17
	v_fmac_f32_e32 v85, v53, v12
	v_fma_f32 v9, v54, v14, -v15
	v_add_f32_e32 v3, v3, v84
	;; [unrolled: 13-line block ×4, first 2 shown]
	v_add_f32_e32 v2, v2, v12
	v_fmac_f32_e32 v90, v63, v22
	v_fma_f32 v14, v64, v24, -v25
	v_add_f32_e32 v3, v3, v89
	v_add_f32_e32 v2, v2, v13
	v_mul_f32_e32 v81, v66, v27
	v_fmac_f32_e32 v91, v65, v24
	v_add_f32_e32 v3, v3, v90
	v_add_f32_e32 v12, v2, v14
	v_mul_f32_e32 v2, v67, v27
	s_waitcnt vmcnt(5)
	v_mov_b32_e32 v16, v31
	s_waitcnt lgkmcnt(1)
	v_mul_f32_e32 v83, v68, v29
	v_fmac_f32_e32 v81, v67, v26
	v_add_f32_e32 v13, v3, v91
	v_fma_f32 v80, v66, v26, -v2
	v_mul_f32_e32 v2, v69, v29
	v_pk_mul_f32 v[16:17], v[70:71], v[16:17] op_sel:[1,0] op_sel_hi:[0,0]
	v_fmac_f32_e32 v83, v69, v28
	v_fma_f32 v82, v68, v28, -v2
	v_pk_add_f32 v[12:13], v[12:13], v[80:81]
	v_pk_fma_f32 v[18:19], v[70:71], v[30:31], v[16:17] neg_lo:[0,0,1] neg_hi:[0,0,1]
	v_pk_fma_f32 v[16:17], v[70:71], v[30:31], v[16:17] op_sel_hi:[1,0,1]
	v_pk_add_f32 v[12:13], v[12:13], v[82:83]
	v_mov_b32_e32 v19, v17
	s_waitcnt vmcnt(4) lgkmcnt(0)
	v_pk_mul_f32 v[16:17], v[72:73], v[32:33] op_sel:[1,1] op_sel_hi:[0,1]
	v_pk_add_f32 v[12:13], v[12:13], v[18:19]
	v_pk_fma_f32 v[18:19], v[72:73], v[32:33], v[16:17] neg_lo:[0,0,1] neg_hi:[0,0,1]
	v_pk_fma_f32 v[16:17], v[72:73], v[32:33], v[16:17] op_sel_hi:[1,0,1]
	ds_read2_b64 v[2:5], v6 offset0:119 offset1:120
	ds_read2_b64 v[8:11], v6 offset0:121 offset1:122
	ds_read_b64 v[14:15], v6 offset:984
	v_mov_b32_e32 v16, v35
	v_mov_b32_e32 v19, v17
	v_pk_mul_f32 v[16:17], v[74:75], v[16:17] op_sel:[1,0] op_sel_hi:[0,0]
	v_pk_add_f32 v[12:13], v[12:13], v[18:19]
	v_pk_fma_f32 v[18:19], v[74:75], v[34:35], v[16:17] neg_lo:[0,0,1] neg_hi:[0,0,1]
	v_pk_fma_f32 v[16:17], v[74:75], v[34:35], v[16:17] op_sel_hi:[1,0,1]
	s_nop 0
	v_mov_b32_e32 v19, v17
	s_waitcnt vmcnt(3) lgkmcnt(2)
	v_pk_mul_f32 v[16:17], v[2:3], v[36:37] op_sel:[1,1] op_sel_hi:[0,1]
	v_pk_add_f32 v[12:13], v[12:13], v[18:19]
	v_pk_fma_f32 v[18:19], v[2:3], v[36:37], v[16:17] neg_lo:[0,0,1] neg_hi:[0,0,1]
	v_pk_fma_f32 v[2:3], v[2:3], v[36:37], v[16:17] op_sel_hi:[1,0,1]
	s_nop 0
	v_mov_b32_e32 v19, v3
	v_pk_add_f32 v[2:3], v[12:13], v[18:19]
	v_mov_b32_e32 v12, v39
	v_pk_mul_f32 v[12:13], v[4:5], v[12:13] op_sel:[1,0] op_sel_hi:[0,0]
	v_pk_fma_f32 v[16:17], v[4:5], v[38:39], v[12:13] neg_lo:[0,0,1] neg_hi:[0,0,1]
	v_pk_fma_f32 v[4:5], v[4:5], v[38:39], v[12:13] op_sel_hi:[1,0,1]
	s_nop 0
	v_mov_b32_e32 v17, v5
	s_waitcnt vmcnt(2) lgkmcnt(1)
	v_pk_mul_f32 v[4:5], v[8:9], v[40:41] op_sel:[1,1] op_sel_hi:[0,1]
	v_pk_fma_f32 v[12:13], v[8:9], v[40:41], v[4:5] neg_lo:[0,0,1] neg_hi:[0,0,1]
	v_pk_fma_f32 v[4:5], v[8:9], v[40:41], v[4:5] op_sel_hi:[1,0,1]
	v_pk_add_f32 v[2:3], v[2:3], v[16:17]
	v_mov_b32_e32 v4, v43
	v_mov_b32_e32 v13, v5
	v_pk_mul_f32 v[4:5], v[10:11], v[4:5] op_sel:[1,0] op_sel_hi:[0,0]
	v_pk_fma_f32 v[8:9], v[10:11], v[42:43], v[4:5] neg_lo:[0,0,1] neg_hi:[0,0,1]
	v_pk_fma_f32 v[4:5], v[10:11], v[42:43], v[4:5] op_sel_hi:[1,0,1]
	v_pk_add_f32 v[2:3], v[2:3], v[12:13]
	v_mov_b32_e32 v9, v5
	s_waitcnt vmcnt(1) lgkmcnt(0)
	v_pk_mul_f32 v[4:5], v[14:15], v[76:77] op_sel:[1,1] op_sel_hi:[0,1]
	v_pk_add_f32 v[2:3], v[2:3], v[8:9]
	v_pk_fma_f32 v[8:9], v[14:15], v[76:77], v[4:5] neg_lo:[0,0,1] neg_hi:[0,0,1]
	v_pk_fma_f32 v[4:5], v[14:15], v[76:77], v[4:5] op_sel_hi:[1,0,1]
	s_nop 0
	v_mov_b32_e32 v9, v5
	v_pk_add_f32 v[2:3], v[2:3], v[8:9]
	s_waitcnt vmcnt(0)
	v_pk_add_f32 v[2:3], v[78:79], v[2:3] neg_lo:[0,1] neg_hi:[0,1]
	scratch_store_dwordx2 off, v[2:3], off offset:320
	s_and_saveexec_b64 s[0:1], vcc
	s_cbranch_execz .LBB125_307
; %bb.306:
	scratch_load_dwordx2 v[2:3], off, off offset:312
	v_mov_b32_e32 v7, v6
	scratch_store_dwordx2 off, v[6:7], off offset:312
	s_waitcnt vmcnt(1)
	ds_write_b64 v1, v[2:3]
.LBB125_307:
	s_or_b64 exec, exec, s[0:1]
	s_waitcnt lgkmcnt(0)
	; wave barrier
	scratch_load_dwordx4 v[8:11], off, off offset:320
	scratch_load_dwordx4 v[12:15], off, off offset:336
	;; [unrolled: 1-line block ×7, first 2 shown]
	ds_read_b128 v[36:39], v6 offset:816
	ds_read_b128 v[40:43], v6 offset:832
	;; [unrolled: 1-line block ×6, first 2 shown]
	scratch_load_dwordx4 v[60:63], off, off offset:432
	scratch_load_dwordx4 v[64:67], off, off offset:448
	;; [unrolled: 1-line block ×4, first 2 shown]
	ds_read_b128 v[72:75], v6 offset:912
	ds_read_b128 v[76:79], v6 offset:928
	scratch_load_dwordx2 v[80:81], off, off offset:312
	v_cmp_lt_u32_e32 vcc, 38, v0
	s_waitcnt vmcnt(11) lgkmcnt(7)
	v_mul_f32_e32 v7, v36, v9
	v_mul_f32_e32 v82, v38, v11
	;; [unrolled: 1-line block ×3, first 2 shown]
	v_fmac_f32_e32 v7, v37, v8
	s_waitcnt vmcnt(10) lgkmcnt(6)
	v_mul_f32_e32 v84, v40, v13
	v_mul_f32_e32 v11, v39, v11
	v_fmac_f32_e32 v82, v39, v10
	v_fma_f32 v8, v36, v8, -v9
	v_add_f32_e32 v7, 0, v7
	v_mul_f32_e32 v86, v42, v15
	v_mul_f32_e32 v13, v41, v13
	v_fmac_f32_e32 v84, v41, v12
	v_fma_f32 v9, v38, v10, -v11
	v_add_f32_e32 v8, 0, v8
	v_add_f32_e32 v7, v7, v82
	s_waitcnt vmcnt(9) lgkmcnt(5)
	v_mul_f32_e32 v87, v44, v17
	v_mul_f32_e32 v15, v43, v15
	v_fmac_f32_e32 v86, v43, v14
	v_fma_f32 v10, v40, v12, -v13
	v_add_f32_e32 v8, v8, v9
	v_add_f32_e32 v7, v7, v84
	v_mul_f32_e32 v88, v46, v19
	v_mul_f32_e32 v17, v45, v17
	v_fmac_f32_e32 v87, v45, v16
	v_fma_f32 v11, v42, v14, -v15
	v_add_f32_e32 v8, v8, v10
	v_add_f32_e32 v7, v7, v86
	s_waitcnt vmcnt(8) lgkmcnt(4)
	v_mul_f32_e32 v89, v48, v21
	v_mul_f32_e32 v19, v47, v19
	v_fmac_f32_e32 v88, v47, v18
	v_fma_f32 v12, v44, v16, -v17
	v_add_f32_e32 v8, v8, v11
	;; [unrolled: 13-line block ×4, first 2 shown]
	v_add_f32_e32 v7, v7, v91
	v_mul_f32_e32 v94, v58, v31
	v_mul_f32_e32 v29, v57, v29
	v_fmac_f32_e32 v93, v57, v28
	v_fma_f32 v17, v54, v26, -v27
	v_add_f32_e32 v8, v8, v16
	v_add_f32_e32 v7, v7, v92
	v_fmac_f32_e32 v94, v59, v30
	v_fma_f32 v18, v56, v28, -v29
	v_add_f32_e32 v8, v8, v17
	v_add_f32_e32 v7, v7, v93
	;; [unrolled: 1-line block ×4, first 2 shown]
	v_mul_f32_e32 v8, v59, v31
	v_fma_f32 v8, v58, v30, -v8
	s_waitcnt vmcnt(5) lgkmcnt(1)
	v_mul_f32_e32 v83, v72, v33
	v_add_f32_e32 v20, v7, v8
	v_mul_f32_e32 v7, v73, v33
	v_fmac_f32_e32 v83, v73, v32
	v_fma_f32 v82, v72, v32, -v7
	v_mul_f32_e32 v7, v75, v35
	v_fma_f32 v84, v74, v34, -v7
	ds_read_b128 v[8:11], v6 offset:944
	ds_read_b128 v[12:15], v6 offset:960
	;; [unrolled: 1-line block ×3, first 2 shown]
	v_pk_add_f32 v[6:7], v[20:21], v[82:83]
	s_waitcnt vmcnt(4) lgkmcnt(3)
	v_pk_mul_f32 v[20:21], v[76:77], v[60:61] op_sel:[1,1] op_sel_hi:[0,1]
	v_mul_f32_e32 v85, v74, v35
	v_pk_fma_f32 v[22:23], v[76:77], v[60:61], v[20:21] neg_lo:[0,0,1] neg_hi:[0,0,1]
	v_pk_fma_f32 v[20:21], v[76:77], v[60:61], v[20:21] op_sel_hi:[1,0,1]
	v_fmac_f32_e32 v85, v75, v34
	v_mov_b32_e32 v20, v63
	v_pk_add_f32 v[6:7], v[6:7], v[84:85]
	v_mov_b32_e32 v23, v21
	v_pk_mul_f32 v[20:21], v[78:79], v[20:21] op_sel:[1,0] op_sel_hi:[0,0]
	v_pk_add_f32 v[6:7], v[6:7], v[22:23]
	v_pk_fma_f32 v[22:23], v[78:79], v[62:63], v[20:21] neg_lo:[0,0,1] neg_hi:[0,0,1]
	v_pk_fma_f32 v[20:21], v[78:79], v[62:63], v[20:21] op_sel_hi:[1,0,1]
	s_nop 0
	v_mov_b32_e32 v23, v21
	s_waitcnt vmcnt(3) lgkmcnt(2)
	v_pk_mul_f32 v[20:21], v[8:9], v[64:65] op_sel:[1,1] op_sel_hi:[0,1]
	v_pk_add_f32 v[6:7], v[6:7], v[22:23]
	v_pk_fma_f32 v[22:23], v[8:9], v[64:65], v[20:21] neg_lo:[0,0,1] neg_hi:[0,0,1]
	v_pk_fma_f32 v[8:9], v[8:9], v[64:65], v[20:21] op_sel_hi:[1,0,1]
	s_nop 0
	v_mov_b32_e32 v8, v67
	v_mov_b32_e32 v23, v9
	v_pk_mul_f32 v[8:9], v[10:11], v[8:9] op_sel:[1,0] op_sel_hi:[0,0]
	v_pk_fma_f32 v[20:21], v[10:11], v[66:67], v[8:9] neg_lo:[0,0,1] neg_hi:[0,0,1]
	v_pk_fma_f32 v[8:9], v[10:11], v[66:67], v[8:9] op_sel_hi:[1,0,1]
	v_pk_add_f32 v[6:7], v[6:7], v[22:23]
	v_mov_b32_e32 v21, v9
	s_waitcnt vmcnt(2) lgkmcnt(1)
	v_pk_mul_f32 v[8:9], v[12:13], v[68:69] op_sel:[1,1] op_sel_hi:[0,1]
	v_pk_fma_f32 v[10:11], v[12:13], v[68:69], v[8:9] neg_lo:[0,0,1] neg_hi:[0,0,1]
	v_pk_fma_f32 v[8:9], v[12:13], v[68:69], v[8:9] op_sel_hi:[1,0,1]
	v_pk_add_f32 v[6:7], v[6:7], v[20:21]
	v_mov_b32_e32 v8, v71
	v_mov_b32_e32 v11, v9
	v_pk_mul_f32 v[8:9], v[14:15], v[8:9] op_sel:[1,0] op_sel_hi:[0,0]
	v_pk_add_f32 v[6:7], v[6:7], v[10:11]
	v_pk_fma_f32 v[10:11], v[14:15], v[70:71], v[8:9] neg_lo:[0,0,1] neg_hi:[0,0,1]
	v_pk_fma_f32 v[8:9], v[14:15], v[70:71], v[8:9] op_sel_hi:[1,0,1]
	s_nop 0
	v_mov_b32_e32 v11, v9
	s_waitcnt vmcnt(1) lgkmcnt(0)
	v_pk_mul_f32 v[8:9], v[16:17], v[2:3] op_sel:[1,1] op_sel_hi:[0,1]
	v_pk_add_f32 v[6:7], v[6:7], v[10:11]
	v_pk_fma_f32 v[10:11], v[16:17], v[2:3], v[8:9] neg_lo:[0,0,1] neg_hi:[0,0,1]
	v_pk_fma_f32 v[2:3], v[16:17], v[2:3], v[8:9] op_sel_hi:[1,0,1]
	s_nop 0
	v_mov_b32_e32 v11, v3
	v_pk_add_f32 v[2:3], v[6:7], v[10:11]
	v_mov_b32_e32 v6, v5
	v_pk_mul_f32 v[6:7], v[18:19], v[6:7] op_sel:[1,0] op_sel_hi:[0,0]
	v_pk_fma_f32 v[8:9], v[18:19], v[4:5], v[6:7] neg_lo:[0,0,1] neg_hi:[0,0,1]
	v_pk_fma_f32 v[4:5], v[18:19], v[4:5], v[6:7] op_sel_hi:[1,0,1]
	s_nop 0
	v_mov_b32_e32 v9, v5
	v_pk_add_f32 v[2:3], v[2:3], v[8:9]
	s_waitcnt vmcnt(0)
	v_pk_add_f32 v[2:3], v[80:81], v[2:3] neg_lo:[0,1] neg_hi:[0,1]
	scratch_store_dwordx2 off, v[2:3], off offset:312
	s_and_saveexec_b64 s[0:1], vcc
	s_cbranch_execz .LBB125_309
; %bb.308:
	scratch_load_dwordx2 v[2:3], off, off offset:304
	v_mov_b32_e32 v4, 0
	v_mov_b32_e32 v5, v4
	scratch_store_dwordx2 off, v[4:5], off offset:304
	s_waitcnt vmcnt(1)
	ds_write_b64 v1, v[2:3]
.LBB125_309:
	s_or_b64 exec, exec, s[0:1]
	s_waitcnt lgkmcnt(0)
	; wave barrier
	scratch_load_dwordx4 v[2:5], off, off offset:312
	scratch_load_dwordx4 v[14:17], off, off offset:328
	scratch_load_dwordx4 v[24:27], off, off offset:344
	scratch_load_dwordx4 v[28:31], off, off offset:360
	scratch_load_dwordx4 v[18:21], off, off offset:376
	scratch_load_dwordx4 v[32:35], off, off offset:392
	scratch_load_dwordx4 v[40:43], off, off offset:408
	scratch_load_dwordx4 v[44:47], off, off offset:424
	scratch_load_dwordx4 v[48:51], off, off offset:440
	scratch_load_dwordx4 v[10:13], off, off offset:456
	scratch_load_dwordx4 v[6:9], off, off offset:472
	scratch_load_dwordx2 v[22:23], off, off offset:488
	scratch_load_dwordx2 v[36:37], off, off offset:304
	v_mov_b32_e32 v38, 0
	ds_read2_b64 v[52:55], v38 offset0:101 offset1:102
	ds_read2_b64 v[56:59], v38 offset0:103 offset1:104
	ds_read2_b64 v[60:63], v38 offset0:105 offset1:106
	ds_read2_b64 v[64:67], v38 offset0:107 offset1:108
	ds_read2_b64 v[68:71], v38 offset0:109 offset1:110
	ds_read2_b64 v[72:75], v38 offset0:111 offset1:112
	ds_read2_b64 v[76:79], v38 offset0:113 offset1:114
	ds_read2_b64 v[80:83], v38 offset0:115 offset1:116
	v_cmp_lt_u32_e32 vcc, 37, v0
	s_waitcnt vmcnt(12) lgkmcnt(7)
	v_mul_f32_e32 v39, v52, v3
	v_mul_f32_e32 v84, v54, v5
	v_mul_f32_e32 v3, v53, v3
	v_fmac_f32_e32 v39, v53, v2
	s_waitcnt vmcnt(8) lgkmcnt(3)
	v_mul_f32_e32 v93, v68, v19
	v_mul_f32_e32 v19, v69, v19
	;; [unrolled: 1-line block ×4, first 2 shown]
	v_fmac_f32_e32 v84, v55, v4
	v_fmac_f32_e32 v93, v69, v18
	v_fma_f32 v2, v52, v2, -v3
	v_fma_f32 v18, v68, v18, -v19
	v_add_f32_e32 v19, 0, v39
	v_mul_f32_e32 v88, v58, v17
	v_fmac_f32_e32 v86, v57, v14
	v_fma_f32 v3, v54, v4, -v5
	v_add_f32_e32 v2, 0, v2
	v_add_f32_e32 v19, v19, v84
	v_mul_f32_e32 v89, v60, v25
	v_fmac_f32_e32 v88, v59, v16
	v_add_f32_e32 v2, v2, v3
	v_add_f32_e32 v3, v19, v86
	v_mul_f32_e32 v90, v62, v27
	v_fmac_f32_e32 v89, v61, v24
	v_add_f32_e32 v3, v3, v88
	v_mul_f32_e32 v91, v64, v29
	v_mul_f32_e32 v15, v57, v15
	v_fmac_f32_e32 v90, v63, v26
	v_add_f32_e32 v3, v3, v89
	v_mul_f32_e32 v92, v66, v31
	v_mul_f32_e32 v17, v59, v17
	v_fmac_f32_e32 v91, v65, v28
	v_fma_f32 v4, v56, v14, -v15
	v_add_f32_e32 v3, v3, v90
	v_mul_f32_e32 v25, v61, v25
	v_fmac_f32_e32 v92, v67, v30
	v_fma_f32 v5, v58, v16, -v17
	v_add_f32_e32 v2, v2, v4
	v_add_f32_e32 v3, v3, v91
	v_mul_f32_e32 v94, v70, v21
	v_mul_f32_e32 v27, v63, v27
	v_fma_f32 v14, v60, v24, -v25
	v_add_f32_e32 v2, v2, v5
	v_add_f32_e32 v3, v3, v92
	s_waitcnt vmcnt(7) lgkmcnt(2)
	v_mul_f32_e32 v95, v72, v33
	v_mul_f32_e32 v29, v65, v29
	v_fmac_f32_e32 v94, v71, v20
	v_fma_f32 v15, v62, v26, -v27
	v_add_f32_e32 v2, v2, v14
	v_add_f32_e32 v3, v3, v93
	v_mul_f32_e32 v96, v74, v35
	v_mul_f32_e32 v31, v67, v31
	v_fmac_f32_e32 v95, v73, v32
	v_fma_f32 v16, v64, v28, -v29
	v_add_f32_e32 v2, v2, v15
	v_add_f32_e32 v3, v3, v94
	s_waitcnt vmcnt(6) lgkmcnt(1)
	v_mul_f32_e32 v97, v76, v41
	v_fmac_f32_e32 v96, v75, v34
	v_fma_f32 v17, v66, v30, -v31
	v_add_f32_e32 v2, v2, v16
	v_add_f32_e32 v3, v3, v95
	v_mul_f32_e32 v21, v71, v21
	v_fmac_f32_e32 v97, v77, v40
	v_add_f32_e32 v2, v2, v17
	v_add_f32_e32 v3, v3, v96
	;; [unrolled: 1-line block ×4, first 2 shown]
	v_fma_f32 v3, v70, v20, -v21
	v_add_f32_e32 v2, v2, v3
	v_mul_f32_e32 v3, v73, v33
	v_fma_f32 v3, v72, v32, -v3
	v_add_f32_e32 v2, v2, v3
	v_mul_f32_e32 v3, v75, v35
	;; [unrolled: 3-line block ×4, first 2 shown]
	v_mul_f32_e32 v85, v78, v43
	v_fma_f32 v84, v78, v42, -v2
	s_waitcnt vmcnt(5) lgkmcnt(0)
	v_mul_f32_e32 v2, v81, v45
	v_mov_b32_e32 v28, v47
	v_mul_f32_e32 v87, v80, v45
	v_fmac_f32_e32 v85, v79, v42
	v_fma_f32 v86, v80, v44, -v2
	ds_read2_b64 v[2:5], v38 offset0:117 offset1:118
	ds_read2_b64 v[14:17], v38 offset0:119 offset1:120
	;; [unrolled: 1-line block ×3, first 2 shown]
	ds_read_b64 v[26:27], v38 offset:984
	v_pk_mul_f32 v[28:29], v[82:83], v[28:29] op_sel:[1,0] op_sel_hi:[0,0]
	v_fmac_f32_e32 v87, v81, v44
	v_pk_add_f32 v[24:25], v[24:25], v[84:85]
	v_pk_fma_f32 v[30:31], v[82:83], v[46:47], v[28:29] neg_lo:[0,0,1] neg_hi:[0,0,1]
	v_pk_fma_f32 v[28:29], v[82:83], v[46:47], v[28:29] op_sel_hi:[1,0,1]
	v_pk_add_f32 v[24:25], v[24:25], v[86:87]
	v_mov_b32_e32 v31, v29
	s_waitcnt vmcnt(4) lgkmcnt(3)
	v_pk_mul_f32 v[28:29], v[2:3], v[48:49] op_sel:[1,1] op_sel_hi:[0,1]
	v_pk_add_f32 v[24:25], v[24:25], v[30:31]
	v_pk_fma_f32 v[30:31], v[2:3], v[48:49], v[28:29] neg_lo:[0,0,1] neg_hi:[0,0,1]
	v_pk_fma_f32 v[2:3], v[2:3], v[48:49], v[28:29] op_sel_hi:[1,0,1]
	s_nop 0
	v_mov_b32_e32 v31, v3
	v_pk_add_f32 v[2:3], v[24:25], v[30:31]
	v_mov_b32_e32 v24, v51
	v_pk_mul_f32 v[24:25], v[4:5], v[24:25] op_sel:[1,0] op_sel_hi:[0,0]
	v_pk_fma_f32 v[28:29], v[4:5], v[50:51], v[24:25] neg_lo:[0,0,1] neg_hi:[0,0,1]
	v_pk_fma_f32 v[4:5], v[4:5], v[50:51], v[24:25] op_sel_hi:[1,0,1]
	s_nop 0
	v_mov_b32_e32 v29, v5
	s_waitcnt vmcnt(3) lgkmcnt(2)
	v_pk_mul_f32 v[4:5], v[14:15], v[10:11] op_sel:[1,1] op_sel_hi:[0,1]
	v_pk_fma_f32 v[24:25], v[14:15], v[10:11], v[4:5] neg_lo:[0,0,1] neg_hi:[0,0,1]
	v_pk_fma_f32 v[4:5], v[14:15], v[10:11], v[4:5] op_sel_hi:[1,0,1]
	v_pk_add_f32 v[2:3], v[2:3], v[28:29]
	v_mov_b32_e32 v4, v13
	v_mov_b32_e32 v25, v5
	v_pk_mul_f32 v[4:5], v[16:17], v[4:5] op_sel:[1,0] op_sel_hi:[0,0]
	v_pk_fma_f32 v[10:11], v[16:17], v[12:13], v[4:5] neg_lo:[0,0,1] neg_hi:[0,0,1]
	v_pk_fma_f32 v[4:5], v[16:17], v[12:13], v[4:5] op_sel_hi:[1,0,1]
	v_pk_add_f32 v[2:3], v[2:3], v[24:25]
	v_mov_b32_e32 v11, v5
	s_waitcnt vmcnt(2) lgkmcnt(1)
	v_pk_mul_f32 v[4:5], v[18:19], v[6:7] op_sel:[1,1] op_sel_hi:[0,1]
	v_pk_add_f32 v[2:3], v[2:3], v[10:11]
	v_pk_fma_f32 v[10:11], v[18:19], v[6:7], v[4:5] neg_lo:[0,0,1] neg_hi:[0,0,1]
	v_pk_fma_f32 v[4:5], v[18:19], v[6:7], v[4:5] op_sel_hi:[1,0,1]
	s_nop 0
	v_mov_b32_e32 v4, v9
	v_mov_b32_e32 v11, v5
	v_pk_mul_f32 v[4:5], v[20:21], v[4:5] op_sel:[1,0] op_sel_hi:[0,0]
	v_pk_fma_f32 v[6:7], v[20:21], v[8:9], v[4:5] neg_lo:[0,0,1] neg_hi:[0,0,1]
	v_pk_fma_f32 v[4:5], v[20:21], v[8:9], v[4:5] op_sel_hi:[1,0,1]
	v_pk_add_f32 v[2:3], v[2:3], v[10:11]
	v_mov_b32_e32 v7, v5
	s_waitcnt vmcnt(1) lgkmcnt(0)
	v_pk_mul_f32 v[4:5], v[26:27], v[22:23] op_sel:[1,1] op_sel_hi:[0,1]
	v_pk_add_f32 v[2:3], v[2:3], v[6:7]
	v_pk_fma_f32 v[6:7], v[26:27], v[22:23], v[4:5] neg_lo:[0,0,1] neg_hi:[0,0,1]
	v_pk_fma_f32 v[4:5], v[26:27], v[22:23], v[4:5] op_sel_hi:[1,0,1]
	s_nop 0
	v_mov_b32_e32 v7, v5
	v_pk_add_f32 v[2:3], v[2:3], v[6:7]
	s_waitcnt vmcnt(0)
	v_pk_add_f32 v[2:3], v[36:37], v[2:3] neg_lo:[0,1] neg_hi:[0,1]
	scratch_store_dwordx2 off, v[2:3], off offset:304
	s_and_saveexec_b64 s[0:1], vcc
	s_cbranch_execz .LBB125_311
; %bb.310:
	scratch_load_dwordx2 v[2:3], off, off offset:296
	v_mov_b32_e32 v39, v38
	scratch_store_dwordx2 off, v[38:39], off offset:296
	s_waitcnt vmcnt(1)
	ds_write_b64 v1, v[2:3]
.LBB125_311:
	s_or_b64 exec, exec, s[0:1]
	s_waitcnt lgkmcnt(0)
	; wave barrier
	scratch_load_dwordx4 v[6:9], off, off offset:304
	scratch_load_dwordx4 v[18:21], off, off offset:320
	;; [unrolled: 1-line block ×8, first 2 shown]
	ds_read_b128 v[48:51], v38 offset:800
	ds_read_b128 v[52:55], v38 offset:816
	;; [unrolled: 1-line block ×8, first 2 shown]
	scratch_load_dwordx4 v[80:83], off, off offset:432
	scratch_load_dwordx4 v[26:29], off, off offset:448
	;; [unrolled: 1-line block ×4, first 2 shown]
	scratch_load_dwordx2 v[84:85], off, off offset:296
	v_cmp_lt_u32_e32 vcc, 36, v0
	s_waitcnt vmcnt(12) lgkmcnt(7)
	v_mul_f32_e32 v39, v48, v7
	v_mul_f32_e32 v86, v50, v9
	v_mul_f32_e32 v7, v49, v7
	v_fmac_f32_e32 v39, v49, v6
	s_waitcnt vmcnt(8) lgkmcnt(3)
	v_mul_f32_e32 v95, v64, v15
	v_mul_f32_e32 v15, v65, v15
	;; [unrolled: 1-line block ×4, first 2 shown]
	v_fmac_f32_e32 v86, v51, v8
	v_fmac_f32_e32 v95, v65, v14
	v_fma_f32 v6, v48, v6, -v7
	v_fma_f32 v14, v64, v14, -v15
	v_add_f32_e32 v15, 0, v39
	v_mul_f32_e32 v90, v54, v21
	v_fmac_f32_e32 v88, v53, v18
	v_fma_f32 v7, v50, v8, -v9
	v_add_f32_e32 v6, 0, v6
	v_add_f32_e32 v15, v15, v86
	v_mul_f32_e32 v91, v56, v35
	v_fmac_f32_e32 v90, v55, v20
	v_add_f32_e32 v6, v6, v7
	v_add_f32_e32 v7, v15, v88
	v_mul_f32_e32 v92, v58, v37
	v_fmac_f32_e32 v91, v57, v34
	v_add_f32_e32 v7, v7, v90
	v_mul_f32_e32 v93, v60, v41
	v_fmac_f32_e32 v92, v59, v36
	;; [unrolled: 3-line block ×4, first 2 shown]
	v_add_f32_e32 v7, v7, v93
	v_mul_f32_e32 v96, v66, v17
	v_mul_f32_e32 v21, v55, v21
	v_fma_f32 v8, v52, v18, -v19
	v_add_f32_e32 v7, v7, v94
	s_waitcnt vmcnt(7) lgkmcnt(2)
	v_mul_f32_e32 v97, v68, v23
	v_mul_f32_e32 v35, v57, v35
	v_fmac_f32_e32 v96, v67, v16
	v_fma_f32 v9, v54, v20, -v21
	v_add_f32_e32 v6, v6, v8
	v_add_f32_e32 v7, v7, v95
	v_mul_f32_e32 v98, v70, v25
	v_mul_f32_e32 v37, v59, v37
	v_fmac_f32_e32 v97, v69, v22
	v_fma_f32 v18, v56, v34, -v35
	v_add_f32_e32 v6, v6, v9
	v_add_f32_e32 v7, v7, v96
	s_waitcnt vmcnt(6) lgkmcnt(1)
	v_mul_f32_e32 v99, v72, v31
	v_mul_f32_e32 v41, v61, v41
	v_fmac_f32_e32 v98, v71, v24
	v_fma_f32 v19, v58, v36, -v37
	v_add_f32_e32 v6, v6, v18
	v_add_f32_e32 v7, v7, v97
	v_mul_f32_e32 v100, v74, v33
	v_mul_f32_e32 v43, v63, v43
	v_fmac_f32_e32 v99, v73, v30
	v_fma_f32 v20, v60, v40, -v41
	v_add_f32_e32 v6, v6, v19
	v_add_f32_e32 v7, v7, v98
	v_fmac_f32_e32 v100, v75, v32
	v_fma_f32 v21, v62, v42, -v43
	v_add_f32_e32 v6, v6, v20
	v_add_f32_e32 v7, v7, v99
	;; [unrolled: 1-line block ×4, first 2 shown]
	v_mul_f32_e32 v7, v67, v17
	v_add_f32_e32 v6, v6, v14
	v_fma_f32 v7, v66, v16, -v7
	v_add_f32_e32 v6, v6, v7
	v_mul_f32_e32 v7, v69, v23
	v_fma_f32 v7, v68, v22, -v7
	v_add_f32_e32 v6, v6, v7
	v_mul_f32_e32 v7, v71, v25
	;; [unrolled: 3-line block ×4, first 2 shown]
	v_fma_f32 v7, v74, v32, -v7
	v_add_f32_e32 v34, v6, v7
	s_waitcnt vmcnt(5) lgkmcnt(0)
	v_mul_f32_e32 v6, v77, v45
	v_fma_f32 v86, v76, v44, -v6
	v_mul_f32_e32 v6, v79, v47
	v_fma_f32 v88, v78, v46, -v6
	ds_read_b128 v[6:9], v38 offset:928
	ds_read_b128 v[14:17], v38 offset:944
	ds_read_b128 v[18:21], v38 offset:960
	ds_read_b128 v[22:25], v38 offset:976
	v_mul_f32_e32 v87, v76, v45
	v_mul_f32_e32 v89, v78, v47
	v_fmac_f32_e32 v87, v77, v44
	s_waitcnt vmcnt(4) lgkmcnt(3)
	v_pk_mul_f32 v[32:33], v[6:7], v[80:81] op_sel:[1,1] op_sel_hi:[0,1]
	v_fmac_f32_e32 v89, v79, v46
	v_pk_add_f32 v[30:31], v[34:35], v[86:87]
	v_pk_fma_f32 v[34:35], v[6:7], v[80:81], v[32:33] neg_lo:[0,0,1] neg_hi:[0,0,1]
	v_pk_fma_f32 v[6:7], v[6:7], v[80:81], v[32:33] op_sel_hi:[1,0,1]
	v_pk_add_f32 v[30:31], v[30:31], v[88:89]
	v_mov_b32_e32 v35, v7
	v_pk_add_f32 v[6:7], v[30:31], v[34:35]
	v_mov_b32_e32 v30, v83
	v_pk_mul_f32 v[30:31], v[8:9], v[30:31] op_sel:[1,0] op_sel_hi:[0,0]
	v_pk_fma_f32 v[32:33], v[8:9], v[82:83], v[30:31] neg_lo:[0,0,1] neg_hi:[0,0,1]
	v_pk_fma_f32 v[8:9], v[8:9], v[82:83], v[30:31] op_sel_hi:[1,0,1]
	s_nop 0
	v_mov_b32_e32 v33, v9
	s_waitcnt vmcnt(3) lgkmcnt(2)
	v_pk_mul_f32 v[8:9], v[14:15], v[26:27] op_sel:[1,1] op_sel_hi:[0,1]
	v_pk_fma_f32 v[30:31], v[14:15], v[26:27], v[8:9] neg_lo:[0,0,1] neg_hi:[0,0,1]
	v_pk_fma_f32 v[8:9], v[14:15], v[26:27], v[8:9] op_sel_hi:[1,0,1]
	v_pk_add_f32 v[6:7], v[6:7], v[32:33]
	v_mov_b32_e32 v8, v29
	v_mov_b32_e32 v31, v9
	v_pk_mul_f32 v[8:9], v[16:17], v[8:9] op_sel:[1,0] op_sel_hi:[0,0]
	v_pk_fma_f32 v[14:15], v[16:17], v[28:29], v[8:9] neg_lo:[0,0,1] neg_hi:[0,0,1]
	v_pk_fma_f32 v[8:9], v[16:17], v[28:29], v[8:9] op_sel_hi:[1,0,1]
	v_pk_add_f32 v[6:7], v[6:7], v[30:31]
	v_mov_b32_e32 v15, v9
	s_waitcnt vmcnt(2) lgkmcnt(1)
	v_pk_mul_f32 v[8:9], v[18:19], v[10:11] op_sel:[1,1] op_sel_hi:[0,1]
	v_pk_add_f32 v[6:7], v[6:7], v[14:15]
	v_pk_fma_f32 v[14:15], v[18:19], v[10:11], v[8:9] neg_lo:[0,0,1] neg_hi:[0,0,1]
	v_pk_fma_f32 v[8:9], v[18:19], v[10:11], v[8:9] op_sel_hi:[1,0,1]
	s_nop 0
	v_mov_b32_e32 v8, v13
	v_mov_b32_e32 v15, v9
	v_pk_mul_f32 v[8:9], v[20:21], v[8:9] op_sel:[1,0] op_sel_hi:[0,0]
	v_pk_fma_f32 v[10:11], v[20:21], v[12:13], v[8:9] neg_lo:[0,0,1] neg_hi:[0,0,1]
	v_pk_fma_f32 v[8:9], v[20:21], v[12:13], v[8:9] op_sel_hi:[1,0,1]
	v_pk_add_f32 v[6:7], v[6:7], v[14:15]
	v_mov_b32_e32 v11, v9
	s_waitcnt vmcnt(1) lgkmcnt(0)
	v_pk_mul_f32 v[8:9], v[22:23], v[2:3] op_sel:[1,1] op_sel_hi:[0,1]
	v_pk_add_f32 v[6:7], v[6:7], v[10:11]
	v_pk_fma_f32 v[10:11], v[22:23], v[2:3], v[8:9] neg_lo:[0,0,1] neg_hi:[0,0,1]
	v_pk_fma_f32 v[2:3], v[22:23], v[2:3], v[8:9] op_sel_hi:[1,0,1]
	s_nop 0
	v_mov_b32_e32 v11, v3
	v_pk_add_f32 v[2:3], v[6:7], v[10:11]
	v_mov_b32_e32 v6, v5
	v_pk_mul_f32 v[6:7], v[24:25], v[6:7] op_sel:[1,0] op_sel_hi:[0,0]
	v_pk_fma_f32 v[8:9], v[24:25], v[4:5], v[6:7] neg_lo:[0,0,1] neg_hi:[0,0,1]
	v_pk_fma_f32 v[4:5], v[24:25], v[4:5], v[6:7] op_sel_hi:[1,0,1]
	s_nop 0
	v_mov_b32_e32 v9, v5
	v_pk_add_f32 v[2:3], v[2:3], v[8:9]
	s_waitcnt vmcnt(0)
	v_pk_add_f32 v[2:3], v[84:85], v[2:3] neg_lo:[0,1] neg_hi:[0,1]
	scratch_store_dwordx2 off, v[2:3], off offset:296
	s_and_saveexec_b64 s[0:1], vcc
	s_cbranch_execz .LBB125_313
; %bb.312:
	scratch_load_dwordx2 v[2:3], off, off offset:288
	v_mov_b32_e32 v4, 0
	v_mov_b32_e32 v5, v4
	scratch_store_dwordx2 off, v[4:5], off offset:288
	s_waitcnt vmcnt(1)
	ds_write_b64 v1, v[2:3]
.LBB125_313:
	s_or_b64 exec, exec, s[0:1]
	s_waitcnt lgkmcnt(0)
	; wave barrier
	scratch_load_dwordx4 v[2:5], off, off offset:296
	scratch_load_dwordx4 v[22:25], off, off offset:312
	;; [unrolled: 1-line block ×12, first 2 shown]
	scratch_load_dwordx2 v[50:51], off, off offset:488
	scratch_load_dwordx2 v[56:57], off, off offset:288
	v_mov_b32_e32 v58, 0
	ds_read2_b64 v[52:55], v58 offset0:99 offset1:100
	ds_read2_b64 v[60:63], v58 offset0:101 offset1:102
	;; [unrolled: 1-line block ×10, first 2 shown]
	v_cmp_lt_u32_e32 vcc, 35, v0
	s_waitcnt vmcnt(13) lgkmcnt(9)
	v_mul_f32_e32 v59, v52, v3
	v_mul_f32_e32 v96, v54, v5
	;; [unrolled: 1-line block ×3, first 2 shown]
	s_waitcnt vmcnt(10) lgkmcnt(6)
	v_mul_f32_e32 v103, v68, v11
	v_mul_f32_e32 v11, v69, v11
	v_fmac_f32_e32 v59, v53, v2
	v_mul_f32_e32 v98, v60, v23
	v_mul_f32_e32 v5, v55, v5
	v_fmac_f32_e32 v96, v55, v4
	v_fmac_f32_e32 v103, v69, v10
	v_fma_f32 v2, v52, v2, -v3
	v_fma_f32 v10, v68, v10, -v11
	v_add_f32_e32 v11, 0, v59
	v_mul_f32_e32 v100, v62, v25
	v_fmac_f32_e32 v98, v61, v22
	v_fma_f32 v3, v54, v4, -v5
	v_add_f32_e32 v2, 0, v2
	v_add_f32_e32 v11, v11, v96
	v_mul_f32_e32 v101, v64, v39
	v_fmac_f32_e32 v100, v63, v24
	v_add_f32_e32 v2, v2, v3
	v_add_f32_e32 v3, v11, v98
	v_mul_f32_e32 v102, v66, v41
	v_fmac_f32_e32 v101, v65, v38
	v_add_f32_e32 v3, v3, v100
	v_fmac_f32_e32 v102, v67, v40
	v_add_f32_e32 v3, v3, v101
	v_mul_f32_e32 v104, v70, v13
	v_add_f32_e32 v3, v3, v102
	s_waitcnt vmcnt(9) lgkmcnt(5)
	v_mul_f32_e32 v105, v72, v15
	v_fmac_f32_e32 v104, v71, v12
	v_add_f32_e32 v3, v3, v103
	v_mul_f32_e32 v106, v74, v17
	v_fmac_f32_e32 v105, v73, v14
	v_add_f32_e32 v3, v3, v104
	s_waitcnt vmcnt(8) lgkmcnt(4)
	v_mul_f32_e32 v107, v76, v27
	v_fmac_f32_e32 v106, v75, v16
	v_add_f32_e32 v3, v3, v105
	v_mul_f32_e32 v108, v78, v29
	v_mul_f32_e32 v23, v61, v23
	v_fmac_f32_e32 v107, v77, v26
	v_add_f32_e32 v3, v3, v106
	s_waitcnt vmcnt(7) lgkmcnt(3)
	v_mul_f32_e32 v109, v80, v31
	v_mul_f32_e32 v25, v63, v25
	v_fmac_f32_e32 v108, v79, v28
	v_fma_f32 v4, v60, v22, -v23
	v_add_f32_e32 v3, v3, v107
	v_mul_f32_e32 v110, v82, v33
	v_mul_f32_e32 v39, v65, v39
	v_fmac_f32_e32 v109, v81, v30
	v_fma_f32 v5, v62, v24, -v25
	v_add_f32_e32 v2, v2, v4
	v_add_f32_e32 v3, v3, v108
	s_waitcnt vmcnt(6) lgkmcnt(2)
	v_mul_f32_e32 v111, v84, v43
	v_mul_f32_e32 v41, v67, v41
	v_fmac_f32_e32 v110, v83, v32
	v_fma_f32 v22, v64, v38, -v39
	v_add_f32_e32 v2, v2, v5
	v_add_f32_e32 v3, v3, v109
	v_fmac_f32_e32 v111, v85, v42
	v_fma_f32 v23, v66, v40, -v41
	v_add_f32_e32 v2, v2, v22
	v_add_f32_e32 v3, v3, v110
	;; [unrolled: 1-line block ×4, first 2 shown]
	v_mul_f32_e32 v3, v71, v13
	v_add_f32_e32 v2, v2, v10
	v_fma_f32 v3, v70, v12, -v3
	v_add_f32_e32 v2, v2, v3
	v_mul_f32_e32 v3, v73, v15
	v_fma_f32 v3, v72, v14, -v3
	v_add_f32_e32 v2, v2, v3
	v_mul_f32_e32 v3, v75, v17
	;; [unrolled: 3-line block ×7, first 2 shown]
	v_fma_f32 v3, v84, v42, -v3
	v_mul_f32_e32 v97, v86, v45
	v_add_f32_e32 v22, v2, v3
	v_mul_f32_e32 v2, v87, v45
	v_fmac_f32_e32 v97, v87, v44
	v_fma_f32 v96, v86, v44, -v2
	v_pk_add_f32 v[16:17], v[22:23], v[96:97]
	s_waitcnt vmcnt(5)
	v_mov_b32_e32 v22, v49
	s_waitcnt lgkmcnt(1)
	v_mul_f32_e32 v99, v88, v47
	v_mul_f32_e32 v2, v89, v47
	v_pk_mul_f32 v[22:23], v[90:91], v[22:23] op_sel:[1,0] op_sel_hi:[0,0]
	v_fmac_f32_e32 v99, v89, v46
	v_fma_f32 v98, v88, v46, -v2
	v_pk_fma_f32 v[24:25], v[90:91], v[48:49], v[22:23] neg_lo:[0,0,1] neg_hi:[0,0,1]
	v_pk_fma_f32 v[22:23], v[90:91], v[48:49], v[22:23] op_sel_hi:[1,0,1]
	v_pk_add_f32 v[16:17], v[16:17], v[98:99]
	v_mov_b32_e32 v25, v23
	s_waitcnt vmcnt(4) lgkmcnt(0)
	v_pk_mul_f32 v[22:23], v[92:93], v[34:35] op_sel:[1,1] op_sel_hi:[0,1]
	v_pk_add_f32 v[16:17], v[16:17], v[24:25]
	v_pk_fma_f32 v[24:25], v[92:93], v[34:35], v[22:23] neg_lo:[0,0,1] neg_hi:[0,0,1]
	v_pk_fma_f32 v[22:23], v[92:93], v[34:35], v[22:23] op_sel_hi:[1,0,1]
	ds_read2_b64 v[2:5], v58 offset0:119 offset1:120
	ds_read2_b64 v[10:13], v58 offset0:121 offset1:122
	ds_read_b64 v[14:15], v58 offset:984
	v_mov_b32_e32 v22, v37
	v_mov_b32_e32 v25, v23
	v_pk_mul_f32 v[22:23], v[94:95], v[22:23] op_sel:[1,0] op_sel_hi:[0,0]
	v_pk_add_f32 v[16:17], v[16:17], v[24:25]
	v_pk_fma_f32 v[24:25], v[94:95], v[36:37], v[22:23] neg_lo:[0,0,1] neg_hi:[0,0,1]
	v_pk_fma_f32 v[22:23], v[94:95], v[36:37], v[22:23] op_sel_hi:[1,0,1]
	s_nop 0
	v_mov_b32_e32 v25, v23
	s_waitcnt vmcnt(3) lgkmcnt(2)
	v_pk_mul_f32 v[22:23], v[2:3], v[18:19] op_sel:[1,1] op_sel_hi:[0,1]
	v_pk_add_f32 v[16:17], v[16:17], v[24:25]
	v_pk_fma_f32 v[24:25], v[2:3], v[18:19], v[22:23] neg_lo:[0,0,1] neg_hi:[0,0,1]
	v_pk_fma_f32 v[2:3], v[2:3], v[18:19], v[22:23] op_sel_hi:[1,0,1]
	s_nop 0
	v_mov_b32_e32 v25, v3
	v_pk_add_f32 v[2:3], v[16:17], v[24:25]
	v_mov_b32_e32 v16, v21
	v_pk_mul_f32 v[16:17], v[4:5], v[16:17] op_sel:[1,0] op_sel_hi:[0,0]
	v_pk_fma_f32 v[18:19], v[4:5], v[20:21], v[16:17] neg_lo:[0,0,1] neg_hi:[0,0,1]
	v_pk_fma_f32 v[4:5], v[4:5], v[20:21], v[16:17] op_sel_hi:[1,0,1]
	s_nop 0
	v_mov_b32_e32 v19, v5
	s_waitcnt vmcnt(2) lgkmcnt(1)
	v_pk_mul_f32 v[4:5], v[10:11], v[6:7] op_sel:[1,1] op_sel_hi:[0,1]
	v_pk_fma_f32 v[16:17], v[10:11], v[6:7], v[4:5] neg_lo:[0,0,1] neg_hi:[0,0,1]
	v_pk_fma_f32 v[4:5], v[10:11], v[6:7], v[4:5] op_sel_hi:[1,0,1]
	v_pk_add_f32 v[2:3], v[2:3], v[18:19]
	v_mov_b32_e32 v4, v9
	v_mov_b32_e32 v17, v5
	v_pk_mul_f32 v[4:5], v[12:13], v[4:5] op_sel:[1,0] op_sel_hi:[0,0]
	v_pk_fma_f32 v[6:7], v[12:13], v[8:9], v[4:5] neg_lo:[0,0,1] neg_hi:[0,0,1]
	v_pk_fma_f32 v[4:5], v[12:13], v[8:9], v[4:5] op_sel_hi:[1,0,1]
	v_pk_add_f32 v[2:3], v[2:3], v[16:17]
	v_mov_b32_e32 v7, v5
	s_waitcnt vmcnt(1) lgkmcnt(0)
	v_pk_mul_f32 v[4:5], v[14:15], v[50:51] op_sel:[1,1] op_sel_hi:[0,1]
	v_pk_add_f32 v[2:3], v[2:3], v[6:7]
	v_pk_fma_f32 v[6:7], v[14:15], v[50:51], v[4:5] neg_lo:[0,0,1] neg_hi:[0,0,1]
	v_pk_fma_f32 v[4:5], v[14:15], v[50:51], v[4:5] op_sel_hi:[1,0,1]
	s_nop 0
	v_mov_b32_e32 v7, v5
	v_pk_add_f32 v[2:3], v[2:3], v[6:7]
	s_waitcnt vmcnt(0)
	v_pk_add_f32 v[2:3], v[56:57], v[2:3] neg_lo:[0,1] neg_hi:[0,1]
	scratch_store_dwordx2 off, v[2:3], off offset:288
	s_and_saveexec_b64 s[0:1], vcc
	s_cbranch_execz .LBB125_315
; %bb.314:
	scratch_load_dwordx2 v[2:3], off, off offset:280
	v_mov_b32_e32 v59, v58
	scratch_store_dwordx2 off, v[58:59], off offset:280
	s_waitcnt vmcnt(1)
	ds_write_b64 v1, v[2:3]
.LBB125_315:
	s_or_b64 exec, exec, s[0:1]
	s_waitcnt lgkmcnt(0)
	; wave barrier
	scratch_load_dwordx4 v[10:13], off, off offset:288
	scratch_load_dwordx4 v[26:29], off, off offset:304
	;; [unrolled: 1-line block ×9, first 2 shown]
	ds_read_b128 v[60:63], v58 offset:784
	ds_read_b128 v[64:67], v58 offset:800
	;; [unrolled: 1-line block ×8, first 2 shown]
	scratch_load_dwordx4 v[50:53], off, off offset:432
	scratch_load_dwordx4 v[34:37], off, off offset:448
	;; [unrolled: 1-line block ×4, first 2 shown]
	ds_read_b128 v[88:91], v58 offset:912
	ds_read_b128 v[92:95], v58 offset:928
	scratch_load_dwordx2 v[96:97], off, off offset:280
	v_cmp_lt_u32_e32 vcc, 34, v0
	s_waitcnt vmcnt(13) lgkmcnt(9)
	v_mul_f32_e32 v59, v60, v11
	v_mul_f32_e32 v98, v62, v13
	v_fmac_f32_e32 v59, v61, v10
	s_waitcnt vmcnt(10) lgkmcnt(6)
	v_mul_f32_e32 v105, v72, v3
	v_mul_f32_e32 v3, v73, v3
	;; [unrolled: 1-line block ×3, first 2 shown]
	v_fmac_f32_e32 v98, v63, v12
	v_fmac_f32_e32 v105, v73, v2
	v_fma_f32 v2, v72, v2, -v3
	v_add_f32_e32 v3, 0, v59
	v_mul_f32_e32 v102, v66, v29
	v_fmac_f32_e32 v100, v65, v26
	v_add_f32_e32 v3, v3, v98
	v_mul_f32_e32 v103, v68, v43
	v_fmac_f32_e32 v102, v67, v28
	;; [unrolled: 3-line block ×3, first 2 shown]
	v_add_f32_e32 v3, v3, v102
	v_fmac_f32_e32 v104, v71, v44
	v_add_f32_e32 v3, v3, v103
	v_mul_f32_e32 v106, v74, v5
	v_add_f32_e32 v3, v3, v104
	s_waitcnt vmcnt(9) lgkmcnt(5)
	v_mul_f32_e32 v107, v76, v15
	v_fmac_f32_e32 v106, v75, v4
	v_add_f32_e32 v3, v3, v105
	v_mul_f32_e32 v108, v78, v17
	v_fmac_f32_e32 v107, v77, v14
	v_add_f32_e32 v3, v3, v106
	s_waitcnt vmcnt(8) lgkmcnt(4)
	v_mul_f32_e32 v109, v80, v19
	v_mul_f32_e32 v11, v61, v11
	v_fmac_f32_e32 v108, v79, v16
	v_add_f32_e32 v3, v3, v107
	v_mul_f32_e32 v110, v82, v21
	v_mul_f32_e32 v13, v63, v13
	v_fmac_f32_e32 v109, v81, v18
	v_fma_f32 v10, v60, v10, -v11
	v_add_f32_e32 v3, v3, v108
	s_waitcnt vmcnt(7) lgkmcnt(3)
	v_mul_f32_e32 v111, v84, v31
	v_mul_f32_e32 v27, v65, v27
	v_fmac_f32_e32 v110, v83, v20
	v_fma_f32 v11, v62, v12, -v13
	v_add_f32_e32 v10, 0, v10
	v_add_f32_e32 v3, v3, v109
	v_mul_f32_e32 v112, v86, v33
	v_mul_f32_e32 v29, v67, v29
	v_fmac_f32_e32 v111, v85, v30
	v_fma_f32 v12, v64, v26, -v27
	v_add_f32_e32 v10, v10, v11
	v_add_f32_e32 v3, v3, v110
	s_waitcnt vmcnt(6) lgkmcnt(2)
	v_mul_f32_e32 v113, v54, v39
	v_mul_f32_e32 v43, v69, v43
	v_fmac_f32_e32 v112, v87, v32
	v_fma_f32 v13, v66, v28, -v29
	v_add_f32_e32 v10, v10, v12
	v_add_f32_e32 v3, v3, v111
	v_mul_f32_e32 v114, v56, v41
	v_mul_f32_e32 v45, v71, v45
	v_fmac_f32_e32 v113, v55, v38
	v_fma_f32 v26, v68, v42, -v43
	v_add_f32_e32 v10, v10, v13
	v_add_f32_e32 v3, v3, v112
	v_fmac_f32_e32 v114, v57, v40
	v_fma_f32 v27, v70, v44, -v45
	v_add_f32_e32 v10, v10, v26
	v_add_f32_e32 v3, v3, v113
	;; [unrolled: 1-line block ×4, first 2 shown]
	v_mul_f32_e32 v3, v75, v5
	v_add_f32_e32 v2, v10, v2
	v_fma_f32 v3, v74, v4, -v3
	v_add_f32_e32 v2, v2, v3
	v_mul_f32_e32 v3, v77, v15
	v_fma_f32 v3, v76, v14, -v3
	v_add_f32_e32 v2, v2, v3
	v_mul_f32_e32 v3, v79, v17
	;; [unrolled: 3-line block ×8, first 2 shown]
	v_fma_f32 v3, v56, v40, -v3
	s_waitcnt vmcnt(5) lgkmcnt(1)
	v_mul_f32_e32 v99, v88, v47
	v_add_f32_e32 v26, v2, v3
	v_mul_f32_e32 v2, v89, v47
	v_fmac_f32_e32 v99, v89, v46
	v_fma_f32 v98, v88, v46, -v2
	s_waitcnt vmcnt(4) lgkmcnt(0)
	v_pk_mul_f32 v[20:21], v[92:93], v[50:51] op_sel:[1,1] op_sel_hi:[0,1]
	v_mul_f32_e32 v101, v90, v49
	v_mul_f32_e32 v2, v91, v49
	v_pk_add_f32 v[18:19], v[26:27], v[98:99]
	v_pk_fma_f32 v[26:27], v[92:93], v[50:51], v[20:21] neg_lo:[0,0,1] neg_hi:[0,0,1]
	v_pk_fma_f32 v[20:21], v[92:93], v[50:51], v[20:21] op_sel_hi:[1,0,1]
	v_fmac_f32_e32 v101, v91, v48
	v_fma_f32 v100, v90, v48, -v2
	ds_read_b128 v[2:5], v58 offset:944
	ds_read_b128 v[10:13], v58 offset:960
	ds_read_b128 v[14:17], v58 offset:976
	v_mov_b32_e32 v20, v53
	v_pk_add_f32 v[18:19], v[18:19], v[100:101]
	v_mov_b32_e32 v27, v21
	v_pk_mul_f32 v[20:21], v[94:95], v[20:21] op_sel:[1,0] op_sel_hi:[0,0]
	v_pk_add_f32 v[18:19], v[18:19], v[26:27]
	v_pk_fma_f32 v[26:27], v[94:95], v[52:53], v[20:21] neg_lo:[0,0,1] neg_hi:[0,0,1]
	v_pk_fma_f32 v[20:21], v[94:95], v[52:53], v[20:21] op_sel_hi:[1,0,1]
	s_nop 0
	v_mov_b32_e32 v27, v21
	s_waitcnt vmcnt(3) lgkmcnt(2)
	v_pk_mul_f32 v[20:21], v[2:3], v[34:35] op_sel:[1,1] op_sel_hi:[0,1]
	v_pk_add_f32 v[18:19], v[18:19], v[26:27]
	v_pk_fma_f32 v[26:27], v[2:3], v[34:35], v[20:21] neg_lo:[0,0,1] neg_hi:[0,0,1]
	v_pk_fma_f32 v[2:3], v[2:3], v[34:35], v[20:21] op_sel_hi:[1,0,1]
	s_nop 0
	v_mov_b32_e32 v27, v3
	v_pk_add_f32 v[2:3], v[18:19], v[26:27]
	v_mov_b32_e32 v18, v37
	v_pk_mul_f32 v[18:19], v[4:5], v[18:19] op_sel:[1,0] op_sel_hi:[0,0]
	v_pk_fma_f32 v[20:21], v[4:5], v[36:37], v[18:19] neg_lo:[0,0,1] neg_hi:[0,0,1]
	v_pk_fma_f32 v[4:5], v[4:5], v[36:37], v[18:19] op_sel_hi:[1,0,1]
	s_nop 0
	v_mov_b32_e32 v21, v5
	s_waitcnt vmcnt(2) lgkmcnt(1)
	v_pk_mul_f32 v[4:5], v[10:11], v[22:23] op_sel:[1,1] op_sel_hi:[0,1]
	v_pk_fma_f32 v[18:19], v[10:11], v[22:23], v[4:5] neg_lo:[0,0,1] neg_hi:[0,0,1]
	v_pk_fma_f32 v[4:5], v[10:11], v[22:23], v[4:5] op_sel_hi:[1,0,1]
	v_pk_add_f32 v[2:3], v[2:3], v[20:21]
	v_mov_b32_e32 v4, v25
	v_mov_b32_e32 v19, v5
	v_pk_mul_f32 v[4:5], v[12:13], v[4:5] op_sel:[1,0] op_sel_hi:[0,0]
	v_pk_fma_f32 v[10:11], v[12:13], v[24:25], v[4:5] neg_lo:[0,0,1] neg_hi:[0,0,1]
	v_pk_fma_f32 v[4:5], v[12:13], v[24:25], v[4:5] op_sel_hi:[1,0,1]
	v_pk_add_f32 v[2:3], v[2:3], v[18:19]
	v_mov_b32_e32 v11, v5
	s_waitcnt vmcnt(1) lgkmcnt(0)
	v_pk_mul_f32 v[4:5], v[14:15], v[6:7] op_sel:[1,1] op_sel_hi:[0,1]
	v_pk_add_f32 v[2:3], v[2:3], v[10:11]
	v_pk_fma_f32 v[10:11], v[14:15], v[6:7], v[4:5] neg_lo:[0,0,1] neg_hi:[0,0,1]
	v_pk_fma_f32 v[4:5], v[14:15], v[6:7], v[4:5] op_sel_hi:[1,0,1]
	s_nop 0
	v_mov_b32_e32 v4, v9
	v_mov_b32_e32 v11, v5
	v_pk_mul_f32 v[4:5], v[16:17], v[4:5] op_sel:[1,0] op_sel_hi:[0,0]
	v_pk_fma_f32 v[6:7], v[16:17], v[8:9], v[4:5] neg_lo:[0,0,1] neg_hi:[0,0,1]
	v_pk_fma_f32 v[4:5], v[16:17], v[8:9], v[4:5] op_sel_hi:[1,0,1]
	v_pk_add_f32 v[2:3], v[2:3], v[10:11]
	v_mov_b32_e32 v7, v5
	v_pk_add_f32 v[2:3], v[2:3], v[6:7]
	s_waitcnt vmcnt(0)
	v_pk_add_f32 v[2:3], v[96:97], v[2:3] neg_lo:[0,1] neg_hi:[0,1]
	scratch_store_dwordx2 off, v[2:3], off offset:280
	s_and_saveexec_b64 s[0:1], vcc
	s_cbranch_execz .LBB125_317
; %bb.316:
	scratch_load_dwordx2 v[2:3], off, off offset:272
	v_mov_b32_e32 v4, 0
	v_mov_b32_e32 v5, v4
	scratch_store_dwordx2 off, v[4:5], off offset:272
	s_waitcnt vmcnt(1)
	ds_write_b64 v1, v[2:3]
.LBB125_317:
	s_or_b64 exec, exec, s[0:1]
	s_waitcnt lgkmcnt(0)
	; wave barrier
	scratch_load_dwordx4 v[10:13], off, off offset:280
	scratch_load_dwordx4 v[30:33], off, off offset:296
	;; [unrolled: 1-line block ×13, first 2 shown]
	scratch_load_dwordx2 v[54:55], off, off offset:488
	scratch_load_dwordx2 v[80:81], off, off offset:272
	v_mov_b32_e32 v82, 0
	ds_read2_b64 v[56:59], v82 offset0:97 offset1:98
	ds_read2_b64 v[60:63], v82 offset0:99 offset1:100
	;; [unrolled: 1-line block ×10, first 2 shown]
	v_cmp_lt_u32_e32 vcc, 33, v0
	s_waitcnt vmcnt(14) lgkmcnt(9)
	v_mul_f32_e32 v83, v56, v11
	v_mul_f32_e32 v100, v58, v13
	s_waitcnt vmcnt(12) lgkmcnt(7)
	v_mul_f32_e32 v105, v64, v3
	v_mul_f32_e32 v3, v65, v3
	v_fmac_f32_e32 v83, v57, v10
	v_mul_f32_e32 v102, v60, v31
	v_fmac_f32_e32 v100, v59, v12
	v_fmac_f32_e32 v105, v65, v2
	v_fma_f32 v2, v64, v2, -v3
	v_add_f32_e32 v3, 0, v83
	v_mul_f32_e32 v104, v62, v33
	v_fmac_f32_e32 v102, v61, v30
	v_add_f32_e32 v3, v3, v100
	v_fmac_f32_e32 v104, v63, v32
	v_add_f32_e32 v3, v3, v102
	v_mul_f32_e32 v106, v66, v5
	v_add_f32_e32 v3, v3, v104
	s_waitcnt vmcnt(11) lgkmcnt(6)
	v_mul_f32_e32 v107, v68, v7
	v_fmac_f32_e32 v106, v67, v4
	v_add_f32_e32 v3, v3, v105
	v_mul_f32_e32 v108, v70, v9
	v_fmac_f32_e32 v107, v69, v6
	v_add_f32_e32 v3, v3, v106
	s_waitcnt vmcnt(10) lgkmcnt(5)
	v_mul_f32_e32 v109, v72, v19
	v_fmac_f32_e32 v108, v71, v8
	v_add_f32_e32 v3, v3, v107
	v_mul_f32_e32 v110, v74, v21
	v_fmac_f32_e32 v109, v73, v18
	;; [unrolled: 7-line block ×3, first 2 shown]
	v_add_f32_e32 v3, v3, v110
	s_waitcnt vmcnt(8) lgkmcnt(3)
	v_mul_f32_e32 v113, v84, v35
	v_mul_f32_e32 v11, v57, v11
	v_fmac_f32_e32 v112, v79, v24
	v_add_f32_e32 v3, v3, v111
	v_mul_f32_e32 v114, v86, v37
	v_mul_f32_e32 v13, v59, v13
	v_fmac_f32_e32 v113, v85, v34
	v_fma_f32 v10, v56, v10, -v11
	v_add_f32_e32 v3, v3, v112
	s_waitcnt vmcnt(7) lgkmcnt(2)
	v_mul_f32_e32 v115, v88, v39
	v_mul_f32_e32 v31, v61, v31
	v_fmac_f32_e32 v114, v87, v36
	v_fma_f32 v11, v58, v12, -v13
	v_add_f32_e32 v10, 0, v10
	v_add_f32_e32 v3, v3, v113
	v_mul_f32_e32 v116, v90, v41
	v_mul_f32_e32 v33, v63, v33
	v_fmac_f32_e32 v115, v89, v38
	v_fma_f32 v12, v60, v30, -v31
	v_add_f32_e32 v10, v10, v11
	v_add_f32_e32 v3, v3, v114
	s_waitcnt vmcnt(6) lgkmcnt(1)
	v_mul_f32_e32 v117, v92, v51
	v_fmac_f32_e32 v116, v91, v40
	v_fma_f32 v13, v62, v32, -v33
	v_add_f32_e32 v10, v10, v12
	v_add_f32_e32 v3, v3, v115
	v_mul_f32_e32 v5, v67, v5
	v_fmac_f32_e32 v117, v93, v50
	v_add_f32_e32 v10, v10, v13
	v_add_f32_e32 v3, v3, v116
	;; [unrolled: 1-line block ×4, first 2 shown]
	v_fma_f32 v3, v66, v4, -v5
	v_add_f32_e32 v2, v2, v3
	v_mul_f32_e32 v3, v69, v7
	v_fma_f32 v3, v68, v6, -v3
	v_add_f32_e32 v2, v2, v3
	v_mul_f32_e32 v3, v71, v9
	;; [unrolled: 3-line block ×12, first 2 shown]
	v_mul_f32_e32 v101, v94, v53
	v_fma_f32 v100, v94, v52, -v2
	s_waitcnt vmcnt(5) lgkmcnt(0)
	v_mul_f32_e32 v2, v97, v47
	v_mov_b32_e32 v22, v49
	v_mul_f32_e32 v103, v96, v47
	v_fmac_f32_e32 v101, v95, v52
	v_fma_f32 v102, v96, v46, -v2
	ds_read2_b64 v[2:5], v82 offset0:117 offset1:118
	ds_read2_b64 v[6:9], v82 offset0:119 offset1:120
	ds_read2_b64 v[10:13], v82 offset0:121 offset1:122
	ds_read_b64 v[18:19], v82 offset:984
	v_pk_mul_f32 v[22:23], v[98:99], v[22:23] op_sel:[1,0] op_sel_hi:[0,0]
	v_fmac_f32_e32 v103, v97, v46
	v_pk_add_f32 v[20:21], v[30:31], v[100:101]
	v_pk_fma_f32 v[24:25], v[98:99], v[48:49], v[22:23] neg_lo:[0,0,1] neg_hi:[0,0,1]
	v_pk_fma_f32 v[22:23], v[98:99], v[48:49], v[22:23] op_sel_hi:[1,0,1]
	v_pk_add_f32 v[20:21], v[20:21], v[102:103]
	v_mov_b32_e32 v25, v23
	s_waitcnt vmcnt(4) lgkmcnt(3)
	v_pk_mul_f32 v[22:23], v[2:3], v[42:43] op_sel:[1,1] op_sel_hi:[0,1]
	v_pk_add_f32 v[20:21], v[20:21], v[24:25]
	v_pk_fma_f32 v[24:25], v[2:3], v[42:43], v[22:23] neg_lo:[0,0,1] neg_hi:[0,0,1]
	v_pk_fma_f32 v[2:3], v[2:3], v[42:43], v[22:23] op_sel_hi:[1,0,1]
	s_nop 0
	v_mov_b32_e32 v25, v3
	v_pk_add_f32 v[2:3], v[20:21], v[24:25]
	v_mov_b32_e32 v20, v45
	v_pk_mul_f32 v[20:21], v[4:5], v[20:21] op_sel:[1,0] op_sel_hi:[0,0]
	v_pk_fma_f32 v[22:23], v[4:5], v[44:45], v[20:21] neg_lo:[0,0,1] neg_hi:[0,0,1]
	v_pk_fma_f32 v[4:5], v[4:5], v[44:45], v[20:21] op_sel_hi:[1,0,1]
	s_nop 0
	v_mov_b32_e32 v23, v5
	s_waitcnt vmcnt(3) lgkmcnt(2)
	v_pk_mul_f32 v[4:5], v[6:7], v[26:27] op_sel:[1,1] op_sel_hi:[0,1]
	v_pk_fma_f32 v[20:21], v[6:7], v[26:27], v[4:5] neg_lo:[0,0,1] neg_hi:[0,0,1]
	v_pk_fma_f32 v[4:5], v[6:7], v[26:27], v[4:5] op_sel_hi:[1,0,1]
	v_pk_add_f32 v[2:3], v[2:3], v[22:23]
	v_mov_b32_e32 v4, v29
	v_mov_b32_e32 v21, v5
	v_pk_mul_f32 v[4:5], v[8:9], v[4:5] op_sel:[1,0] op_sel_hi:[0,0]
	v_pk_fma_f32 v[6:7], v[8:9], v[28:29], v[4:5] neg_lo:[0,0,1] neg_hi:[0,0,1]
	v_pk_fma_f32 v[4:5], v[8:9], v[28:29], v[4:5] op_sel_hi:[1,0,1]
	v_pk_add_f32 v[2:3], v[2:3], v[20:21]
	v_mov_b32_e32 v7, v5
	s_waitcnt vmcnt(2) lgkmcnt(1)
	v_pk_mul_f32 v[4:5], v[10:11], v[14:15] op_sel:[1,1] op_sel_hi:[0,1]
	v_pk_add_f32 v[2:3], v[2:3], v[6:7]
	v_pk_fma_f32 v[6:7], v[10:11], v[14:15], v[4:5] neg_lo:[0,0,1] neg_hi:[0,0,1]
	v_pk_fma_f32 v[4:5], v[10:11], v[14:15], v[4:5] op_sel_hi:[1,0,1]
	s_nop 0
	v_mov_b32_e32 v4, v17
	v_mov_b32_e32 v7, v5
	v_pk_mul_f32 v[4:5], v[12:13], v[4:5] op_sel:[1,0] op_sel_hi:[0,0]
	v_pk_add_f32 v[2:3], v[2:3], v[6:7]
	v_pk_fma_f32 v[6:7], v[12:13], v[16:17], v[4:5] neg_lo:[0,0,1] neg_hi:[0,0,1]
	v_pk_fma_f32 v[4:5], v[12:13], v[16:17], v[4:5] op_sel_hi:[1,0,1]
	s_nop 0
	v_mov_b32_e32 v7, v5
	s_waitcnt vmcnt(1) lgkmcnt(0)
	v_pk_mul_f32 v[4:5], v[18:19], v[54:55] op_sel:[1,1] op_sel_hi:[0,1]
	v_pk_add_f32 v[2:3], v[2:3], v[6:7]
	v_pk_fma_f32 v[6:7], v[18:19], v[54:55], v[4:5] neg_lo:[0,0,1] neg_hi:[0,0,1]
	v_pk_fma_f32 v[4:5], v[18:19], v[54:55], v[4:5] op_sel_hi:[1,0,1]
	s_nop 0
	v_mov_b32_e32 v7, v5
	v_pk_add_f32 v[2:3], v[2:3], v[6:7]
	s_waitcnt vmcnt(0)
	v_pk_add_f32 v[2:3], v[80:81], v[2:3] neg_lo:[0,1] neg_hi:[0,1]
	scratch_store_dwordx2 off, v[2:3], off offset:272
	s_and_saveexec_b64 s[0:1], vcc
	s_cbranch_execz .LBB125_319
; %bb.318:
	scratch_load_dwordx2 v[2:3], off, off offset:264
	v_mov_b32_e32 v83, v82
	scratch_store_dwordx2 off, v[82:83], off offset:264
	s_waitcnt vmcnt(1)
	ds_write_b64 v1, v[2:3]
.LBB125_319:
	s_or_b64 exec, exec, s[0:1]
	s_waitcnt lgkmcnt(0)
	; wave barrier
	scratch_load_dwordx4 v[18:21], off, off offset:272
	scratch_load_dwordx4 v[34:37], off, off offset:288
	;; [unrolled: 1-line block ×10, first 2 shown]
	ds_read_b128 v[84:87], v82 offset:768
	ds_read_b128 v[88:91], v82 offset:784
	;; [unrolled: 1-line block ×10, first 2 shown]
	scratch_load_dwordx4 v[54:57], off, off offset:432
	scratch_load_dwordx4 v[46:49], off, off offset:448
	;; [unrolled: 1-line block ×4, first 2 shown]
	scratch_load_dwordx2 v[100:101], off, off offset:264
	v_cmp_lt_u32_e32 vcc, 32, v0
	s_waitcnt vmcnt(14) lgkmcnt(9)
	v_mul_f32_e32 v83, v84, v19
	v_mul_f32_e32 v102, v86, v21
	s_waitcnt vmcnt(12) lgkmcnt(7)
	v_mul_f32_e32 v107, v92, v3
	v_mul_f32_e32 v3, v93, v3
	v_fmac_f32_e32 v83, v85, v18
	v_mul_f32_e32 v104, v88, v35
	v_fmac_f32_e32 v102, v87, v20
	v_fmac_f32_e32 v107, v93, v2
	v_fma_f32 v2, v92, v2, -v3
	v_add_f32_e32 v3, 0, v83
	v_mul_f32_e32 v106, v90, v37
	v_fmac_f32_e32 v104, v89, v34
	v_add_f32_e32 v3, v3, v102
	v_fmac_f32_e32 v106, v91, v36
	v_add_f32_e32 v3, v3, v104
	v_mul_f32_e32 v108, v94, v5
	v_add_f32_e32 v3, v3, v106
	s_waitcnt vmcnt(11) lgkmcnt(6)
	v_mul_f32_e32 v109, v96, v7
	v_fmac_f32_e32 v108, v95, v4
	v_add_f32_e32 v3, v3, v107
	v_mul_f32_e32 v110, v98, v9
	v_fmac_f32_e32 v109, v97, v6
	v_add_f32_e32 v3, v3, v108
	s_waitcnt vmcnt(10) lgkmcnt(5)
	v_mul_f32_e32 v111, v78, v11
	v_fmac_f32_e32 v110, v99, v8
	v_add_f32_e32 v3, v3, v109
	v_mul_f32_e32 v112, v80, v13
	v_fmac_f32_e32 v111, v79, v10
	;; [unrolled: 7-line block ×4, first 2 shown]
	v_add_f32_e32 v3, v3, v114
	s_waitcnt vmcnt(7) lgkmcnt(2)
	v_mul_f32_e32 v117, v66, v39
	v_mul_f32_e32 v19, v85, v19
	v_fmac_f32_e32 v116, v73, v28
	v_add_f32_e32 v3, v3, v115
	v_mul_f32_e32 v118, v68, v41
	v_mul_f32_e32 v21, v87, v21
	v_fmac_f32_e32 v117, v67, v38
	v_fma_f32 v18, v84, v18, -v19
	v_add_f32_e32 v3, v3, v116
	s_waitcnt vmcnt(6) lgkmcnt(1)
	v_mul_f32_e32 v119, v62, v43
	v_mul_f32_e32 v35, v89, v35
	v_fmac_f32_e32 v118, v69, v40
	v_fma_f32 v19, v86, v20, -v21
	v_add_f32_e32 v18, 0, v18
	v_add_f32_e32 v3, v3, v117
	v_mul_f32_e32 v120, v64, v45
	v_mul_f32_e32 v37, v91, v37
	v_fmac_f32_e32 v119, v63, v42
	v_fma_f32 v20, v88, v34, -v35
	v_add_f32_e32 v18, v18, v19
	v_add_f32_e32 v3, v3, v118
	v_fmac_f32_e32 v120, v65, v44
	v_fma_f32 v21, v90, v36, -v37
	v_add_f32_e32 v18, v18, v20
	v_add_f32_e32 v3, v3, v119
	v_add_f32_e32 v18, v18, v21
	v_add_f32_e32 v35, v3, v120
	v_mul_f32_e32 v3, v95, v5
	v_add_f32_e32 v2, v18, v2
	v_fma_f32 v3, v94, v4, -v3
	v_add_f32_e32 v2, v2, v3
	v_mul_f32_e32 v3, v97, v7
	v_fma_f32 v3, v96, v6, -v3
	v_add_f32_e32 v2, v2, v3
	v_mul_f32_e32 v3, v99, v9
	;; [unrolled: 3-line block ×12, first 2 shown]
	v_fma_f32 v3, v64, v44, -v3
	v_add_f32_e32 v34, v2, v3
	s_waitcnt vmcnt(5) lgkmcnt(0)
	v_mul_f32_e32 v2, v59, v51
	v_fma_f32 v102, v58, v50, -v2
	v_mul_f32_e32 v2, v61, v53
	v_fma_f32 v104, v60, v52, -v2
	ds_read_b128 v[2:5], v82 offset:928
	ds_read_b128 v[6:9], v82 offset:944
	;; [unrolled: 1-line block ×4, first 2 shown]
	v_mul_f32_e32 v103, v58, v51
	v_mul_f32_e32 v105, v60, v53
	v_fmac_f32_e32 v103, v59, v50
	s_waitcnt vmcnt(4) lgkmcnt(3)
	v_pk_mul_f32 v[24:25], v[2:3], v[54:55] op_sel:[1,1] op_sel_hi:[0,1]
	v_fmac_f32_e32 v105, v61, v52
	v_pk_add_f32 v[22:23], v[34:35], v[102:103]
	v_pk_fma_f32 v[26:27], v[2:3], v[54:55], v[24:25] neg_lo:[0,0,1] neg_hi:[0,0,1]
	v_pk_fma_f32 v[2:3], v[2:3], v[54:55], v[24:25] op_sel_hi:[1,0,1]
	v_pk_add_f32 v[22:23], v[22:23], v[104:105]
	v_mov_b32_e32 v27, v3
	v_pk_add_f32 v[2:3], v[22:23], v[26:27]
	v_mov_b32_e32 v22, v57
	v_pk_mul_f32 v[22:23], v[4:5], v[22:23] op_sel:[1,0] op_sel_hi:[0,0]
	v_pk_fma_f32 v[24:25], v[4:5], v[56:57], v[22:23] neg_lo:[0,0,1] neg_hi:[0,0,1]
	v_pk_fma_f32 v[4:5], v[4:5], v[56:57], v[22:23] op_sel_hi:[1,0,1]
	s_nop 0
	v_mov_b32_e32 v25, v5
	s_waitcnt vmcnt(3) lgkmcnt(2)
	v_pk_mul_f32 v[4:5], v[6:7], v[46:47] op_sel:[1,1] op_sel_hi:[0,1]
	v_pk_fma_f32 v[22:23], v[6:7], v[46:47], v[4:5] neg_lo:[0,0,1] neg_hi:[0,0,1]
	v_pk_fma_f32 v[4:5], v[6:7], v[46:47], v[4:5] op_sel_hi:[1,0,1]
	v_pk_add_f32 v[2:3], v[2:3], v[24:25]
	v_mov_b32_e32 v4, v49
	v_mov_b32_e32 v23, v5
	v_pk_mul_f32 v[4:5], v[8:9], v[4:5] op_sel:[1,0] op_sel_hi:[0,0]
	v_pk_fma_f32 v[6:7], v[8:9], v[48:49], v[4:5] neg_lo:[0,0,1] neg_hi:[0,0,1]
	v_pk_fma_f32 v[4:5], v[8:9], v[48:49], v[4:5] op_sel_hi:[1,0,1]
	v_pk_add_f32 v[2:3], v[2:3], v[22:23]
	v_mov_b32_e32 v7, v5
	s_waitcnt vmcnt(2) lgkmcnt(1)
	v_pk_mul_f32 v[4:5], v[10:11], v[30:31] op_sel:[1,1] op_sel_hi:[0,1]
	v_pk_add_f32 v[2:3], v[2:3], v[6:7]
	v_pk_fma_f32 v[6:7], v[10:11], v[30:31], v[4:5] neg_lo:[0,0,1] neg_hi:[0,0,1]
	v_pk_fma_f32 v[4:5], v[10:11], v[30:31], v[4:5] op_sel_hi:[1,0,1]
	s_nop 0
	v_mov_b32_e32 v4, v33
	v_mov_b32_e32 v7, v5
	v_pk_mul_f32 v[4:5], v[12:13], v[4:5] op_sel:[1,0] op_sel_hi:[0,0]
	v_pk_add_f32 v[2:3], v[2:3], v[6:7]
	v_pk_fma_f32 v[6:7], v[12:13], v[32:33], v[4:5] neg_lo:[0,0,1] neg_hi:[0,0,1]
	v_pk_fma_f32 v[4:5], v[12:13], v[32:33], v[4:5] op_sel_hi:[1,0,1]
	s_nop 0
	v_mov_b32_e32 v7, v5
	s_waitcnt vmcnt(1) lgkmcnt(0)
	v_pk_mul_f32 v[4:5], v[18:19], v[14:15] op_sel:[1,1] op_sel_hi:[0,1]
	v_pk_add_f32 v[2:3], v[2:3], v[6:7]
	v_pk_fma_f32 v[6:7], v[18:19], v[14:15], v[4:5] neg_lo:[0,0,1] neg_hi:[0,0,1]
	v_pk_fma_f32 v[4:5], v[18:19], v[14:15], v[4:5] op_sel_hi:[1,0,1]
	s_nop 0
	v_mov_b32_e32 v4, v17
	v_mov_b32_e32 v7, v5
	v_pk_mul_f32 v[4:5], v[20:21], v[4:5] op_sel:[1,0] op_sel_hi:[0,0]
	v_pk_add_f32 v[2:3], v[2:3], v[6:7]
	v_pk_fma_f32 v[6:7], v[20:21], v[16:17], v[4:5] neg_lo:[0,0,1] neg_hi:[0,0,1]
	v_pk_fma_f32 v[4:5], v[20:21], v[16:17], v[4:5] op_sel_hi:[1,0,1]
	s_nop 0
	v_mov_b32_e32 v7, v5
	v_pk_add_f32 v[2:3], v[2:3], v[6:7]
	s_waitcnt vmcnt(0)
	v_pk_add_f32 v[2:3], v[100:101], v[2:3] neg_lo:[0,1] neg_hi:[0,1]
	scratch_store_dwordx2 off, v[2:3], off offset:264
	s_and_saveexec_b64 s[0:1], vcc
	s_cbranch_execz .LBB125_321
; %bb.320:
	scratch_load_dwordx2 v[2:3], off, off offset:256
	v_mov_b32_e32 v4, 0
	v_mov_b32_e32 v5, v4
	scratch_store_dwordx2 off, v[4:5], off offset:256
	s_waitcnt vmcnt(1)
	ds_write_b64 v1, v[2:3]
.LBB125_321:
	s_or_b64 exec, exec, s[0:1]
	s_waitcnt lgkmcnt(0)
	; wave barrier
	scratch_load_dwordx4 v[72:75], off, off offset:264
	scratch_load_dwordx4 v[76:79], off, off offset:280
	scratch_load_dwordx4 v[80:83], off, off offset:296
	scratch_load_dwordx4 v[84:87], off, off offset:312
	scratch_load_dwordx4 v[88:91], off, off offset:328
	scratch_load_dwordx4 v[22:25], off, off offset:344
	scratch_load_dwordx4 v[26:29], off, off offset:360
	scratch_load_dwordx4 v[30:33], off, off offset:376
	scratch_load_dwordx4 v[34:37], off, off offset:392
	scratch_load_dwordx4 v[38:41], off, off offset:408
	scratch_load_dwordx4 v[10:13], off, off offset:424
	scratch_load_dwordx4 v[14:17], off, off offset:440
	scratch_load_dwordx4 v[6:9], off, off offset:456
	scratch_load_dwordx4 v[2:5], off, off offset:472
	scratch_load_dwordx2 v[62:63], off, off offset:488
	v_mov_b32_e32 v70, 0
	ds_read2_b64 v[92:95], v70 offset0:95 offset1:96
	ds_read2_b64 v[96:99], v70 offset0:97 offset1:98
	;; [unrolled: 1-line block ×11, first 2 shown]
	v_cmp_lt_u32_e32 vcc, 31, v0
	s_waitcnt vmcnt(14) lgkmcnt(10)
	v_mul_f32_e32 v64, v92, v73
	v_mul_f32_e32 v66, v94, v75
	v_fmac_f32_e32 v64, v93, v72
	s_waitcnt vmcnt(13) lgkmcnt(9)
	v_mul_f32_e32 v68, v96, v77
	v_fmac_f32_e32 v66, v95, v74
	s_waitcnt vmcnt(9) lgkmcnt(5)
	v_mul_f32_e32 v117, v58, v23
	v_mul_f32_e32 v23, v59, v23
	v_fmac_f32_e32 v117, v59, v22
	v_fma_f32 v58, v58, v22, -v23
	scratch_load_dwordx2 v[22:23], off, off offset:256
	v_add_f32_e32 v64, 0, v64
	v_mul_f32_e32 v69, v98, v79
	v_fmac_f32_e32 v68, v97, v76
	v_add_f32_e32 v64, v64, v66
	v_mul_f32_e32 v71, v100, v81
	v_fmac_f32_e32 v69, v99, v78
	;; [unrolled: 3-line block ×7, first 2 shown]
	v_add_f32_e32 v64, v64, v114
	v_fmac_f32_e32 v116, v111, v90
	v_add_f32_e32 v64, v64, v115
	v_mul_f32_e32 v118, v60, v25
	v_add_f32_e32 v64, v64, v116
	s_waitcnt vmcnt(9) lgkmcnt(4)
	v_mul_f32_e32 v119, v54, v27
	v_fmac_f32_e32 v118, v61, v24
	v_add_f32_e32 v64, v64, v117
	v_mul_f32_e32 v120, v56, v29
	v_fmac_f32_e32 v119, v55, v26
	v_add_f32_e32 v64, v64, v118
	s_waitcnt vmcnt(8) lgkmcnt(3)
	v_mul_f32_e32 v121, v50, v31
	v_fmac_f32_e32 v120, v57, v28
	v_add_f32_e32 v64, v64, v119
	v_mul_f32_e32 v122, v52, v33
	v_mul_f32_e32 v73, v93, v73
	v_fmac_f32_e32 v121, v51, v30
	v_add_f32_e32 v64, v64, v120
	s_waitcnt vmcnt(7) lgkmcnt(2)
	v_mul_f32_e32 v123, v46, v35
	v_mul_f32_e32 v75, v95, v75
	v_fmac_f32_e32 v122, v53, v32
	v_fma_f32 v72, v92, v72, -v73
	v_add_f32_e32 v64, v64, v121
	v_mul_f32_e32 v124, v48, v37
	v_mul_f32_e32 v77, v97, v77
	v_fmac_f32_e32 v123, v47, v34
	v_fma_f32 v73, v94, v74, -v75
	v_add_f32_e32 v72, 0, v72
	v_add_f32_e32 v64, v64, v122
	s_waitcnt vmcnt(6) lgkmcnt(1)
	v_mul_f32_e32 v125, v42, v39
	v_mul_f32_e32 v79, v99, v79
	v_fmac_f32_e32 v124, v49, v36
	v_fma_f32 v74, v96, v76, -v77
	v_add_f32_e32 v66, v72, v73
	v_add_f32_e32 v64, v64, v123
	v_fmac_f32_e32 v125, v43, v38
	v_fma_f32 v75, v98, v78, -v79
	v_add_f32_e32 v66, v66, v74
	v_add_f32_e32 v64, v64, v124
	;; [unrolled: 1-line block ×4, first 2 shown]
	v_mul_f32_e32 v66, v101, v81
	v_fma_f32 v66, v100, v80, -v66
	v_add_f32_e32 v64, v64, v66
	v_mul_f32_e32 v66, v103, v83
	v_fma_f32 v66, v102, v82, -v66
	v_add_f32_e32 v64, v64, v66
	;; [unrolled: 3-line block ×6, first 2 shown]
	v_mul_f32_e32 v25, v61, v25
	v_add_f32_e32 v58, v64, v58
	v_fma_f32 v24, v60, v24, -v25
	v_mul_f32_e32 v25, v55, v27
	v_add_f32_e32 v24, v58, v24
	v_fma_f32 v25, v54, v26, -v25
	v_add_f32_e32 v24, v24, v25
	v_mul_f32_e32 v25, v57, v29
	v_fma_f32 v25, v56, v28, -v25
	v_add_f32_e32 v24, v24, v25
	v_mul_f32_e32 v25, v51, v31
	;; [unrolled: 3-line block ×6, first 2 shown]
	v_fma_f32 v25, v42, v38, -v25
	v_mul_f32_e32 v67, v44, v41
	v_add_f32_e32 v68, v24, v25
	v_mul_f32_e32 v24, v45, v41
	s_waitcnt vmcnt(5)
	v_mov_b32_e32 v36, v13
	s_waitcnt lgkmcnt(0)
	v_mul_f32_e32 v65, v18, v11
	v_fmac_f32_e32 v67, v45, v40
	v_fma_f32 v66, v44, v40, -v24
	v_mul_f32_e32 v11, v19, v11
	v_pk_mul_f32 v[36:37], v[20:21], v[36:37] op_sel:[1,0] op_sel_hi:[0,0]
	v_fmac_f32_e32 v65, v19, v10
	v_fma_f32 v64, v18, v10, -v11
	ds_read2_b64 v[24:27], v70 offset0:117 offset1:118
	ds_read2_b64 v[28:31], v70 offset0:119 offset1:120
	;; [unrolled: 1-line block ×3, first 2 shown]
	ds_read_b64 v[10:11], v70 offset:984
	v_pk_add_f32 v[18:19], v[68:69], v[66:67]
	v_pk_fma_f32 v[38:39], v[20:21], v[12:13], v[36:37] neg_lo:[0,0,1] neg_hi:[0,0,1]
	v_pk_fma_f32 v[12:13], v[20:21], v[12:13], v[36:37] op_sel_hi:[1,0,1]
	v_pk_add_f32 v[18:19], v[18:19], v[64:65]
	v_mov_b32_e32 v39, v13
	v_pk_add_f32 v[12:13], v[18:19], v[38:39]
	s_waitcnt vmcnt(4) lgkmcnt(3)
	v_pk_mul_f32 v[18:19], v[24:25], v[14:15] op_sel:[1,1] op_sel_hi:[0,1]
	v_pk_fma_f32 v[20:21], v[24:25], v[14:15], v[18:19] neg_lo:[0,0,1] neg_hi:[0,0,1]
	v_pk_fma_f32 v[14:15], v[24:25], v[14:15], v[18:19] op_sel_hi:[1,0,1]
	s_nop 0
	v_mov_b32_e32 v14, v17
	v_mov_b32_e32 v21, v15
	v_pk_mul_f32 v[14:15], v[26:27], v[14:15] op_sel:[1,0] op_sel_hi:[0,0]
	v_pk_fma_f32 v[18:19], v[26:27], v[16:17], v[14:15] neg_lo:[0,0,1] neg_hi:[0,0,1]
	v_pk_fma_f32 v[14:15], v[26:27], v[16:17], v[14:15] op_sel_hi:[1,0,1]
	v_pk_add_f32 v[12:13], v[12:13], v[20:21]
	v_mov_b32_e32 v19, v15
	s_waitcnt vmcnt(3) lgkmcnt(2)
	v_pk_mul_f32 v[14:15], v[28:29], v[6:7] op_sel:[1,1] op_sel_hi:[0,1]
	v_pk_fma_f32 v[16:17], v[28:29], v[6:7], v[14:15] neg_lo:[0,0,1] neg_hi:[0,0,1]
	v_pk_fma_f32 v[6:7], v[28:29], v[6:7], v[14:15] op_sel_hi:[1,0,1]
	v_pk_add_f32 v[12:13], v[12:13], v[18:19]
	v_mov_b32_e32 v17, v7
	v_pk_add_f32 v[6:7], v[12:13], v[16:17]
	v_mov_b32_e32 v12, v9
	v_pk_mul_f32 v[12:13], v[30:31], v[12:13] op_sel:[1,0] op_sel_hi:[0,0]
	v_pk_fma_f32 v[14:15], v[30:31], v[8:9], v[12:13] neg_lo:[0,0,1] neg_hi:[0,0,1]
	v_pk_fma_f32 v[8:9], v[30:31], v[8:9], v[12:13] op_sel_hi:[1,0,1]
	s_nop 0
	v_mov_b32_e32 v15, v9
	s_waitcnt vmcnt(2) lgkmcnt(1)
	v_pk_mul_f32 v[8:9], v[32:33], v[2:3] op_sel:[1,1] op_sel_hi:[0,1]
	v_pk_fma_f32 v[12:13], v[32:33], v[2:3], v[8:9] neg_lo:[0,0,1] neg_hi:[0,0,1]
	v_pk_fma_f32 v[2:3], v[32:33], v[2:3], v[8:9] op_sel_hi:[1,0,1]
	v_pk_add_f32 v[6:7], v[6:7], v[14:15]
	v_mov_b32_e32 v13, v3
	v_pk_add_f32 v[2:3], v[6:7], v[12:13]
	v_mov_b32_e32 v6, v5
	v_pk_mul_f32 v[6:7], v[34:35], v[6:7] op_sel:[1,0] op_sel_hi:[0,0]
	v_pk_fma_f32 v[8:9], v[34:35], v[4:5], v[6:7] neg_lo:[0,0,1] neg_hi:[0,0,1]
	v_pk_fma_f32 v[4:5], v[34:35], v[4:5], v[6:7] op_sel_hi:[1,0,1]
	s_nop 0
	v_mov_b32_e32 v9, v5
	s_waitcnt vmcnt(1) lgkmcnt(0)
	v_pk_mul_f32 v[4:5], v[10:11], v[62:63] op_sel:[1,1] op_sel_hi:[0,1]
	v_pk_fma_f32 v[6:7], v[10:11], v[62:63], v[4:5] neg_lo:[0,0,1] neg_hi:[0,0,1]
	v_pk_fma_f32 v[4:5], v[10:11], v[62:63], v[4:5] op_sel_hi:[1,0,1]
	v_pk_add_f32 v[2:3], v[2:3], v[8:9]
	v_mov_b32_e32 v7, v5
	v_pk_add_f32 v[2:3], v[2:3], v[6:7]
	s_waitcnt vmcnt(0)
	v_pk_add_f32 v[2:3], v[22:23], v[2:3] neg_lo:[0,1] neg_hi:[0,1]
	scratch_store_dwordx2 off, v[2:3], off offset:256
	s_and_saveexec_b64 s[0:1], vcc
	s_cbranch_execz .LBB125_323
; %bb.322:
	scratch_load_dwordx2 v[2:3], off, off offset:248
	v_mov_b32_e32 v71, v70
	scratch_store_dwordx2 off, v[70:71], off offset:248
	s_waitcnt vmcnt(1)
	ds_write_b64 v1, v[2:3]
.LBB125_323:
	s_or_b64 exec, exec, s[0:1]
	s_waitcnt lgkmcnt(0)
	; wave barrier
	scratch_load_dwordx4 v[66:69], off, off offset:256
	scratch_load_dwordx4 v[58:61], off, off offset:272
	;; [unrolled: 1-line block ×11, first 2 shown]
	ds_read_b128 v[88:91], v70 offset:752
	ds_read_b128 v[92:95], v70 offset:768
	;; [unrolled: 1-line block ×11, first 2 shown]
	scratch_load_dwordx4 v[14:17], off, off offset:432
	scratch_load_dwordx4 v[10:13], off, off offset:448
	;; [unrolled: 1-line block ×4, first 2 shown]
	v_cmp_lt_u32_e32 vcc, 30, v0
	s_waitcnt vmcnt(14) lgkmcnt(10)
	v_mul_f32_e32 v71, v88, v67
	v_mul_f32_e32 v67, v89, v67
	;; [unrolled: 1-line block ×4, first 2 shown]
	v_fmac_f32_e32 v71, v89, v66
	v_fma_f32 v66, v88, v66, -v67
	s_waitcnt vmcnt(13) lgkmcnt(9)
	v_mul_f32_e32 v74, v92, v59
	v_mul_f32_e32 v59, v93, v59
	v_fma_f32 v67, v90, v68, -v69
	v_add_f32_e32 v66, 0, v66
	v_mul_f32_e32 v112, v94, v61
	v_mul_f32_e32 v61, v95, v61
	v_fmac_f32_e32 v74, v93, v58
	v_fma_f32 v58, v92, v58, -v59
	v_add_f32_e32 v66, v66, v67
	v_fmac_f32_e32 v112, v95, v60
	v_add_f32_e32 v58, v66, v58
	v_fma_f32 v60, v94, v60, -v61
	v_add_f32_e32 v58, v58, v60
	s_waitcnt vmcnt(12) lgkmcnt(8)
	v_mul_f32_e32 v60, v97, v63
	v_fma_f32 v60, v96, v62, -v60
	v_add_f32_e32 v58, v58, v60
	v_mul_f32_e32 v60, v99, v65
	v_fma_f32 v60, v98, v64, -v60
	v_add_f32_e32 v58, v58, v60
	s_waitcnt vmcnt(11) lgkmcnt(7)
	v_mul_f32_e32 v60, v101, v77
	v_fma_f32 v60, v100, v76, -v60
	v_add_f32_e32 v58, v58, v60
	v_mul_f32_e32 v60, v103, v79
	;; [unrolled: 7-line block ×3, first 2 shown]
	v_fma_f32 v60, v106, v82, -v60
	v_add_f32_e32 v58, v58, v60
	s_waitcnt vmcnt(9) lgkmcnt(5)
	v_mul_f32_e32 v60, v109, v85
	v_fma_f32 v60, v108, v84, -v60
	v_mul_f32_e32 v113, v96, v63
	v_add_f32_e32 v58, v58, v60
	v_mul_f32_e32 v60, v111, v87
	v_fmac_f32_e32 v113, v97, v62
	v_fma_f32 v62, v110, v86, -v60
	scratch_load_dwordx2 v[60:61], off, off offset:248
	s_waitcnt vmcnt(9) lgkmcnt(4)
	v_mul_f32_e32 v121, v54, v19
	v_fmac_f32_e32 v72, v91, v68
	v_add_f32_e32 v59, 0, v71
	v_mul_f32_e32 v19, v55, v19
	v_fmac_f32_e32 v121, v55, v18
	v_add_f32_e32 v59, v59, v72
	v_add_f32_e32 v58, v58, v62
	v_fma_f32 v18, v54, v18, -v19
	v_mul_f32_e32 v19, v57, v21
	v_add_f32_e32 v59, v59, v74
	v_add_f32_e32 v18, v58, v18
	v_fma_f32 v19, v56, v20, -v19
	v_mul_f32_e32 v114, v98, v65
	v_add_f32_e32 v59, v59, v112
	v_add_f32_e32 v18, v18, v19
	s_waitcnt vmcnt(8) lgkmcnt(3)
	v_mul_f32_e32 v19, v51, v23
	v_mul_f32_e32 v115, v100, v77
	v_fmac_f32_e32 v114, v99, v64
	v_add_f32_e32 v59, v59, v113
	v_fma_f32 v19, v50, v22, -v19
	v_mul_f32_e32 v116, v102, v79
	v_fmac_f32_e32 v115, v101, v76
	v_add_f32_e32 v59, v59, v114
	v_add_f32_e32 v18, v18, v19
	v_mul_f32_e32 v19, v53, v25
	v_mul_f32_e32 v117, v104, v81
	v_fmac_f32_e32 v116, v103, v78
	v_add_f32_e32 v59, v59, v115
	v_fma_f32 v19, v52, v24, -v19
	v_mul_f32_e32 v118, v106, v83
	v_fmac_f32_e32 v117, v105, v80
	v_add_f32_e32 v59, v59, v116
	v_add_f32_e32 v18, v18, v19
	s_waitcnt vmcnt(7) lgkmcnt(2)
	v_mul_f32_e32 v19, v47, v27
	v_mul_f32_e32 v119, v108, v85
	v_fmac_f32_e32 v118, v107, v82
	v_add_f32_e32 v59, v59, v117
	v_fma_f32 v19, v46, v26, -v19
	v_mul_f32_e32 v120, v110, v87
	v_fmac_f32_e32 v119, v109, v84
	v_add_f32_e32 v59, v59, v118
	v_add_f32_e32 v18, v18, v19
	v_mul_f32_e32 v19, v49, v29
	v_fmac_f32_e32 v120, v111, v86
	v_add_f32_e32 v59, v59, v119
	v_fma_f32 v19, v48, v28, -v19
	v_mul_f32_e32 v122, v56, v21
	v_add_f32_e32 v59, v59, v120
	v_add_f32_e32 v18, v18, v19
	s_waitcnt vmcnt(6) lgkmcnt(1)
	v_mul_f32_e32 v19, v43, v31
	v_mul_f32_e32 v123, v50, v23
	v_fmac_f32_e32 v122, v57, v20
	v_add_f32_e32 v59, v59, v121
	v_fma_f32 v19, v42, v30, -v19
	v_mul_f32_e32 v124, v52, v25
	v_fmac_f32_e32 v123, v51, v22
	v_add_f32_e32 v59, v59, v122
	v_add_f32_e32 v18, v18, v19
	v_mul_f32_e32 v19, v45, v33
	v_mul_f32_e32 v125, v46, v27
	v_fmac_f32_e32 v124, v53, v24
	v_add_f32_e32 v59, v59, v123
	v_fma_f32 v19, v44, v32, -v19
	v_mul_f32_e32 v126, v48, v29
	v_fmac_f32_e32 v125, v47, v26
	v_add_f32_e32 v59, v59, v124
	v_add_f32_e32 v58, v18, v19
	s_waitcnt vmcnt(5) lgkmcnt(0)
	v_mul_f32_e32 v18, v39, v35
	v_mul_f32_e32 v127, v42, v31
	;; [unrolled: 1-line block ×3, first 2 shown]
	v_fmac_f32_e32 v126, v49, v28
	v_add_f32_e32 v59, v59, v125
	v_fma_f32 v74, v38, v34, -v18
	v_mul_f32_e32 v18, v41, v37
	v_fmac_f32_e32 v127, v43, v30
	v_fmac_f32_e32 v128, v45, v32
	v_add_f32_e32 v59, v59, v126
	v_fma_f32 v72, v40, v36, -v18
	ds_read_b128 v[18:21], v70 offset:928
	ds_read_b128 v[22:25], v70 offset:944
	;; [unrolled: 1-line block ×4, first 2 shown]
	v_mul_f32_e32 v75, v38, v35
	v_mul_f32_e32 v73, v40, v37
	v_add_f32_e32 v59, v59, v127
	v_fmac_f32_e32 v75, v39, v34
	v_fmac_f32_e32 v73, v41, v36
	v_add_f32_e32 v59, v59, v128
	s_waitcnt vmcnt(4) lgkmcnt(3)
	v_pk_mul_f32 v[36:37], v[18:19], v[14:15] op_sel:[1,1] op_sel_hi:[0,1]
	v_pk_add_f32 v[34:35], v[58:59], v[74:75]
	v_pk_fma_f32 v[38:39], v[18:19], v[14:15], v[36:37] neg_lo:[0,0,1] neg_hi:[0,0,1]
	v_pk_fma_f32 v[14:15], v[18:19], v[14:15], v[36:37] op_sel_hi:[1,0,1]
	v_mov_b32_e32 v18, v17
	v_pk_add_f32 v[34:35], v[34:35], v[72:73]
	v_mov_b32_e32 v39, v15
	v_pk_mul_f32 v[18:19], v[20:21], v[18:19] op_sel:[1,0] op_sel_hi:[0,0]
	v_pk_add_f32 v[14:15], v[34:35], v[38:39]
	v_pk_fma_f32 v[34:35], v[20:21], v[16:17], v[18:19] neg_lo:[0,0,1] neg_hi:[0,0,1]
	v_pk_fma_f32 v[16:17], v[20:21], v[16:17], v[18:19] op_sel_hi:[1,0,1]
	s_nop 0
	v_mov_b32_e32 v35, v17
	s_waitcnt vmcnt(3) lgkmcnt(2)
	v_pk_mul_f32 v[16:17], v[22:23], v[10:11] op_sel:[1,1] op_sel_hi:[0,1]
	v_pk_fma_f32 v[18:19], v[22:23], v[10:11], v[16:17] neg_lo:[0,0,1] neg_hi:[0,0,1]
	v_pk_fma_f32 v[10:11], v[22:23], v[10:11], v[16:17] op_sel_hi:[1,0,1]
	v_pk_add_f32 v[14:15], v[14:15], v[34:35]
	v_mov_b32_e32 v19, v11
	v_pk_add_f32 v[10:11], v[14:15], v[18:19]
	v_mov_b32_e32 v14, v13
	v_pk_mul_f32 v[14:15], v[24:25], v[14:15] op_sel:[1,0] op_sel_hi:[0,0]
	v_pk_fma_f32 v[16:17], v[24:25], v[12:13], v[14:15] neg_lo:[0,0,1] neg_hi:[0,0,1]
	v_pk_fma_f32 v[12:13], v[24:25], v[12:13], v[14:15] op_sel_hi:[1,0,1]
	s_nop 0
	v_mov_b32_e32 v17, v13
	s_waitcnt vmcnt(2) lgkmcnt(1)
	v_pk_mul_f32 v[12:13], v[26:27], v[6:7] op_sel:[1,1] op_sel_hi:[0,1]
	v_pk_fma_f32 v[14:15], v[26:27], v[6:7], v[12:13] neg_lo:[0,0,1] neg_hi:[0,0,1]
	v_pk_fma_f32 v[6:7], v[26:27], v[6:7], v[12:13] op_sel_hi:[1,0,1]
	v_pk_add_f32 v[10:11], v[10:11], v[16:17]
	v_mov_b32_e32 v15, v7
	v_pk_add_f32 v[6:7], v[10:11], v[14:15]
	v_mov_b32_e32 v10, v9
	v_pk_mul_f32 v[10:11], v[28:29], v[10:11] op_sel:[1,0] op_sel_hi:[0,0]
	v_pk_fma_f32 v[12:13], v[28:29], v[8:9], v[10:11] neg_lo:[0,0,1] neg_hi:[0,0,1]
	v_pk_fma_f32 v[8:9], v[28:29], v[8:9], v[10:11] op_sel_hi:[1,0,1]
	s_nop 0
	v_mov_b32_e32 v13, v9
	s_waitcnt vmcnt(1) lgkmcnt(0)
	v_pk_mul_f32 v[8:9], v[30:31], v[2:3] op_sel:[1,1] op_sel_hi:[0,1]
	v_pk_fma_f32 v[10:11], v[30:31], v[2:3], v[8:9] neg_lo:[0,0,1] neg_hi:[0,0,1]
	v_pk_fma_f32 v[2:3], v[30:31], v[2:3], v[8:9] op_sel_hi:[1,0,1]
	v_pk_add_f32 v[6:7], v[6:7], v[12:13]
	v_mov_b32_e32 v11, v3
	v_pk_add_f32 v[2:3], v[6:7], v[10:11]
	v_mov_b32_e32 v6, v5
	v_pk_mul_f32 v[6:7], v[32:33], v[6:7] op_sel:[1,0] op_sel_hi:[0,0]
	v_pk_fma_f32 v[8:9], v[32:33], v[4:5], v[6:7] neg_lo:[0,0,1] neg_hi:[0,0,1]
	v_pk_fma_f32 v[4:5], v[32:33], v[4:5], v[6:7] op_sel_hi:[1,0,1]
	s_nop 0
	v_mov_b32_e32 v9, v5
	v_pk_add_f32 v[2:3], v[2:3], v[8:9]
	s_waitcnt vmcnt(0)
	v_pk_add_f32 v[2:3], v[60:61], v[2:3] neg_lo:[0,1] neg_hi:[0,1]
	scratch_store_dwordx2 off, v[2:3], off offset:248
	s_and_saveexec_b64 s[0:1], vcc
	s_cbranch_execz .LBB125_325
; %bb.324:
	scratch_load_dwordx2 v[2:3], off, off offset:240
	v_mov_b32_e32 v4, 0
	v_mov_b32_e32 v5, v4
	scratch_store_dwordx2 off, v[4:5], off offset:240
	s_waitcnt vmcnt(1)
	ds_write_b64 v1, v[2:3]
.LBB125_325:
	s_or_b64 exec, exec, s[0:1]
	s_waitcnt lgkmcnt(0)
	; wave barrier
	scratch_load_dwordx4 v[6:9], off, off offset:248
	scratch_load_dwordx4 v[14:17], off, off offset:264
	scratch_load_dwordx4 v[22:25], off, off offset:280
	scratch_load_dwordx4 v[30:33], off, off offset:296
	scratch_load_dwordx4 v[38:41], off, off offset:312
	scratch_load_dwordx4 v[46:49], off, off offset:328
	scratch_load_dwordx4 v[54:57], off, off offset:344
	scratch_load_dwordx4 v[64:67], off, off offset:360
	scratch_load_dwordx4 v[72:75], off, off offset:376
	scratch_load_dwordx4 v[80:83], off, off offset:392
	v_mov_b32_e32 v62, 0
	ds_read2_b64 v[2:5], v62 offset0:93 offset1:94
	scratch_load_dwordx4 v[88:91], off, off offset:408
	scratch_load_dwordx4 v[96:99], off, off offset:424
	v_cmp_lt_u32_e32 vcc, 29, v0
	s_waitcnt vmcnt(11) lgkmcnt(0)
	v_mul_f32_e32 v10, v2, v7
	v_fmac_f32_e32 v10, v3, v6
	v_mul_f32_e32 v11, v4, v9
	v_add_f32_e32 v10, 0, v10
	v_fmac_f32_e32 v11, v5, v8
	v_add_f32_e32 v18, v10, v11
	ds_read2_b64 v[10:13], v62 offset0:95 offset1:96
	v_mul_f32_e32 v3, v3, v7
	v_fma_f32 v2, v2, v6, -v3
	v_mul_f32_e32 v3, v5, v9
	v_add_f32_e32 v2, 0, v2
	s_waitcnt vmcnt(10) lgkmcnt(0)
	v_mul_f32_e32 v19, v10, v15
	v_fmac_f32_e32 v19, v11, v14
	v_add_f32_e32 v18, v18, v19
	v_mul_f32_e32 v19, v12, v17
	v_fmac_f32_e32 v19, v13, v16
	v_add_f32_e32 v26, v18, v19
	ds_read2_b64 v[18:21], v62 offset0:97 offset1:98
	v_fma_f32 v3, v4, v8, -v3
	v_add_f32_e32 v2, v2, v3
	v_mul_f32_e32 v3, v11, v15
	v_fma_f32 v3, v10, v14, -v3
	s_waitcnt vmcnt(9) lgkmcnt(0)
	v_mul_f32_e32 v27, v18, v23
	v_fmac_f32_e32 v27, v19, v22
	v_add_f32_e32 v26, v26, v27
	v_mul_f32_e32 v27, v20, v25
	v_fmac_f32_e32 v27, v21, v24
	v_add_f32_e32 v34, v26, v27
	ds_read2_b64 v[26:29], v62 offset0:99 offset1:100
	v_add_f32_e32 v2, v2, v3
	v_mul_f32_e32 v3, v13, v17
	v_fma_f32 v3, v12, v16, -v3
	v_add_f32_e32 v2, v2, v3
	s_waitcnt vmcnt(8) lgkmcnt(0)
	v_mul_f32_e32 v35, v26, v31
	v_fmac_f32_e32 v35, v27, v30
	v_add_f32_e32 v34, v34, v35
	v_mul_f32_e32 v35, v28, v33
	v_fmac_f32_e32 v35, v29, v32
	v_add_f32_e32 v42, v34, v35
	ds_read2_b64 v[34:37], v62 offset0:101 offset1:102
	v_mul_f32_e32 v3, v19, v23
	v_fma_f32 v3, v18, v22, -v3
	v_add_f32_e32 v2, v2, v3
	v_mul_f32_e32 v3, v21, v25
	s_waitcnt vmcnt(7) lgkmcnt(0)
	v_mul_f32_e32 v43, v34, v39
	v_fmac_f32_e32 v43, v35, v38
	v_add_f32_e32 v42, v42, v43
	v_mul_f32_e32 v43, v36, v41
	v_fmac_f32_e32 v43, v37, v40
	v_add_f32_e32 v50, v42, v43
	ds_read2_b64 v[42:45], v62 offset0:103 offset1:104
	v_fma_f32 v3, v20, v24, -v3
	v_add_f32_e32 v2, v2, v3
	v_mul_f32_e32 v3, v27, v31
	v_fma_f32 v3, v26, v30, -v3
	s_waitcnt vmcnt(6) lgkmcnt(0)
	v_mul_f32_e32 v51, v42, v47
	v_fmac_f32_e32 v51, v43, v46
	v_add_f32_e32 v50, v50, v51
	v_mul_f32_e32 v51, v44, v49
	v_fmac_f32_e32 v51, v45, v48
	v_add_f32_e32 v58, v50, v51
	ds_read2_b64 v[50:53], v62 offset0:105 offset1:106
	v_add_f32_e32 v2, v2, v3
	v_mul_f32_e32 v3, v29, v33
	v_fma_f32 v3, v28, v32, -v3
	v_add_f32_e32 v2, v2, v3
	s_waitcnt vmcnt(5) lgkmcnt(0)
	v_mul_f32_e32 v59, v50, v55
	v_fmac_f32_e32 v59, v51, v54
	v_add_f32_e32 v58, v58, v59
	v_mul_f32_e32 v59, v52, v57
	v_fmac_f32_e32 v59, v53, v56
	v_add_f32_e32 v63, v58, v59
	ds_read2_b64 v[58:61], v62 offset0:107 offset1:108
	v_mul_f32_e32 v3, v35, v39
	v_fma_f32 v3, v34, v38, -v3
	v_add_f32_e32 v2, v2, v3
	v_mul_f32_e32 v3, v37, v41
	;; [unrolled: 36-line block ×3, first 2 shown]
	s_waitcnt vmcnt(1) lgkmcnt(0)
	v_mul_f32_e32 v92, v84, v89
	v_fmac_f32_e32 v92, v85, v88
	v_add_f32_e32 v113, v63, v92
	ds_read2_b64 v[92:95], v62 offset0:115 offset1:116
	scratch_load_dwordx4 v[100:103], off, off offset:440
	scratch_load_dwordx4 v[104:107], off, off offset:456
	;; [unrolled: 1-line block ×3, first 2 shown]
	scratch_load_dwordx2 v[118:119], off, off offset:488
	v_fma_f32 v3, v52, v56, -v3
	v_add_f32_e32 v2, v2, v3
	v_mul_f32_e32 v3, v59, v65
	v_fma_f32 v3, v58, v64, -v3
	v_add_f32_e32 v2, v2, v3
	v_mul_f32_e32 v3, v61, v67
	;; [unrolled: 3-line block ×8, first 2 shown]
	v_mul_f32_e32 v115, v86, v91
	v_fma_f32 v114, v86, v90, -v2
	s_waitcnt vmcnt(4) lgkmcnt(0)
	v_mul_f32_e32 v2, v93, v97
	v_mov_b32_e32 v18, v99
	v_fmac_f32_e32 v115, v87, v90
	v_mul_f32_e32 v117, v92, v97
	v_fma_f32 v116, v92, v96, -v2
	ds_read2_b64 v[2:5], v62 offset0:117 offset1:118
	ds_read2_b64 v[6:9], v62 offset0:119 offset1:120
	;; [unrolled: 1-line block ×3, first 2 shown]
	ds_read_b64 v[14:15], v62 offset:984
	v_pk_mul_f32 v[18:19], v[94:95], v[18:19] op_sel:[1,0] op_sel_hi:[0,0]
	v_fmac_f32_e32 v117, v93, v96
	v_pk_add_f32 v[16:17], v[112:113], v[114:115]
	v_pk_fma_f32 v[20:21], v[94:95], v[98:99], v[18:19] neg_lo:[0,0,1] neg_hi:[0,0,1]
	v_pk_fma_f32 v[18:19], v[94:95], v[98:99], v[18:19] op_sel_hi:[1,0,1]
	v_pk_add_f32 v[16:17], v[16:17], v[116:117]
	v_mov_b32_e32 v21, v19
	v_pk_add_f32 v[16:17], v[16:17], v[20:21]
	s_waitcnt vmcnt(3) lgkmcnt(3)
	v_pk_mul_f32 v[18:19], v[2:3], v[100:101] op_sel:[1,1] op_sel_hi:[0,1]
	v_pk_fma_f32 v[20:21], v[2:3], v[100:101], v[18:19] neg_lo:[0,0,1] neg_hi:[0,0,1]
	v_pk_fma_f32 v[2:3], v[2:3], v[100:101], v[18:19] op_sel_hi:[1,0,1]
	s_nop 0
	v_mov_b32_e32 v21, v3
	v_pk_add_f32 v[2:3], v[16:17], v[20:21]
	v_mov_b32_e32 v16, v103
	v_pk_mul_f32 v[16:17], v[4:5], v[16:17] op_sel:[1,0] op_sel_hi:[0,0]
	v_pk_fma_f32 v[18:19], v[4:5], v[102:103], v[16:17] neg_lo:[0,0,1] neg_hi:[0,0,1]
	v_pk_fma_f32 v[4:5], v[4:5], v[102:103], v[16:17] op_sel_hi:[1,0,1]
	s_nop 0
	v_mov_b32_e32 v19, v5
	s_waitcnt vmcnt(2) lgkmcnt(2)
	v_pk_mul_f32 v[4:5], v[6:7], v[104:105] op_sel:[1,1] op_sel_hi:[0,1]
	v_pk_fma_f32 v[16:17], v[6:7], v[104:105], v[4:5] neg_lo:[0,0,1] neg_hi:[0,0,1]
	v_pk_fma_f32 v[4:5], v[6:7], v[104:105], v[4:5] op_sel_hi:[1,0,1]
	v_pk_add_f32 v[2:3], v[2:3], v[18:19]
	v_mov_b32_e32 v4, v107
	v_mov_b32_e32 v17, v5
	v_pk_mul_f32 v[4:5], v[8:9], v[4:5] op_sel:[1,0] op_sel_hi:[0,0]
	v_pk_fma_f32 v[6:7], v[8:9], v[106:107], v[4:5] neg_lo:[0,0,1] neg_hi:[0,0,1]
	v_pk_fma_f32 v[4:5], v[8:9], v[106:107], v[4:5] op_sel_hi:[1,0,1]
	v_pk_add_f32 v[2:3], v[2:3], v[16:17]
	v_mov_b32_e32 v7, v5
	s_waitcnt vmcnt(1) lgkmcnt(1)
	v_pk_mul_f32 v[4:5], v[10:11], v[108:109] op_sel:[1,1] op_sel_hi:[0,1]
	v_pk_add_f32 v[2:3], v[2:3], v[6:7]
	v_pk_fma_f32 v[6:7], v[10:11], v[108:109], v[4:5] neg_lo:[0,0,1] neg_hi:[0,0,1]
	v_pk_fma_f32 v[4:5], v[10:11], v[108:109], v[4:5] op_sel_hi:[1,0,1]
	s_nop 0
	v_mov_b32_e32 v4, v111
	v_mov_b32_e32 v7, v5
	v_pk_mul_f32 v[4:5], v[12:13], v[4:5] op_sel:[1,0] op_sel_hi:[0,0]
	v_pk_add_f32 v[2:3], v[2:3], v[6:7]
	v_pk_fma_f32 v[6:7], v[12:13], v[110:111], v[4:5] neg_lo:[0,0,1] neg_hi:[0,0,1]
	v_pk_fma_f32 v[4:5], v[12:13], v[110:111], v[4:5] op_sel_hi:[1,0,1]
	s_nop 0
	v_mov_b32_e32 v7, v5
	s_waitcnt vmcnt(0) lgkmcnt(0)
	v_pk_mul_f32 v[4:5], v[14:15], v[118:119] op_sel:[1,1] op_sel_hi:[0,1]
	v_pk_add_f32 v[2:3], v[2:3], v[6:7]
	v_pk_fma_f32 v[6:7], v[14:15], v[118:119], v[4:5] neg_lo:[0,0,1] neg_hi:[0,0,1]
	v_pk_fma_f32 v[4:5], v[14:15], v[118:119], v[4:5] op_sel_hi:[1,0,1]
	s_nop 0
	v_mov_b32_e32 v7, v5
	scratch_load_dwordx2 v[4:5], off, off offset:240
	v_pk_add_f32 v[2:3], v[2:3], v[6:7]
	s_waitcnt vmcnt(0)
	v_pk_add_f32 v[2:3], v[4:5], v[2:3] neg_lo:[0,1] neg_hi:[0,1]
	scratch_store_dwordx2 off, v[2:3], off offset:240
	s_and_saveexec_b64 s[0:1], vcc
	s_cbranch_execz .LBB125_327
; %bb.326:
	scratch_load_dwordx2 v[2:3], off, off offset:232
	v_mov_b32_e32 v63, v62
	scratch_store_dwordx2 off, v[62:63], off offset:232
	s_waitcnt vmcnt(1)
	ds_write_b64 v1, v[2:3]
.LBB125_327:
	s_or_b64 exec, exec, s[0:1]
	s_waitcnt lgkmcnt(0)
	; wave barrier
	ds_read_b128 v[14:17], v62 offset:736
	ds_read_b128 v[10:13], v62 offset:752
	ds_read_b128 v[6:9], v62 offset:768
	ds_read_b128 v[2:5], v62 offset:784
	scratch_load_dwordx4 v[18:21], off, off offset:240
	scratch_load_dwordx4 v[38:41], off, off offset:304
	;; [unrolled: 1-line block ×6, first 2 shown]
	v_cmp_lt_u32_e32 vcc, 28, v0
	scratch_load_dwordx4 v[46:49], off, off offset:320
	scratch_load_dwordx4 v[54:57], off, off offset:336
	;; [unrolled: 1-line block ×3, first 2 shown]
	s_waitcnt vmcnt(8) lgkmcnt(3)
	v_mul_f32_e32 v22, v14, v19
	v_fmac_f32_e32 v22, v15, v18
	v_mul_f32_e32 v23, v16, v21
	v_add_f32_e32 v22, 0, v22
	v_fmac_f32_e32 v23, v17, v20
	v_add_f32_e32 v26, v22, v23
	scratch_load_dwordx4 v[22:25], off, off offset:256
	v_mul_f32_e32 v15, v15, v19
	v_fma_f32 v14, v14, v18, -v15
	v_mul_f32_e32 v15, v17, v21
	v_add_f32_e32 v14, 0, v14
	v_fma_f32 v15, v16, v20, -v15
	v_add_f32_e32 v14, v14, v15
	s_waitcnt vmcnt(0) lgkmcnt(2)
	v_mul_f32_e32 v27, v10, v23
	v_fmac_f32_e32 v27, v11, v22
	v_add_f32_e32 v26, v26, v27
	v_mul_f32_e32 v27, v12, v25
	v_fmac_f32_e32 v27, v13, v24
	v_add_f32_e32 v30, v26, v27
	scratch_load_dwordx4 v[26:29], off, off offset:272
	v_mul_f32_e32 v11, v11, v23
	v_fma_f32 v10, v10, v22, -v11
	v_mul_f32_e32 v11, v13, v25
	v_add_f32_e32 v10, v14, v10
	v_fma_f32 v11, v12, v24, -v11
	v_add_f32_e32 v10, v10, v11
	s_waitcnt vmcnt(0) lgkmcnt(1)
	v_mul_f32_e32 v31, v6, v27
	v_fmac_f32_e32 v31, v7, v26
	v_add_f32_e32 v30, v30, v31
	v_mul_f32_e32 v31, v8, v29
	v_fmac_f32_e32 v31, v9, v28
	v_add_f32_e32 v34, v30, v31
	scratch_load_dwordx4 v[30:33], off, off offset:288
	v_mul_f32_e32 v7, v7, v27
	v_fma_f32 v6, v6, v26, -v7
	v_mul_f32_e32 v7, v9, v29
	v_add_f32_e32 v6, v10, v6
	v_fma_f32 v7, v8, v28, -v7
	v_add_f32_e32 v6, v6, v7
	s_waitcnt vmcnt(0) lgkmcnt(0)
	v_mul_f32_e32 v35, v2, v31
	v_fmac_f32_e32 v35, v3, v30
	v_add_f32_e32 v34, v34, v35
	v_mul_f32_e32 v35, v4, v33
	v_fmac_f32_e32 v35, v5, v32
	v_add_f32_e32 v42, v34, v35
	ds_read_b128 v[34:37], v62 offset:800
	v_mul_f32_e32 v3, v3, v31
	v_fma_f32 v2, v2, v30, -v3
	v_mul_f32_e32 v3, v5, v33
	v_add_f32_e32 v2, v6, v2
	s_waitcnt lgkmcnt(0)
	v_mul_f32_e32 v43, v34, v39
	v_fmac_f32_e32 v43, v35, v38
	v_add_f32_e32 v42, v42, v43
	v_mul_f32_e32 v43, v36, v41
	v_fmac_f32_e32 v43, v37, v40
	v_add_f32_e32 v50, v42, v43
	ds_read_b128 v[42:45], v62 offset:816
	v_fma_f32 v3, v4, v32, -v3
	v_add_f32_e32 v2, v2, v3
	v_mul_f32_e32 v3, v35, v39
	v_fma_f32 v3, v34, v38, -v3
	s_waitcnt lgkmcnt(0)
	v_mul_f32_e32 v51, v42, v47
	v_fmac_f32_e32 v51, v43, v46
	v_add_f32_e32 v50, v50, v51
	v_mul_f32_e32 v51, v44, v49
	v_fmac_f32_e32 v51, v45, v48
	v_add_f32_e32 v58, v50, v51
	ds_read_b128 v[50:53], v62 offset:832
	v_add_f32_e32 v2, v2, v3
	v_mul_f32_e32 v3, v37, v41
	v_fma_f32 v3, v36, v40, -v3
	v_add_f32_e32 v2, v2, v3
	s_waitcnt lgkmcnt(0)
	v_mul_f32_e32 v59, v50, v55
	v_fmac_f32_e32 v59, v51, v54
	v_add_f32_e32 v58, v58, v59
	v_mul_f32_e32 v59, v52, v57
	v_fmac_f32_e32 v59, v53, v56
	v_add_f32_e32 v63, v58, v59
	ds_read_b128 v[58:61], v62 offset:848
	v_mul_f32_e32 v3, v43, v47
	v_fma_f32 v3, v42, v46, -v3
	v_add_f32_e32 v2, v2, v3
	v_mul_f32_e32 v3, v45, v49
	s_waitcnt lgkmcnt(0)
	v_mul_f32_e32 v68, v58, v65
	v_fmac_f32_e32 v68, v59, v64
	v_add_f32_e32 v63, v63, v68
	v_mul_f32_e32 v68, v60, v67
	v_fmac_f32_e32 v68, v61, v66
	v_add_f32_e32 v63, v63, v68
	ds_read_b128 v[68:71], v62 offset:864
	v_fma_f32 v3, v44, v48, -v3
	v_add_f32_e32 v2, v2, v3
	v_mul_f32_e32 v3, v51, v55
	v_fma_f32 v3, v50, v54, -v3
	s_waitcnt lgkmcnt(0)
	v_mul_f32_e32 v76, v68, v73
	v_fmac_f32_e32 v76, v69, v72
	v_add_f32_e32 v63, v63, v76
	v_mul_f32_e32 v76, v70, v75
	v_fmac_f32_e32 v76, v71, v74
	v_add_f32_e32 v63, v63, v76
	ds_read_b128 v[76:79], v62 offset:880
	v_add_f32_e32 v2, v2, v3
	v_mul_f32_e32 v3, v53, v57
	v_fma_f32 v3, v52, v56, -v3
	v_add_f32_e32 v2, v2, v3
	s_waitcnt lgkmcnt(0)
	v_mul_f32_e32 v84, v76, v81
	v_fmac_f32_e32 v84, v77, v80
	v_add_f32_e32 v63, v63, v84
	v_mul_f32_e32 v84, v78, v83
	v_fmac_f32_e32 v84, v79, v82
	v_add_f32_e32 v63, v63, v84
	ds_read_b128 v[84:87], v62 offset:896
	v_mul_f32_e32 v3, v59, v65
	v_fma_f32 v3, v58, v64, -v3
	v_add_f32_e32 v2, v2, v3
	v_mul_f32_e32 v3, v61, v67
	s_waitcnt lgkmcnt(0)
	v_mul_f32_e32 v92, v84, v89
	v_fmac_f32_e32 v92, v85, v88
	v_add_f32_e32 v63, v63, v92
	v_mul_f32_e32 v92, v86, v91
	v_fmac_f32_e32 v92, v87, v90
	v_add_f32_e32 v117, v63, v92
	ds_read_b128 v[92:95], v62 offset:912
	scratch_load_dwordx4 v[100:103], off, off offset:432
	scratch_load_dwordx4 v[104:107], off, off offset:448
	;; [unrolled: 1-line block ×4, first 2 shown]
	v_fma_f32 v3, v60, v66, -v3
	v_add_f32_e32 v2, v2, v3
	v_mul_f32_e32 v3, v69, v73
	v_fma_f32 v3, v68, v72, -v3
	v_add_f32_e32 v2, v2, v3
	v_mul_f32_e32 v3, v71, v75
	;; [unrolled: 3-line block ×6, first 2 shown]
	v_fma_f32 v3, v86, v90, -v3
	v_add_f32_e32 v116, v2, v3
	s_waitcnt lgkmcnt(0)
	v_mul_f32_e32 v2, v93, v97
	v_fma_f32 v118, v92, v96, -v2
	v_mul_f32_e32 v2, v95, v99
	v_fma_f32 v120, v94, v98, -v2
	ds_read_b128 v[2:5], v62 offset:928
	ds_read_b128 v[6:9], v62 offset:944
	;; [unrolled: 1-line block ×4, first 2 shown]
	v_mul_f32_e32 v119, v92, v97
	v_fmac_f32_e32 v119, v93, v96
	v_mul_f32_e32 v121, v94, v99
	v_fmac_f32_e32 v121, v95, v98
	v_pk_add_f32 v[18:19], v[116:117], v[118:119]
	s_waitcnt vmcnt(3) lgkmcnt(3)
	v_pk_mul_f32 v[20:21], v[2:3], v[100:101] op_sel:[1,1] op_sel_hi:[0,1]
	v_pk_fma_f32 v[22:23], v[2:3], v[100:101], v[20:21] neg_lo:[0,0,1] neg_hi:[0,0,1]
	v_pk_fma_f32 v[2:3], v[2:3], v[100:101], v[20:21] op_sel_hi:[1,0,1]
	v_pk_add_f32 v[18:19], v[18:19], v[120:121]
	v_mov_b32_e32 v23, v3
	v_pk_add_f32 v[2:3], v[18:19], v[22:23]
	v_mov_b32_e32 v18, v103
	v_pk_mul_f32 v[18:19], v[4:5], v[18:19] op_sel:[1,0] op_sel_hi:[0,0]
	v_pk_fma_f32 v[20:21], v[4:5], v[102:103], v[18:19] neg_lo:[0,0,1] neg_hi:[0,0,1]
	v_pk_fma_f32 v[4:5], v[4:5], v[102:103], v[18:19] op_sel_hi:[1,0,1]
	s_nop 0
	v_mov_b32_e32 v21, v5
	s_waitcnt vmcnt(2) lgkmcnt(2)
	v_pk_mul_f32 v[4:5], v[6:7], v[104:105] op_sel:[1,1] op_sel_hi:[0,1]
	v_pk_fma_f32 v[18:19], v[6:7], v[104:105], v[4:5] neg_lo:[0,0,1] neg_hi:[0,0,1]
	v_pk_fma_f32 v[4:5], v[6:7], v[104:105], v[4:5] op_sel_hi:[1,0,1]
	v_pk_add_f32 v[2:3], v[2:3], v[20:21]
	v_mov_b32_e32 v4, v107
	v_mov_b32_e32 v19, v5
	v_pk_mul_f32 v[4:5], v[8:9], v[4:5] op_sel:[1,0] op_sel_hi:[0,0]
	v_pk_fma_f32 v[6:7], v[8:9], v[106:107], v[4:5] neg_lo:[0,0,1] neg_hi:[0,0,1]
	v_pk_fma_f32 v[4:5], v[8:9], v[106:107], v[4:5] op_sel_hi:[1,0,1]
	v_pk_add_f32 v[2:3], v[2:3], v[18:19]
	v_mov_b32_e32 v7, v5
	s_waitcnt vmcnt(1) lgkmcnt(1)
	v_pk_mul_f32 v[4:5], v[10:11], v[108:109] op_sel:[1,1] op_sel_hi:[0,1]
	v_pk_add_f32 v[2:3], v[2:3], v[6:7]
	v_pk_fma_f32 v[6:7], v[10:11], v[108:109], v[4:5] neg_lo:[0,0,1] neg_hi:[0,0,1]
	v_pk_fma_f32 v[4:5], v[10:11], v[108:109], v[4:5] op_sel_hi:[1,0,1]
	s_nop 0
	v_mov_b32_e32 v4, v111
	v_mov_b32_e32 v7, v5
	v_pk_mul_f32 v[4:5], v[12:13], v[4:5] op_sel:[1,0] op_sel_hi:[0,0]
	v_pk_add_f32 v[2:3], v[2:3], v[6:7]
	v_pk_fma_f32 v[6:7], v[12:13], v[110:111], v[4:5] neg_lo:[0,0,1] neg_hi:[0,0,1]
	v_pk_fma_f32 v[4:5], v[12:13], v[110:111], v[4:5] op_sel_hi:[1,0,1]
	s_nop 0
	v_mov_b32_e32 v7, v5
	s_waitcnt vmcnt(0) lgkmcnt(0)
	v_pk_mul_f32 v[4:5], v[14:15], v[112:113] op_sel:[1,1] op_sel_hi:[0,1]
	v_pk_add_f32 v[2:3], v[2:3], v[6:7]
	v_pk_fma_f32 v[6:7], v[14:15], v[112:113], v[4:5] neg_lo:[0,0,1] neg_hi:[0,0,1]
	v_pk_fma_f32 v[4:5], v[14:15], v[112:113], v[4:5] op_sel_hi:[1,0,1]
	s_nop 0
	v_mov_b32_e32 v4, v115
	v_mov_b32_e32 v7, v5
	v_pk_mul_f32 v[4:5], v[16:17], v[4:5] op_sel:[1,0] op_sel_hi:[0,0]
	v_pk_add_f32 v[2:3], v[2:3], v[6:7]
	v_pk_fma_f32 v[6:7], v[16:17], v[114:115], v[4:5] neg_lo:[0,0,1] neg_hi:[0,0,1]
	v_pk_fma_f32 v[4:5], v[16:17], v[114:115], v[4:5] op_sel_hi:[1,0,1]
	s_nop 0
	v_mov_b32_e32 v7, v5
	scratch_load_dwordx2 v[4:5], off, off offset:232
	v_pk_add_f32 v[2:3], v[2:3], v[6:7]
	s_waitcnt vmcnt(0)
	v_pk_add_f32 v[2:3], v[4:5], v[2:3] neg_lo:[0,1] neg_hi:[0,1]
	scratch_store_dwordx2 off, v[2:3], off offset:232
	s_and_saveexec_b64 s[0:1], vcc
	s_cbranch_execz .LBB125_329
; %bb.328:
	scratch_load_dwordx2 v[2:3], off, off offset:224
	v_mov_b32_e32 v4, 0
	v_mov_b32_e32 v5, v4
	scratch_store_dwordx2 off, v[4:5], off offset:224
	s_waitcnt vmcnt(1)
	ds_write_b64 v1, v[2:3]
.LBB125_329:
	s_or_b64 exec, exec, s[0:1]
	s_waitcnt lgkmcnt(0)
	; wave barrier
	scratch_load_dwordx4 v[6:9], off, off offset:232
	scratch_load_dwordx4 v[14:17], off, off offset:248
	;; [unrolled: 1-line block ×10, first 2 shown]
	v_mov_b32_e32 v70, 0
	ds_read2_b64 v[2:5], v70 offset0:91 offset1:92
	scratch_load_dwordx4 v[88:91], off, off offset:392
	scratch_load_dwordx4 v[96:99], off, off offset:408
	;; [unrolled: 1-line block ×3, first 2 shown]
	v_cmp_lt_u32_e32 vcc, 27, v0
	s_waitcnt vmcnt(12) lgkmcnt(0)
	v_mul_f32_e32 v10, v2, v7
	v_fmac_f32_e32 v10, v3, v6
	v_mul_f32_e32 v11, v4, v9
	v_add_f32_e32 v10, 0, v10
	v_fmac_f32_e32 v11, v5, v8
	v_add_f32_e32 v18, v10, v11
	ds_read2_b64 v[10:13], v70 offset0:93 offset1:94
	v_mul_f32_e32 v3, v3, v7
	v_fma_f32 v2, v2, v6, -v3
	v_mul_f32_e32 v3, v5, v9
	v_add_f32_e32 v2, 0, v2
	s_waitcnt vmcnt(11) lgkmcnt(0)
	v_mul_f32_e32 v19, v10, v15
	v_fmac_f32_e32 v19, v11, v14
	v_add_f32_e32 v18, v18, v19
	v_mul_f32_e32 v19, v12, v17
	v_fmac_f32_e32 v19, v13, v16
	v_add_f32_e32 v26, v18, v19
	ds_read2_b64 v[18:21], v70 offset0:95 offset1:96
	v_fma_f32 v3, v4, v8, -v3
	v_add_f32_e32 v2, v2, v3
	v_mul_f32_e32 v3, v11, v15
	v_fma_f32 v3, v10, v14, -v3
	s_waitcnt vmcnt(10) lgkmcnt(0)
	v_mul_f32_e32 v27, v18, v23
	v_fmac_f32_e32 v27, v19, v22
	v_add_f32_e32 v26, v26, v27
	v_mul_f32_e32 v27, v20, v25
	v_fmac_f32_e32 v27, v21, v24
	v_add_f32_e32 v34, v26, v27
	ds_read2_b64 v[26:29], v70 offset0:97 offset1:98
	v_add_f32_e32 v2, v2, v3
	v_mul_f32_e32 v3, v13, v17
	v_fma_f32 v3, v12, v16, -v3
	v_add_f32_e32 v2, v2, v3
	s_waitcnt vmcnt(9) lgkmcnt(0)
	v_mul_f32_e32 v35, v26, v31
	v_fmac_f32_e32 v35, v27, v30
	v_add_f32_e32 v34, v34, v35
	v_mul_f32_e32 v35, v28, v33
	v_fmac_f32_e32 v35, v29, v32
	v_add_f32_e32 v42, v34, v35
	ds_read2_b64 v[34:37], v70 offset0:99 offset1:100
	v_mul_f32_e32 v3, v19, v23
	v_fma_f32 v3, v18, v22, -v3
	v_add_f32_e32 v2, v2, v3
	v_mul_f32_e32 v3, v21, v25
	s_waitcnt vmcnt(8) lgkmcnt(0)
	v_mul_f32_e32 v43, v34, v39
	v_fmac_f32_e32 v43, v35, v38
	v_add_f32_e32 v42, v42, v43
	v_mul_f32_e32 v43, v36, v41
	v_fmac_f32_e32 v43, v37, v40
	v_add_f32_e32 v50, v42, v43
	ds_read2_b64 v[42:45], v70 offset0:101 offset1:102
	v_fma_f32 v3, v20, v24, -v3
	v_add_f32_e32 v2, v2, v3
	v_mul_f32_e32 v3, v27, v31
	v_fma_f32 v3, v26, v30, -v3
	s_waitcnt vmcnt(7) lgkmcnt(0)
	v_mul_f32_e32 v51, v42, v47
	v_fmac_f32_e32 v51, v43, v46
	v_add_f32_e32 v50, v50, v51
	v_mul_f32_e32 v51, v44, v49
	v_fmac_f32_e32 v51, v45, v48
	v_add_f32_e32 v58, v50, v51
	ds_read2_b64 v[50:53], v70 offset0:103 offset1:104
	v_add_f32_e32 v2, v2, v3
	v_mul_f32_e32 v3, v29, v33
	v_fma_f32 v3, v28, v32, -v3
	v_add_f32_e32 v2, v2, v3
	s_waitcnt vmcnt(6) lgkmcnt(0)
	v_mul_f32_e32 v59, v50, v55
	v_fmac_f32_e32 v59, v51, v54
	v_add_f32_e32 v58, v58, v59
	v_mul_f32_e32 v59, v52, v57
	v_fmac_f32_e32 v59, v53, v56
	v_add_f32_e32 v66, v58, v59
	ds_read2_b64 v[58:61], v70 offset0:105 offset1:106
	v_mul_f32_e32 v3, v35, v39
	v_fma_f32 v3, v34, v38, -v3
	v_add_f32_e32 v2, v2, v3
	v_mul_f32_e32 v3, v37, v41
	;; [unrolled: 36-line block ×3, first 2 shown]
	s_waitcnt vmcnt(2) lgkmcnt(0)
	v_mul_f32_e32 v92, v84, v89
	v_fmac_f32_e32 v92, v85, v88
	v_add_f32_e32 v71, v71, v92
	v_mul_f32_e32 v92, v86, v91
	v_fmac_f32_e32 v92, v87, v90
	v_add_f32_e32 v71, v71, v92
	ds_read2_b64 v[92:95], v70 offset0:113 offset1:114
	v_fma_f32 v3, v52, v56, -v3
	v_add_f32_e32 v2, v2, v3
	v_mul_f32_e32 v3, v59, v63
	v_fma_f32 v3, v58, v62, -v3
	s_waitcnt vmcnt(1) lgkmcnt(0)
	v_mul_f32_e32 v100, v92, v97
	v_fmac_f32_e32 v100, v93, v96
	v_add_f32_e32 v121, v71, v100
	ds_read2_b64 v[100:103], v70 offset0:115 offset1:116
	scratch_load_dwordx4 v[108:111], off, off offset:440
	scratch_load_dwordx4 v[112:115], off, off offset:456
	;; [unrolled: 1-line block ×3, first 2 shown]
	scratch_load_dwordx2 v[126:127], off, off offset:488
	v_add_f32_e32 v2, v2, v3
	v_mul_f32_e32 v3, v61, v65
	v_fma_f32 v3, v60, v64, -v3
	v_add_f32_e32 v2, v2, v3
	v_mul_f32_e32 v3, v67, v73
	v_fma_f32 v3, v66, v72, -v3
	;; [unrolled: 3-line block ×8, first 2 shown]
	v_add_f32_e32 v120, v2, v3
	v_mul_f32_e32 v2, v95, v99
	v_mul_f32_e32 v123, v94, v99
	v_fma_f32 v122, v94, v98, -v2
	s_waitcnt vmcnt(4) lgkmcnt(0)
	v_mul_f32_e32 v2, v101, v105
	v_mov_b32_e32 v18, v107
	v_fmac_f32_e32 v123, v95, v98
	v_mul_f32_e32 v125, v100, v105
	v_fma_f32 v124, v100, v104, -v2
	ds_read2_b64 v[2:5], v70 offset0:117 offset1:118
	ds_read2_b64 v[6:9], v70 offset0:119 offset1:120
	;; [unrolled: 1-line block ×3, first 2 shown]
	ds_read_b64 v[14:15], v70 offset:984
	v_pk_mul_f32 v[18:19], v[102:103], v[18:19] op_sel:[1,0] op_sel_hi:[0,0]
	v_fmac_f32_e32 v125, v101, v104
	v_pk_add_f32 v[16:17], v[120:121], v[122:123]
	v_pk_fma_f32 v[20:21], v[102:103], v[106:107], v[18:19] neg_lo:[0,0,1] neg_hi:[0,0,1]
	v_pk_fma_f32 v[18:19], v[102:103], v[106:107], v[18:19] op_sel_hi:[1,0,1]
	v_pk_add_f32 v[16:17], v[16:17], v[124:125]
	v_mov_b32_e32 v21, v19
	v_pk_add_f32 v[16:17], v[16:17], v[20:21]
	s_waitcnt vmcnt(3) lgkmcnt(3)
	v_pk_mul_f32 v[18:19], v[2:3], v[108:109] op_sel:[1,1] op_sel_hi:[0,1]
	v_pk_fma_f32 v[20:21], v[2:3], v[108:109], v[18:19] neg_lo:[0,0,1] neg_hi:[0,0,1]
	v_pk_fma_f32 v[2:3], v[2:3], v[108:109], v[18:19] op_sel_hi:[1,0,1]
	s_nop 0
	v_mov_b32_e32 v21, v3
	v_pk_add_f32 v[2:3], v[16:17], v[20:21]
	v_mov_b32_e32 v16, v111
	v_pk_mul_f32 v[16:17], v[4:5], v[16:17] op_sel:[1,0] op_sel_hi:[0,0]
	v_pk_fma_f32 v[18:19], v[4:5], v[110:111], v[16:17] neg_lo:[0,0,1] neg_hi:[0,0,1]
	v_pk_fma_f32 v[4:5], v[4:5], v[110:111], v[16:17] op_sel_hi:[1,0,1]
	s_nop 0
	v_mov_b32_e32 v19, v5
	s_waitcnt vmcnt(2) lgkmcnt(2)
	v_pk_mul_f32 v[4:5], v[6:7], v[112:113] op_sel:[1,1] op_sel_hi:[0,1]
	v_pk_fma_f32 v[16:17], v[6:7], v[112:113], v[4:5] neg_lo:[0,0,1] neg_hi:[0,0,1]
	v_pk_fma_f32 v[4:5], v[6:7], v[112:113], v[4:5] op_sel_hi:[1,0,1]
	v_pk_add_f32 v[2:3], v[2:3], v[18:19]
	v_mov_b32_e32 v4, v115
	v_mov_b32_e32 v17, v5
	v_pk_mul_f32 v[4:5], v[8:9], v[4:5] op_sel:[1,0] op_sel_hi:[0,0]
	v_pk_fma_f32 v[6:7], v[8:9], v[114:115], v[4:5] neg_lo:[0,0,1] neg_hi:[0,0,1]
	v_pk_fma_f32 v[4:5], v[8:9], v[114:115], v[4:5] op_sel_hi:[1,0,1]
	v_pk_add_f32 v[2:3], v[2:3], v[16:17]
	v_mov_b32_e32 v7, v5
	s_waitcnt vmcnt(1) lgkmcnt(1)
	v_pk_mul_f32 v[4:5], v[10:11], v[116:117] op_sel:[1,1] op_sel_hi:[0,1]
	v_pk_add_f32 v[2:3], v[2:3], v[6:7]
	v_pk_fma_f32 v[6:7], v[10:11], v[116:117], v[4:5] neg_lo:[0,0,1] neg_hi:[0,0,1]
	v_pk_fma_f32 v[4:5], v[10:11], v[116:117], v[4:5] op_sel_hi:[1,0,1]
	s_nop 0
	v_mov_b32_e32 v4, v119
	v_mov_b32_e32 v7, v5
	v_pk_mul_f32 v[4:5], v[12:13], v[4:5] op_sel:[1,0] op_sel_hi:[0,0]
	v_pk_add_f32 v[2:3], v[2:3], v[6:7]
	v_pk_fma_f32 v[6:7], v[12:13], v[118:119], v[4:5] neg_lo:[0,0,1] neg_hi:[0,0,1]
	v_pk_fma_f32 v[4:5], v[12:13], v[118:119], v[4:5] op_sel_hi:[1,0,1]
	s_nop 0
	v_mov_b32_e32 v7, v5
	s_waitcnt vmcnt(0) lgkmcnt(0)
	v_pk_mul_f32 v[4:5], v[14:15], v[126:127] op_sel:[1,1] op_sel_hi:[0,1]
	v_pk_add_f32 v[2:3], v[2:3], v[6:7]
	v_pk_fma_f32 v[6:7], v[14:15], v[126:127], v[4:5] neg_lo:[0,0,1] neg_hi:[0,0,1]
	v_pk_fma_f32 v[4:5], v[14:15], v[126:127], v[4:5] op_sel_hi:[1,0,1]
	s_nop 0
	v_mov_b32_e32 v7, v5
	scratch_load_dwordx2 v[4:5], off, off offset:224
	v_pk_add_f32 v[2:3], v[2:3], v[6:7]
	s_waitcnt vmcnt(0)
	v_pk_add_f32 v[2:3], v[4:5], v[2:3] neg_lo:[0,1] neg_hi:[0,1]
	scratch_store_dwordx2 off, v[2:3], off offset:224
	s_and_saveexec_b64 s[0:1], vcc
	s_cbranch_execz .LBB125_331
; %bb.330:
	scratch_load_dwordx2 v[2:3], off, off offset:216
	v_mov_b32_e32 v71, v70
	scratch_store_dwordx2 off, v[70:71], off offset:216
	s_waitcnt vmcnt(1)
	ds_write_b64 v1, v[2:3]
.LBB125_331:
	s_or_b64 exec, exec, s[0:1]
	s_waitcnt lgkmcnt(0)
	; wave barrier
	ds_read_b128 v[14:17], v70 offset:720
	ds_read_b128 v[10:13], v70 offset:736
	;; [unrolled: 1-line block ×4, first 2 shown]
	scratch_load_dwordx4 v[18:21], off, off offset:224
	scratch_load_dwordx4 v[34:37], off, off offset:272
	;; [unrolled: 1-line block ×8, first 2 shown]
	ds_read_b128 v[38:41], v70 offset:784
	ds_read_b128 v[54:57], v70 offset:800
	;; [unrolled: 1-line block ×8, first 2 shown]
	scratch_load_dwordx4 v[126:129], off, off offset:416
	ds_read_b128 v[122:125], v70 offset:912
	v_cmp_lt_u32_e32 vcc, 26, v0
	scratch_load_dwordx4 v[50:53], off, off offset:288
	scratch_load_dwordx4 v[62:65], off, off offset:304
	s_waitcnt vmcnt(10) lgkmcnt(12)
	v_mul_f32_e32 v22, v14, v19
	v_fmac_f32_e32 v22, v15, v18
	v_mul_f32_e32 v23, v16, v21
	v_add_f32_e32 v22, 0, v22
	v_fmac_f32_e32 v23, v17, v20
	v_add_f32_e32 v26, v22, v23
	scratch_load_dwordx4 v[22:25], off, off offset:240
	v_mul_f32_e32 v15, v15, v19
	v_fma_f32 v14, v14, v18, -v15
	v_mul_f32_e32 v15, v17, v21
	v_add_f32_e32 v14, 0, v14
	v_fma_f32 v15, v16, v20, -v15
	v_add_f32_e32 v14, v14, v15
	s_waitcnt vmcnt(3) lgkmcnt(0)
	v_mul_f32_e32 v75, v122, v127
	v_fmac_f32_e32 v75, v123, v126
	v_mul_f32_e32 v77, v124, v129
	v_fmac_f32_e32 v77, v125, v128
	s_waitcnt vmcnt(0)
	v_mul_f32_e32 v27, v10, v23
	v_fmac_f32_e32 v27, v11, v22
	v_add_f32_e32 v26, v26, v27
	v_mul_f32_e32 v27, v12, v25
	v_fmac_f32_e32 v27, v13, v24
	v_add_f32_e32 v30, v26, v27
	scratch_load_dwordx4 v[26:29], off, off offset:256
	v_mul_f32_e32 v11, v11, v23
	v_fma_f32 v10, v10, v22, -v11
	v_mul_f32_e32 v11, v13, v25
	v_add_f32_e32 v10, v14, v10
	v_fma_f32 v11, v12, v24, -v11
	v_add_f32_e32 v10, v10, v11
	s_waitcnt vmcnt(0)
	v_mul_f32_e32 v31, v6, v27
	v_fmac_f32_e32 v31, v7, v26
	v_add_f32_e32 v30, v30, v31
	v_mul_f32_e32 v31, v8, v29
	v_fmac_f32_e32 v31, v9, v28
	v_add_f32_e32 v30, v30, v31
	;; [unrolled: 3-line block ×20, first 2 shown]
	scratch_load_dwordx4 v[58:61], off, off offset:432
	scratch_load_dwordx4 v[46:49], off, off offset:448
	;; [unrolled: 1-line block ×4, first 2 shown]
	v_mul_f32_e32 v7, v7, v27
	v_fma_f32 v6, v6, v26, -v7
	v_mul_f32_e32 v7, v9, v29
	v_add_f32_e32 v6, v10, v6
	v_fma_f32 v7, v8, v28, -v7
	v_mul_f32_e32 v3, v3, v35
	v_add_f32_e32 v6, v6, v7
	;; [unrolled: 3-line block ×3, first 2 shown]
	v_fma_f32 v3, v4, v36, -v3
	v_add_f32_e32 v2, v2, v3
	v_mul_f32_e32 v3, v39, v51
	v_fma_f32 v3, v38, v50, -v3
	v_add_f32_e32 v2, v2, v3
	v_mul_f32_e32 v3, v41, v53
	;; [unrolled: 3-line block ×17, first 2 shown]
	v_fma_f32 v74, v122, v126, -v2
	v_mul_f32_e32 v2, v125, v129
	v_fma_f32 v76, v124, v128, -v2
	ds_read_b128 v[2:5], v70 offset:928
	ds_read_b128 v[6:9], v70 offset:944
	ds_read_b128 v[10:13], v70 offset:960
	ds_read_b128 v[14:17], v70 offset:976
	v_pk_add_f32 v[18:19], v[72:73], v[74:75]
	s_waitcnt vmcnt(3) lgkmcnt(3)
	v_pk_mul_f32 v[20:21], v[2:3], v[58:59] op_sel:[1,1] op_sel_hi:[0,1]
	v_pk_fma_f32 v[22:23], v[2:3], v[58:59], v[20:21] neg_lo:[0,0,1] neg_hi:[0,0,1]
	v_pk_fma_f32 v[2:3], v[2:3], v[58:59], v[20:21] op_sel_hi:[1,0,1]
	v_pk_add_f32 v[18:19], v[18:19], v[76:77]
	v_mov_b32_e32 v23, v3
	v_pk_add_f32 v[2:3], v[18:19], v[22:23]
	v_mov_b32_e32 v18, v61
	v_pk_mul_f32 v[18:19], v[4:5], v[18:19] op_sel:[1,0] op_sel_hi:[0,0]
	v_pk_fma_f32 v[20:21], v[4:5], v[60:61], v[18:19] neg_lo:[0,0,1] neg_hi:[0,0,1]
	v_pk_fma_f32 v[4:5], v[4:5], v[60:61], v[18:19] op_sel_hi:[1,0,1]
	s_nop 0
	v_mov_b32_e32 v21, v5
	s_waitcnt vmcnt(2) lgkmcnt(2)
	v_pk_mul_f32 v[4:5], v[6:7], v[46:47] op_sel:[1,1] op_sel_hi:[0,1]
	v_pk_fma_f32 v[18:19], v[6:7], v[46:47], v[4:5] neg_lo:[0,0,1] neg_hi:[0,0,1]
	v_pk_fma_f32 v[4:5], v[6:7], v[46:47], v[4:5] op_sel_hi:[1,0,1]
	v_pk_add_f32 v[2:3], v[2:3], v[20:21]
	v_mov_b32_e32 v4, v49
	v_mov_b32_e32 v19, v5
	v_pk_mul_f32 v[4:5], v[8:9], v[4:5] op_sel:[1,0] op_sel_hi:[0,0]
	v_pk_fma_f32 v[6:7], v[8:9], v[48:49], v[4:5] neg_lo:[0,0,1] neg_hi:[0,0,1]
	v_pk_fma_f32 v[4:5], v[8:9], v[48:49], v[4:5] op_sel_hi:[1,0,1]
	v_pk_add_f32 v[2:3], v[2:3], v[18:19]
	v_mov_b32_e32 v7, v5
	s_waitcnt vmcnt(1) lgkmcnt(1)
	v_pk_mul_f32 v[4:5], v[10:11], v[42:43] op_sel:[1,1] op_sel_hi:[0,1]
	v_pk_add_f32 v[2:3], v[2:3], v[6:7]
	v_pk_fma_f32 v[6:7], v[10:11], v[42:43], v[4:5] neg_lo:[0,0,1] neg_hi:[0,0,1]
	v_pk_fma_f32 v[4:5], v[10:11], v[42:43], v[4:5] op_sel_hi:[1,0,1]
	s_nop 0
	v_mov_b32_e32 v4, v45
	v_mov_b32_e32 v7, v5
	v_pk_mul_f32 v[4:5], v[12:13], v[4:5] op_sel:[1,0] op_sel_hi:[0,0]
	v_pk_add_f32 v[2:3], v[2:3], v[6:7]
	v_pk_fma_f32 v[6:7], v[12:13], v[44:45], v[4:5] neg_lo:[0,0,1] neg_hi:[0,0,1]
	v_pk_fma_f32 v[4:5], v[12:13], v[44:45], v[4:5] op_sel_hi:[1,0,1]
	s_nop 0
	v_mov_b32_e32 v7, v5
	s_waitcnt vmcnt(0) lgkmcnt(0)
	v_pk_mul_f32 v[4:5], v[14:15], v[30:31] op_sel:[1,1] op_sel_hi:[0,1]
	v_pk_add_f32 v[2:3], v[2:3], v[6:7]
	v_pk_fma_f32 v[6:7], v[14:15], v[30:31], v[4:5] neg_lo:[0,0,1] neg_hi:[0,0,1]
	v_pk_fma_f32 v[4:5], v[14:15], v[30:31], v[4:5] op_sel_hi:[1,0,1]
	s_nop 0
	v_mov_b32_e32 v4, v33
	v_mov_b32_e32 v7, v5
	v_pk_mul_f32 v[4:5], v[16:17], v[4:5] op_sel:[1,0] op_sel_hi:[0,0]
	v_pk_add_f32 v[2:3], v[2:3], v[6:7]
	v_pk_fma_f32 v[6:7], v[16:17], v[32:33], v[4:5] neg_lo:[0,0,1] neg_hi:[0,0,1]
	v_pk_fma_f32 v[4:5], v[16:17], v[32:33], v[4:5] op_sel_hi:[1,0,1]
	s_nop 0
	v_mov_b32_e32 v7, v5
	scratch_load_dwordx2 v[4:5], off, off offset:216
	v_pk_add_f32 v[2:3], v[2:3], v[6:7]
	s_waitcnt vmcnt(0)
	v_pk_add_f32 v[2:3], v[4:5], v[2:3] neg_lo:[0,1] neg_hi:[0,1]
	scratch_store_dwordx2 off, v[2:3], off offset:216
	s_and_saveexec_b64 s[0:1], vcc
	s_cbranch_execz .LBB125_333
; %bb.332:
	scratch_load_dwordx2 v[2:3], off, off offset:208
	v_mov_b32_e32 v4, 0
	v_mov_b32_e32 v5, v4
	scratch_store_dwordx2 off, v[4:5], off offset:208
	s_waitcnt vmcnt(1)
	ds_write_b64 v1, v[2:3]
.LBB125_333:
	s_or_b64 exec, exec, s[0:1]
	s_waitcnt lgkmcnt(0)
	; wave barrier
	scratch_load_dwordx4 v[6:9], off, off offset:216
	scratch_load_dwordx4 v[14:17], off, off offset:232
	;; [unrolled: 1-line block ×10, first 2 shown]
	v_mov_b32_e32 v70, 0
	ds_read2_b64 v[2:5], v70 offset0:89 offset1:90
	scratch_load_dwordx4 v[88:91], off, off offset:376
	scratch_load_dwordx4 v[96:99], off, off offset:392
	;; [unrolled: 1-line block ×4, first 2 shown]
	v_cmp_lt_u32_e32 vcc, 25, v0
	s_waitcnt vmcnt(13) lgkmcnt(0)
	v_mul_f32_e32 v10, v2, v7
	v_fmac_f32_e32 v10, v3, v6
	v_mul_f32_e32 v11, v4, v9
	v_add_f32_e32 v10, 0, v10
	v_fmac_f32_e32 v11, v5, v8
	v_add_f32_e32 v18, v10, v11
	ds_read2_b64 v[10:13], v70 offset0:91 offset1:92
	v_mul_f32_e32 v3, v3, v7
	v_fma_f32 v2, v2, v6, -v3
	v_mul_f32_e32 v3, v5, v9
	v_add_f32_e32 v2, 0, v2
	s_waitcnt vmcnt(12) lgkmcnt(0)
	v_mul_f32_e32 v19, v10, v15
	v_fmac_f32_e32 v19, v11, v14
	v_add_f32_e32 v18, v18, v19
	v_mul_f32_e32 v19, v12, v17
	v_fmac_f32_e32 v19, v13, v16
	v_add_f32_e32 v26, v18, v19
	ds_read2_b64 v[18:21], v70 offset0:93 offset1:94
	v_fma_f32 v3, v4, v8, -v3
	v_add_f32_e32 v2, v2, v3
	v_mul_f32_e32 v3, v11, v15
	v_fma_f32 v3, v10, v14, -v3
	s_waitcnt vmcnt(11) lgkmcnt(0)
	v_mul_f32_e32 v27, v18, v23
	v_fmac_f32_e32 v27, v19, v22
	v_add_f32_e32 v26, v26, v27
	v_mul_f32_e32 v27, v20, v25
	v_fmac_f32_e32 v27, v21, v24
	v_add_f32_e32 v34, v26, v27
	ds_read2_b64 v[26:29], v70 offset0:95 offset1:96
	v_add_f32_e32 v2, v2, v3
	v_mul_f32_e32 v3, v13, v17
	v_fma_f32 v3, v12, v16, -v3
	v_add_f32_e32 v2, v2, v3
	s_waitcnt vmcnt(10) lgkmcnt(0)
	v_mul_f32_e32 v35, v26, v31
	v_fmac_f32_e32 v35, v27, v30
	v_add_f32_e32 v34, v34, v35
	v_mul_f32_e32 v35, v28, v33
	v_fmac_f32_e32 v35, v29, v32
	v_add_f32_e32 v42, v34, v35
	ds_read2_b64 v[34:37], v70 offset0:97 offset1:98
	v_mul_f32_e32 v3, v19, v23
	v_fma_f32 v3, v18, v22, -v3
	v_add_f32_e32 v2, v2, v3
	v_mul_f32_e32 v3, v21, v25
	s_waitcnt vmcnt(9) lgkmcnt(0)
	v_mul_f32_e32 v43, v34, v39
	v_fmac_f32_e32 v43, v35, v38
	v_add_f32_e32 v42, v42, v43
	v_mul_f32_e32 v43, v36, v41
	v_fmac_f32_e32 v43, v37, v40
	v_add_f32_e32 v50, v42, v43
	ds_read2_b64 v[42:45], v70 offset0:99 offset1:100
	v_fma_f32 v3, v20, v24, -v3
	v_add_f32_e32 v2, v2, v3
	v_mul_f32_e32 v3, v27, v31
	v_fma_f32 v3, v26, v30, -v3
	s_waitcnt vmcnt(8) lgkmcnt(0)
	v_mul_f32_e32 v51, v42, v47
	v_fmac_f32_e32 v51, v43, v46
	v_add_f32_e32 v50, v50, v51
	v_mul_f32_e32 v51, v44, v49
	v_fmac_f32_e32 v51, v45, v48
	v_add_f32_e32 v58, v50, v51
	ds_read2_b64 v[50:53], v70 offset0:101 offset1:102
	v_add_f32_e32 v2, v2, v3
	v_mul_f32_e32 v3, v29, v33
	v_fma_f32 v3, v28, v32, -v3
	v_add_f32_e32 v2, v2, v3
	s_waitcnt vmcnt(7) lgkmcnt(0)
	v_mul_f32_e32 v59, v50, v55
	v_fmac_f32_e32 v59, v51, v54
	v_add_f32_e32 v58, v58, v59
	v_mul_f32_e32 v59, v52, v57
	v_fmac_f32_e32 v59, v53, v56
	v_add_f32_e32 v66, v58, v59
	ds_read2_b64 v[58:61], v70 offset0:103 offset1:104
	v_mul_f32_e32 v3, v35, v39
	v_fma_f32 v3, v34, v38, -v3
	v_add_f32_e32 v2, v2, v3
	v_mul_f32_e32 v3, v37, v41
	;; [unrolled: 36-line block ×3, first 2 shown]
	s_waitcnt vmcnt(3) lgkmcnt(0)
	v_mul_f32_e32 v92, v84, v89
	v_fmac_f32_e32 v92, v85, v88
	v_add_f32_e32 v71, v71, v92
	v_mul_f32_e32 v92, v86, v91
	v_fmac_f32_e32 v92, v87, v90
	v_add_f32_e32 v71, v71, v92
	ds_read2_b64 v[92:95], v70 offset0:111 offset1:112
	v_fma_f32 v3, v52, v56, -v3
	v_add_f32_e32 v2, v2, v3
	v_mul_f32_e32 v3, v59, v63
	v_fma_f32 v3, v58, v62, -v3
	s_waitcnt vmcnt(2) lgkmcnt(0)
	v_mul_f32_e32 v100, v92, v97
	v_fmac_f32_e32 v100, v93, v96
	v_add_f32_e32 v71, v71, v100
	v_mul_f32_e32 v100, v94, v99
	v_fmac_f32_e32 v100, v95, v98
	v_add_f32_e32 v71, v71, v100
	ds_read2_b64 v[100:103], v70 offset0:113 offset1:114
	v_add_f32_e32 v2, v2, v3
	v_mul_f32_e32 v3, v61, v65
	v_fma_f32 v3, v60, v64, -v3
	v_add_f32_e32 v2, v2, v3
	s_waitcnt vmcnt(1) lgkmcnt(0)
	v_mul_f32_e32 v108, v100, v105
	v_fmac_f32_e32 v108, v101, v104
	v_add_f32_e32 v129, v71, v108
	ds_read2_b64 v[108:111], v70 offset0:115 offset1:116
	scratch_load_dwordx4 v[116:119], off, off offset:440
	scratch_load_dwordx4 v[120:123], off, off offset:456
	;; [unrolled: 1-line block ×3, first 2 shown]
	scratch_load_dwordx2 v[134:135], off, off offset:488
	v_mul_f32_e32 v3, v67, v73
	v_fma_f32 v3, v66, v72, -v3
	v_add_f32_e32 v2, v2, v3
	v_mul_f32_e32 v3, v69, v75
	v_fma_f32 v3, v68, v74, -v3
	v_add_f32_e32 v2, v2, v3
	;; [unrolled: 3-line block ×9, first 2 shown]
	v_mul_f32_e32 v2, v103, v107
	v_mul_f32_e32 v131, v102, v107
	v_fma_f32 v130, v102, v106, -v2
	s_waitcnt vmcnt(4) lgkmcnt(0)
	v_mul_f32_e32 v2, v109, v113
	v_mov_b32_e32 v18, v115
	v_fmac_f32_e32 v131, v103, v106
	v_mul_f32_e32 v133, v108, v113
	v_fma_f32 v132, v108, v112, -v2
	ds_read2_b64 v[2:5], v70 offset0:117 offset1:118
	ds_read2_b64 v[6:9], v70 offset0:119 offset1:120
	;; [unrolled: 1-line block ×3, first 2 shown]
	ds_read_b64 v[14:15], v70 offset:984
	v_pk_mul_f32 v[18:19], v[110:111], v[18:19] op_sel:[1,0] op_sel_hi:[0,0]
	v_fmac_f32_e32 v133, v109, v112
	v_pk_add_f32 v[16:17], v[128:129], v[130:131]
	v_pk_fma_f32 v[20:21], v[110:111], v[114:115], v[18:19] neg_lo:[0,0,1] neg_hi:[0,0,1]
	v_pk_fma_f32 v[18:19], v[110:111], v[114:115], v[18:19] op_sel_hi:[1,0,1]
	v_pk_add_f32 v[16:17], v[16:17], v[132:133]
	v_mov_b32_e32 v21, v19
	v_pk_add_f32 v[16:17], v[16:17], v[20:21]
	s_waitcnt vmcnt(3) lgkmcnt(3)
	v_pk_mul_f32 v[18:19], v[2:3], v[116:117] op_sel:[1,1] op_sel_hi:[0,1]
	v_pk_fma_f32 v[20:21], v[2:3], v[116:117], v[18:19] neg_lo:[0,0,1] neg_hi:[0,0,1]
	v_pk_fma_f32 v[2:3], v[2:3], v[116:117], v[18:19] op_sel_hi:[1,0,1]
	s_nop 0
	v_mov_b32_e32 v21, v3
	v_pk_add_f32 v[2:3], v[16:17], v[20:21]
	v_mov_b32_e32 v16, v119
	v_pk_mul_f32 v[16:17], v[4:5], v[16:17] op_sel:[1,0] op_sel_hi:[0,0]
	v_pk_fma_f32 v[18:19], v[4:5], v[118:119], v[16:17] neg_lo:[0,0,1] neg_hi:[0,0,1]
	v_pk_fma_f32 v[4:5], v[4:5], v[118:119], v[16:17] op_sel_hi:[1,0,1]
	s_nop 0
	v_mov_b32_e32 v19, v5
	s_waitcnt vmcnt(2) lgkmcnt(2)
	v_pk_mul_f32 v[4:5], v[6:7], v[120:121] op_sel:[1,1] op_sel_hi:[0,1]
	v_pk_fma_f32 v[16:17], v[6:7], v[120:121], v[4:5] neg_lo:[0,0,1] neg_hi:[0,0,1]
	v_pk_fma_f32 v[4:5], v[6:7], v[120:121], v[4:5] op_sel_hi:[1,0,1]
	v_pk_add_f32 v[2:3], v[2:3], v[18:19]
	v_mov_b32_e32 v4, v123
	v_mov_b32_e32 v17, v5
	v_pk_mul_f32 v[4:5], v[8:9], v[4:5] op_sel:[1,0] op_sel_hi:[0,0]
	v_pk_fma_f32 v[6:7], v[8:9], v[122:123], v[4:5] neg_lo:[0,0,1] neg_hi:[0,0,1]
	v_pk_fma_f32 v[4:5], v[8:9], v[122:123], v[4:5] op_sel_hi:[1,0,1]
	v_pk_add_f32 v[2:3], v[2:3], v[16:17]
	v_mov_b32_e32 v7, v5
	s_waitcnt vmcnt(1) lgkmcnt(1)
	v_pk_mul_f32 v[4:5], v[10:11], v[124:125] op_sel:[1,1] op_sel_hi:[0,1]
	v_pk_add_f32 v[2:3], v[2:3], v[6:7]
	v_pk_fma_f32 v[6:7], v[10:11], v[124:125], v[4:5] neg_lo:[0,0,1] neg_hi:[0,0,1]
	v_pk_fma_f32 v[4:5], v[10:11], v[124:125], v[4:5] op_sel_hi:[1,0,1]
	s_nop 0
	v_mov_b32_e32 v4, v127
	v_mov_b32_e32 v7, v5
	v_pk_mul_f32 v[4:5], v[12:13], v[4:5] op_sel:[1,0] op_sel_hi:[0,0]
	v_pk_add_f32 v[2:3], v[2:3], v[6:7]
	v_pk_fma_f32 v[6:7], v[12:13], v[126:127], v[4:5] neg_lo:[0,0,1] neg_hi:[0,0,1]
	v_pk_fma_f32 v[4:5], v[12:13], v[126:127], v[4:5] op_sel_hi:[1,0,1]
	s_nop 0
	v_mov_b32_e32 v7, v5
	s_waitcnt vmcnt(0) lgkmcnt(0)
	v_pk_mul_f32 v[4:5], v[14:15], v[134:135] op_sel:[1,1] op_sel_hi:[0,1]
	v_pk_add_f32 v[2:3], v[2:3], v[6:7]
	v_pk_fma_f32 v[6:7], v[14:15], v[134:135], v[4:5] neg_lo:[0,0,1] neg_hi:[0,0,1]
	v_pk_fma_f32 v[4:5], v[14:15], v[134:135], v[4:5] op_sel_hi:[1,0,1]
	s_nop 0
	v_mov_b32_e32 v7, v5
	scratch_load_dwordx2 v[4:5], off, off offset:208
	v_pk_add_f32 v[2:3], v[2:3], v[6:7]
	s_waitcnt vmcnt(0)
	v_pk_add_f32 v[2:3], v[4:5], v[2:3] neg_lo:[0,1] neg_hi:[0,1]
	scratch_store_dwordx2 off, v[2:3], off offset:208
	s_and_saveexec_b64 s[0:1], vcc
	s_cbranch_execz .LBB125_335
; %bb.334:
	scratch_load_dwordx2 v[2:3], off, off offset:200
	v_mov_b32_e32 v71, v70
	scratch_store_dwordx2 off, v[70:71], off offset:200
	s_waitcnt vmcnt(1)
	ds_write_b64 v1, v[2:3]
.LBB125_335:
	s_or_b64 exec, exec, s[0:1]
	s_waitcnt lgkmcnt(0)
	; wave barrier
	ds_read_b128 v[14:17], v70 offset:704
	ds_read_b128 v[10:13], v70 offset:720
	ds_read_b128 v[6:9], v70 offset:736
	ds_read_b128 v[2:5], v70 offset:752
	scratch_load_dwordx4 v[18:21], off, off offset:208
	scratch_load_dwordx4 v[38:41], off, off offset:272
	;; [unrolled: 1-line block ×8, first 2 shown]
	v_cmp_lt_u32_e32 vcc, 24, v0
	scratch_load_dwordx4 v[46:49], off, off offset:288
	scratch_load_dwordx4 v[54:57], off, off offset:304
	;; [unrolled: 1-line block ×3, first 2 shown]
	s_waitcnt vmcnt(10) lgkmcnt(3)
	v_mul_f32_e32 v22, v14, v19
	v_fmac_f32_e32 v22, v15, v18
	v_mul_f32_e32 v23, v16, v21
	v_add_f32_e32 v22, 0, v22
	v_fmac_f32_e32 v23, v17, v20
	v_add_f32_e32 v26, v22, v23
	scratch_load_dwordx4 v[22:25], off, off offset:224
	v_mul_f32_e32 v15, v15, v19
	v_fma_f32 v14, v14, v18, -v15
	v_mul_f32_e32 v15, v17, v21
	v_add_f32_e32 v14, 0, v14
	v_fma_f32 v15, v16, v20, -v15
	v_add_f32_e32 v14, v14, v15
	s_waitcnt vmcnt(0) lgkmcnt(2)
	v_mul_f32_e32 v27, v10, v23
	v_fmac_f32_e32 v27, v11, v22
	v_add_f32_e32 v26, v26, v27
	v_mul_f32_e32 v27, v12, v25
	v_fmac_f32_e32 v27, v13, v24
	v_add_f32_e32 v30, v26, v27
	scratch_load_dwordx4 v[26:29], off, off offset:240
	v_mul_f32_e32 v11, v11, v23
	v_fma_f32 v10, v10, v22, -v11
	v_mul_f32_e32 v11, v13, v25
	v_add_f32_e32 v10, v14, v10
	v_fma_f32 v11, v12, v24, -v11
	v_add_f32_e32 v10, v10, v11
	s_waitcnt vmcnt(0) lgkmcnt(1)
	v_mul_f32_e32 v31, v6, v27
	v_fmac_f32_e32 v31, v7, v26
	v_add_f32_e32 v30, v30, v31
	v_mul_f32_e32 v31, v8, v29
	;; [unrolled: 14-line block ×3, first 2 shown]
	v_fmac_f32_e32 v35, v5, v32
	v_add_f32_e32 v42, v34, v35
	ds_read_b128 v[34:37], v70 offset:768
	v_mul_f32_e32 v3, v3, v31
	v_fma_f32 v2, v2, v30, -v3
	v_mul_f32_e32 v3, v5, v33
	v_add_f32_e32 v2, v6, v2
	s_waitcnt lgkmcnt(0)
	v_mul_f32_e32 v43, v34, v39
	v_fmac_f32_e32 v43, v35, v38
	v_add_f32_e32 v42, v42, v43
	v_mul_f32_e32 v43, v36, v41
	v_fmac_f32_e32 v43, v37, v40
	v_add_f32_e32 v50, v42, v43
	ds_read_b128 v[42:45], v70 offset:784
	v_fma_f32 v3, v4, v32, -v3
	v_add_f32_e32 v2, v2, v3
	v_mul_f32_e32 v3, v35, v39
	v_fma_f32 v3, v34, v38, -v3
	s_waitcnt lgkmcnt(0)
	v_mul_f32_e32 v51, v42, v47
	v_fmac_f32_e32 v51, v43, v46
	v_add_f32_e32 v50, v50, v51
	v_mul_f32_e32 v51, v44, v49
	v_fmac_f32_e32 v51, v45, v48
	v_add_f32_e32 v58, v50, v51
	ds_read_b128 v[50:53], v70 offset:800
	v_add_f32_e32 v2, v2, v3
	v_mul_f32_e32 v3, v37, v41
	v_fma_f32 v3, v36, v40, -v3
	v_add_f32_e32 v2, v2, v3
	s_waitcnt lgkmcnt(0)
	v_mul_f32_e32 v59, v50, v55
	v_fmac_f32_e32 v59, v51, v54
	v_add_f32_e32 v58, v58, v59
	v_mul_f32_e32 v59, v52, v57
	v_fmac_f32_e32 v59, v53, v56
	v_add_f32_e32 v66, v58, v59
	ds_read_b128 v[58:61], v70 offset:816
	v_mul_f32_e32 v3, v43, v47
	v_fma_f32 v3, v42, v46, -v3
	v_add_f32_e32 v2, v2, v3
	v_mul_f32_e32 v3, v45, v49
	s_waitcnt lgkmcnt(0)
	v_mul_f32_e32 v67, v58, v63
	v_fmac_f32_e32 v67, v59, v62
	v_add_f32_e32 v66, v66, v67
	v_mul_f32_e32 v67, v60, v65
	v_fmac_f32_e32 v67, v61, v64
	v_add_f32_e32 v71, v66, v67
	ds_read_b128 v[66:69], v70 offset:832
	v_fma_f32 v3, v44, v48, -v3
	v_add_f32_e32 v2, v2, v3
	v_mul_f32_e32 v3, v51, v55
	v_fma_f32 v3, v50, v54, -v3
	s_waitcnt lgkmcnt(0)
	v_mul_f32_e32 v76, v66, v73
	v_fmac_f32_e32 v76, v67, v72
	v_add_f32_e32 v71, v71, v76
	v_mul_f32_e32 v76, v68, v75
	v_fmac_f32_e32 v76, v69, v74
	v_add_f32_e32 v71, v71, v76
	ds_read_b128 v[76:79], v70 offset:848
	v_add_f32_e32 v2, v2, v3
	v_mul_f32_e32 v3, v53, v57
	v_fma_f32 v3, v52, v56, -v3
	v_add_f32_e32 v2, v2, v3
	s_waitcnt lgkmcnt(0)
	v_mul_f32_e32 v84, v76, v81
	v_fmac_f32_e32 v84, v77, v80
	v_add_f32_e32 v71, v71, v84
	v_mul_f32_e32 v84, v78, v83
	v_fmac_f32_e32 v84, v79, v82
	v_add_f32_e32 v71, v71, v84
	ds_read_b128 v[84:87], v70 offset:864
	v_mul_f32_e32 v3, v59, v63
	v_fma_f32 v3, v58, v62, -v3
	v_add_f32_e32 v2, v2, v3
	v_mul_f32_e32 v3, v61, v65
	s_waitcnt lgkmcnt(0)
	v_mul_f32_e32 v92, v84, v89
	v_fmac_f32_e32 v92, v85, v88
	v_add_f32_e32 v71, v71, v92
	v_mul_f32_e32 v92, v86, v91
	v_fmac_f32_e32 v92, v87, v90
	v_add_f32_e32 v71, v71, v92
	ds_read_b128 v[92:95], v70 offset:880
	v_fma_f32 v3, v60, v64, -v3
	v_add_f32_e32 v2, v2, v3
	v_mul_f32_e32 v3, v67, v73
	v_fma_f32 v3, v66, v72, -v3
	s_waitcnt lgkmcnt(0)
	v_mul_f32_e32 v100, v92, v97
	v_fmac_f32_e32 v100, v93, v96
	v_add_f32_e32 v71, v71, v100
	v_mul_f32_e32 v100, v94, v99
	v_fmac_f32_e32 v100, v95, v98
	v_add_f32_e32 v71, v71, v100
	ds_read_b128 v[100:103], v70 offset:896
	v_add_f32_e32 v2, v2, v3
	v_mul_f32_e32 v3, v69, v75
	v_fma_f32 v3, v68, v74, -v3
	v_add_f32_e32 v2, v2, v3
	s_waitcnt lgkmcnt(0)
	v_mul_f32_e32 v108, v100, v105
	v_fmac_f32_e32 v108, v101, v104
	v_add_f32_e32 v71, v71, v108
	v_mul_f32_e32 v108, v102, v107
	v_fmac_f32_e32 v108, v103, v106
	v_add_f32_e32 v133, v71, v108
	ds_read_b128 v[108:111], v70 offset:912
	scratch_load_dwordx4 v[116:119], off, off offset:432
	scratch_load_dwordx4 v[120:123], off, off offset:448
	;; [unrolled: 1-line block ×4, first 2 shown]
	v_mul_f32_e32 v3, v77, v81
	v_fma_f32 v3, v76, v80, -v3
	v_add_f32_e32 v2, v2, v3
	v_mul_f32_e32 v3, v79, v83
	v_fma_f32 v3, v78, v82, -v3
	v_add_f32_e32 v2, v2, v3
	;; [unrolled: 3-line block ×8, first 2 shown]
	s_waitcnt lgkmcnt(0)
	v_mul_f32_e32 v2, v109, v113
	v_fma_f32 v134, v108, v112, -v2
	v_mul_f32_e32 v2, v111, v115
	v_fma_f32 v136, v110, v114, -v2
	ds_read_b128 v[2:5], v70 offset:928
	ds_read_b128 v[6:9], v70 offset:944
	;; [unrolled: 1-line block ×4, first 2 shown]
	v_mul_f32_e32 v135, v108, v113
	v_fmac_f32_e32 v135, v109, v112
	v_mul_f32_e32 v137, v110, v115
	v_fmac_f32_e32 v137, v111, v114
	v_pk_add_f32 v[18:19], v[132:133], v[134:135]
	s_waitcnt vmcnt(3) lgkmcnt(3)
	v_pk_mul_f32 v[20:21], v[2:3], v[116:117] op_sel:[1,1] op_sel_hi:[0,1]
	v_pk_fma_f32 v[22:23], v[2:3], v[116:117], v[20:21] neg_lo:[0,0,1] neg_hi:[0,0,1]
	v_pk_fma_f32 v[2:3], v[2:3], v[116:117], v[20:21] op_sel_hi:[1,0,1]
	v_pk_add_f32 v[18:19], v[18:19], v[136:137]
	v_mov_b32_e32 v23, v3
	v_pk_add_f32 v[2:3], v[18:19], v[22:23]
	v_mov_b32_e32 v18, v119
	v_pk_mul_f32 v[18:19], v[4:5], v[18:19] op_sel:[1,0] op_sel_hi:[0,0]
	v_pk_fma_f32 v[20:21], v[4:5], v[118:119], v[18:19] neg_lo:[0,0,1] neg_hi:[0,0,1]
	v_pk_fma_f32 v[4:5], v[4:5], v[118:119], v[18:19] op_sel_hi:[1,0,1]
	s_nop 0
	v_mov_b32_e32 v21, v5
	s_waitcnt vmcnt(2) lgkmcnt(2)
	v_pk_mul_f32 v[4:5], v[6:7], v[120:121] op_sel:[1,1] op_sel_hi:[0,1]
	v_pk_fma_f32 v[18:19], v[6:7], v[120:121], v[4:5] neg_lo:[0,0,1] neg_hi:[0,0,1]
	v_pk_fma_f32 v[4:5], v[6:7], v[120:121], v[4:5] op_sel_hi:[1,0,1]
	v_pk_add_f32 v[2:3], v[2:3], v[20:21]
	v_mov_b32_e32 v4, v123
	v_mov_b32_e32 v19, v5
	v_pk_mul_f32 v[4:5], v[8:9], v[4:5] op_sel:[1,0] op_sel_hi:[0,0]
	v_pk_fma_f32 v[6:7], v[8:9], v[122:123], v[4:5] neg_lo:[0,0,1] neg_hi:[0,0,1]
	v_pk_fma_f32 v[4:5], v[8:9], v[122:123], v[4:5] op_sel_hi:[1,0,1]
	v_pk_add_f32 v[2:3], v[2:3], v[18:19]
	v_mov_b32_e32 v7, v5
	s_waitcnt vmcnt(1) lgkmcnt(1)
	v_pk_mul_f32 v[4:5], v[10:11], v[124:125] op_sel:[1,1] op_sel_hi:[0,1]
	v_pk_add_f32 v[2:3], v[2:3], v[6:7]
	v_pk_fma_f32 v[6:7], v[10:11], v[124:125], v[4:5] neg_lo:[0,0,1] neg_hi:[0,0,1]
	v_pk_fma_f32 v[4:5], v[10:11], v[124:125], v[4:5] op_sel_hi:[1,0,1]
	s_nop 0
	v_mov_b32_e32 v4, v127
	v_mov_b32_e32 v7, v5
	v_pk_mul_f32 v[4:5], v[12:13], v[4:5] op_sel:[1,0] op_sel_hi:[0,0]
	v_pk_add_f32 v[2:3], v[2:3], v[6:7]
	v_pk_fma_f32 v[6:7], v[12:13], v[126:127], v[4:5] neg_lo:[0,0,1] neg_hi:[0,0,1]
	v_pk_fma_f32 v[4:5], v[12:13], v[126:127], v[4:5] op_sel_hi:[1,0,1]
	s_nop 0
	v_mov_b32_e32 v7, v5
	s_waitcnt vmcnt(0) lgkmcnt(0)
	v_pk_mul_f32 v[4:5], v[14:15], v[128:129] op_sel:[1,1] op_sel_hi:[0,1]
	v_pk_add_f32 v[2:3], v[2:3], v[6:7]
	v_pk_fma_f32 v[6:7], v[14:15], v[128:129], v[4:5] neg_lo:[0,0,1] neg_hi:[0,0,1]
	v_pk_fma_f32 v[4:5], v[14:15], v[128:129], v[4:5] op_sel_hi:[1,0,1]
	s_nop 0
	v_mov_b32_e32 v4, v131
	v_mov_b32_e32 v7, v5
	v_pk_mul_f32 v[4:5], v[16:17], v[4:5] op_sel:[1,0] op_sel_hi:[0,0]
	v_pk_add_f32 v[2:3], v[2:3], v[6:7]
	v_pk_fma_f32 v[6:7], v[16:17], v[130:131], v[4:5] neg_lo:[0,0,1] neg_hi:[0,0,1]
	v_pk_fma_f32 v[4:5], v[16:17], v[130:131], v[4:5] op_sel_hi:[1,0,1]
	s_nop 0
	v_mov_b32_e32 v7, v5
	scratch_load_dwordx2 v[4:5], off, off offset:200
	v_pk_add_f32 v[2:3], v[2:3], v[6:7]
	s_waitcnt vmcnt(0)
	v_pk_add_f32 v[2:3], v[4:5], v[2:3] neg_lo:[0,1] neg_hi:[0,1]
	scratch_store_dwordx2 off, v[2:3], off offset:200
	s_and_saveexec_b64 s[0:1], vcc
	s_cbranch_execz .LBB125_337
; %bb.336:
	scratch_load_dwordx2 v[2:3], off, off offset:192
	v_mov_b32_e32 v4, 0
	v_mov_b32_e32 v5, v4
	scratch_store_dwordx2 off, v[4:5], off offset:192
	s_waitcnt vmcnt(1)
	ds_write_b64 v1, v[2:3]
.LBB125_337:
	s_or_b64 exec, exec, s[0:1]
	s_waitcnt lgkmcnt(0)
	; wave barrier
	scratch_load_dwordx4 v[6:9], off, off offset:200
	scratch_load_dwordx4 v[14:17], off, off offset:216
	;; [unrolled: 1-line block ×10, first 2 shown]
	v_mov_b32_e32 v86, 0
	ds_read2_b64 v[2:5], v86 offset0:87 offset1:88
	scratch_load_dwordx4 v[88:91], off, off offset:360
	scratch_load_dwordx4 v[96:99], off, off offset:376
	;; [unrolled: 1-line block ×5, first 2 shown]
	v_cmp_lt_u32_e32 vcc, 23, v0
	s_waitcnt vmcnt(14) lgkmcnt(0)
	v_mul_f32_e32 v10, v2, v7
	v_fmac_f32_e32 v10, v3, v6
	v_mul_f32_e32 v11, v4, v9
	v_add_f32_e32 v10, 0, v10
	v_fmac_f32_e32 v11, v5, v8
	v_add_f32_e32 v18, v10, v11
	ds_read2_b64 v[10:13], v86 offset0:89 offset1:90
	v_mul_f32_e32 v3, v3, v7
	v_fma_f32 v2, v2, v6, -v3
	v_mul_f32_e32 v3, v5, v9
	v_add_f32_e32 v2, 0, v2
	s_waitcnt vmcnt(13) lgkmcnt(0)
	v_mul_f32_e32 v19, v10, v15
	v_fmac_f32_e32 v19, v11, v14
	v_add_f32_e32 v18, v18, v19
	v_mul_f32_e32 v19, v12, v17
	v_fmac_f32_e32 v19, v13, v16
	v_add_f32_e32 v26, v18, v19
	ds_read2_b64 v[18:21], v86 offset0:91 offset1:92
	v_fma_f32 v3, v4, v8, -v3
	v_add_f32_e32 v2, v2, v3
	v_mul_f32_e32 v3, v11, v15
	v_fma_f32 v3, v10, v14, -v3
	s_waitcnt vmcnt(12) lgkmcnt(0)
	v_mul_f32_e32 v27, v18, v23
	v_fmac_f32_e32 v27, v19, v22
	v_add_f32_e32 v26, v26, v27
	v_mul_f32_e32 v27, v20, v25
	v_fmac_f32_e32 v27, v21, v24
	v_add_f32_e32 v34, v26, v27
	ds_read2_b64 v[26:29], v86 offset0:93 offset1:94
	v_add_f32_e32 v2, v2, v3
	v_mul_f32_e32 v3, v13, v17
	v_fma_f32 v3, v12, v16, -v3
	v_add_f32_e32 v2, v2, v3
	s_waitcnt vmcnt(11) lgkmcnt(0)
	v_mul_f32_e32 v35, v26, v31
	v_fmac_f32_e32 v35, v27, v30
	v_add_f32_e32 v34, v34, v35
	v_mul_f32_e32 v35, v28, v33
	v_fmac_f32_e32 v35, v29, v32
	v_add_f32_e32 v42, v34, v35
	ds_read2_b64 v[34:37], v86 offset0:95 offset1:96
	v_mul_f32_e32 v3, v19, v23
	v_fma_f32 v3, v18, v22, -v3
	v_add_f32_e32 v2, v2, v3
	v_mul_f32_e32 v3, v21, v25
	s_waitcnt vmcnt(10) lgkmcnt(0)
	v_mul_f32_e32 v43, v34, v39
	v_fmac_f32_e32 v43, v35, v38
	v_add_f32_e32 v42, v42, v43
	v_mul_f32_e32 v43, v36, v41
	v_fmac_f32_e32 v43, v37, v40
	v_add_f32_e32 v50, v42, v43
	ds_read2_b64 v[42:45], v86 offset0:97 offset1:98
	v_fma_f32 v3, v20, v24, -v3
	v_add_f32_e32 v2, v2, v3
	v_mul_f32_e32 v3, v27, v31
	v_fma_f32 v3, v26, v30, -v3
	s_waitcnt vmcnt(9) lgkmcnt(0)
	v_mul_f32_e32 v51, v42, v47
	v_fmac_f32_e32 v51, v43, v46
	v_add_f32_e32 v50, v50, v51
	v_mul_f32_e32 v51, v44, v49
	v_fmac_f32_e32 v51, v45, v48
	v_add_f32_e32 v58, v50, v51
	ds_read2_b64 v[50:53], v86 offset0:99 offset1:100
	v_add_f32_e32 v2, v2, v3
	v_mul_f32_e32 v3, v29, v33
	v_fma_f32 v3, v28, v32, -v3
	v_add_f32_e32 v2, v2, v3
	s_waitcnt vmcnt(8) lgkmcnt(0)
	v_mul_f32_e32 v59, v50, v55
	v_fmac_f32_e32 v59, v51, v54
	v_add_f32_e32 v58, v58, v59
	v_mul_f32_e32 v59, v52, v57
	v_fmac_f32_e32 v59, v53, v56
	v_add_f32_e32 v66, v58, v59
	ds_read2_b64 v[58:61], v86 offset0:101 offset1:102
	v_mul_f32_e32 v3, v35, v39
	v_fma_f32 v3, v34, v38, -v3
	v_add_f32_e32 v2, v2, v3
	v_mul_f32_e32 v3, v37, v41
	;; [unrolled: 36-line block ×4, first 2 shown]
	s_waitcnt vmcnt(1) lgkmcnt(0)
	v_mul_f32_e32 v116, v108, v113
	v_fmac_f32_e32 v116, v109, v112
	v_add_f32_e32 v137, v87, v116
	ds_read2_b64 v[116:119], v86 offset0:115 offset1:116
	scratch_load_dwordx4 v[124:127], off, off offset:440
	scratch_load_dwordx4 v[128:131], off, off offset:456
	;; [unrolled: 1-line block ×3, first 2 shown]
	scratch_load_dwordx2 v[142:143], off, off offset:488
	v_fma_f32 v3, v68, v72, -v3
	v_add_f32_e32 v2, v2, v3
	v_mul_f32_e32 v3, v75, v79
	v_fma_f32 v3, v74, v78, -v3
	v_add_f32_e32 v2, v2, v3
	v_mul_f32_e32 v3, v77, v81
	;; [unrolled: 3-line block ×10, first 2 shown]
	v_mul_f32_e32 v139, v110, v115
	v_fma_f32 v138, v110, v114, -v2
	s_waitcnt vmcnt(4) lgkmcnt(0)
	v_mul_f32_e32 v2, v117, v121
	v_mov_b32_e32 v18, v123
	v_fmac_f32_e32 v139, v111, v114
	v_mul_f32_e32 v141, v116, v121
	v_fma_f32 v140, v116, v120, -v2
	ds_read2_b64 v[2:5], v86 offset0:117 offset1:118
	ds_read2_b64 v[6:9], v86 offset0:119 offset1:120
	;; [unrolled: 1-line block ×3, first 2 shown]
	ds_read_b64 v[14:15], v86 offset:984
	v_pk_mul_f32 v[18:19], v[118:119], v[18:19] op_sel:[1,0] op_sel_hi:[0,0]
	v_fmac_f32_e32 v141, v117, v120
	v_pk_add_f32 v[16:17], v[136:137], v[138:139]
	v_pk_fma_f32 v[20:21], v[118:119], v[122:123], v[18:19] neg_lo:[0,0,1] neg_hi:[0,0,1]
	v_pk_fma_f32 v[18:19], v[118:119], v[122:123], v[18:19] op_sel_hi:[1,0,1]
	v_pk_add_f32 v[16:17], v[16:17], v[140:141]
	v_mov_b32_e32 v21, v19
	v_pk_add_f32 v[16:17], v[16:17], v[20:21]
	s_waitcnt vmcnt(3) lgkmcnt(3)
	v_pk_mul_f32 v[18:19], v[2:3], v[124:125] op_sel:[1,1] op_sel_hi:[0,1]
	v_pk_fma_f32 v[20:21], v[2:3], v[124:125], v[18:19] neg_lo:[0,0,1] neg_hi:[0,0,1]
	v_pk_fma_f32 v[2:3], v[2:3], v[124:125], v[18:19] op_sel_hi:[1,0,1]
	s_nop 0
	v_mov_b32_e32 v21, v3
	v_pk_add_f32 v[2:3], v[16:17], v[20:21]
	v_mov_b32_e32 v16, v127
	v_pk_mul_f32 v[16:17], v[4:5], v[16:17] op_sel:[1,0] op_sel_hi:[0,0]
	v_pk_fma_f32 v[18:19], v[4:5], v[126:127], v[16:17] neg_lo:[0,0,1] neg_hi:[0,0,1]
	v_pk_fma_f32 v[4:5], v[4:5], v[126:127], v[16:17] op_sel_hi:[1,0,1]
	s_nop 0
	v_mov_b32_e32 v19, v5
	s_waitcnt vmcnt(2) lgkmcnt(2)
	v_pk_mul_f32 v[4:5], v[6:7], v[128:129] op_sel:[1,1] op_sel_hi:[0,1]
	v_pk_fma_f32 v[16:17], v[6:7], v[128:129], v[4:5] neg_lo:[0,0,1] neg_hi:[0,0,1]
	v_pk_fma_f32 v[4:5], v[6:7], v[128:129], v[4:5] op_sel_hi:[1,0,1]
	v_pk_add_f32 v[2:3], v[2:3], v[18:19]
	v_mov_b32_e32 v4, v131
	v_mov_b32_e32 v17, v5
	v_pk_mul_f32 v[4:5], v[8:9], v[4:5] op_sel:[1,0] op_sel_hi:[0,0]
	v_pk_fma_f32 v[6:7], v[8:9], v[130:131], v[4:5] neg_lo:[0,0,1] neg_hi:[0,0,1]
	v_pk_fma_f32 v[4:5], v[8:9], v[130:131], v[4:5] op_sel_hi:[1,0,1]
	v_pk_add_f32 v[2:3], v[2:3], v[16:17]
	v_mov_b32_e32 v7, v5
	s_waitcnt vmcnt(1) lgkmcnt(1)
	v_pk_mul_f32 v[4:5], v[10:11], v[132:133] op_sel:[1,1] op_sel_hi:[0,1]
	v_pk_add_f32 v[2:3], v[2:3], v[6:7]
	v_pk_fma_f32 v[6:7], v[10:11], v[132:133], v[4:5] neg_lo:[0,0,1] neg_hi:[0,0,1]
	v_pk_fma_f32 v[4:5], v[10:11], v[132:133], v[4:5] op_sel_hi:[1,0,1]
	s_nop 0
	v_mov_b32_e32 v4, v135
	v_mov_b32_e32 v7, v5
	v_pk_mul_f32 v[4:5], v[12:13], v[4:5] op_sel:[1,0] op_sel_hi:[0,0]
	v_pk_add_f32 v[2:3], v[2:3], v[6:7]
	v_pk_fma_f32 v[6:7], v[12:13], v[134:135], v[4:5] neg_lo:[0,0,1] neg_hi:[0,0,1]
	v_pk_fma_f32 v[4:5], v[12:13], v[134:135], v[4:5] op_sel_hi:[1,0,1]
	s_nop 0
	v_mov_b32_e32 v7, v5
	s_waitcnt vmcnt(0) lgkmcnt(0)
	v_pk_mul_f32 v[4:5], v[14:15], v[142:143] op_sel:[1,1] op_sel_hi:[0,1]
	v_pk_add_f32 v[2:3], v[2:3], v[6:7]
	v_pk_fma_f32 v[6:7], v[14:15], v[142:143], v[4:5] neg_lo:[0,0,1] neg_hi:[0,0,1]
	v_pk_fma_f32 v[4:5], v[14:15], v[142:143], v[4:5] op_sel_hi:[1,0,1]
	s_nop 0
	v_mov_b32_e32 v7, v5
	scratch_load_dwordx2 v[4:5], off, off offset:192
	v_pk_add_f32 v[2:3], v[2:3], v[6:7]
	s_waitcnt vmcnt(0)
	v_pk_add_f32 v[2:3], v[4:5], v[2:3] neg_lo:[0,1] neg_hi:[0,1]
	scratch_store_dwordx2 off, v[2:3], off offset:192
	s_and_saveexec_b64 s[0:1], vcc
	s_cbranch_execz .LBB125_339
; %bb.338:
	scratch_load_dwordx2 v[2:3], off, off offset:184
	v_mov_b32_e32 v87, v86
	scratch_store_dwordx2 off, v[86:87], off offset:184
	s_waitcnt vmcnt(1)
	ds_write_b64 v1, v[2:3]
.LBB125_339:
	s_or_b64 exec, exec, s[0:1]
	s_waitcnt lgkmcnt(0)
	; wave barrier
	ds_read_b128 v[14:17], v86 offset:688
	ds_read_b128 v[10:13], v86 offset:704
	;; [unrolled: 1-line block ×4, first 2 shown]
	scratch_load_dwordx4 v[18:21], off, off offset:192
	scratch_load_dwordx4 v[38:41], off, off offset:256
	;; [unrolled: 1-line block ×9, first 2 shown]
	v_cmp_lt_u32_e32 vcc, 22, v0
	scratch_load_dwordx4 v[46:49], off, off offset:272
	scratch_load_dwordx4 v[54:57], off, off offset:288
	;; [unrolled: 1-line block ×3, first 2 shown]
	s_waitcnt vmcnt(11) lgkmcnt(3)
	v_mul_f32_e32 v22, v14, v19
	v_fmac_f32_e32 v22, v15, v18
	v_mul_f32_e32 v23, v16, v21
	v_add_f32_e32 v22, 0, v22
	v_fmac_f32_e32 v23, v17, v20
	v_add_f32_e32 v26, v22, v23
	scratch_load_dwordx4 v[22:25], off, off offset:208
	v_mul_f32_e32 v15, v15, v19
	v_fma_f32 v14, v14, v18, -v15
	v_mul_f32_e32 v15, v17, v21
	v_add_f32_e32 v14, 0, v14
	v_fma_f32 v15, v16, v20, -v15
	v_add_f32_e32 v14, v14, v15
	s_waitcnt vmcnt(0) lgkmcnt(2)
	v_mul_f32_e32 v27, v10, v23
	v_fmac_f32_e32 v27, v11, v22
	v_add_f32_e32 v26, v26, v27
	v_mul_f32_e32 v27, v12, v25
	v_fmac_f32_e32 v27, v13, v24
	v_add_f32_e32 v30, v26, v27
	scratch_load_dwordx4 v[26:29], off, off offset:224
	v_mul_f32_e32 v11, v11, v23
	v_fma_f32 v10, v10, v22, -v11
	v_mul_f32_e32 v11, v13, v25
	v_add_f32_e32 v10, v14, v10
	v_fma_f32 v11, v12, v24, -v11
	v_add_f32_e32 v10, v10, v11
	s_waitcnt vmcnt(0) lgkmcnt(1)
	v_mul_f32_e32 v31, v6, v27
	v_fmac_f32_e32 v31, v7, v26
	v_add_f32_e32 v30, v30, v31
	v_mul_f32_e32 v31, v8, v29
	;; [unrolled: 14-line block ×3, first 2 shown]
	v_fmac_f32_e32 v35, v5, v32
	v_add_f32_e32 v42, v34, v35
	ds_read_b128 v[34:37], v86 offset:752
	v_mul_f32_e32 v3, v3, v31
	v_fma_f32 v2, v2, v30, -v3
	v_mul_f32_e32 v3, v5, v33
	v_add_f32_e32 v2, v6, v2
	s_waitcnt lgkmcnt(0)
	v_mul_f32_e32 v43, v34, v39
	v_fmac_f32_e32 v43, v35, v38
	v_add_f32_e32 v42, v42, v43
	v_mul_f32_e32 v43, v36, v41
	v_fmac_f32_e32 v43, v37, v40
	v_add_f32_e32 v50, v42, v43
	ds_read_b128 v[42:45], v86 offset:768
	v_fma_f32 v3, v4, v32, -v3
	v_add_f32_e32 v2, v2, v3
	v_mul_f32_e32 v3, v35, v39
	v_fma_f32 v3, v34, v38, -v3
	s_waitcnt lgkmcnt(0)
	v_mul_f32_e32 v51, v42, v47
	v_fmac_f32_e32 v51, v43, v46
	v_add_f32_e32 v50, v50, v51
	v_mul_f32_e32 v51, v44, v49
	v_fmac_f32_e32 v51, v45, v48
	v_add_f32_e32 v58, v50, v51
	ds_read_b128 v[50:53], v86 offset:784
	v_add_f32_e32 v2, v2, v3
	v_mul_f32_e32 v3, v37, v41
	v_fma_f32 v3, v36, v40, -v3
	v_add_f32_e32 v2, v2, v3
	s_waitcnt lgkmcnt(0)
	v_mul_f32_e32 v59, v50, v55
	v_fmac_f32_e32 v59, v51, v54
	v_add_f32_e32 v58, v58, v59
	v_mul_f32_e32 v59, v52, v57
	v_fmac_f32_e32 v59, v53, v56
	v_add_f32_e32 v66, v58, v59
	ds_read_b128 v[58:61], v86 offset:800
	v_mul_f32_e32 v3, v43, v47
	v_fma_f32 v3, v42, v46, -v3
	v_add_f32_e32 v2, v2, v3
	v_mul_f32_e32 v3, v45, v49
	s_waitcnt lgkmcnt(0)
	v_mul_f32_e32 v67, v58, v63
	v_fmac_f32_e32 v67, v59, v62
	v_add_f32_e32 v66, v66, v67
	v_mul_f32_e32 v67, v60, v65
	v_fmac_f32_e32 v67, v61, v64
	v_add_f32_e32 v74, v66, v67
	ds_read_b128 v[66:69], v86 offset:816
	v_fma_f32 v3, v44, v48, -v3
	v_add_f32_e32 v2, v2, v3
	v_mul_f32_e32 v3, v51, v55
	v_fma_f32 v3, v50, v54, -v3
	s_waitcnt lgkmcnt(0)
	v_mul_f32_e32 v75, v66, v71
	v_fmac_f32_e32 v75, v67, v70
	v_add_f32_e32 v74, v74, v75
	v_mul_f32_e32 v75, v68, v73
	v_fmac_f32_e32 v75, v69, v72
	v_add_f32_e32 v82, v74, v75
	ds_read_b128 v[74:77], v86 offset:832
	v_add_f32_e32 v2, v2, v3
	v_mul_f32_e32 v3, v53, v57
	v_fma_f32 v3, v52, v56, -v3
	v_add_f32_e32 v2, v2, v3
	s_waitcnt lgkmcnt(0)
	v_mul_f32_e32 v83, v74, v79
	v_fmac_f32_e32 v83, v75, v78
	v_add_f32_e32 v82, v82, v83
	v_mul_f32_e32 v83, v76, v81
	v_fmac_f32_e32 v83, v77, v80
	v_add_f32_e32 v87, v82, v83
	ds_read_b128 v[82:85], v86 offset:848
	v_mul_f32_e32 v3, v59, v63
	v_fma_f32 v3, v58, v62, -v3
	v_add_f32_e32 v2, v2, v3
	v_mul_f32_e32 v3, v61, v65
	;; [unrolled: 36-line block ×3, first 2 shown]
	s_waitcnt lgkmcnt(0)
	v_mul_f32_e32 v116, v108, v113
	v_fmac_f32_e32 v116, v109, v112
	v_add_f32_e32 v87, v87, v116
	v_mul_f32_e32 v116, v110, v115
	v_fmac_f32_e32 v116, v111, v114
	v_add_f32_e32 v141, v87, v116
	ds_read_b128 v[116:119], v86 offset:912
	scratch_load_dwordx4 v[124:127], off, off offset:432
	scratch_load_dwordx4 v[128:131], off, off offset:448
	;; [unrolled: 1-line block ×4, first 2 shown]
	v_fma_f32 v3, v76, v80, -v3
	v_add_f32_e32 v2, v2, v3
	v_mul_f32_e32 v3, v83, v89
	v_fma_f32 v3, v82, v88, -v3
	v_add_f32_e32 v2, v2, v3
	v_mul_f32_e32 v3, v85, v91
	v_fma_f32 v3, v84, v90, -v3
	v_add_f32_e32 v2, v2, v3
	v_mul_f32_e32 v3, v93, v97
	v_fma_f32 v3, v92, v96, -v3
	v_add_f32_e32 v2, v2, v3
	v_mul_f32_e32 v3, v95, v99
	v_fma_f32 v3, v94, v98, -v3
	v_add_f32_e32 v2, v2, v3
	v_mul_f32_e32 v3, v101, v105
	v_fma_f32 v3, v100, v104, -v3
	v_add_f32_e32 v2, v2, v3
	v_mul_f32_e32 v3, v103, v107
	v_fma_f32 v3, v102, v106, -v3
	v_add_f32_e32 v2, v2, v3
	v_mul_f32_e32 v3, v109, v113
	v_fma_f32 v3, v108, v112, -v3
	v_add_f32_e32 v2, v2, v3
	v_mul_f32_e32 v3, v111, v115
	v_fma_f32 v3, v110, v114, -v3
	v_add_f32_e32 v140, v2, v3
	s_waitcnt lgkmcnt(0)
	v_mul_f32_e32 v2, v117, v121
	v_fma_f32 v142, v116, v120, -v2
	v_mul_f32_e32 v2, v119, v123
	v_fma_f32 v144, v118, v122, -v2
	ds_read_b128 v[2:5], v86 offset:928
	ds_read_b128 v[6:9], v86 offset:944
	;; [unrolled: 1-line block ×4, first 2 shown]
	v_mul_f32_e32 v143, v116, v121
	v_fmac_f32_e32 v143, v117, v120
	v_mul_f32_e32 v145, v118, v123
	v_fmac_f32_e32 v145, v119, v122
	v_pk_add_f32 v[18:19], v[140:141], v[142:143]
	s_waitcnt vmcnt(3) lgkmcnt(3)
	v_pk_mul_f32 v[20:21], v[2:3], v[124:125] op_sel:[1,1] op_sel_hi:[0,1]
	v_pk_fma_f32 v[22:23], v[2:3], v[124:125], v[20:21] neg_lo:[0,0,1] neg_hi:[0,0,1]
	v_pk_fma_f32 v[2:3], v[2:3], v[124:125], v[20:21] op_sel_hi:[1,0,1]
	v_pk_add_f32 v[18:19], v[18:19], v[144:145]
	v_mov_b32_e32 v23, v3
	v_pk_add_f32 v[2:3], v[18:19], v[22:23]
	v_mov_b32_e32 v18, v127
	v_pk_mul_f32 v[18:19], v[4:5], v[18:19] op_sel:[1,0] op_sel_hi:[0,0]
	v_pk_fma_f32 v[20:21], v[4:5], v[126:127], v[18:19] neg_lo:[0,0,1] neg_hi:[0,0,1]
	v_pk_fma_f32 v[4:5], v[4:5], v[126:127], v[18:19] op_sel_hi:[1,0,1]
	s_nop 0
	v_mov_b32_e32 v21, v5
	s_waitcnt vmcnt(2) lgkmcnt(2)
	v_pk_mul_f32 v[4:5], v[6:7], v[128:129] op_sel:[1,1] op_sel_hi:[0,1]
	v_pk_fma_f32 v[18:19], v[6:7], v[128:129], v[4:5] neg_lo:[0,0,1] neg_hi:[0,0,1]
	v_pk_fma_f32 v[4:5], v[6:7], v[128:129], v[4:5] op_sel_hi:[1,0,1]
	v_pk_add_f32 v[2:3], v[2:3], v[20:21]
	v_mov_b32_e32 v4, v131
	v_mov_b32_e32 v19, v5
	v_pk_mul_f32 v[4:5], v[8:9], v[4:5] op_sel:[1,0] op_sel_hi:[0,0]
	v_pk_fma_f32 v[6:7], v[8:9], v[130:131], v[4:5] neg_lo:[0,0,1] neg_hi:[0,0,1]
	v_pk_fma_f32 v[4:5], v[8:9], v[130:131], v[4:5] op_sel_hi:[1,0,1]
	v_pk_add_f32 v[2:3], v[2:3], v[18:19]
	v_mov_b32_e32 v7, v5
	s_waitcnt vmcnt(1) lgkmcnt(1)
	v_pk_mul_f32 v[4:5], v[10:11], v[132:133] op_sel:[1,1] op_sel_hi:[0,1]
	v_pk_add_f32 v[2:3], v[2:3], v[6:7]
	v_pk_fma_f32 v[6:7], v[10:11], v[132:133], v[4:5] neg_lo:[0,0,1] neg_hi:[0,0,1]
	v_pk_fma_f32 v[4:5], v[10:11], v[132:133], v[4:5] op_sel_hi:[1,0,1]
	s_nop 0
	v_mov_b32_e32 v4, v135
	v_mov_b32_e32 v7, v5
	v_pk_mul_f32 v[4:5], v[12:13], v[4:5] op_sel:[1,0] op_sel_hi:[0,0]
	v_pk_add_f32 v[2:3], v[2:3], v[6:7]
	v_pk_fma_f32 v[6:7], v[12:13], v[134:135], v[4:5] neg_lo:[0,0,1] neg_hi:[0,0,1]
	v_pk_fma_f32 v[4:5], v[12:13], v[134:135], v[4:5] op_sel_hi:[1,0,1]
	s_nop 0
	v_mov_b32_e32 v7, v5
	s_waitcnt vmcnt(0) lgkmcnt(0)
	v_pk_mul_f32 v[4:5], v[14:15], v[136:137] op_sel:[1,1] op_sel_hi:[0,1]
	v_pk_add_f32 v[2:3], v[2:3], v[6:7]
	v_pk_fma_f32 v[6:7], v[14:15], v[136:137], v[4:5] neg_lo:[0,0,1] neg_hi:[0,0,1]
	v_pk_fma_f32 v[4:5], v[14:15], v[136:137], v[4:5] op_sel_hi:[1,0,1]
	s_nop 0
	v_mov_b32_e32 v4, v139
	v_mov_b32_e32 v7, v5
	v_pk_mul_f32 v[4:5], v[16:17], v[4:5] op_sel:[1,0] op_sel_hi:[0,0]
	v_pk_add_f32 v[2:3], v[2:3], v[6:7]
	v_pk_fma_f32 v[6:7], v[16:17], v[138:139], v[4:5] neg_lo:[0,0,1] neg_hi:[0,0,1]
	v_pk_fma_f32 v[4:5], v[16:17], v[138:139], v[4:5] op_sel_hi:[1,0,1]
	s_nop 0
	v_mov_b32_e32 v7, v5
	scratch_load_dwordx2 v[4:5], off, off offset:184
	v_pk_add_f32 v[2:3], v[2:3], v[6:7]
	s_waitcnt vmcnt(0)
	v_pk_add_f32 v[2:3], v[4:5], v[2:3] neg_lo:[0,1] neg_hi:[0,1]
	scratch_store_dwordx2 off, v[2:3], off offset:184
	s_and_saveexec_b64 s[0:1], vcc
	s_cbranch_execz .LBB125_341
; %bb.340:
	scratch_load_dwordx2 v[2:3], off, off offset:176
	v_mov_b32_e32 v4, 0
	v_mov_b32_e32 v5, v4
	scratch_store_dwordx2 off, v[4:5], off offset:176
	s_waitcnt vmcnt(1)
	ds_write_b64 v1, v[2:3]
.LBB125_341:
	s_or_b64 exec, exec, s[0:1]
	s_waitcnt lgkmcnt(0)
	; wave barrier
	scratch_load_dwordx4 v[6:9], off, off offset:184
	scratch_load_dwordx4 v[14:17], off, off offset:200
	scratch_load_dwordx4 v[22:25], off, off offset:216
	scratch_load_dwordx4 v[30:33], off, off offset:232
	scratch_load_dwordx4 v[38:41], off, off offset:248
	scratch_load_dwordx4 v[46:49], off, off offset:264
	scratch_load_dwordx4 v[54:57], off, off offset:280
	scratch_load_dwordx4 v[62:65], off, off offset:296
	scratch_load_dwordx4 v[70:73], off, off offset:312
	scratch_load_dwordx4 v[78:81], off, off offset:328
	v_mov_b32_e32 v94, 0
	ds_read2_b64 v[2:5], v94 offset0:85 offset1:86
	scratch_load_dwordx4 v[86:89], off, off offset:344
	scratch_load_dwordx4 v[96:99], off, off offset:360
	;; [unrolled: 1-line block ×6, first 2 shown]
	v_cmp_lt_u32_e32 vcc, 21, v0
	s_waitcnt vmcnt(15) lgkmcnt(0)
	v_mul_f32_e32 v10, v2, v7
	v_fmac_f32_e32 v10, v3, v6
	v_mul_f32_e32 v11, v4, v9
	v_add_f32_e32 v10, 0, v10
	v_fmac_f32_e32 v11, v5, v8
	v_add_f32_e32 v18, v10, v11
	ds_read2_b64 v[10:13], v94 offset0:87 offset1:88
	v_mul_f32_e32 v3, v3, v7
	v_fma_f32 v2, v2, v6, -v3
	v_mul_f32_e32 v3, v5, v9
	v_add_f32_e32 v2, 0, v2
	s_waitcnt vmcnt(14) lgkmcnt(0)
	v_mul_f32_e32 v19, v10, v15
	v_fmac_f32_e32 v19, v11, v14
	v_add_f32_e32 v18, v18, v19
	v_mul_f32_e32 v19, v12, v17
	v_fmac_f32_e32 v19, v13, v16
	v_add_f32_e32 v26, v18, v19
	ds_read2_b64 v[18:21], v94 offset0:89 offset1:90
	v_fma_f32 v3, v4, v8, -v3
	v_add_f32_e32 v2, v2, v3
	v_mul_f32_e32 v3, v11, v15
	v_fma_f32 v3, v10, v14, -v3
	s_waitcnt vmcnt(13) lgkmcnt(0)
	v_mul_f32_e32 v27, v18, v23
	v_fmac_f32_e32 v27, v19, v22
	v_add_f32_e32 v26, v26, v27
	v_mul_f32_e32 v27, v20, v25
	v_fmac_f32_e32 v27, v21, v24
	v_add_f32_e32 v34, v26, v27
	ds_read2_b64 v[26:29], v94 offset0:91 offset1:92
	v_add_f32_e32 v2, v2, v3
	v_mul_f32_e32 v3, v13, v17
	v_fma_f32 v3, v12, v16, -v3
	v_add_f32_e32 v2, v2, v3
	s_waitcnt vmcnt(12) lgkmcnt(0)
	v_mul_f32_e32 v35, v26, v31
	v_fmac_f32_e32 v35, v27, v30
	v_add_f32_e32 v34, v34, v35
	v_mul_f32_e32 v35, v28, v33
	v_fmac_f32_e32 v35, v29, v32
	v_add_f32_e32 v42, v34, v35
	ds_read2_b64 v[34:37], v94 offset0:93 offset1:94
	v_mul_f32_e32 v3, v19, v23
	v_fma_f32 v3, v18, v22, -v3
	v_add_f32_e32 v2, v2, v3
	v_mul_f32_e32 v3, v21, v25
	s_waitcnt vmcnt(11) lgkmcnt(0)
	v_mul_f32_e32 v43, v34, v39
	v_fmac_f32_e32 v43, v35, v38
	v_add_f32_e32 v42, v42, v43
	v_mul_f32_e32 v43, v36, v41
	v_fmac_f32_e32 v43, v37, v40
	v_add_f32_e32 v50, v42, v43
	ds_read2_b64 v[42:45], v94 offset0:95 offset1:96
	v_fma_f32 v3, v20, v24, -v3
	v_add_f32_e32 v2, v2, v3
	v_mul_f32_e32 v3, v27, v31
	v_fma_f32 v3, v26, v30, -v3
	s_waitcnt vmcnt(10) lgkmcnt(0)
	v_mul_f32_e32 v51, v42, v47
	v_fmac_f32_e32 v51, v43, v46
	v_add_f32_e32 v50, v50, v51
	v_mul_f32_e32 v51, v44, v49
	v_fmac_f32_e32 v51, v45, v48
	v_add_f32_e32 v58, v50, v51
	ds_read2_b64 v[50:53], v94 offset0:97 offset1:98
	v_add_f32_e32 v2, v2, v3
	v_mul_f32_e32 v3, v29, v33
	v_fma_f32 v3, v28, v32, -v3
	v_add_f32_e32 v2, v2, v3
	s_waitcnt vmcnt(9) lgkmcnt(0)
	v_mul_f32_e32 v59, v50, v55
	v_fmac_f32_e32 v59, v51, v54
	v_add_f32_e32 v58, v58, v59
	v_mul_f32_e32 v59, v52, v57
	v_fmac_f32_e32 v59, v53, v56
	v_add_f32_e32 v66, v58, v59
	ds_read2_b64 v[58:61], v94 offset0:99 offset1:100
	v_mul_f32_e32 v3, v35, v39
	v_fma_f32 v3, v34, v38, -v3
	v_add_f32_e32 v2, v2, v3
	v_mul_f32_e32 v3, v37, v41
	;; [unrolled: 36-line block ×4, first 2 shown]
	s_waitcnt vmcnt(2) lgkmcnt(0)
	v_mul_f32_e32 v116, v108, v113
	v_fmac_f32_e32 v116, v109, v112
	v_add_f32_e32 v95, v95, v116
	v_mul_f32_e32 v116, v110, v115
	v_fmac_f32_e32 v116, v111, v114
	v_add_f32_e32 v95, v95, v116
	ds_read2_b64 v[116:119], v94 offset0:113 offset1:114
	v_fma_f32 v3, v68, v72, -v3
	v_add_f32_e32 v2, v2, v3
	v_mul_f32_e32 v3, v75, v79
	v_fma_f32 v3, v74, v78, -v3
	s_waitcnt vmcnt(1) lgkmcnt(0)
	v_mul_f32_e32 v124, v116, v121
	v_fmac_f32_e32 v124, v117, v120
	v_add_f32_e32 v145, v95, v124
	ds_read2_b64 v[124:127], v94 offset0:115 offset1:116
	scratch_load_dwordx4 v[132:135], off, off offset:440
	scratch_load_dwordx4 v[136:139], off, off offset:456
	;; [unrolled: 1-line block ×3, first 2 shown]
	scratch_load_dwordx2 v[170:171], off, off offset:488
	v_add_f32_e32 v2, v2, v3
	v_mul_f32_e32 v3, v77, v81
	v_fma_f32 v3, v76, v80, -v3
	v_add_f32_e32 v2, v2, v3
	v_mul_f32_e32 v3, v83, v87
	v_fma_f32 v3, v82, v86, -v3
	;; [unrolled: 3-line block ×10, first 2 shown]
	v_add_f32_e32 v144, v2, v3
	v_mul_f32_e32 v2, v119, v123
	v_mul_f32_e32 v147, v118, v123
	v_fma_f32 v146, v118, v122, -v2
	s_waitcnt vmcnt(4) lgkmcnt(0)
	v_mul_f32_e32 v2, v125, v129
	v_mov_b32_e32 v18, v131
	v_fmac_f32_e32 v147, v119, v122
	v_mul_f32_e32 v149, v124, v129
	v_fma_f32 v148, v124, v128, -v2
	ds_read2_b64 v[2:5], v94 offset0:117 offset1:118
	ds_read2_b64 v[6:9], v94 offset0:119 offset1:120
	;; [unrolled: 1-line block ×3, first 2 shown]
	ds_read_b64 v[14:15], v94 offset:984
	v_pk_mul_f32 v[18:19], v[126:127], v[18:19] op_sel:[1,0] op_sel_hi:[0,0]
	v_fmac_f32_e32 v149, v125, v128
	v_pk_add_f32 v[16:17], v[144:145], v[146:147]
	v_pk_fma_f32 v[20:21], v[126:127], v[130:131], v[18:19] neg_lo:[0,0,1] neg_hi:[0,0,1]
	v_pk_fma_f32 v[18:19], v[126:127], v[130:131], v[18:19] op_sel_hi:[1,0,1]
	v_pk_add_f32 v[16:17], v[16:17], v[148:149]
	v_mov_b32_e32 v21, v19
	v_pk_add_f32 v[16:17], v[16:17], v[20:21]
	s_waitcnt vmcnt(3) lgkmcnt(3)
	v_pk_mul_f32 v[18:19], v[2:3], v[132:133] op_sel:[1,1] op_sel_hi:[0,1]
	v_pk_fma_f32 v[20:21], v[2:3], v[132:133], v[18:19] neg_lo:[0,0,1] neg_hi:[0,0,1]
	v_pk_fma_f32 v[2:3], v[2:3], v[132:133], v[18:19] op_sel_hi:[1,0,1]
	s_nop 0
	v_mov_b32_e32 v21, v3
	v_pk_add_f32 v[2:3], v[16:17], v[20:21]
	v_mov_b32_e32 v16, v135
	v_pk_mul_f32 v[16:17], v[4:5], v[16:17] op_sel:[1,0] op_sel_hi:[0,0]
	v_pk_fma_f32 v[18:19], v[4:5], v[134:135], v[16:17] neg_lo:[0,0,1] neg_hi:[0,0,1]
	v_pk_fma_f32 v[4:5], v[4:5], v[134:135], v[16:17] op_sel_hi:[1,0,1]
	s_nop 0
	v_mov_b32_e32 v19, v5
	s_waitcnt vmcnt(2) lgkmcnt(2)
	v_pk_mul_f32 v[4:5], v[6:7], v[136:137] op_sel:[1,1] op_sel_hi:[0,1]
	v_pk_fma_f32 v[16:17], v[6:7], v[136:137], v[4:5] neg_lo:[0,0,1] neg_hi:[0,0,1]
	v_pk_fma_f32 v[4:5], v[6:7], v[136:137], v[4:5] op_sel_hi:[1,0,1]
	v_pk_add_f32 v[2:3], v[2:3], v[18:19]
	v_mov_b32_e32 v4, v139
	v_mov_b32_e32 v17, v5
	v_pk_mul_f32 v[4:5], v[8:9], v[4:5] op_sel:[1,0] op_sel_hi:[0,0]
	v_pk_fma_f32 v[6:7], v[8:9], v[138:139], v[4:5] neg_lo:[0,0,1] neg_hi:[0,0,1]
	v_pk_fma_f32 v[4:5], v[8:9], v[138:139], v[4:5] op_sel_hi:[1,0,1]
	v_pk_add_f32 v[2:3], v[2:3], v[16:17]
	v_mov_b32_e32 v7, v5
	s_waitcnt vmcnt(1) lgkmcnt(1)
	v_pk_mul_f32 v[4:5], v[10:11], v[140:141] op_sel:[1,1] op_sel_hi:[0,1]
	v_pk_add_f32 v[2:3], v[2:3], v[6:7]
	v_pk_fma_f32 v[6:7], v[10:11], v[140:141], v[4:5] neg_lo:[0,0,1] neg_hi:[0,0,1]
	v_pk_fma_f32 v[4:5], v[10:11], v[140:141], v[4:5] op_sel_hi:[1,0,1]
	s_nop 0
	v_mov_b32_e32 v4, v143
	v_mov_b32_e32 v7, v5
	v_pk_mul_f32 v[4:5], v[12:13], v[4:5] op_sel:[1,0] op_sel_hi:[0,0]
	v_pk_add_f32 v[2:3], v[2:3], v[6:7]
	v_pk_fma_f32 v[6:7], v[12:13], v[142:143], v[4:5] neg_lo:[0,0,1] neg_hi:[0,0,1]
	v_pk_fma_f32 v[4:5], v[12:13], v[142:143], v[4:5] op_sel_hi:[1,0,1]
	s_nop 0
	v_mov_b32_e32 v7, v5
	s_waitcnt vmcnt(0) lgkmcnt(0)
	v_pk_mul_f32 v[4:5], v[14:15], v[170:171] op_sel:[1,1] op_sel_hi:[0,1]
	v_pk_add_f32 v[2:3], v[2:3], v[6:7]
	v_pk_fma_f32 v[6:7], v[14:15], v[170:171], v[4:5] neg_lo:[0,0,1] neg_hi:[0,0,1]
	v_pk_fma_f32 v[4:5], v[14:15], v[170:171], v[4:5] op_sel_hi:[1,0,1]
	s_nop 0
	v_mov_b32_e32 v7, v5
	scratch_load_dwordx2 v[4:5], off, off offset:176
	v_pk_add_f32 v[2:3], v[2:3], v[6:7]
	s_waitcnt vmcnt(0)
	v_pk_add_f32 v[2:3], v[4:5], v[2:3] neg_lo:[0,1] neg_hi:[0,1]
	scratch_store_dwordx2 off, v[2:3], off offset:176
	s_and_saveexec_b64 s[0:1], vcc
	s_cbranch_execz .LBB125_343
; %bb.342:
	scratch_load_dwordx2 v[2:3], off, off offset:168
	v_mov_b32_e32 v95, v94
	scratch_store_dwordx2 off, v[94:95], off offset:168
	s_waitcnt vmcnt(1)
	ds_write_b64 v1, v[2:3]
.LBB125_343:
	s_or_b64 exec, exec, s[0:1]
	s_waitcnt lgkmcnt(0)
	; wave barrier
	ds_read_b128 v[14:17], v94 offset:672
	ds_read_b128 v[10:13], v94 offset:688
	;; [unrolled: 1-line block ×4, first 2 shown]
	scratch_load_dwordx4 v[18:21], off, off offset:176
	scratch_load_dwordx4 v[38:41], off, off offset:240
	;; [unrolled: 1-line block ×10, first 2 shown]
	v_cmp_lt_u32_e32 vcc, 20, v0
	scratch_load_dwordx4 v[46:49], off, off offset:256
	scratch_load_dwordx4 v[54:57], off, off offset:272
	;; [unrolled: 1-line block ×3, first 2 shown]
	s_waitcnt vmcnt(12) lgkmcnt(3)
	v_mul_f32_e32 v22, v14, v19
	v_fmac_f32_e32 v22, v15, v18
	v_mul_f32_e32 v23, v16, v21
	v_add_f32_e32 v22, 0, v22
	v_fmac_f32_e32 v23, v17, v20
	v_add_f32_e32 v26, v22, v23
	scratch_load_dwordx4 v[22:25], off, off offset:192
	v_mul_f32_e32 v15, v15, v19
	v_fma_f32 v14, v14, v18, -v15
	v_mul_f32_e32 v15, v17, v21
	v_add_f32_e32 v14, 0, v14
	v_fma_f32 v15, v16, v20, -v15
	v_add_f32_e32 v14, v14, v15
	s_waitcnt vmcnt(0) lgkmcnt(2)
	v_mul_f32_e32 v27, v10, v23
	v_fmac_f32_e32 v27, v11, v22
	v_add_f32_e32 v26, v26, v27
	v_mul_f32_e32 v27, v12, v25
	v_fmac_f32_e32 v27, v13, v24
	v_add_f32_e32 v30, v26, v27
	scratch_load_dwordx4 v[26:29], off, off offset:208
	v_mul_f32_e32 v11, v11, v23
	v_fma_f32 v10, v10, v22, -v11
	v_mul_f32_e32 v11, v13, v25
	v_add_f32_e32 v10, v14, v10
	v_fma_f32 v11, v12, v24, -v11
	v_add_f32_e32 v10, v10, v11
	s_waitcnt vmcnt(0) lgkmcnt(1)
	v_mul_f32_e32 v31, v6, v27
	v_fmac_f32_e32 v31, v7, v26
	v_add_f32_e32 v30, v30, v31
	v_mul_f32_e32 v31, v8, v29
	;; [unrolled: 14-line block ×3, first 2 shown]
	v_fmac_f32_e32 v35, v5, v32
	v_add_f32_e32 v42, v34, v35
	ds_read_b128 v[34:37], v94 offset:736
	v_mul_f32_e32 v3, v3, v31
	v_fma_f32 v2, v2, v30, -v3
	v_mul_f32_e32 v3, v5, v33
	v_add_f32_e32 v2, v6, v2
	s_waitcnt lgkmcnt(0)
	v_mul_f32_e32 v43, v34, v39
	v_fmac_f32_e32 v43, v35, v38
	v_add_f32_e32 v42, v42, v43
	v_mul_f32_e32 v43, v36, v41
	v_fmac_f32_e32 v43, v37, v40
	v_add_f32_e32 v50, v42, v43
	ds_read_b128 v[42:45], v94 offset:752
	v_fma_f32 v3, v4, v32, -v3
	v_add_f32_e32 v2, v2, v3
	v_mul_f32_e32 v3, v35, v39
	v_fma_f32 v3, v34, v38, -v3
	s_waitcnt lgkmcnt(0)
	v_mul_f32_e32 v51, v42, v47
	v_fmac_f32_e32 v51, v43, v46
	v_add_f32_e32 v50, v50, v51
	v_mul_f32_e32 v51, v44, v49
	v_fmac_f32_e32 v51, v45, v48
	v_add_f32_e32 v58, v50, v51
	ds_read_b128 v[50:53], v94 offset:768
	v_add_f32_e32 v2, v2, v3
	v_mul_f32_e32 v3, v37, v41
	v_fma_f32 v3, v36, v40, -v3
	v_add_f32_e32 v2, v2, v3
	s_waitcnt lgkmcnt(0)
	v_mul_f32_e32 v59, v50, v55
	v_fmac_f32_e32 v59, v51, v54
	v_add_f32_e32 v58, v58, v59
	v_mul_f32_e32 v59, v52, v57
	v_fmac_f32_e32 v59, v53, v56
	v_add_f32_e32 v66, v58, v59
	ds_read_b128 v[58:61], v94 offset:784
	v_mul_f32_e32 v3, v43, v47
	v_fma_f32 v3, v42, v46, -v3
	v_add_f32_e32 v2, v2, v3
	v_mul_f32_e32 v3, v45, v49
	s_waitcnt lgkmcnt(0)
	v_mul_f32_e32 v67, v58, v63
	v_fmac_f32_e32 v67, v59, v62
	v_add_f32_e32 v66, v66, v67
	v_mul_f32_e32 v67, v60, v65
	v_fmac_f32_e32 v67, v61, v64
	v_add_f32_e32 v74, v66, v67
	ds_read_b128 v[66:69], v94 offset:800
	v_fma_f32 v3, v44, v48, -v3
	v_add_f32_e32 v2, v2, v3
	v_mul_f32_e32 v3, v51, v55
	v_fma_f32 v3, v50, v54, -v3
	s_waitcnt lgkmcnt(0)
	v_mul_f32_e32 v75, v66, v71
	v_fmac_f32_e32 v75, v67, v70
	v_add_f32_e32 v74, v74, v75
	v_mul_f32_e32 v75, v68, v73
	v_fmac_f32_e32 v75, v69, v72
	v_add_f32_e32 v82, v74, v75
	ds_read_b128 v[74:77], v94 offset:816
	v_add_f32_e32 v2, v2, v3
	v_mul_f32_e32 v3, v53, v57
	v_fma_f32 v3, v52, v56, -v3
	v_add_f32_e32 v2, v2, v3
	s_waitcnt lgkmcnt(0)
	v_mul_f32_e32 v83, v74, v79
	v_fmac_f32_e32 v83, v75, v78
	v_add_f32_e32 v82, v82, v83
	v_mul_f32_e32 v83, v76, v81
	v_fmac_f32_e32 v83, v77, v80
	v_add_f32_e32 v90, v82, v83
	ds_read_b128 v[82:85], v94 offset:832
	v_mul_f32_e32 v3, v59, v63
	v_fma_f32 v3, v58, v62, -v3
	v_add_f32_e32 v2, v2, v3
	v_mul_f32_e32 v3, v61, v65
	;; [unrolled: 36-line block ×3, first 2 shown]
	s_waitcnt lgkmcnt(0)
	v_mul_f32_e32 v116, v108, v113
	v_fmac_f32_e32 v116, v109, v112
	v_add_f32_e32 v95, v95, v116
	v_mul_f32_e32 v116, v110, v115
	v_fmac_f32_e32 v116, v111, v114
	v_add_f32_e32 v95, v95, v116
	ds_read_b128 v[116:119], v94 offset:896
	v_fma_f32 v3, v76, v80, -v3
	v_add_f32_e32 v2, v2, v3
	v_mul_f32_e32 v3, v83, v87
	v_fma_f32 v3, v82, v86, -v3
	s_waitcnt lgkmcnt(0)
	v_mul_f32_e32 v124, v116, v121
	v_fmac_f32_e32 v124, v117, v120
	v_add_f32_e32 v95, v95, v124
	v_mul_f32_e32 v124, v118, v123
	v_fmac_f32_e32 v124, v119, v122
	v_add_f32_e32 v149, v95, v124
	ds_read_b128 v[124:127], v94 offset:912
	scratch_load_dwordx4 v[132:135], off, off offset:432
	scratch_load_dwordx4 v[136:139], off, off offset:448
	;; [unrolled: 1-line block ×4, first 2 shown]
	v_add_f32_e32 v2, v2, v3
	v_mul_f32_e32 v3, v85, v89
	v_fma_f32 v3, v84, v88, -v3
	v_add_f32_e32 v2, v2, v3
	v_mul_f32_e32 v3, v91, v97
	v_fma_f32 v3, v90, v96, -v3
	;; [unrolled: 3-line block ×9, first 2 shown]
	v_add_f32_e32 v148, v2, v3
	s_waitcnt lgkmcnt(0)
	v_mul_f32_e32 v2, v125, v129
	v_fma_f32 v170, v124, v128, -v2
	v_mul_f32_e32 v2, v127, v131
	v_fma_f32 v172, v126, v130, -v2
	ds_read_b128 v[2:5], v94 offset:928
	ds_read_b128 v[6:9], v94 offset:944
	;; [unrolled: 1-line block ×4, first 2 shown]
	v_mul_f32_e32 v171, v124, v129
	v_fmac_f32_e32 v171, v125, v128
	v_mul_f32_e32 v173, v126, v131
	v_fmac_f32_e32 v173, v127, v130
	v_pk_add_f32 v[18:19], v[148:149], v[170:171]
	s_waitcnt vmcnt(3) lgkmcnt(3)
	v_pk_mul_f32 v[20:21], v[2:3], v[132:133] op_sel:[1,1] op_sel_hi:[0,1]
	v_pk_fma_f32 v[22:23], v[2:3], v[132:133], v[20:21] neg_lo:[0,0,1] neg_hi:[0,0,1]
	v_pk_fma_f32 v[2:3], v[2:3], v[132:133], v[20:21] op_sel_hi:[1,0,1]
	v_pk_add_f32 v[18:19], v[18:19], v[172:173]
	v_mov_b32_e32 v23, v3
	v_pk_add_f32 v[2:3], v[18:19], v[22:23]
	v_mov_b32_e32 v18, v135
	v_pk_mul_f32 v[18:19], v[4:5], v[18:19] op_sel:[1,0] op_sel_hi:[0,0]
	v_pk_fma_f32 v[20:21], v[4:5], v[134:135], v[18:19] neg_lo:[0,0,1] neg_hi:[0,0,1]
	v_pk_fma_f32 v[4:5], v[4:5], v[134:135], v[18:19] op_sel_hi:[1,0,1]
	s_nop 0
	v_mov_b32_e32 v21, v5
	s_waitcnt vmcnt(2) lgkmcnt(2)
	v_pk_mul_f32 v[4:5], v[6:7], v[136:137] op_sel:[1,1] op_sel_hi:[0,1]
	v_pk_fma_f32 v[18:19], v[6:7], v[136:137], v[4:5] neg_lo:[0,0,1] neg_hi:[0,0,1]
	v_pk_fma_f32 v[4:5], v[6:7], v[136:137], v[4:5] op_sel_hi:[1,0,1]
	v_pk_add_f32 v[2:3], v[2:3], v[20:21]
	v_mov_b32_e32 v4, v139
	v_mov_b32_e32 v19, v5
	v_pk_mul_f32 v[4:5], v[8:9], v[4:5] op_sel:[1,0] op_sel_hi:[0,0]
	v_pk_fma_f32 v[6:7], v[8:9], v[138:139], v[4:5] neg_lo:[0,0,1] neg_hi:[0,0,1]
	v_pk_fma_f32 v[4:5], v[8:9], v[138:139], v[4:5] op_sel_hi:[1,0,1]
	v_pk_add_f32 v[2:3], v[2:3], v[18:19]
	v_mov_b32_e32 v7, v5
	s_waitcnt vmcnt(1) lgkmcnt(1)
	v_pk_mul_f32 v[4:5], v[10:11], v[140:141] op_sel:[1,1] op_sel_hi:[0,1]
	v_pk_add_f32 v[2:3], v[2:3], v[6:7]
	v_pk_fma_f32 v[6:7], v[10:11], v[140:141], v[4:5] neg_lo:[0,0,1] neg_hi:[0,0,1]
	v_pk_fma_f32 v[4:5], v[10:11], v[140:141], v[4:5] op_sel_hi:[1,0,1]
	s_nop 0
	v_mov_b32_e32 v4, v143
	v_mov_b32_e32 v7, v5
	v_pk_mul_f32 v[4:5], v[12:13], v[4:5] op_sel:[1,0] op_sel_hi:[0,0]
	v_pk_add_f32 v[2:3], v[2:3], v[6:7]
	v_pk_fma_f32 v[6:7], v[12:13], v[142:143], v[4:5] neg_lo:[0,0,1] neg_hi:[0,0,1]
	v_pk_fma_f32 v[4:5], v[12:13], v[142:143], v[4:5] op_sel_hi:[1,0,1]
	s_nop 0
	v_mov_b32_e32 v7, v5
	s_waitcnt vmcnt(0) lgkmcnt(0)
	v_pk_mul_f32 v[4:5], v[14:15], v[144:145] op_sel:[1,1] op_sel_hi:[0,1]
	v_pk_add_f32 v[2:3], v[2:3], v[6:7]
	v_pk_fma_f32 v[6:7], v[14:15], v[144:145], v[4:5] neg_lo:[0,0,1] neg_hi:[0,0,1]
	v_pk_fma_f32 v[4:5], v[14:15], v[144:145], v[4:5] op_sel_hi:[1,0,1]
	s_nop 0
	v_mov_b32_e32 v4, v147
	v_mov_b32_e32 v7, v5
	v_pk_mul_f32 v[4:5], v[16:17], v[4:5] op_sel:[1,0] op_sel_hi:[0,0]
	v_pk_add_f32 v[2:3], v[2:3], v[6:7]
	v_pk_fma_f32 v[6:7], v[16:17], v[146:147], v[4:5] neg_lo:[0,0,1] neg_hi:[0,0,1]
	v_pk_fma_f32 v[4:5], v[16:17], v[146:147], v[4:5] op_sel_hi:[1,0,1]
	s_nop 0
	v_mov_b32_e32 v7, v5
	scratch_load_dwordx2 v[4:5], off, off offset:168
	v_pk_add_f32 v[2:3], v[2:3], v[6:7]
	s_waitcnt vmcnt(0)
	v_pk_add_f32 v[2:3], v[4:5], v[2:3] neg_lo:[0,1] neg_hi:[0,1]
	scratch_store_dwordx2 off, v[2:3], off offset:168
	s_and_saveexec_b64 s[0:1], vcc
	s_cbranch_execz .LBB125_345
; %bb.344:
	scratch_load_dwordx2 v[2:3], off, off offset:160
	v_mov_b32_e32 v4, 0
	v_mov_b32_e32 v5, v4
	scratch_store_dwordx2 off, v[4:5], off offset:160
	s_waitcnt vmcnt(1)
	ds_write_b64 v1, v[2:3]
.LBB125_345:
	s_or_b64 exec, exec, s[0:1]
	s_waitcnt lgkmcnt(0)
	; wave barrier
	scratch_load_dwordx4 v[6:9], off, off offset:168
	scratch_load_dwordx4 v[14:17], off, off offset:184
	;; [unrolled: 1-line block ×10, first 2 shown]
	v_mov_b32_e32 v102, 0
	ds_read2_b64 v[2:5], v102 offset0:83 offset1:84
	scratch_load_dwordx4 v[86:89], off, off offset:328
	scratch_load_dwordx4 v[94:97], off, off offset:344
	;; [unrolled: 1-line block ×7, first 2 shown]
	v_cmp_lt_u32_e32 vcc, 19, v0
	s_waitcnt vmcnt(16) lgkmcnt(0)
	v_mul_f32_e32 v10, v2, v7
	v_fmac_f32_e32 v10, v3, v6
	v_mul_f32_e32 v11, v4, v9
	v_add_f32_e32 v10, 0, v10
	v_fmac_f32_e32 v11, v5, v8
	v_add_f32_e32 v18, v10, v11
	ds_read2_b64 v[10:13], v102 offset0:85 offset1:86
	v_mul_f32_e32 v3, v3, v7
	v_fma_f32 v2, v2, v6, -v3
	v_mul_f32_e32 v3, v5, v9
	v_add_f32_e32 v2, 0, v2
	s_waitcnt vmcnt(15) lgkmcnt(0)
	v_mul_f32_e32 v19, v10, v15
	v_fmac_f32_e32 v19, v11, v14
	v_add_f32_e32 v18, v18, v19
	v_mul_f32_e32 v19, v12, v17
	v_fmac_f32_e32 v19, v13, v16
	v_add_f32_e32 v26, v18, v19
	ds_read2_b64 v[18:21], v102 offset0:87 offset1:88
	v_fma_f32 v3, v4, v8, -v3
	v_add_f32_e32 v2, v2, v3
	v_mul_f32_e32 v3, v11, v15
	v_fma_f32 v3, v10, v14, -v3
	s_waitcnt vmcnt(14) lgkmcnt(0)
	v_mul_f32_e32 v27, v18, v23
	v_fmac_f32_e32 v27, v19, v22
	v_add_f32_e32 v26, v26, v27
	v_mul_f32_e32 v27, v20, v25
	v_fmac_f32_e32 v27, v21, v24
	v_add_f32_e32 v34, v26, v27
	ds_read2_b64 v[26:29], v102 offset0:89 offset1:90
	v_add_f32_e32 v2, v2, v3
	v_mul_f32_e32 v3, v13, v17
	v_fma_f32 v3, v12, v16, -v3
	v_add_f32_e32 v2, v2, v3
	s_waitcnt vmcnt(13) lgkmcnt(0)
	v_mul_f32_e32 v35, v26, v31
	v_fmac_f32_e32 v35, v27, v30
	v_add_f32_e32 v34, v34, v35
	v_mul_f32_e32 v35, v28, v33
	v_fmac_f32_e32 v35, v29, v32
	v_add_f32_e32 v42, v34, v35
	ds_read2_b64 v[34:37], v102 offset0:91 offset1:92
	v_mul_f32_e32 v3, v19, v23
	v_fma_f32 v3, v18, v22, -v3
	v_add_f32_e32 v2, v2, v3
	v_mul_f32_e32 v3, v21, v25
	s_waitcnt vmcnt(12) lgkmcnt(0)
	v_mul_f32_e32 v43, v34, v39
	v_fmac_f32_e32 v43, v35, v38
	v_add_f32_e32 v42, v42, v43
	v_mul_f32_e32 v43, v36, v41
	v_fmac_f32_e32 v43, v37, v40
	v_add_f32_e32 v50, v42, v43
	ds_read2_b64 v[42:45], v102 offset0:93 offset1:94
	v_fma_f32 v3, v20, v24, -v3
	v_add_f32_e32 v2, v2, v3
	v_mul_f32_e32 v3, v27, v31
	v_fma_f32 v3, v26, v30, -v3
	s_waitcnt vmcnt(11) lgkmcnt(0)
	v_mul_f32_e32 v51, v42, v47
	v_fmac_f32_e32 v51, v43, v46
	v_add_f32_e32 v50, v50, v51
	v_mul_f32_e32 v51, v44, v49
	v_fmac_f32_e32 v51, v45, v48
	v_add_f32_e32 v58, v50, v51
	ds_read2_b64 v[50:53], v102 offset0:95 offset1:96
	v_add_f32_e32 v2, v2, v3
	v_mul_f32_e32 v3, v29, v33
	v_fma_f32 v3, v28, v32, -v3
	v_add_f32_e32 v2, v2, v3
	s_waitcnt vmcnt(10) lgkmcnt(0)
	v_mul_f32_e32 v59, v50, v55
	v_fmac_f32_e32 v59, v51, v54
	v_add_f32_e32 v58, v58, v59
	v_mul_f32_e32 v59, v52, v57
	v_fmac_f32_e32 v59, v53, v56
	v_add_f32_e32 v66, v58, v59
	ds_read2_b64 v[58:61], v102 offset0:97 offset1:98
	v_mul_f32_e32 v3, v35, v39
	v_fma_f32 v3, v34, v38, -v3
	v_add_f32_e32 v2, v2, v3
	v_mul_f32_e32 v3, v37, v41
	;; [unrolled: 36-line block ×4, first 2 shown]
	s_waitcnt vmcnt(3) lgkmcnt(0)
	v_mul_f32_e32 v116, v108, v113
	v_fmac_f32_e32 v116, v109, v112
	v_add_f32_e32 v103, v103, v116
	v_mul_f32_e32 v116, v110, v115
	v_fmac_f32_e32 v116, v111, v114
	v_add_f32_e32 v103, v103, v116
	ds_read2_b64 v[116:119], v102 offset0:111 offset1:112
	v_fma_f32 v3, v68, v72, -v3
	v_add_f32_e32 v2, v2, v3
	v_mul_f32_e32 v3, v75, v79
	v_fma_f32 v3, v74, v78, -v3
	s_waitcnt vmcnt(2) lgkmcnt(0)
	v_mul_f32_e32 v124, v116, v121
	v_fmac_f32_e32 v124, v117, v120
	v_add_f32_e32 v103, v103, v124
	v_mul_f32_e32 v124, v118, v123
	v_fmac_f32_e32 v124, v119, v122
	v_add_f32_e32 v103, v103, v124
	ds_read2_b64 v[124:127], v102 offset0:113 offset1:114
	v_add_f32_e32 v2, v2, v3
	v_mul_f32_e32 v3, v77, v81
	v_fma_f32 v3, v76, v80, -v3
	v_add_f32_e32 v2, v2, v3
	s_waitcnt vmcnt(1) lgkmcnt(0)
	v_mul_f32_e32 v132, v124, v129
	v_fmac_f32_e32 v132, v125, v128
	v_add_f32_e32 v149, v103, v132
	ds_read2_b64 v[132:135], v102 offset0:115 offset1:116
	scratch_load_dwordx4 v[140:143], off, off offset:440
	scratch_load_dwordx4 v[144:147], off, off offset:456
	;; [unrolled: 1-line block ×3, first 2 shown]
	scratch_load_dwordx2 v[178:179], off, off offset:488
	v_mul_f32_e32 v3, v83, v87
	v_fma_f32 v3, v82, v86, -v3
	v_add_f32_e32 v2, v2, v3
	v_mul_f32_e32 v3, v85, v89
	v_fma_f32 v3, v84, v88, -v3
	v_add_f32_e32 v2, v2, v3
	;; [unrolled: 3-line block ×11, first 2 shown]
	v_mul_f32_e32 v2, v127, v131
	v_mul_f32_e32 v175, v126, v131
	v_fma_f32 v174, v126, v130, -v2
	s_waitcnt vmcnt(4) lgkmcnt(0)
	v_mul_f32_e32 v2, v133, v137
	v_mov_b32_e32 v18, v139
	v_fmac_f32_e32 v175, v127, v130
	v_mul_f32_e32 v177, v132, v137
	v_fma_f32 v176, v132, v136, -v2
	ds_read2_b64 v[2:5], v102 offset0:117 offset1:118
	ds_read2_b64 v[6:9], v102 offset0:119 offset1:120
	;; [unrolled: 1-line block ×3, first 2 shown]
	ds_read_b64 v[14:15], v102 offset:984
	v_pk_mul_f32 v[18:19], v[134:135], v[18:19] op_sel:[1,0] op_sel_hi:[0,0]
	v_fmac_f32_e32 v177, v133, v136
	v_pk_add_f32 v[16:17], v[148:149], v[174:175]
	v_pk_fma_f32 v[20:21], v[134:135], v[138:139], v[18:19] neg_lo:[0,0,1] neg_hi:[0,0,1]
	v_pk_fma_f32 v[18:19], v[134:135], v[138:139], v[18:19] op_sel_hi:[1,0,1]
	v_pk_add_f32 v[16:17], v[16:17], v[176:177]
	v_mov_b32_e32 v21, v19
	v_pk_add_f32 v[16:17], v[16:17], v[20:21]
	s_waitcnt vmcnt(3) lgkmcnt(3)
	v_pk_mul_f32 v[18:19], v[2:3], v[140:141] op_sel:[1,1] op_sel_hi:[0,1]
	v_pk_fma_f32 v[20:21], v[2:3], v[140:141], v[18:19] neg_lo:[0,0,1] neg_hi:[0,0,1]
	v_pk_fma_f32 v[2:3], v[2:3], v[140:141], v[18:19] op_sel_hi:[1,0,1]
	s_nop 0
	v_mov_b32_e32 v21, v3
	v_pk_add_f32 v[2:3], v[16:17], v[20:21]
	v_mov_b32_e32 v16, v143
	v_pk_mul_f32 v[16:17], v[4:5], v[16:17] op_sel:[1,0] op_sel_hi:[0,0]
	v_pk_fma_f32 v[18:19], v[4:5], v[142:143], v[16:17] neg_lo:[0,0,1] neg_hi:[0,0,1]
	v_pk_fma_f32 v[4:5], v[4:5], v[142:143], v[16:17] op_sel_hi:[1,0,1]
	s_nop 0
	v_mov_b32_e32 v19, v5
	s_waitcnt vmcnt(2) lgkmcnt(2)
	v_pk_mul_f32 v[4:5], v[6:7], v[144:145] op_sel:[1,1] op_sel_hi:[0,1]
	v_pk_fma_f32 v[16:17], v[6:7], v[144:145], v[4:5] neg_lo:[0,0,1] neg_hi:[0,0,1]
	v_pk_fma_f32 v[4:5], v[6:7], v[144:145], v[4:5] op_sel_hi:[1,0,1]
	v_pk_add_f32 v[2:3], v[2:3], v[18:19]
	v_mov_b32_e32 v4, v147
	v_mov_b32_e32 v17, v5
	v_pk_mul_f32 v[4:5], v[8:9], v[4:5] op_sel:[1,0] op_sel_hi:[0,0]
	v_pk_fma_f32 v[6:7], v[8:9], v[146:147], v[4:5] neg_lo:[0,0,1] neg_hi:[0,0,1]
	v_pk_fma_f32 v[4:5], v[8:9], v[146:147], v[4:5] op_sel_hi:[1,0,1]
	v_pk_add_f32 v[2:3], v[2:3], v[16:17]
	v_mov_b32_e32 v7, v5
	s_waitcnt vmcnt(1) lgkmcnt(1)
	v_pk_mul_f32 v[4:5], v[10:11], v[170:171] op_sel:[1,1] op_sel_hi:[0,1]
	v_pk_add_f32 v[2:3], v[2:3], v[6:7]
	v_pk_fma_f32 v[6:7], v[10:11], v[170:171], v[4:5] neg_lo:[0,0,1] neg_hi:[0,0,1]
	v_pk_fma_f32 v[4:5], v[10:11], v[170:171], v[4:5] op_sel_hi:[1,0,1]
	s_nop 0
	v_mov_b32_e32 v4, v173
	v_mov_b32_e32 v7, v5
	v_pk_mul_f32 v[4:5], v[12:13], v[4:5] op_sel:[1,0] op_sel_hi:[0,0]
	v_pk_add_f32 v[2:3], v[2:3], v[6:7]
	v_pk_fma_f32 v[6:7], v[12:13], v[172:173], v[4:5] neg_lo:[0,0,1] neg_hi:[0,0,1]
	v_pk_fma_f32 v[4:5], v[12:13], v[172:173], v[4:5] op_sel_hi:[1,0,1]
	s_nop 0
	v_mov_b32_e32 v7, v5
	s_waitcnt vmcnt(0) lgkmcnt(0)
	v_pk_mul_f32 v[4:5], v[14:15], v[178:179] op_sel:[1,1] op_sel_hi:[0,1]
	v_pk_add_f32 v[2:3], v[2:3], v[6:7]
	v_pk_fma_f32 v[6:7], v[14:15], v[178:179], v[4:5] neg_lo:[0,0,1] neg_hi:[0,0,1]
	v_pk_fma_f32 v[4:5], v[14:15], v[178:179], v[4:5] op_sel_hi:[1,0,1]
	s_nop 0
	v_mov_b32_e32 v7, v5
	scratch_load_dwordx2 v[4:5], off, off offset:160
	v_pk_add_f32 v[2:3], v[2:3], v[6:7]
	s_waitcnt vmcnt(0)
	v_pk_add_f32 v[2:3], v[4:5], v[2:3] neg_lo:[0,1] neg_hi:[0,1]
	scratch_store_dwordx2 off, v[2:3], off offset:160
	s_and_saveexec_b64 s[0:1], vcc
	s_cbranch_execz .LBB125_347
; %bb.346:
	scratch_load_dwordx2 v[2:3], off, off offset:152
	v_mov_b32_e32 v103, v102
	scratch_store_dwordx2 off, v[102:103], off offset:152
	s_waitcnt vmcnt(1)
	ds_write_b64 v1, v[2:3]
.LBB125_347:
	s_or_b64 exec, exec, s[0:1]
	s_waitcnt lgkmcnt(0)
	; wave barrier
	ds_read_b128 v[14:17], v102 offset:656
	ds_read_b128 v[10:13], v102 offset:672
	;; [unrolled: 1-line block ×4, first 2 shown]
	scratch_load_dwordx4 v[18:21], off, off offset:160
	scratch_load_dwordx4 v[38:41], off, off offset:224
	scratch_load_dwordx4 v[70:73], off, off offset:288
	scratch_load_dwordx4 v[78:81], off, off offset:304
	scratch_load_dwordx4 v[86:89], off, off offset:320
	scratch_load_dwordx4 v[94:97], off, off offset:336
	scratch_load_dwordx4 v[104:107], off, off offset:352
	scratch_load_dwordx4 v[112:115], off, off offset:368
	scratch_load_dwordx4 v[120:123], off, off offset:384
	scratch_load_dwordx4 v[128:131], off, off offset:400
	scratch_load_dwordx4 v[136:139], off, off offset:416
	v_cmp_lt_u32_e32 vcc, 18, v0
	scratch_load_dwordx4 v[46:49], off, off offset:240
	scratch_load_dwordx4 v[54:57], off, off offset:256
	;; [unrolled: 1-line block ×3, first 2 shown]
	s_waitcnt vmcnt(13) lgkmcnt(3)
	v_mul_f32_e32 v22, v14, v19
	v_fmac_f32_e32 v22, v15, v18
	v_mul_f32_e32 v23, v16, v21
	v_add_f32_e32 v22, 0, v22
	v_fmac_f32_e32 v23, v17, v20
	v_add_f32_e32 v26, v22, v23
	scratch_load_dwordx4 v[22:25], off, off offset:176
	v_mul_f32_e32 v15, v15, v19
	v_fma_f32 v14, v14, v18, -v15
	v_mul_f32_e32 v15, v17, v21
	v_add_f32_e32 v14, 0, v14
	v_fma_f32 v15, v16, v20, -v15
	v_add_f32_e32 v14, v14, v15
	s_waitcnt vmcnt(0) lgkmcnt(2)
	v_mul_f32_e32 v27, v10, v23
	v_fmac_f32_e32 v27, v11, v22
	v_add_f32_e32 v26, v26, v27
	v_mul_f32_e32 v27, v12, v25
	v_fmac_f32_e32 v27, v13, v24
	v_add_f32_e32 v30, v26, v27
	scratch_load_dwordx4 v[26:29], off, off offset:192
	v_mul_f32_e32 v11, v11, v23
	v_fma_f32 v10, v10, v22, -v11
	v_mul_f32_e32 v11, v13, v25
	v_add_f32_e32 v10, v14, v10
	v_fma_f32 v11, v12, v24, -v11
	v_add_f32_e32 v10, v10, v11
	s_waitcnt vmcnt(0) lgkmcnt(1)
	v_mul_f32_e32 v31, v6, v27
	v_fmac_f32_e32 v31, v7, v26
	v_add_f32_e32 v30, v30, v31
	v_mul_f32_e32 v31, v8, v29
	;; [unrolled: 14-line block ×3, first 2 shown]
	v_fmac_f32_e32 v35, v5, v32
	v_add_f32_e32 v42, v34, v35
	ds_read_b128 v[34:37], v102 offset:720
	v_mul_f32_e32 v3, v3, v31
	v_fma_f32 v2, v2, v30, -v3
	v_mul_f32_e32 v3, v5, v33
	v_add_f32_e32 v2, v6, v2
	s_waitcnt lgkmcnt(0)
	v_mul_f32_e32 v43, v34, v39
	v_fmac_f32_e32 v43, v35, v38
	v_add_f32_e32 v42, v42, v43
	v_mul_f32_e32 v43, v36, v41
	v_fmac_f32_e32 v43, v37, v40
	v_add_f32_e32 v50, v42, v43
	ds_read_b128 v[42:45], v102 offset:736
	v_fma_f32 v3, v4, v32, -v3
	v_add_f32_e32 v2, v2, v3
	v_mul_f32_e32 v3, v35, v39
	v_fma_f32 v3, v34, v38, -v3
	s_waitcnt lgkmcnt(0)
	v_mul_f32_e32 v51, v42, v47
	v_fmac_f32_e32 v51, v43, v46
	v_add_f32_e32 v50, v50, v51
	v_mul_f32_e32 v51, v44, v49
	v_fmac_f32_e32 v51, v45, v48
	v_add_f32_e32 v58, v50, v51
	ds_read_b128 v[50:53], v102 offset:752
	v_add_f32_e32 v2, v2, v3
	v_mul_f32_e32 v3, v37, v41
	v_fma_f32 v3, v36, v40, -v3
	v_add_f32_e32 v2, v2, v3
	s_waitcnt lgkmcnt(0)
	v_mul_f32_e32 v59, v50, v55
	v_fmac_f32_e32 v59, v51, v54
	v_add_f32_e32 v58, v58, v59
	v_mul_f32_e32 v59, v52, v57
	v_fmac_f32_e32 v59, v53, v56
	v_add_f32_e32 v66, v58, v59
	ds_read_b128 v[58:61], v102 offset:768
	v_mul_f32_e32 v3, v43, v47
	v_fma_f32 v3, v42, v46, -v3
	v_add_f32_e32 v2, v2, v3
	v_mul_f32_e32 v3, v45, v49
	s_waitcnt lgkmcnt(0)
	v_mul_f32_e32 v67, v58, v63
	v_fmac_f32_e32 v67, v59, v62
	v_add_f32_e32 v66, v66, v67
	v_mul_f32_e32 v67, v60, v65
	v_fmac_f32_e32 v67, v61, v64
	v_add_f32_e32 v74, v66, v67
	ds_read_b128 v[66:69], v102 offset:784
	v_fma_f32 v3, v44, v48, -v3
	v_add_f32_e32 v2, v2, v3
	v_mul_f32_e32 v3, v51, v55
	v_fma_f32 v3, v50, v54, -v3
	s_waitcnt lgkmcnt(0)
	v_mul_f32_e32 v75, v66, v71
	v_fmac_f32_e32 v75, v67, v70
	v_add_f32_e32 v74, v74, v75
	v_mul_f32_e32 v75, v68, v73
	v_fmac_f32_e32 v75, v69, v72
	v_add_f32_e32 v82, v74, v75
	ds_read_b128 v[74:77], v102 offset:800
	v_add_f32_e32 v2, v2, v3
	v_mul_f32_e32 v3, v53, v57
	v_fma_f32 v3, v52, v56, -v3
	v_add_f32_e32 v2, v2, v3
	s_waitcnt lgkmcnt(0)
	v_mul_f32_e32 v83, v74, v79
	v_fmac_f32_e32 v83, v75, v78
	v_add_f32_e32 v82, v82, v83
	v_mul_f32_e32 v83, v76, v81
	v_fmac_f32_e32 v83, v77, v80
	v_add_f32_e32 v90, v82, v83
	ds_read_b128 v[82:85], v102 offset:816
	v_mul_f32_e32 v3, v59, v63
	v_fma_f32 v3, v58, v62, -v3
	v_add_f32_e32 v2, v2, v3
	v_mul_f32_e32 v3, v61, v65
	;; [unrolled: 36-line block ×3, first 2 shown]
	s_waitcnt lgkmcnt(0)
	v_mul_f32_e32 v116, v108, v113
	v_fmac_f32_e32 v116, v109, v112
	v_add_f32_e32 v103, v103, v116
	v_mul_f32_e32 v116, v110, v115
	v_fmac_f32_e32 v116, v111, v114
	v_add_f32_e32 v103, v103, v116
	ds_read_b128 v[116:119], v102 offset:880
	v_fma_f32 v3, v76, v80, -v3
	v_add_f32_e32 v2, v2, v3
	v_mul_f32_e32 v3, v83, v87
	v_fma_f32 v3, v82, v86, -v3
	s_waitcnt lgkmcnt(0)
	v_mul_f32_e32 v124, v116, v121
	v_fmac_f32_e32 v124, v117, v120
	v_add_f32_e32 v103, v103, v124
	v_mul_f32_e32 v124, v118, v123
	v_fmac_f32_e32 v124, v119, v122
	v_add_f32_e32 v103, v103, v124
	ds_read_b128 v[124:127], v102 offset:896
	v_add_f32_e32 v2, v2, v3
	v_mul_f32_e32 v3, v85, v89
	v_fma_f32 v3, v84, v88, -v3
	v_add_f32_e32 v2, v2, v3
	s_waitcnt lgkmcnt(0)
	v_mul_f32_e32 v132, v124, v129
	v_fmac_f32_e32 v132, v125, v128
	v_add_f32_e32 v103, v103, v132
	v_mul_f32_e32 v132, v126, v131
	v_fmac_f32_e32 v132, v127, v130
	v_add_f32_e32 v149, v103, v132
	ds_read_b128 v[132:135], v102 offset:912
	scratch_load_dwordx4 v[140:143], off, off offset:432
	scratch_load_dwordx4 v[144:147], off, off offset:448
	;; [unrolled: 1-line block ×4, first 2 shown]
	v_mul_f32_e32 v3, v91, v95
	v_fma_f32 v3, v90, v94, -v3
	v_add_f32_e32 v2, v2, v3
	v_mul_f32_e32 v3, v93, v97
	v_fma_f32 v3, v92, v96, -v3
	v_add_f32_e32 v2, v2, v3
	;; [unrolled: 3-line block ×10, first 2 shown]
	s_waitcnt lgkmcnt(0)
	v_mul_f32_e32 v2, v133, v137
	v_fma_f32 v178, v132, v136, -v2
	v_mul_f32_e32 v2, v135, v139
	v_fma_f32 v180, v134, v138, -v2
	ds_read_b128 v[2:5], v102 offset:928
	ds_read_b128 v[6:9], v102 offset:944
	;; [unrolled: 1-line block ×4, first 2 shown]
	v_mul_f32_e32 v179, v132, v137
	v_fmac_f32_e32 v179, v133, v136
	v_mul_f32_e32 v181, v134, v139
	v_fmac_f32_e32 v181, v135, v138
	v_pk_add_f32 v[18:19], v[148:149], v[178:179]
	s_waitcnt vmcnt(3) lgkmcnt(3)
	v_pk_mul_f32 v[20:21], v[2:3], v[140:141] op_sel:[1,1] op_sel_hi:[0,1]
	v_pk_fma_f32 v[22:23], v[2:3], v[140:141], v[20:21] neg_lo:[0,0,1] neg_hi:[0,0,1]
	v_pk_fma_f32 v[2:3], v[2:3], v[140:141], v[20:21] op_sel_hi:[1,0,1]
	v_pk_add_f32 v[18:19], v[18:19], v[180:181]
	v_mov_b32_e32 v23, v3
	v_pk_add_f32 v[2:3], v[18:19], v[22:23]
	v_mov_b32_e32 v18, v143
	v_pk_mul_f32 v[18:19], v[4:5], v[18:19] op_sel:[1,0] op_sel_hi:[0,0]
	v_pk_fma_f32 v[20:21], v[4:5], v[142:143], v[18:19] neg_lo:[0,0,1] neg_hi:[0,0,1]
	v_pk_fma_f32 v[4:5], v[4:5], v[142:143], v[18:19] op_sel_hi:[1,0,1]
	s_nop 0
	v_mov_b32_e32 v21, v5
	s_waitcnt vmcnt(2) lgkmcnt(2)
	v_pk_mul_f32 v[4:5], v[6:7], v[144:145] op_sel:[1,1] op_sel_hi:[0,1]
	v_pk_fma_f32 v[18:19], v[6:7], v[144:145], v[4:5] neg_lo:[0,0,1] neg_hi:[0,0,1]
	v_pk_fma_f32 v[4:5], v[6:7], v[144:145], v[4:5] op_sel_hi:[1,0,1]
	v_pk_add_f32 v[2:3], v[2:3], v[20:21]
	v_mov_b32_e32 v4, v147
	v_mov_b32_e32 v19, v5
	v_pk_mul_f32 v[4:5], v[8:9], v[4:5] op_sel:[1,0] op_sel_hi:[0,0]
	v_pk_fma_f32 v[6:7], v[8:9], v[146:147], v[4:5] neg_lo:[0,0,1] neg_hi:[0,0,1]
	v_pk_fma_f32 v[4:5], v[8:9], v[146:147], v[4:5] op_sel_hi:[1,0,1]
	v_pk_add_f32 v[2:3], v[2:3], v[18:19]
	v_mov_b32_e32 v7, v5
	s_waitcnt vmcnt(1) lgkmcnt(1)
	v_pk_mul_f32 v[4:5], v[10:11], v[170:171] op_sel:[1,1] op_sel_hi:[0,1]
	v_pk_add_f32 v[2:3], v[2:3], v[6:7]
	v_pk_fma_f32 v[6:7], v[10:11], v[170:171], v[4:5] neg_lo:[0,0,1] neg_hi:[0,0,1]
	v_pk_fma_f32 v[4:5], v[10:11], v[170:171], v[4:5] op_sel_hi:[1,0,1]
	s_nop 0
	v_mov_b32_e32 v4, v173
	v_mov_b32_e32 v7, v5
	v_pk_mul_f32 v[4:5], v[12:13], v[4:5] op_sel:[1,0] op_sel_hi:[0,0]
	v_pk_add_f32 v[2:3], v[2:3], v[6:7]
	v_pk_fma_f32 v[6:7], v[12:13], v[172:173], v[4:5] neg_lo:[0,0,1] neg_hi:[0,0,1]
	v_pk_fma_f32 v[4:5], v[12:13], v[172:173], v[4:5] op_sel_hi:[1,0,1]
	s_nop 0
	v_mov_b32_e32 v7, v5
	s_waitcnt vmcnt(0) lgkmcnt(0)
	v_pk_mul_f32 v[4:5], v[14:15], v[174:175] op_sel:[1,1] op_sel_hi:[0,1]
	v_pk_add_f32 v[2:3], v[2:3], v[6:7]
	v_pk_fma_f32 v[6:7], v[14:15], v[174:175], v[4:5] neg_lo:[0,0,1] neg_hi:[0,0,1]
	v_pk_fma_f32 v[4:5], v[14:15], v[174:175], v[4:5] op_sel_hi:[1,0,1]
	s_nop 0
	v_mov_b32_e32 v4, v177
	v_mov_b32_e32 v7, v5
	v_pk_mul_f32 v[4:5], v[16:17], v[4:5] op_sel:[1,0] op_sel_hi:[0,0]
	v_pk_add_f32 v[2:3], v[2:3], v[6:7]
	v_pk_fma_f32 v[6:7], v[16:17], v[176:177], v[4:5] neg_lo:[0,0,1] neg_hi:[0,0,1]
	v_pk_fma_f32 v[4:5], v[16:17], v[176:177], v[4:5] op_sel_hi:[1,0,1]
	s_nop 0
	v_mov_b32_e32 v7, v5
	scratch_load_dwordx2 v[4:5], off, off offset:152
	v_pk_add_f32 v[2:3], v[2:3], v[6:7]
	s_waitcnt vmcnt(0)
	v_pk_add_f32 v[2:3], v[4:5], v[2:3] neg_lo:[0,1] neg_hi:[0,1]
	scratch_store_dwordx2 off, v[2:3], off offset:152
	s_and_saveexec_b64 s[0:1], vcc
	s_cbranch_execz .LBB125_349
; %bb.348:
	scratch_load_dwordx2 v[2:3], off, off offset:144
	v_mov_b32_e32 v4, 0
	v_mov_b32_e32 v5, v4
	scratch_store_dwordx2 off, v[4:5], off offset:144
	s_waitcnt vmcnt(1)
	ds_write_b64 v1, v[2:3]
.LBB125_349:
	s_or_b64 exec, exec, s[0:1]
	s_waitcnt lgkmcnt(0)
	; wave barrier
	scratch_load_dwordx4 v[6:9], off, off offset:152
	scratch_load_dwordx4 v[14:17], off, off offset:168
	;; [unrolled: 1-line block ×10, first 2 shown]
	v_mov_b32_e32 v102, 0
	ds_read2_b64 v[2:5], v102 offset0:81 offset1:82
	scratch_load_dwordx4 v[86:89], off, off offset:312
	scratch_load_dwordx4 v[94:97], off, off offset:328
	;; [unrolled: 1-line block ×8, first 2 shown]
	v_cmp_lt_u32_e32 vcc, 17, v0
	s_waitcnt vmcnt(17) lgkmcnt(0)
	v_mul_f32_e32 v10, v2, v7
	v_fmac_f32_e32 v10, v3, v6
	v_mul_f32_e32 v11, v4, v9
	v_add_f32_e32 v10, 0, v10
	v_fmac_f32_e32 v11, v5, v8
	v_add_f32_e32 v18, v10, v11
	ds_read2_b64 v[10:13], v102 offset0:83 offset1:84
	v_mul_f32_e32 v3, v3, v7
	v_fma_f32 v2, v2, v6, -v3
	v_mul_f32_e32 v3, v5, v9
	v_add_f32_e32 v2, 0, v2
	s_waitcnt vmcnt(16) lgkmcnt(0)
	v_mul_f32_e32 v19, v10, v15
	v_fmac_f32_e32 v19, v11, v14
	v_add_f32_e32 v18, v18, v19
	v_mul_f32_e32 v19, v12, v17
	v_fmac_f32_e32 v19, v13, v16
	v_add_f32_e32 v26, v18, v19
	ds_read2_b64 v[18:21], v102 offset0:85 offset1:86
	v_fma_f32 v3, v4, v8, -v3
	v_add_f32_e32 v2, v2, v3
	v_mul_f32_e32 v3, v11, v15
	v_fma_f32 v3, v10, v14, -v3
	s_waitcnt vmcnt(15) lgkmcnt(0)
	v_mul_f32_e32 v27, v18, v23
	v_fmac_f32_e32 v27, v19, v22
	v_add_f32_e32 v26, v26, v27
	v_mul_f32_e32 v27, v20, v25
	v_fmac_f32_e32 v27, v21, v24
	v_add_f32_e32 v34, v26, v27
	ds_read2_b64 v[26:29], v102 offset0:87 offset1:88
	v_add_f32_e32 v2, v2, v3
	v_mul_f32_e32 v3, v13, v17
	v_fma_f32 v3, v12, v16, -v3
	v_add_f32_e32 v2, v2, v3
	s_waitcnt vmcnt(14) lgkmcnt(0)
	v_mul_f32_e32 v35, v26, v31
	v_fmac_f32_e32 v35, v27, v30
	v_add_f32_e32 v34, v34, v35
	v_mul_f32_e32 v35, v28, v33
	v_fmac_f32_e32 v35, v29, v32
	v_add_f32_e32 v42, v34, v35
	ds_read2_b64 v[34:37], v102 offset0:89 offset1:90
	v_mul_f32_e32 v3, v19, v23
	v_fma_f32 v3, v18, v22, -v3
	v_add_f32_e32 v2, v2, v3
	v_mul_f32_e32 v3, v21, v25
	s_waitcnt vmcnt(13) lgkmcnt(0)
	v_mul_f32_e32 v43, v34, v39
	v_fmac_f32_e32 v43, v35, v38
	v_add_f32_e32 v42, v42, v43
	v_mul_f32_e32 v43, v36, v41
	v_fmac_f32_e32 v43, v37, v40
	v_add_f32_e32 v50, v42, v43
	ds_read2_b64 v[42:45], v102 offset0:91 offset1:92
	v_fma_f32 v3, v20, v24, -v3
	v_add_f32_e32 v2, v2, v3
	v_mul_f32_e32 v3, v27, v31
	v_fma_f32 v3, v26, v30, -v3
	s_waitcnt vmcnt(12) lgkmcnt(0)
	v_mul_f32_e32 v51, v42, v47
	v_fmac_f32_e32 v51, v43, v46
	v_add_f32_e32 v50, v50, v51
	v_mul_f32_e32 v51, v44, v49
	v_fmac_f32_e32 v51, v45, v48
	v_add_f32_e32 v58, v50, v51
	ds_read2_b64 v[50:53], v102 offset0:93 offset1:94
	v_add_f32_e32 v2, v2, v3
	v_mul_f32_e32 v3, v29, v33
	v_fma_f32 v3, v28, v32, -v3
	v_add_f32_e32 v2, v2, v3
	s_waitcnt vmcnt(11) lgkmcnt(0)
	v_mul_f32_e32 v59, v50, v55
	v_fmac_f32_e32 v59, v51, v54
	v_add_f32_e32 v58, v58, v59
	v_mul_f32_e32 v59, v52, v57
	v_fmac_f32_e32 v59, v53, v56
	v_add_f32_e32 v66, v58, v59
	ds_read2_b64 v[58:61], v102 offset0:95 offset1:96
	v_mul_f32_e32 v3, v35, v39
	v_fma_f32 v3, v34, v38, -v3
	v_add_f32_e32 v2, v2, v3
	v_mul_f32_e32 v3, v37, v41
	;; [unrolled: 36-line block ×5, first 2 shown]
	s_waitcnt vmcnt(1) lgkmcnt(0)
	v_mul_f32_e32 v140, v132, v137
	v_fmac_f32_e32 v140, v133, v136
	v_add_f32_e32 v149, v103, v140
	ds_read2_b64 v[140:143], v102 offset0:115 offset1:116
	scratch_load_dwordx4 v[170:173], off, off offset:440
	scratch_load_dwordx4 v[174:177], off, off offset:456
	;; [unrolled: 1-line block ×3, first 2 shown]
	scratch_load_dwordx2 v[186:187], off, off offset:488
	v_fma_f32 v3, v84, v88, -v3
	v_add_f32_e32 v2, v2, v3
	v_mul_f32_e32 v3, v91, v95
	v_fma_f32 v3, v90, v94, -v3
	v_add_f32_e32 v2, v2, v3
	v_mul_f32_e32 v3, v93, v97
	;; [unrolled: 3-line block ×12, first 2 shown]
	v_mul_f32_e32 v183, v134, v139
	v_fma_f32 v182, v134, v138, -v2
	s_waitcnt vmcnt(4) lgkmcnt(0)
	v_mul_f32_e32 v2, v141, v145
	v_mov_b32_e32 v18, v147
	v_fmac_f32_e32 v183, v135, v138
	v_mul_f32_e32 v185, v140, v145
	v_fma_f32 v184, v140, v144, -v2
	ds_read2_b64 v[2:5], v102 offset0:117 offset1:118
	ds_read2_b64 v[6:9], v102 offset0:119 offset1:120
	;; [unrolled: 1-line block ×3, first 2 shown]
	ds_read_b64 v[14:15], v102 offset:984
	v_pk_mul_f32 v[18:19], v[142:143], v[18:19] op_sel:[1,0] op_sel_hi:[0,0]
	v_fmac_f32_e32 v185, v141, v144
	v_pk_add_f32 v[16:17], v[148:149], v[182:183]
	v_pk_fma_f32 v[20:21], v[142:143], v[146:147], v[18:19] neg_lo:[0,0,1] neg_hi:[0,0,1]
	v_pk_fma_f32 v[18:19], v[142:143], v[146:147], v[18:19] op_sel_hi:[1,0,1]
	v_pk_add_f32 v[16:17], v[16:17], v[184:185]
	v_mov_b32_e32 v21, v19
	v_pk_add_f32 v[16:17], v[16:17], v[20:21]
	s_waitcnt vmcnt(3) lgkmcnt(3)
	v_pk_mul_f32 v[18:19], v[2:3], v[170:171] op_sel:[1,1] op_sel_hi:[0,1]
	v_pk_fma_f32 v[20:21], v[2:3], v[170:171], v[18:19] neg_lo:[0,0,1] neg_hi:[0,0,1]
	v_pk_fma_f32 v[2:3], v[2:3], v[170:171], v[18:19] op_sel_hi:[1,0,1]
	s_nop 0
	v_mov_b32_e32 v21, v3
	v_pk_add_f32 v[2:3], v[16:17], v[20:21]
	v_mov_b32_e32 v16, v173
	v_pk_mul_f32 v[16:17], v[4:5], v[16:17] op_sel:[1,0] op_sel_hi:[0,0]
	v_pk_fma_f32 v[18:19], v[4:5], v[172:173], v[16:17] neg_lo:[0,0,1] neg_hi:[0,0,1]
	v_pk_fma_f32 v[4:5], v[4:5], v[172:173], v[16:17] op_sel_hi:[1,0,1]
	s_nop 0
	v_mov_b32_e32 v19, v5
	s_waitcnt vmcnt(2) lgkmcnt(2)
	v_pk_mul_f32 v[4:5], v[6:7], v[174:175] op_sel:[1,1] op_sel_hi:[0,1]
	v_pk_fma_f32 v[16:17], v[6:7], v[174:175], v[4:5] neg_lo:[0,0,1] neg_hi:[0,0,1]
	v_pk_fma_f32 v[4:5], v[6:7], v[174:175], v[4:5] op_sel_hi:[1,0,1]
	v_pk_add_f32 v[2:3], v[2:3], v[18:19]
	v_mov_b32_e32 v4, v177
	v_mov_b32_e32 v17, v5
	v_pk_mul_f32 v[4:5], v[8:9], v[4:5] op_sel:[1,0] op_sel_hi:[0,0]
	v_pk_fma_f32 v[6:7], v[8:9], v[176:177], v[4:5] neg_lo:[0,0,1] neg_hi:[0,0,1]
	v_pk_fma_f32 v[4:5], v[8:9], v[176:177], v[4:5] op_sel_hi:[1,0,1]
	v_pk_add_f32 v[2:3], v[2:3], v[16:17]
	v_mov_b32_e32 v7, v5
	s_waitcnt vmcnt(1) lgkmcnt(1)
	v_pk_mul_f32 v[4:5], v[10:11], v[178:179] op_sel:[1,1] op_sel_hi:[0,1]
	v_pk_add_f32 v[2:3], v[2:3], v[6:7]
	v_pk_fma_f32 v[6:7], v[10:11], v[178:179], v[4:5] neg_lo:[0,0,1] neg_hi:[0,0,1]
	v_pk_fma_f32 v[4:5], v[10:11], v[178:179], v[4:5] op_sel_hi:[1,0,1]
	s_nop 0
	v_mov_b32_e32 v4, v181
	v_mov_b32_e32 v7, v5
	v_pk_mul_f32 v[4:5], v[12:13], v[4:5] op_sel:[1,0] op_sel_hi:[0,0]
	v_pk_add_f32 v[2:3], v[2:3], v[6:7]
	v_pk_fma_f32 v[6:7], v[12:13], v[180:181], v[4:5] neg_lo:[0,0,1] neg_hi:[0,0,1]
	v_pk_fma_f32 v[4:5], v[12:13], v[180:181], v[4:5] op_sel_hi:[1,0,1]
	s_nop 0
	v_mov_b32_e32 v7, v5
	s_waitcnt vmcnt(0) lgkmcnt(0)
	v_pk_mul_f32 v[4:5], v[14:15], v[186:187] op_sel:[1,1] op_sel_hi:[0,1]
	v_pk_add_f32 v[2:3], v[2:3], v[6:7]
	v_pk_fma_f32 v[6:7], v[14:15], v[186:187], v[4:5] neg_lo:[0,0,1] neg_hi:[0,0,1]
	v_pk_fma_f32 v[4:5], v[14:15], v[186:187], v[4:5] op_sel_hi:[1,0,1]
	s_nop 0
	v_mov_b32_e32 v7, v5
	scratch_load_dwordx2 v[4:5], off, off offset:144
	v_pk_add_f32 v[2:3], v[2:3], v[6:7]
	s_waitcnt vmcnt(0)
	v_pk_add_f32 v[2:3], v[4:5], v[2:3] neg_lo:[0,1] neg_hi:[0,1]
	scratch_store_dwordx2 off, v[2:3], off offset:144
	s_and_saveexec_b64 s[0:1], vcc
	s_cbranch_execz .LBB125_351
; %bb.350:
	scratch_load_dwordx2 v[2:3], off, off offset:136
	v_mov_b32_e32 v103, v102
	scratch_store_dwordx2 off, v[102:103], off offset:136
	s_waitcnt vmcnt(1)
	ds_write_b64 v1, v[2:3]
.LBB125_351:
	s_or_b64 exec, exec, s[0:1]
	s_waitcnt lgkmcnt(0)
	; wave barrier
	ds_read_b128 v[14:17], v102 offset:640
	ds_read_b128 v[10:13], v102 offset:656
	;; [unrolled: 1-line block ×4, first 2 shown]
	scratch_load_dwordx4 v[18:21], off, off offset:144
	scratch_load_dwordx4 v[38:41], off, off offset:208
	;; [unrolled: 1-line block ×12, first 2 shown]
	v_cmp_lt_u32_e32 vcc, 16, v0
	scratch_load_dwordx4 v[46:49], off, off offset:224
	scratch_load_dwordx4 v[54:57], off, off offset:240
	;; [unrolled: 1-line block ×3, first 2 shown]
	s_waitcnt vmcnt(14) lgkmcnt(3)
	v_mul_f32_e32 v22, v14, v19
	v_fmac_f32_e32 v22, v15, v18
	v_mul_f32_e32 v23, v16, v21
	v_add_f32_e32 v22, 0, v22
	v_fmac_f32_e32 v23, v17, v20
	v_add_f32_e32 v26, v22, v23
	scratch_load_dwordx4 v[22:25], off, off offset:160
	v_mul_f32_e32 v15, v15, v19
	v_fma_f32 v14, v14, v18, -v15
	v_mul_f32_e32 v15, v17, v21
	v_add_f32_e32 v14, 0, v14
	v_fma_f32 v15, v16, v20, -v15
	v_add_f32_e32 v14, v14, v15
	s_waitcnt vmcnt(0) lgkmcnt(2)
	v_mul_f32_e32 v27, v10, v23
	v_fmac_f32_e32 v27, v11, v22
	v_add_f32_e32 v26, v26, v27
	v_mul_f32_e32 v27, v12, v25
	v_fmac_f32_e32 v27, v13, v24
	v_add_f32_e32 v30, v26, v27
	scratch_load_dwordx4 v[26:29], off, off offset:176
	v_mul_f32_e32 v11, v11, v23
	v_fma_f32 v10, v10, v22, -v11
	v_mul_f32_e32 v11, v13, v25
	v_add_f32_e32 v10, v14, v10
	v_fma_f32 v11, v12, v24, -v11
	v_add_f32_e32 v10, v10, v11
	s_waitcnt vmcnt(0) lgkmcnt(1)
	v_mul_f32_e32 v31, v6, v27
	v_fmac_f32_e32 v31, v7, v26
	v_add_f32_e32 v30, v30, v31
	v_mul_f32_e32 v31, v8, v29
	;; [unrolled: 14-line block ×3, first 2 shown]
	v_fmac_f32_e32 v35, v5, v32
	v_add_f32_e32 v42, v34, v35
	ds_read_b128 v[34:37], v102 offset:704
	v_mul_f32_e32 v3, v3, v31
	v_fma_f32 v2, v2, v30, -v3
	v_mul_f32_e32 v3, v5, v33
	v_add_f32_e32 v2, v6, v2
	s_waitcnt lgkmcnt(0)
	v_mul_f32_e32 v43, v34, v39
	v_fmac_f32_e32 v43, v35, v38
	v_add_f32_e32 v42, v42, v43
	v_mul_f32_e32 v43, v36, v41
	v_fmac_f32_e32 v43, v37, v40
	v_add_f32_e32 v50, v42, v43
	ds_read_b128 v[42:45], v102 offset:720
	v_fma_f32 v3, v4, v32, -v3
	v_add_f32_e32 v2, v2, v3
	v_mul_f32_e32 v3, v35, v39
	v_fma_f32 v3, v34, v38, -v3
	s_waitcnt lgkmcnt(0)
	v_mul_f32_e32 v51, v42, v47
	v_fmac_f32_e32 v51, v43, v46
	v_add_f32_e32 v50, v50, v51
	v_mul_f32_e32 v51, v44, v49
	v_fmac_f32_e32 v51, v45, v48
	v_add_f32_e32 v58, v50, v51
	ds_read_b128 v[50:53], v102 offset:736
	v_add_f32_e32 v2, v2, v3
	v_mul_f32_e32 v3, v37, v41
	v_fma_f32 v3, v36, v40, -v3
	v_add_f32_e32 v2, v2, v3
	s_waitcnt lgkmcnt(0)
	v_mul_f32_e32 v59, v50, v55
	v_fmac_f32_e32 v59, v51, v54
	v_add_f32_e32 v58, v58, v59
	v_mul_f32_e32 v59, v52, v57
	v_fmac_f32_e32 v59, v53, v56
	v_add_f32_e32 v66, v58, v59
	ds_read_b128 v[58:61], v102 offset:752
	v_mul_f32_e32 v3, v43, v47
	v_fma_f32 v3, v42, v46, -v3
	v_add_f32_e32 v2, v2, v3
	v_mul_f32_e32 v3, v45, v49
	s_waitcnt lgkmcnt(0)
	v_mul_f32_e32 v67, v58, v63
	v_fmac_f32_e32 v67, v59, v62
	v_add_f32_e32 v66, v66, v67
	v_mul_f32_e32 v67, v60, v65
	v_fmac_f32_e32 v67, v61, v64
	v_add_f32_e32 v74, v66, v67
	ds_read_b128 v[66:69], v102 offset:768
	v_fma_f32 v3, v44, v48, -v3
	v_add_f32_e32 v2, v2, v3
	v_mul_f32_e32 v3, v51, v55
	v_fma_f32 v3, v50, v54, -v3
	s_waitcnt lgkmcnt(0)
	v_mul_f32_e32 v75, v66, v71
	v_fmac_f32_e32 v75, v67, v70
	v_add_f32_e32 v74, v74, v75
	v_mul_f32_e32 v75, v68, v73
	v_fmac_f32_e32 v75, v69, v72
	v_add_f32_e32 v82, v74, v75
	ds_read_b128 v[74:77], v102 offset:784
	v_add_f32_e32 v2, v2, v3
	v_mul_f32_e32 v3, v53, v57
	v_fma_f32 v3, v52, v56, -v3
	v_add_f32_e32 v2, v2, v3
	s_waitcnt lgkmcnt(0)
	v_mul_f32_e32 v83, v74, v79
	v_fmac_f32_e32 v83, v75, v78
	v_add_f32_e32 v82, v82, v83
	v_mul_f32_e32 v83, v76, v81
	v_fmac_f32_e32 v83, v77, v80
	v_add_f32_e32 v90, v82, v83
	ds_read_b128 v[82:85], v102 offset:800
	v_mul_f32_e32 v3, v59, v63
	v_fma_f32 v3, v58, v62, -v3
	v_add_f32_e32 v2, v2, v3
	v_mul_f32_e32 v3, v61, v65
	;; [unrolled: 36-line block ×4, first 2 shown]
	s_waitcnt lgkmcnt(0)
	v_mul_f32_e32 v140, v132, v137
	v_fmac_f32_e32 v140, v133, v136
	v_add_f32_e32 v103, v103, v140
	v_mul_f32_e32 v140, v134, v139
	v_fmac_f32_e32 v140, v135, v138
	v_add_f32_e32 v149, v103, v140
	ds_read_b128 v[140:143], v102 offset:912
	scratch_load_dwordx4 v[170:173], off, off offset:432
	scratch_load_dwordx4 v[174:177], off, off offset:448
	;; [unrolled: 1-line block ×4, first 2 shown]
	v_fma_f32 v3, v92, v96, -v3
	v_add_f32_e32 v2, v2, v3
	v_mul_f32_e32 v3, v99, v105
	v_fma_f32 v3, v98, v104, -v3
	v_add_f32_e32 v2, v2, v3
	v_mul_f32_e32 v3, v101, v107
	;; [unrolled: 3-line block ×10, first 2 shown]
	v_fma_f32 v3, v134, v138, -v3
	v_add_f32_e32 v148, v2, v3
	s_waitcnt lgkmcnt(0)
	v_mul_f32_e32 v2, v141, v145
	v_fma_f32 v186, v140, v144, -v2
	v_mul_f32_e32 v2, v143, v147
	v_fma_f32 v188, v142, v146, -v2
	ds_read_b128 v[2:5], v102 offset:928
	ds_read_b128 v[6:9], v102 offset:944
	ds_read_b128 v[10:13], v102 offset:960
	ds_read_b128 v[14:17], v102 offset:976
	v_mul_f32_e32 v187, v140, v145
	v_fmac_f32_e32 v187, v141, v144
	v_mul_f32_e32 v189, v142, v147
	v_fmac_f32_e32 v189, v143, v146
	v_pk_add_f32 v[18:19], v[148:149], v[186:187]
	s_waitcnt vmcnt(3) lgkmcnt(3)
	v_pk_mul_f32 v[20:21], v[2:3], v[170:171] op_sel:[1,1] op_sel_hi:[0,1]
	v_pk_fma_f32 v[22:23], v[2:3], v[170:171], v[20:21] neg_lo:[0,0,1] neg_hi:[0,0,1]
	v_pk_fma_f32 v[2:3], v[2:3], v[170:171], v[20:21] op_sel_hi:[1,0,1]
	v_pk_add_f32 v[18:19], v[18:19], v[188:189]
	v_mov_b32_e32 v23, v3
	v_pk_add_f32 v[2:3], v[18:19], v[22:23]
	v_mov_b32_e32 v18, v173
	v_pk_mul_f32 v[18:19], v[4:5], v[18:19] op_sel:[1,0] op_sel_hi:[0,0]
	v_pk_fma_f32 v[20:21], v[4:5], v[172:173], v[18:19] neg_lo:[0,0,1] neg_hi:[0,0,1]
	v_pk_fma_f32 v[4:5], v[4:5], v[172:173], v[18:19] op_sel_hi:[1,0,1]
	s_nop 0
	v_mov_b32_e32 v21, v5
	s_waitcnt vmcnt(2) lgkmcnt(2)
	v_pk_mul_f32 v[4:5], v[6:7], v[174:175] op_sel:[1,1] op_sel_hi:[0,1]
	v_pk_fma_f32 v[18:19], v[6:7], v[174:175], v[4:5] neg_lo:[0,0,1] neg_hi:[0,0,1]
	v_pk_fma_f32 v[4:5], v[6:7], v[174:175], v[4:5] op_sel_hi:[1,0,1]
	v_pk_add_f32 v[2:3], v[2:3], v[20:21]
	v_mov_b32_e32 v4, v177
	v_mov_b32_e32 v19, v5
	v_pk_mul_f32 v[4:5], v[8:9], v[4:5] op_sel:[1,0] op_sel_hi:[0,0]
	v_pk_fma_f32 v[6:7], v[8:9], v[176:177], v[4:5] neg_lo:[0,0,1] neg_hi:[0,0,1]
	v_pk_fma_f32 v[4:5], v[8:9], v[176:177], v[4:5] op_sel_hi:[1,0,1]
	v_pk_add_f32 v[2:3], v[2:3], v[18:19]
	v_mov_b32_e32 v7, v5
	s_waitcnt vmcnt(1) lgkmcnt(1)
	v_pk_mul_f32 v[4:5], v[10:11], v[178:179] op_sel:[1,1] op_sel_hi:[0,1]
	v_pk_add_f32 v[2:3], v[2:3], v[6:7]
	v_pk_fma_f32 v[6:7], v[10:11], v[178:179], v[4:5] neg_lo:[0,0,1] neg_hi:[0,0,1]
	v_pk_fma_f32 v[4:5], v[10:11], v[178:179], v[4:5] op_sel_hi:[1,0,1]
	s_nop 0
	v_mov_b32_e32 v4, v181
	v_mov_b32_e32 v7, v5
	v_pk_mul_f32 v[4:5], v[12:13], v[4:5] op_sel:[1,0] op_sel_hi:[0,0]
	v_pk_add_f32 v[2:3], v[2:3], v[6:7]
	v_pk_fma_f32 v[6:7], v[12:13], v[180:181], v[4:5] neg_lo:[0,0,1] neg_hi:[0,0,1]
	v_pk_fma_f32 v[4:5], v[12:13], v[180:181], v[4:5] op_sel_hi:[1,0,1]
	s_nop 0
	v_mov_b32_e32 v7, v5
	s_waitcnt vmcnt(0) lgkmcnt(0)
	v_pk_mul_f32 v[4:5], v[14:15], v[182:183] op_sel:[1,1] op_sel_hi:[0,1]
	v_pk_add_f32 v[2:3], v[2:3], v[6:7]
	v_pk_fma_f32 v[6:7], v[14:15], v[182:183], v[4:5] neg_lo:[0,0,1] neg_hi:[0,0,1]
	v_pk_fma_f32 v[4:5], v[14:15], v[182:183], v[4:5] op_sel_hi:[1,0,1]
	s_nop 0
	v_mov_b32_e32 v4, v185
	v_mov_b32_e32 v7, v5
	v_pk_mul_f32 v[4:5], v[16:17], v[4:5] op_sel:[1,0] op_sel_hi:[0,0]
	v_pk_add_f32 v[2:3], v[2:3], v[6:7]
	v_pk_fma_f32 v[6:7], v[16:17], v[184:185], v[4:5] neg_lo:[0,0,1] neg_hi:[0,0,1]
	v_pk_fma_f32 v[4:5], v[16:17], v[184:185], v[4:5] op_sel_hi:[1,0,1]
	s_nop 0
	v_mov_b32_e32 v7, v5
	scratch_load_dwordx2 v[4:5], off, off offset:136
	v_pk_add_f32 v[2:3], v[2:3], v[6:7]
	s_waitcnt vmcnt(0)
	v_pk_add_f32 v[2:3], v[4:5], v[2:3] neg_lo:[0,1] neg_hi:[0,1]
	scratch_store_dwordx2 off, v[2:3], off offset:136
	s_and_saveexec_b64 s[0:1], vcc
	s_cbranch_execz .LBB125_353
; %bb.352:
	scratch_load_dwordx2 v[2:3], off, off offset:128
	v_mov_b32_e32 v4, 0
	v_mov_b32_e32 v5, v4
	scratch_store_dwordx2 off, v[4:5], off offset:128
	s_waitcnt vmcnt(1)
	ds_write_b64 v1, v[2:3]
.LBB125_353:
	s_or_b64 exec, exec, s[0:1]
	s_waitcnt lgkmcnt(0)
	; wave barrier
	scratch_load_dwordx4 v[6:9], off, off offset:136
	scratch_load_dwordx4 v[14:17], off, off offset:152
	;; [unrolled: 1-line block ×10, first 2 shown]
	v_mov_b32_e32 v110, 0
	ds_read2_b64 v[2:5], v110 offset0:79 offset1:80
	ds_read2_b64 v[170:173], v110 offset0:115 offset1:116
	scratch_load_dwordx4 v[86:89], off, off offset:296
	scratch_load_dwordx4 v[94:97], off, off offset:312
	;; [unrolled: 1-line block ×9, first 2 shown]
	v_cmp_lt_u32_e32 vcc, 15, v0
	s_waitcnt vmcnt(18) lgkmcnt(1)
	v_mul_f32_e32 v10, v2, v7
	v_fmac_f32_e32 v10, v3, v6
	v_mul_f32_e32 v11, v4, v9
	v_add_f32_e32 v10, 0, v10
	v_fmac_f32_e32 v11, v5, v8
	v_add_f32_e32 v18, v10, v11
	ds_read2_b64 v[10:13], v110 offset0:81 offset1:82
	v_mul_f32_e32 v3, v3, v7
	v_fma_f32 v2, v2, v6, -v3
	v_mul_f32_e32 v3, v5, v9
	v_add_f32_e32 v2, 0, v2
	s_waitcnt vmcnt(17) lgkmcnt(0)
	v_mul_f32_e32 v19, v10, v15
	v_fmac_f32_e32 v19, v11, v14
	v_add_f32_e32 v18, v18, v19
	v_mul_f32_e32 v19, v12, v17
	v_fmac_f32_e32 v19, v13, v16
	v_add_f32_e32 v26, v18, v19
	ds_read2_b64 v[18:21], v110 offset0:83 offset1:84
	v_fma_f32 v3, v4, v8, -v3
	v_add_f32_e32 v2, v2, v3
	v_mul_f32_e32 v3, v11, v15
	v_fma_f32 v3, v10, v14, -v3
	s_waitcnt vmcnt(16) lgkmcnt(0)
	v_mul_f32_e32 v27, v18, v23
	v_fmac_f32_e32 v27, v19, v22
	v_add_f32_e32 v26, v26, v27
	v_mul_f32_e32 v27, v20, v25
	v_fmac_f32_e32 v27, v21, v24
	v_add_f32_e32 v34, v26, v27
	ds_read2_b64 v[26:29], v110 offset0:85 offset1:86
	v_add_f32_e32 v2, v2, v3
	v_mul_f32_e32 v3, v13, v17
	v_fma_f32 v3, v12, v16, -v3
	v_add_f32_e32 v2, v2, v3
	s_waitcnt vmcnt(15) lgkmcnt(0)
	v_mul_f32_e32 v35, v26, v31
	v_fmac_f32_e32 v35, v27, v30
	v_add_f32_e32 v34, v34, v35
	v_mul_f32_e32 v35, v28, v33
	v_fmac_f32_e32 v35, v29, v32
	v_add_f32_e32 v42, v34, v35
	ds_read2_b64 v[34:37], v110 offset0:87 offset1:88
	v_mul_f32_e32 v3, v19, v23
	v_fma_f32 v3, v18, v22, -v3
	v_add_f32_e32 v2, v2, v3
	v_mul_f32_e32 v3, v21, v25
	s_waitcnt vmcnt(14) lgkmcnt(0)
	v_mul_f32_e32 v43, v34, v39
	v_fmac_f32_e32 v43, v35, v38
	v_add_f32_e32 v42, v42, v43
	v_mul_f32_e32 v43, v36, v41
	v_fmac_f32_e32 v43, v37, v40
	v_add_f32_e32 v50, v42, v43
	ds_read2_b64 v[42:45], v110 offset0:89 offset1:90
	v_fma_f32 v3, v20, v24, -v3
	v_add_f32_e32 v2, v2, v3
	v_mul_f32_e32 v3, v27, v31
	v_fma_f32 v3, v26, v30, -v3
	s_waitcnt vmcnt(13) lgkmcnt(0)
	v_mul_f32_e32 v51, v42, v47
	v_fmac_f32_e32 v51, v43, v46
	v_add_f32_e32 v50, v50, v51
	v_mul_f32_e32 v51, v44, v49
	v_fmac_f32_e32 v51, v45, v48
	v_add_f32_e32 v58, v50, v51
	ds_read2_b64 v[50:53], v110 offset0:91 offset1:92
	v_add_f32_e32 v2, v2, v3
	v_mul_f32_e32 v3, v29, v33
	v_fma_f32 v3, v28, v32, -v3
	v_add_f32_e32 v2, v2, v3
	s_waitcnt vmcnt(12) lgkmcnt(0)
	v_mul_f32_e32 v59, v50, v55
	v_fmac_f32_e32 v59, v51, v54
	v_add_f32_e32 v58, v58, v59
	v_mul_f32_e32 v59, v52, v57
	v_fmac_f32_e32 v59, v53, v56
	v_add_f32_e32 v66, v58, v59
	ds_read2_b64 v[58:61], v110 offset0:93 offset1:94
	v_mul_f32_e32 v3, v35, v39
	v_fma_f32 v3, v34, v38, -v3
	v_add_f32_e32 v2, v2, v3
	v_mul_f32_e32 v3, v37, v41
	;; [unrolled: 36-line block ×5, first 2 shown]
	s_waitcnt vmcnt(2) lgkmcnt(0)
	v_mul_f32_e32 v140, v132, v137
	v_fmac_f32_e32 v140, v133, v136
	v_add_f32_e32 v111, v111, v140
	v_mul_f32_e32 v140, v134, v139
	v_fmac_f32_e32 v140, v135, v138
	v_add_f32_e32 v111, v111, v140
	ds_read2_b64 v[140:143], v110 offset0:113 offset1:114
	scratch_load_dwordx4 v[178:181], off, off offset:440
	scratch_load_dwordx4 v[182:185], off, off offset:456
	;; [unrolled: 1-line block ×3, first 2 shown]
	scratch_load_dwordx2 v[194:195], off, off offset:488
	v_fma_f32 v3, v84, v88, -v3
	v_add_f32_e32 v2, v2, v3
	v_mul_f32_e32 v3, v91, v95
	v_fma_f32 v3, v90, v94, -v3
	v_add_f32_e32 v2, v2, v3
	v_mul_f32_e32 v3, v93, v97
	;; [unrolled: 3-line block ×12, first 2 shown]
	v_fma_f32 v3, v134, v138, -v3
	s_waitcnt vmcnt(5) lgkmcnt(0)
	v_mul_f32_e32 v148, v140, v145
	v_add_f32_e32 v2, v2, v3
	v_mul_f32_e32 v3, v141, v145
	v_fmac_f32_e32 v148, v141, v144
	v_fma_f32 v3, v140, v144, -v3
	v_add_f32_e32 v149, v111, v148
	v_add_f32_e32 v148, v2, v3
	v_mul_f32_e32 v2, v143, v147
	v_mul_f32_e32 v191, v142, v147
	v_fma_f32 v190, v142, v146, -v2
	s_waitcnt vmcnt(4)
	v_mul_f32_e32 v2, v171, v175
	v_mov_b32_e32 v18, v177
	v_fmac_f32_e32 v191, v143, v146
	v_mul_f32_e32 v193, v170, v175
	v_fma_f32 v192, v170, v174, -v2
	ds_read2_b64 v[2:5], v110 offset0:117 offset1:118
	ds_read2_b64 v[6:9], v110 offset0:119 offset1:120
	;; [unrolled: 1-line block ×3, first 2 shown]
	ds_read_b64 v[14:15], v110 offset:984
	v_pk_mul_f32 v[18:19], v[172:173], v[18:19] op_sel:[1,0] op_sel_hi:[0,0]
	v_fmac_f32_e32 v193, v171, v174
	v_pk_add_f32 v[16:17], v[148:149], v[190:191]
	v_pk_fma_f32 v[20:21], v[172:173], v[176:177], v[18:19] neg_lo:[0,0,1] neg_hi:[0,0,1]
	v_pk_fma_f32 v[18:19], v[172:173], v[176:177], v[18:19] op_sel_hi:[1,0,1]
	v_pk_add_f32 v[16:17], v[16:17], v[192:193]
	v_mov_b32_e32 v21, v19
	v_pk_add_f32 v[16:17], v[16:17], v[20:21]
	s_waitcnt vmcnt(3) lgkmcnt(3)
	v_pk_mul_f32 v[18:19], v[2:3], v[178:179] op_sel:[1,1] op_sel_hi:[0,1]
	v_pk_fma_f32 v[20:21], v[2:3], v[178:179], v[18:19] neg_lo:[0,0,1] neg_hi:[0,0,1]
	v_pk_fma_f32 v[2:3], v[2:3], v[178:179], v[18:19] op_sel_hi:[1,0,1]
	s_nop 0
	v_mov_b32_e32 v21, v3
	v_pk_add_f32 v[2:3], v[16:17], v[20:21]
	v_mov_b32_e32 v16, v181
	v_pk_mul_f32 v[16:17], v[4:5], v[16:17] op_sel:[1,0] op_sel_hi:[0,0]
	v_pk_fma_f32 v[18:19], v[4:5], v[180:181], v[16:17] neg_lo:[0,0,1] neg_hi:[0,0,1]
	v_pk_fma_f32 v[4:5], v[4:5], v[180:181], v[16:17] op_sel_hi:[1,0,1]
	s_nop 0
	v_mov_b32_e32 v19, v5
	s_waitcnt vmcnt(2) lgkmcnt(2)
	v_pk_mul_f32 v[4:5], v[6:7], v[182:183] op_sel:[1,1] op_sel_hi:[0,1]
	v_pk_fma_f32 v[16:17], v[6:7], v[182:183], v[4:5] neg_lo:[0,0,1] neg_hi:[0,0,1]
	v_pk_fma_f32 v[4:5], v[6:7], v[182:183], v[4:5] op_sel_hi:[1,0,1]
	v_pk_add_f32 v[2:3], v[2:3], v[18:19]
	v_mov_b32_e32 v4, v185
	v_mov_b32_e32 v17, v5
	v_pk_mul_f32 v[4:5], v[8:9], v[4:5] op_sel:[1,0] op_sel_hi:[0,0]
	v_pk_fma_f32 v[6:7], v[8:9], v[184:185], v[4:5] neg_lo:[0,0,1] neg_hi:[0,0,1]
	v_pk_fma_f32 v[4:5], v[8:9], v[184:185], v[4:5] op_sel_hi:[1,0,1]
	v_pk_add_f32 v[2:3], v[2:3], v[16:17]
	v_mov_b32_e32 v7, v5
	s_waitcnt vmcnt(1) lgkmcnt(1)
	v_pk_mul_f32 v[4:5], v[10:11], v[186:187] op_sel:[1,1] op_sel_hi:[0,1]
	v_pk_add_f32 v[2:3], v[2:3], v[6:7]
	v_pk_fma_f32 v[6:7], v[10:11], v[186:187], v[4:5] neg_lo:[0,0,1] neg_hi:[0,0,1]
	v_pk_fma_f32 v[4:5], v[10:11], v[186:187], v[4:5] op_sel_hi:[1,0,1]
	s_nop 0
	v_mov_b32_e32 v4, v189
	v_mov_b32_e32 v7, v5
	v_pk_mul_f32 v[4:5], v[12:13], v[4:5] op_sel:[1,0] op_sel_hi:[0,0]
	v_pk_add_f32 v[2:3], v[2:3], v[6:7]
	v_pk_fma_f32 v[6:7], v[12:13], v[188:189], v[4:5] neg_lo:[0,0,1] neg_hi:[0,0,1]
	v_pk_fma_f32 v[4:5], v[12:13], v[188:189], v[4:5] op_sel_hi:[1,0,1]
	s_nop 0
	v_mov_b32_e32 v7, v5
	s_waitcnt vmcnt(0) lgkmcnt(0)
	v_pk_mul_f32 v[4:5], v[14:15], v[194:195] op_sel:[1,1] op_sel_hi:[0,1]
	v_pk_add_f32 v[2:3], v[2:3], v[6:7]
	v_pk_fma_f32 v[6:7], v[14:15], v[194:195], v[4:5] neg_lo:[0,0,1] neg_hi:[0,0,1]
	v_pk_fma_f32 v[4:5], v[14:15], v[194:195], v[4:5] op_sel_hi:[1,0,1]
	s_nop 0
	v_mov_b32_e32 v7, v5
	scratch_load_dwordx2 v[4:5], off, off offset:128
	v_pk_add_f32 v[2:3], v[2:3], v[6:7]
	s_waitcnt vmcnt(0)
	v_pk_add_f32 v[2:3], v[4:5], v[2:3] neg_lo:[0,1] neg_hi:[0,1]
	scratch_store_dwordx2 off, v[2:3], off offset:128
	s_and_saveexec_b64 s[0:1], vcc
	s_cbranch_execz .LBB125_355
; %bb.354:
	scratch_load_dwordx2 v[2:3], off, off offset:120
	v_mov_b32_e32 v111, v110
	scratch_store_dwordx2 off, v[110:111], off offset:120
	s_waitcnt vmcnt(1)
	ds_write_b64 v1, v[2:3]
.LBB125_355:
	s_or_b64 exec, exec, s[0:1]
	s_waitcnt lgkmcnt(0)
	; wave barrier
	ds_read_b128 v[14:17], v110 offset:624
	ds_read_b128 v[10:13], v110 offset:640
	ds_read_b128 v[6:9], v110 offset:656
	ds_read_b128 v[2:5], v110 offset:672
	scratch_load_dwordx4 v[18:21], off, off offset:128
	scratch_load_dwordx4 v[38:41], off, off offset:192
	;; [unrolled: 1-line block ×13, first 2 shown]
	v_cmp_lt_u32_e32 vcc, 14, v0
	scratch_load_dwordx4 v[46:49], off, off offset:208
	scratch_load_dwordx4 v[54:57], off, off offset:224
	;; [unrolled: 1-line block ×3, first 2 shown]
	ds_read_b128 v[170:173], v110 offset:912
	s_waitcnt vmcnt(15) lgkmcnt(4)
	v_mul_f32_e32 v22, v14, v19
	v_fmac_f32_e32 v22, v15, v18
	v_mul_f32_e32 v23, v16, v21
	v_add_f32_e32 v22, 0, v22
	v_fmac_f32_e32 v23, v17, v20
	v_add_f32_e32 v26, v22, v23
	scratch_load_dwordx4 v[22:25], off, off offset:144
	v_mul_f32_e32 v15, v15, v19
	v_fma_f32 v14, v14, v18, -v15
	v_mul_f32_e32 v15, v17, v21
	v_add_f32_e32 v14, 0, v14
	v_fma_f32 v15, v16, v20, -v15
	v_add_f32_e32 v14, v14, v15
	s_waitcnt vmcnt(4) lgkmcnt(0)
	v_mul_f32_e32 v195, v170, v175
	v_mul_f32_e32 v197, v172, v177
	v_fmac_f32_e32 v195, v171, v174
	v_fmac_f32_e32 v197, v173, v176
	s_waitcnt vmcnt(0)
	v_mul_f32_e32 v27, v10, v23
	v_fmac_f32_e32 v27, v11, v22
	v_add_f32_e32 v26, v26, v27
	v_mul_f32_e32 v27, v12, v25
	v_fmac_f32_e32 v27, v13, v24
	v_add_f32_e32 v30, v26, v27
	scratch_load_dwordx4 v[26:29], off, off offset:160
	v_mul_f32_e32 v11, v11, v23
	v_fma_f32 v10, v10, v22, -v11
	v_mul_f32_e32 v11, v13, v25
	v_add_f32_e32 v10, v14, v10
	v_fma_f32 v11, v12, v24, -v11
	v_add_f32_e32 v10, v10, v11
	s_waitcnt vmcnt(0)
	v_mul_f32_e32 v31, v6, v27
	v_fmac_f32_e32 v31, v7, v26
	v_add_f32_e32 v30, v30, v31
	v_mul_f32_e32 v31, v8, v29
	v_fmac_f32_e32 v31, v9, v28
	v_add_f32_e32 v34, v30, v31
	scratch_load_dwordx4 v[30:33], off, off offset:176
	v_mul_f32_e32 v7, v7, v27
	v_fma_f32 v6, v6, v26, -v7
	v_mul_f32_e32 v7, v9, v29
	v_add_f32_e32 v6, v10, v6
	v_fma_f32 v7, v8, v28, -v7
	v_add_f32_e32 v6, v6, v7
	s_waitcnt vmcnt(0)
	v_mul_f32_e32 v35, v2, v31
	v_fmac_f32_e32 v35, v3, v30
	v_add_f32_e32 v34, v34, v35
	v_mul_f32_e32 v35, v4, v33
	v_fmac_f32_e32 v35, v5, v32
	v_add_f32_e32 v42, v34, v35
	ds_read_b128 v[34:37], v110 offset:688
	v_mul_f32_e32 v3, v3, v31
	v_fma_f32 v2, v2, v30, -v3
	v_mul_f32_e32 v3, v5, v33
	v_add_f32_e32 v2, v6, v2
	s_waitcnt lgkmcnt(0)
	v_mul_f32_e32 v43, v34, v39
	v_fmac_f32_e32 v43, v35, v38
	v_add_f32_e32 v42, v42, v43
	v_mul_f32_e32 v43, v36, v41
	v_fmac_f32_e32 v43, v37, v40
	v_add_f32_e32 v50, v42, v43
	ds_read_b128 v[42:45], v110 offset:704
	v_fma_f32 v3, v4, v32, -v3
	v_add_f32_e32 v2, v2, v3
	v_mul_f32_e32 v3, v35, v39
	v_fma_f32 v3, v34, v38, -v3
	s_waitcnt lgkmcnt(0)
	v_mul_f32_e32 v51, v42, v47
	v_fmac_f32_e32 v51, v43, v46
	v_add_f32_e32 v50, v50, v51
	v_mul_f32_e32 v51, v44, v49
	v_fmac_f32_e32 v51, v45, v48
	v_add_f32_e32 v58, v50, v51
	ds_read_b128 v[50:53], v110 offset:720
	v_add_f32_e32 v2, v2, v3
	v_mul_f32_e32 v3, v37, v41
	v_fma_f32 v3, v36, v40, -v3
	v_add_f32_e32 v2, v2, v3
	s_waitcnt lgkmcnt(0)
	v_mul_f32_e32 v59, v50, v55
	v_fmac_f32_e32 v59, v51, v54
	v_add_f32_e32 v58, v58, v59
	v_mul_f32_e32 v59, v52, v57
	v_fmac_f32_e32 v59, v53, v56
	v_add_f32_e32 v66, v58, v59
	ds_read_b128 v[58:61], v110 offset:736
	v_mul_f32_e32 v3, v43, v47
	v_fma_f32 v3, v42, v46, -v3
	v_add_f32_e32 v2, v2, v3
	v_mul_f32_e32 v3, v45, v49
	s_waitcnt lgkmcnt(0)
	v_mul_f32_e32 v67, v58, v63
	v_fmac_f32_e32 v67, v59, v62
	v_add_f32_e32 v66, v66, v67
	v_mul_f32_e32 v67, v60, v65
	v_fmac_f32_e32 v67, v61, v64
	v_add_f32_e32 v74, v66, v67
	ds_read_b128 v[66:69], v110 offset:752
	v_fma_f32 v3, v44, v48, -v3
	v_add_f32_e32 v2, v2, v3
	v_mul_f32_e32 v3, v51, v55
	v_fma_f32 v3, v50, v54, -v3
	s_waitcnt lgkmcnt(0)
	v_mul_f32_e32 v75, v66, v71
	v_fmac_f32_e32 v75, v67, v70
	v_add_f32_e32 v74, v74, v75
	v_mul_f32_e32 v75, v68, v73
	v_fmac_f32_e32 v75, v69, v72
	v_add_f32_e32 v82, v74, v75
	ds_read_b128 v[74:77], v110 offset:768
	v_add_f32_e32 v2, v2, v3
	v_mul_f32_e32 v3, v53, v57
	v_fma_f32 v3, v52, v56, -v3
	v_add_f32_e32 v2, v2, v3
	s_waitcnt lgkmcnt(0)
	v_mul_f32_e32 v83, v74, v79
	v_fmac_f32_e32 v83, v75, v78
	v_add_f32_e32 v82, v82, v83
	v_mul_f32_e32 v83, v76, v81
	v_fmac_f32_e32 v83, v77, v80
	v_add_f32_e32 v90, v82, v83
	ds_read_b128 v[82:85], v110 offset:784
	v_mul_f32_e32 v3, v59, v63
	v_fma_f32 v3, v58, v62, -v3
	v_add_f32_e32 v2, v2, v3
	v_mul_f32_e32 v3, v61, v65
	;; [unrolled: 36-line block ×4, first 2 shown]
	s_waitcnt lgkmcnt(0)
	v_mul_f32_e32 v140, v132, v137
	v_fmac_f32_e32 v140, v133, v136
	v_add_f32_e32 v111, v111, v140
	v_mul_f32_e32 v140, v134, v139
	v_fmac_f32_e32 v140, v135, v138
	v_add_f32_e32 v111, v111, v140
	ds_read_b128 v[140:143], v110 offset:896
	scratch_load_dwordx4 v[178:181], off, off offset:432
	scratch_load_dwordx4 v[182:185], off, off offset:448
	;; [unrolled: 1-line block ×4, first 2 shown]
	v_fma_f32 v3, v92, v96, -v3
	v_add_f32_e32 v2, v2, v3
	v_mul_f32_e32 v3, v99, v103
	v_fma_f32 v3, v98, v102, -v3
	v_add_f32_e32 v2, v2, v3
	v_mul_f32_e32 v3, v101, v105
	;; [unrolled: 3-line block ×10, first 2 shown]
	v_fma_f32 v3, v134, v138, -v3
	s_waitcnt lgkmcnt(0)
	v_mul_f32_e32 v148, v140, v145
	v_add_f32_e32 v2, v2, v3
	v_mul_f32_e32 v3, v141, v145
	v_fmac_f32_e32 v148, v141, v144
	v_fma_f32 v3, v140, v144, -v3
	v_add_f32_e32 v111, v111, v148
	v_mul_f32_e32 v148, v142, v147
	v_add_f32_e32 v2, v2, v3
	v_mul_f32_e32 v3, v143, v147
	v_fmac_f32_e32 v148, v143, v146
	v_fma_f32 v3, v142, v146, -v3
	v_add_f32_e32 v149, v111, v148
	v_add_f32_e32 v148, v2, v3
	v_mul_f32_e32 v2, v171, v175
	v_fma_f32 v194, v170, v174, -v2
	v_mul_f32_e32 v2, v173, v177
	v_fma_f32 v196, v172, v176, -v2
	ds_read_b128 v[2:5], v110 offset:928
	ds_read_b128 v[6:9], v110 offset:944
	;; [unrolled: 1-line block ×4, first 2 shown]
	v_pk_add_f32 v[18:19], v[148:149], v[194:195]
	s_waitcnt vmcnt(3) lgkmcnt(3)
	v_pk_mul_f32 v[20:21], v[2:3], v[178:179] op_sel:[1,1] op_sel_hi:[0,1]
	v_pk_fma_f32 v[22:23], v[2:3], v[178:179], v[20:21] neg_lo:[0,0,1] neg_hi:[0,0,1]
	v_pk_fma_f32 v[2:3], v[2:3], v[178:179], v[20:21] op_sel_hi:[1,0,1]
	v_pk_add_f32 v[18:19], v[18:19], v[196:197]
	v_mov_b32_e32 v23, v3
	v_pk_add_f32 v[2:3], v[18:19], v[22:23]
	v_mov_b32_e32 v18, v181
	v_pk_mul_f32 v[18:19], v[4:5], v[18:19] op_sel:[1,0] op_sel_hi:[0,0]
	v_pk_fma_f32 v[20:21], v[4:5], v[180:181], v[18:19] neg_lo:[0,0,1] neg_hi:[0,0,1]
	v_pk_fma_f32 v[4:5], v[4:5], v[180:181], v[18:19] op_sel_hi:[1,0,1]
	s_nop 0
	v_mov_b32_e32 v21, v5
	s_waitcnt vmcnt(2) lgkmcnt(2)
	v_pk_mul_f32 v[4:5], v[6:7], v[182:183] op_sel:[1,1] op_sel_hi:[0,1]
	v_pk_fma_f32 v[18:19], v[6:7], v[182:183], v[4:5] neg_lo:[0,0,1] neg_hi:[0,0,1]
	v_pk_fma_f32 v[4:5], v[6:7], v[182:183], v[4:5] op_sel_hi:[1,0,1]
	v_pk_add_f32 v[2:3], v[2:3], v[20:21]
	v_mov_b32_e32 v4, v185
	v_mov_b32_e32 v19, v5
	v_pk_mul_f32 v[4:5], v[8:9], v[4:5] op_sel:[1,0] op_sel_hi:[0,0]
	v_pk_fma_f32 v[6:7], v[8:9], v[184:185], v[4:5] neg_lo:[0,0,1] neg_hi:[0,0,1]
	v_pk_fma_f32 v[4:5], v[8:9], v[184:185], v[4:5] op_sel_hi:[1,0,1]
	v_pk_add_f32 v[2:3], v[2:3], v[18:19]
	v_mov_b32_e32 v7, v5
	s_waitcnt vmcnt(1) lgkmcnt(1)
	v_pk_mul_f32 v[4:5], v[10:11], v[186:187] op_sel:[1,1] op_sel_hi:[0,1]
	v_pk_add_f32 v[2:3], v[2:3], v[6:7]
	v_pk_fma_f32 v[6:7], v[10:11], v[186:187], v[4:5] neg_lo:[0,0,1] neg_hi:[0,0,1]
	v_pk_fma_f32 v[4:5], v[10:11], v[186:187], v[4:5] op_sel_hi:[1,0,1]
	s_nop 0
	v_mov_b32_e32 v4, v189
	v_mov_b32_e32 v7, v5
	v_pk_mul_f32 v[4:5], v[12:13], v[4:5] op_sel:[1,0] op_sel_hi:[0,0]
	v_pk_add_f32 v[2:3], v[2:3], v[6:7]
	v_pk_fma_f32 v[6:7], v[12:13], v[188:189], v[4:5] neg_lo:[0,0,1] neg_hi:[0,0,1]
	v_pk_fma_f32 v[4:5], v[12:13], v[188:189], v[4:5] op_sel_hi:[1,0,1]
	s_nop 0
	v_mov_b32_e32 v7, v5
	s_waitcnt vmcnt(0) lgkmcnt(0)
	v_pk_mul_f32 v[4:5], v[14:15], v[190:191] op_sel:[1,1] op_sel_hi:[0,1]
	v_pk_add_f32 v[2:3], v[2:3], v[6:7]
	v_pk_fma_f32 v[6:7], v[14:15], v[190:191], v[4:5] neg_lo:[0,0,1] neg_hi:[0,0,1]
	v_pk_fma_f32 v[4:5], v[14:15], v[190:191], v[4:5] op_sel_hi:[1,0,1]
	s_nop 0
	v_mov_b32_e32 v4, v193
	v_mov_b32_e32 v7, v5
	v_pk_mul_f32 v[4:5], v[16:17], v[4:5] op_sel:[1,0] op_sel_hi:[0,0]
	v_pk_add_f32 v[2:3], v[2:3], v[6:7]
	v_pk_fma_f32 v[6:7], v[16:17], v[192:193], v[4:5] neg_lo:[0,0,1] neg_hi:[0,0,1]
	v_pk_fma_f32 v[4:5], v[16:17], v[192:193], v[4:5] op_sel_hi:[1,0,1]
	s_nop 0
	v_mov_b32_e32 v7, v5
	scratch_load_dwordx2 v[4:5], off, off offset:120
	v_pk_add_f32 v[2:3], v[2:3], v[6:7]
	s_waitcnt vmcnt(0)
	v_pk_add_f32 v[2:3], v[4:5], v[2:3] neg_lo:[0,1] neg_hi:[0,1]
	scratch_store_dwordx2 off, v[2:3], off offset:120
	s_and_saveexec_b64 s[0:1], vcc
	s_cbranch_execz .LBB125_357
; %bb.356:
	scratch_load_dwordx2 v[2:3], off, off offset:112
	v_mov_b32_e32 v4, 0
	v_mov_b32_e32 v5, v4
	scratch_store_dwordx2 off, v[4:5], off offset:112
	s_waitcnt vmcnt(1)
	ds_write_b64 v1, v[2:3]
.LBB125_357:
	s_or_b64 exec, exec, s[0:1]
	s_waitcnt lgkmcnt(0)
	; wave barrier
	scratch_load_dwordx4 v[6:9], off, off offset:120
	scratch_load_dwordx4 v[14:17], off, off offset:136
	;; [unrolled: 1-line block ×10, first 2 shown]
	v_mov_b32_e32 v118, 0
	ds_read2_b64 v[2:5], v118 offset0:77 offset1:78
	ds_read2_b64 v[170:173], v118 offset0:113 offset1:114
	scratch_load_dwordx4 v[86:89], off, off offset:280
	scratch_load_dwordx4 v[94:97], off, off offset:296
	;; [unrolled: 1-line block ×10, first 2 shown]
	v_cmp_lt_u32_e32 vcc, 13, v0
	ds_read2_b64 v[178:181], v118 offset0:115 offset1:116
	s_waitcnt vmcnt(19) lgkmcnt(2)
	v_mul_f32_e32 v10, v2, v7
	v_fmac_f32_e32 v10, v3, v6
	v_mul_f32_e32 v11, v4, v9
	v_add_f32_e32 v10, 0, v10
	v_fmac_f32_e32 v11, v5, v8
	v_add_f32_e32 v18, v10, v11
	ds_read2_b64 v[10:13], v118 offset0:79 offset1:80
	v_mul_f32_e32 v3, v3, v7
	v_fma_f32 v2, v2, v6, -v3
	v_mul_f32_e32 v3, v5, v9
	v_add_f32_e32 v2, 0, v2
	s_waitcnt vmcnt(18) lgkmcnt(0)
	v_mul_f32_e32 v19, v10, v15
	v_fmac_f32_e32 v19, v11, v14
	v_add_f32_e32 v18, v18, v19
	v_mul_f32_e32 v19, v12, v17
	v_fmac_f32_e32 v19, v13, v16
	v_add_f32_e32 v26, v18, v19
	ds_read2_b64 v[18:21], v118 offset0:81 offset1:82
	v_fma_f32 v3, v4, v8, -v3
	v_add_f32_e32 v2, v2, v3
	v_mul_f32_e32 v3, v11, v15
	v_fma_f32 v3, v10, v14, -v3
	s_waitcnt vmcnt(17) lgkmcnt(0)
	v_mul_f32_e32 v27, v18, v23
	v_fmac_f32_e32 v27, v19, v22
	v_add_f32_e32 v26, v26, v27
	v_mul_f32_e32 v27, v20, v25
	v_fmac_f32_e32 v27, v21, v24
	v_add_f32_e32 v34, v26, v27
	ds_read2_b64 v[26:29], v118 offset0:83 offset1:84
	v_add_f32_e32 v2, v2, v3
	v_mul_f32_e32 v3, v13, v17
	v_fma_f32 v3, v12, v16, -v3
	v_add_f32_e32 v2, v2, v3
	s_waitcnt vmcnt(16) lgkmcnt(0)
	v_mul_f32_e32 v35, v26, v31
	v_fmac_f32_e32 v35, v27, v30
	v_add_f32_e32 v34, v34, v35
	v_mul_f32_e32 v35, v28, v33
	v_fmac_f32_e32 v35, v29, v32
	v_add_f32_e32 v42, v34, v35
	ds_read2_b64 v[34:37], v118 offset0:85 offset1:86
	v_mul_f32_e32 v3, v19, v23
	v_fma_f32 v3, v18, v22, -v3
	v_add_f32_e32 v2, v2, v3
	v_mul_f32_e32 v3, v21, v25
	s_waitcnt vmcnt(15) lgkmcnt(0)
	v_mul_f32_e32 v43, v34, v39
	v_fmac_f32_e32 v43, v35, v38
	v_add_f32_e32 v42, v42, v43
	v_mul_f32_e32 v43, v36, v41
	v_fmac_f32_e32 v43, v37, v40
	v_add_f32_e32 v50, v42, v43
	ds_read2_b64 v[42:45], v118 offset0:87 offset1:88
	v_fma_f32 v3, v20, v24, -v3
	v_add_f32_e32 v2, v2, v3
	v_mul_f32_e32 v3, v27, v31
	v_fma_f32 v3, v26, v30, -v3
	s_waitcnt vmcnt(14) lgkmcnt(0)
	v_mul_f32_e32 v51, v42, v47
	v_fmac_f32_e32 v51, v43, v46
	v_add_f32_e32 v50, v50, v51
	v_mul_f32_e32 v51, v44, v49
	v_fmac_f32_e32 v51, v45, v48
	v_add_f32_e32 v58, v50, v51
	ds_read2_b64 v[50:53], v118 offset0:89 offset1:90
	v_add_f32_e32 v2, v2, v3
	v_mul_f32_e32 v3, v29, v33
	v_fma_f32 v3, v28, v32, -v3
	v_add_f32_e32 v2, v2, v3
	s_waitcnt vmcnt(13) lgkmcnt(0)
	v_mul_f32_e32 v59, v50, v55
	v_fmac_f32_e32 v59, v51, v54
	v_add_f32_e32 v58, v58, v59
	v_mul_f32_e32 v59, v52, v57
	v_fmac_f32_e32 v59, v53, v56
	v_add_f32_e32 v66, v58, v59
	ds_read2_b64 v[58:61], v118 offset0:91 offset1:92
	v_mul_f32_e32 v3, v35, v39
	v_fma_f32 v3, v34, v38, -v3
	v_add_f32_e32 v2, v2, v3
	v_mul_f32_e32 v3, v37, v41
	;; [unrolled: 36-line block ×5, first 2 shown]
	s_waitcnt vmcnt(3) lgkmcnt(0)
	v_mul_f32_e32 v140, v132, v137
	v_fmac_f32_e32 v140, v133, v136
	v_add_f32_e32 v119, v119, v140
	v_mul_f32_e32 v140, v134, v139
	v_fmac_f32_e32 v140, v135, v138
	v_add_f32_e32 v119, v119, v140
	ds_read2_b64 v[140:143], v118 offset0:111 offset1:112
	scratch_load_dwordx4 v[186:189], off, off offset:440
	scratch_load_dwordx4 v[190:193], off, off offset:456
	;; [unrolled: 1-line block ×3, first 2 shown]
	scratch_load_dwordx2 v[202:203], off, off offset:488
	v_fma_f32 v3, v84, v88, -v3
	v_add_f32_e32 v2, v2, v3
	v_mul_f32_e32 v3, v91, v95
	v_fma_f32 v3, v90, v94, -v3
	v_add_f32_e32 v2, v2, v3
	v_mul_f32_e32 v3, v93, v97
	;; [unrolled: 3-line block ×12, first 2 shown]
	v_fma_f32 v3, v134, v138, -v3
	s_waitcnt vmcnt(6) lgkmcnt(0)
	v_mul_f32_e32 v148, v140, v145
	v_add_f32_e32 v2, v2, v3
	v_mul_f32_e32 v3, v141, v145
	v_fmac_f32_e32 v148, v141, v144
	v_fma_f32 v3, v140, v144, -v3
	v_add_f32_e32 v119, v119, v148
	v_mul_f32_e32 v148, v142, v147
	v_add_f32_e32 v2, v2, v3
	v_mul_f32_e32 v3, v143, v147
	v_fmac_f32_e32 v148, v143, v146
	v_fma_f32 v3, v142, v146, -v3
	v_add_f32_e32 v119, v119, v148
	s_waitcnt vmcnt(5)
	v_mul_f32_e32 v148, v170, v175
	v_add_f32_e32 v2, v2, v3
	v_mul_f32_e32 v3, v171, v175
	v_fmac_f32_e32 v148, v171, v174
	v_fma_f32 v3, v170, v174, -v3
	v_add_f32_e32 v149, v119, v148
	v_add_f32_e32 v148, v2, v3
	v_mul_f32_e32 v2, v173, v177
	v_mul_f32_e32 v199, v172, v177
	v_fma_f32 v198, v172, v176, -v2
	s_waitcnt vmcnt(4)
	v_mul_f32_e32 v2, v179, v183
	v_mov_b32_e32 v18, v185
	v_fmac_f32_e32 v199, v173, v176
	v_mul_f32_e32 v201, v178, v183
	v_fma_f32 v200, v178, v182, -v2
	ds_read2_b64 v[2:5], v118 offset0:117 offset1:118
	ds_read2_b64 v[6:9], v118 offset0:119 offset1:120
	;; [unrolled: 1-line block ×3, first 2 shown]
	ds_read_b64 v[14:15], v118 offset:984
	v_pk_mul_f32 v[18:19], v[180:181], v[18:19] op_sel:[1,0] op_sel_hi:[0,0]
	v_fmac_f32_e32 v201, v179, v182
	v_pk_add_f32 v[16:17], v[148:149], v[198:199]
	v_pk_fma_f32 v[20:21], v[180:181], v[184:185], v[18:19] neg_lo:[0,0,1] neg_hi:[0,0,1]
	v_pk_fma_f32 v[18:19], v[180:181], v[184:185], v[18:19] op_sel_hi:[1,0,1]
	v_pk_add_f32 v[16:17], v[16:17], v[200:201]
	v_mov_b32_e32 v21, v19
	v_pk_add_f32 v[16:17], v[16:17], v[20:21]
	s_waitcnt vmcnt(3) lgkmcnt(3)
	v_pk_mul_f32 v[18:19], v[2:3], v[186:187] op_sel:[1,1] op_sel_hi:[0,1]
	v_pk_fma_f32 v[20:21], v[2:3], v[186:187], v[18:19] neg_lo:[0,0,1] neg_hi:[0,0,1]
	v_pk_fma_f32 v[2:3], v[2:3], v[186:187], v[18:19] op_sel_hi:[1,0,1]
	s_nop 0
	v_mov_b32_e32 v21, v3
	v_pk_add_f32 v[2:3], v[16:17], v[20:21]
	v_mov_b32_e32 v16, v189
	v_pk_mul_f32 v[16:17], v[4:5], v[16:17] op_sel:[1,0] op_sel_hi:[0,0]
	v_pk_fma_f32 v[18:19], v[4:5], v[188:189], v[16:17] neg_lo:[0,0,1] neg_hi:[0,0,1]
	v_pk_fma_f32 v[4:5], v[4:5], v[188:189], v[16:17] op_sel_hi:[1,0,1]
	s_nop 0
	v_mov_b32_e32 v19, v5
	s_waitcnt vmcnt(2) lgkmcnt(2)
	v_pk_mul_f32 v[4:5], v[6:7], v[190:191] op_sel:[1,1] op_sel_hi:[0,1]
	v_pk_fma_f32 v[16:17], v[6:7], v[190:191], v[4:5] neg_lo:[0,0,1] neg_hi:[0,0,1]
	v_pk_fma_f32 v[4:5], v[6:7], v[190:191], v[4:5] op_sel_hi:[1,0,1]
	v_pk_add_f32 v[2:3], v[2:3], v[18:19]
	v_mov_b32_e32 v4, v193
	v_mov_b32_e32 v17, v5
	v_pk_mul_f32 v[4:5], v[8:9], v[4:5] op_sel:[1,0] op_sel_hi:[0,0]
	v_pk_fma_f32 v[6:7], v[8:9], v[192:193], v[4:5] neg_lo:[0,0,1] neg_hi:[0,0,1]
	v_pk_fma_f32 v[4:5], v[8:9], v[192:193], v[4:5] op_sel_hi:[1,0,1]
	v_pk_add_f32 v[2:3], v[2:3], v[16:17]
	v_mov_b32_e32 v7, v5
	s_waitcnt vmcnt(1) lgkmcnt(1)
	v_pk_mul_f32 v[4:5], v[10:11], v[194:195] op_sel:[1,1] op_sel_hi:[0,1]
	v_pk_add_f32 v[2:3], v[2:3], v[6:7]
	v_pk_fma_f32 v[6:7], v[10:11], v[194:195], v[4:5] neg_lo:[0,0,1] neg_hi:[0,0,1]
	v_pk_fma_f32 v[4:5], v[10:11], v[194:195], v[4:5] op_sel_hi:[1,0,1]
	s_nop 0
	v_mov_b32_e32 v4, v197
	v_mov_b32_e32 v7, v5
	v_pk_mul_f32 v[4:5], v[12:13], v[4:5] op_sel:[1,0] op_sel_hi:[0,0]
	v_pk_add_f32 v[2:3], v[2:3], v[6:7]
	v_pk_fma_f32 v[6:7], v[12:13], v[196:197], v[4:5] neg_lo:[0,0,1] neg_hi:[0,0,1]
	v_pk_fma_f32 v[4:5], v[12:13], v[196:197], v[4:5] op_sel_hi:[1,0,1]
	s_nop 0
	v_mov_b32_e32 v7, v5
	s_waitcnt vmcnt(0) lgkmcnt(0)
	v_pk_mul_f32 v[4:5], v[14:15], v[202:203] op_sel:[1,1] op_sel_hi:[0,1]
	v_pk_add_f32 v[2:3], v[2:3], v[6:7]
	v_pk_fma_f32 v[6:7], v[14:15], v[202:203], v[4:5] neg_lo:[0,0,1] neg_hi:[0,0,1]
	v_pk_fma_f32 v[4:5], v[14:15], v[202:203], v[4:5] op_sel_hi:[1,0,1]
	s_nop 0
	v_mov_b32_e32 v7, v5
	scratch_load_dwordx2 v[4:5], off, off offset:112
	v_pk_add_f32 v[2:3], v[2:3], v[6:7]
	s_waitcnt vmcnt(0)
	v_pk_add_f32 v[2:3], v[4:5], v[2:3] neg_lo:[0,1] neg_hi:[0,1]
	scratch_store_dwordx2 off, v[2:3], off offset:112
	s_and_saveexec_b64 s[0:1], vcc
	s_cbranch_execz .LBB125_359
; %bb.358:
	scratch_load_dwordx2 v[2:3], off, off offset:104
	v_mov_b32_e32 v119, v118
	scratch_store_dwordx2 off, v[118:119], off offset:104
	s_waitcnt vmcnt(1)
	ds_write_b64 v1, v[2:3]
.LBB125_359:
	s_or_b64 exec, exec, s[0:1]
	s_waitcnt lgkmcnt(0)
	; wave barrier
	ds_read_b128 v[14:17], v118 offset:608
	ds_read_b128 v[10:13], v118 offset:624
	;; [unrolled: 1-line block ×4, first 2 shown]
	scratch_load_dwordx4 v[18:21], off, off offset:112
	scratch_load_dwordx4 v[38:41], off, off offset:176
	;; [unrolled: 1-line block ×14, first 2 shown]
	v_cmp_lt_u32_e32 vcc, 12, v0
	scratch_load_dwordx4 v[46:49], off, off offset:192
	scratch_load_dwordx4 v[54:57], off, off offset:208
	;; [unrolled: 1-line block ×3, first 2 shown]
	ds_read_b128 v[170:173], v118 offset:896
	ds_read_b128 v[178:181], v118 offset:912
	s_waitcnt vmcnt(16) lgkmcnt(5)
	v_mul_f32_e32 v22, v14, v19
	v_fmac_f32_e32 v22, v15, v18
	v_mul_f32_e32 v23, v16, v21
	v_add_f32_e32 v22, 0, v22
	v_fmac_f32_e32 v23, v17, v20
	v_add_f32_e32 v26, v22, v23
	scratch_load_dwordx4 v[22:25], off, off offset:128
	v_mul_f32_e32 v15, v15, v19
	v_fma_f32 v14, v14, v18, -v15
	v_mul_f32_e32 v15, v17, v21
	v_add_f32_e32 v14, 0, v14
	v_fma_f32 v15, v16, v20, -v15
	v_add_f32_e32 v14, v14, v15
	s_waitcnt vmcnt(4) lgkmcnt(0)
	v_mul_f32_e32 v203, v178, v183
	v_mul_f32_e32 v205, v180, v185
	v_fmac_f32_e32 v203, v179, v182
	v_fmac_f32_e32 v205, v181, v184
	s_waitcnt vmcnt(0)
	v_mul_f32_e32 v27, v10, v23
	v_fmac_f32_e32 v27, v11, v22
	v_add_f32_e32 v26, v26, v27
	v_mul_f32_e32 v27, v12, v25
	v_fmac_f32_e32 v27, v13, v24
	v_add_f32_e32 v30, v26, v27
	scratch_load_dwordx4 v[26:29], off, off offset:144
	v_mul_f32_e32 v11, v11, v23
	v_fma_f32 v10, v10, v22, -v11
	v_mul_f32_e32 v11, v13, v25
	v_add_f32_e32 v10, v14, v10
	v_fma_f32 v11, v12, v24, -v11
	v_add_f32_e32 v10, v10, v11
	s_waitcnt vmcnt(0)
	v_mul_f32_e32 v31, v6, v27
	v_fmac_f32_e32 v31, v7, v26
	v_add_f32_e32 v30, v30, v31
	v_mul_f32_e32 v31, v8, v29
	v_fmac_f32_e32 v31, v9, v28
	v_add_f32_e32 v34, v30, v31
	scratch_load_dwordx4 v[30:33], off, off offset:160
	v_mul_f32_e32 v7, v7, v27
	v_fma_f32 v6, v6, v26, -v7
	v_mul_f32_e32 v7, v9, v29
	v_add_f32_e32 v6, v10, v6
	v_fma_f32 v7, v8, v28, -v7
	v_add_f32_e32 v6, v6, v7
	s_waitcnt vmcnt(0)
	v_mul_f32_e32 v35, v2, v31
	v_fmac_f32_e32 v35, v3, v30
	v_add_f32_e32 v34, v34, v35
	v_mul_f32_e32 v35, v4, v33
	v_fmac_f32_e32 v35, v5, v32
	v_add_f32_e32 v42, v34, v35
	ds_read_b128 v[34:37], v118 offset:672
	v_mul_f32_e32 v3, v3, v31
	v_fma_f32 v2, v2, v30, -v3
	v_mul_f32_e32 v3, v5, v33
	v_add_f32_e32 v2, v6, v2
	s_waitcnt lgkmcnt(0)
	v_mul_f32_e32 v43, v34, v39
	v_fmac_f32_e32 v43, v35, v38
	v_add_f32_e32 v42, v42, v43
	v_mul_f32_e32 v43, v36, v41
	v_fmac_f32_e32 v43, v37, v40
	v_add_f32_e32 v50, v42, v43
	ds_read_b128 v[42:45], v118 offset:688
	v_fma_f32 v3, v4, v32, -v3
	v_add_f32_e32 v2, v2, v3
	v_mul_f32_e32 v3, v35, v39
	v_fma_f32 v3, v34, v38, -v3
	s_waitcnt lgkmcnt(0)
	v_mul_f32_e32 v51, v42, v47
	v_fmac_f32_e32 v51, v43, v46
	v_add_f32_e32 v50, v50, v51
	v_mul_f32_e32 v51, v44, v49
	v_fmac_f32_e32 v51, v45, v48
	v_add_f32_e32 v58, v50, v51
	ds_read_b128 v[50:53], v118 offset:704
	v_add_f32_e32 v2, v2, v3
	v_mul_f32_e32 v3, v37, v41
	v_fma_f32 v3, v36, v40, -v3
	v_add_f32_e32 v2, v2, v3
	s_waitcnt lgkmcnt(0)
	v_mul_f32_e32 v59, v50, v55
	v_fmac_f32_e32 v59, v51, v54
	v_add_f32_e32 v58, v58, v59
	v_mul_f32_e32 v59, v52, v57
	v_fmac_f32_e32 v59, v53, v56
	v_add_f32_e32 v66, v58, v59
	ds_read_b128 v[58:61], v118 offset:720
	v_mul_f32_e32 v3, v43, v47
	v_fma_f32 v3, v42, v46, -v3
	v_add_f32_e32 v2, v2, v3
	v_mul_f32_e32 v3, v45, v49
	s_waitcnt lgkmcnt(0)
	v_mul_f32_e32 v67, v58, v63
	v_fmac_f32_e32 v67, v59, v62
	v_add_f32_e32 v66, v66, v67
	v_mul_f32_e32 v67, v60, v65
	v_fmac_f32_e32 v67, v61, v64
	v_add_f32_e32 v74, v66, v67
	ds_read_b128 v[66:69], v118 offset:736
	v_fma_f32 v3, v44, v48, -v3
	v_add_f32_e32 v2, v2, v3
	v_mul_f32_e32 v3, v51, v55
	v_fma_f32 v3, v50, v54, -v3
	s_waitcnt lgkmcnt(0)
	v_mul_f32_e32 v75, v66, v71
	v_fmac_f32_e32 v75, v67, v70
	v_add_f32_e32 v74, v74, v75
	v_mul_f32_e32 v75, v68, v73
	v_fmac_f32_e32 v75, v69, v72
	v_add_f32_e32 v82, v74, v75
	ds_read_b128 v[74:77], v118 offset:752
	v_add_f32_e32 v2, v2, v3
	v_mul_f32_e32 v3, v53, v57
	v_fma_f32 v3, v52, v56, -v3
	v_add_f32_e32 v2, v2, v3
	s_waitcnt lgkmcnt(0)
	v_mul_f32_e32 v83, v74, v79
	v_fmac_f32_e32 v83, v75, v78
	v_add_f32_e32 v82, v82, v83
	v_mul_f32_e32 v83, v76, v81
	v_fmac_f32_e32 v83, v77, v80
	v_add_f32_e32 v90, v82, v83
	ds_read_b128 v[82:85], v118 offset:768
	v_mul_f32_e32 v3, v59, v63
	v_fma_f32 v3, v58, v62, -v3
	v_add_f32_e32 v2, v2, v3
	v_mul_f32_e32 v3, v61, v65
	;; [unrolled: 36-line block ×4, first 2 shown]
	s_waitcnt lgkmcnt(0)
	v_mul_f32_e32 v140, v132, v137
	v_fmac_f32_e32 v140, v133, v136
	v_add_f32_e32 v119, v119, v140
	v_mul_f32_e32 v140, v134, v139
	v_fmac_f32_e32 v140, v135, v138
	v_add_f32_e32 v119, v119, v140
	ds_read_b128 v[140:143], v118 offset:880
	scratch_load_dwordx4 v[186:189], off, off offset:432
	scratch_load_dwordx4 v[190:193], off, off offset:448
	;; [unrolled: 1-line block ×4, first 2 shown]
	v_fma_f32 v3, v92, v96, -v3
	v_add_f32_e32 v2, v2, v3
	v_mul_f32_e32 v3, v99, v103
	v_fma_f32 v3, v98, v102, -v3
	v_add_f32_e32 v2, v2, v3
	v_mul_f32_e32 v3, v101, v105
	;; [unrolled: 3-line block ×10, first 2 shown]
	v_fma_f32 v3, v134, v138, -v3
	s_waitcnt lgkmcnt(0)
	v_mul_f32_e32 v148, v140, v145
	v_add_f32_e32 v2, v2, v3
	v_mul_f32_e32 v3, v141, v145
	v_fmac_f32_e32 v148, v141, v144
	v_fma_f32 v3, v140, v144, -v3
	v_add_f32_e32 v119, v119, v148
	v_mul_f32_e32 v148, v142, v147
	v_add_f32_e32 v2, v2, v3
	v_mul_f32_e32 v3, v143, v147
	v_fmac_f32_e32 v148, v143, v146
	v_fma_f32 v3, v142, v146, -v3
	v_add_f32_e32 v119, v119, v148
	;; [unrolled: 6-line block ×4, first 2 shown]
	v_add_f32_e32 v148, v2, v3
	v_mul_f32_e32 v2, v179, v183
	v_fma_f32 v202, v178, v182, -v2
	v_mul_f32_e32 v2, v181, v185
	v_fma_f32 v204, v180, v184, -v2
	ds_read_b128 v[2:5], v118 offset:928
	ds_read_b128 v[6:9], v118 offset:944
	;; [unrolled: 1-line block ×4, first 2 shown]
	v_pk_add_f32 v[18:19], v[148:149], v[202:203]
	s_waitcnt vmcnt(3) lgkmcnt(3)
	v_pk_mul_f32 v[20:21], v[2:3], v[186:187] op_sel:[1,1] op_sel_hi:[0,1]
	v_pk_fma_f32 v[22:23], v[2:3], v[186:187], v[20:21] neg_lo:[0,0,1] neg_hi:[0,0,1]
	v_pk_fma_f32 v[2:3], v[2:3], v[186:187], v[20:21] op_sel_hi:[1,0,1]
	v_pk_add_f32 v[18:19], v[18:19], v[204:205]
	v_mov_b32_e32 v23, v3
	v_pk_add_f32 v[2:3], v[18:19], v[22:23]
	v_mov_b32_e32 v18, v189
	v_pk_mul_f32 v[18:19], v[4:5], v[18:19] op_sel:[1,0] op_sel_hi:[0,0]
	v_pk_fma_f32 v[20:21], v[4:5], v[188:189], v[18:19] neg_lo:[0,0,1] neg_hi:[0,0,1]
	v_pk_fma_f32 v[4:5], v[4:5], v[188:189], v[18:19] op_sel_hi:[1,0,1]
	s_nop 0
	v_mov_b32_e32 v21, v5
	s_waitcnt vmcnt(2) lgkmcnt(2)
	v_pk_mul_f32 v[4:5], v[6:7], v[190:191] op_sel:[1,1] op_sel_hi:[0,1]
	v_pk_fma_f32 v[18:19], v[6:7], v[190:191], v[4:5] neg_lo:[0,0,1] neg_hi:[0,0,1]
	v_pk_fma_f32 v[4:5], v[6:7], v[190:191], v[4:5] op_sel_hi:[1,0,1]
	v_pk_add_f32 v[2:3], v[2:3], v[20:21]
	v_mov_b32_e32 v4, v193
	v_mov_b32_e32 v19, v5
	v_pk_mul_f32 v[4:5], v[8:9], v[4:5] op_sel:[1,0] op_sel_hi:[0,0]
	v_pk_fma_f32 v[6:7], v[8:9], v[192:193], v[4:5] neg_lo:[0,0,1] neg_hi:[0,0,1]
	v_pk_fma_f32 v[4:5], v[8:9], v[192:193], v[4:5] op_sel_hi:[1,0,1]
	v_pk_add_f32 v[2:3], v[2:3], v[18:19]
	v_mov_b32_e32 v7, v5
	s_waitcnt vmcnt(1) lgkmcnt(1)
	v_pk_mul_f32 v[4:5], v[10:11], v[194:195] op_sel:[1,1] op_sel_hi:[0,1]
	v_pk_add_f32 v[2:3], v[2:3], v[6:7]
	v_pk_fma_f32 v[6:7], v[10:11], v[194:195], v[4:5] neg_lo:[0,0,1] neg_hi:[0,0,1]
	v_pk_fma_f32 v[4:5], v[10:11], v[194:195], v[4:5] op_sel_hi:[1,0,1]
	s_nop 0
	v_mov_b32_e32 v4, v197
	v_mov_b32_e32 v7, v5
	v_pk_mul_f32 v[4:5], v[12:13], v[4:5] op_sel:[1,0] op_sel_hi:[0,0]
	v_pk_add_f32 v[2:3], v[2:3], v[6:7]
	v_pk_fma_f32 v[6:7], v[12:13], v[196:197], v[4:5] neg_lo:[0,0,1] neg_hi:[0,0,1]
	v_pk_fma_f32 v[4:5], v[12:13], v[196:197], v[4:5] op_sel_hi:[1,0,1]
	s_nop 0
	v_mov_b32_e32 v7, v5
	s_waitcnt vmcnt(0) lgkmcnt(0)
	v_pk_mul_f32 v[4:5], v[14:15], v[198:199] op_sel:[1,1] op_sel_hi:[0,1]
	v_pk_add_f32 v[2:3], v[2:3], v[6:7]
	v_pk_fma_f32 v[6:7], v[14:15], v[198:199], v[4:5] neg_lo:[0,0,1] neg_hi:[0,0,1]
	v_pk_fma_f32 v[4:5], v[14:15], v[198:199], v[4:5] op_sel_hi:[1,0,1]
	s_nop 0
	v_mov_b32_e32 v4, v201
	v_mov_b32_e32 v7, v5
	v_pk_mul_f32 v[4:5], v[16:17], v[4:5] op_sel:[1,0] op_sel_hi:[0,0]
	v_pk_add_f32 v[2:3], v[2:3], v[6:7]
	v_pk_fma_f32 v[6:7], v[16:17], v[200:201], v[4:5] neg_lo:[0,0,1] neg_hi:[0,0,1]
	v_pk_fma_f32 v[4:5], v[16:17], v[200:201], v[4:5] op_sel_hi:[1,0,1]
	s_nop 0
	v_mov_b32_e32 v7, v5
	scratch_load_dwordx2 v[4:5], off, off offset:104
	v_pk_add_f32 v[2:3], v[2:3], v[6:7]
	s_waitcnt vmcnt(0)
	v_pk_add_f32 v[2:3], v[4:5], v[2:3] neg_lo:[0,1] neg_hi:[0,1]
	scratch_store_dwordx2 off, v[2:3], off offset:104
	s_and_saveexec_b64 s[0:1], vcc
	s_cbranch_execz .LBB125_361
; %bb.360:
	scratch_load_dwordx2 v[2:3], off, off offset:96
	v_mov_b32_e32 v4, 0
	v_mov_b32_e32 v5, v4
	scratch_store_dwordx2 off, v[4:5], off offset:96
	s_waitcnt vmcnt(1)
	ds_write_b64 v1, v[2:3]
.LBB125_361:
	s_or_b64 exec, exec, s[0:1]
	s_waitcnt lgkmcnt(0)
	; wave barrier
	scratch_load_dwordx4 v[6:9], off, off offset:104
	scratch_load_dwordx4 v[14:17], off, off offset:120
	;; [unrolled: 1-line block ×10, first 2 shown]
	v_mov_b32_e32 v134, 0
	ds_read2_b64 v[2:5], v134 offset0:75 offset1:76
	ds_read2_b64 v[170:173], v134 offset0:111 offset1:112
	scratch_load_dwordx4 v[86:89], off, off offset:264
	scratch_load_dwordx4 v[94:97], off, off offset:280
	;; [unrolled: 1-line block ×11, first 2 shown]
	v_cmp_lt_u32_e32 vcc, 11, v0
	ds_read2_b64 v[178:181], v134 offset0:113 offset1:114
	ds_read2_b64 v[186:189], v134 offset0:115 offset1:116
	s_waitcnt vmcnt(20) lgkmcnt(3)
	v_mul_f32_e32 v10, v2, v7
	v_fmac_f32_e32 v10, v3, v6
	v_mul_f32_e32 v11, v4, v9
	v_add_f32_e32 v10, 0, v10
	v_fmac_f32_e32 v11, v5, v8
	v_add_f32_e32 v18, v10, v11
	ds_read2_b64 v[10:13], v134 offset0:77 offset1:78
	v_mul_f32_e32 v3, v3, v7
	v_fma_f32 v2, v2, v6, -v3
	v_mul_f32_e32 v3, v5, v9
	v_add_f32_e32 v2, 0, v2
	s_waitcnt vmcnt(19) lgkmcnt(0)
	v_mul_f32_e32 v19, v10, v15
	v_fmac_f32_e32 v19, v11, v14
	v_add_f32_e32 v18, v18, v19
	v_mul_f32_e32 v19, v12, v17
	v_fmac_f32_e32 v19, v13, v16
	v_add_f32_e32 v26, v18, v19
	ds_read2_b64 v[18:21], v134 offset0:79 offset1:80
	v_fma_f32 v3, v4, v8, -v3
	v_add_f32_e32 v2, v2, v3
	v_mul_f32_e32 v3, v11, v15
	v_fma_f32 v3, v10, v14, -v3
	s_waitcnt vmcnt(18) lgkmcnt(0)
	v_mul_f32_e32 v27, v18, v23
	v_fmac_f32_e32 v27, v19, v22
	v_add_f32_e32 v26, v26, v27
	v_mul_f32_e32 v27, v20, v25
	v_fmac_f32_e32 v27, v21, v24
	v_add_f32_e32 v34, v26, v27
	ds_read2_b64 v[26:29], v134 offset0:81 offset1:82
	v_add_f32_e32 v2, v2, v3
	v_mul_f32_e32 v3, v13, v17
	v_fma_f32 v3, v12, v16, -v3
	v_add_f32_e32 v2, v2, v3
	s_waitcnt vmcnt(17) lgkmcnt(0)
	v_mul_f32_e32 v35, v26, v31
	v_fmac_f32_e32 v35, v27, v30
	v_add_f32_e32 v34, v34, v35
	v_mul_f32_e32 v35, v28, v33
	v_fmac_f32_e32 v35, v29, v32
	v_add_f32_e32 v42, v34, v35
	ds_read2_b64 v[34:37], v134 offset0:83 offset1:84
	v_mul_f32_e32 v3, v19, v23
	v_fma_f32 v3, v18, v22, -v3
	v_add_f32_e32 v2, v2, v3
	v_mul_f32_e32 v3, v21, v25
	s_waitcnt vmcnt(16) lgkmcnt(0)
	v_mul_f32_e32 v43, v34, v39
	v_fmac_f32_e32 v43, v35, v38
	v_add_f32_e32 v42, v42, v43
	v_mul_f32_e32 v43, v36, v41
	v_fmac_f32_e32 v43, v37, v40
	v_add_f32_e32 v50, v42, v43
	ds_read2_b64 v[42:45], v134 offset0:85 offset1:86
	v_fma_f32 v3, v20, v24, -v3
	v_add_f32_e32 v2, v2, v3
	v_mul_f32_e32 v3, v27, v31
	v_fma_f32 v3, v26, v30, -v3
	s_waitcnt vmcnt(15) lgkmcnt(0)
	v_mul_f32_e32 v51, v42, v47
	v_fmac_f32_e32 v51, v43, v46
	v_add_f32_e32 v50, v50, v51
	v_mul_f32_e32 v51, v44, v49
	v_fmac_f32_e32 v51, v45, v48
	v_add_f32_e32 v58, v50, v51
	ds_read2_b64 v[50:53], v134 offset0:87 offset1:88
	v_add_f32_e32 v2, v2, v3
	v_mul_f32_e32 v3, v29, v33
	v_fma_f32 v3, v28, v32, -v3
	v_add_f32_e32 v2, v2, v3
	s_waitcnt vmcnt(14) lgkmcnt(0)
	v_mul_f32_e32 v59, v50, v55
	v_fmac_f32_e32 v59, v51, v54
	v_add_f32_e32 v58, v58, v59
	v_mul_f32_e32 v59, v52, v57
	v_fmac_f32_e32 v59, v53, v56
	v_add_f32_e32 v66, v58, v59
	ds_read2_b64 v[58:61], v134 offset0:89 offset1:90
	v_mul_f32_e32 v3, v35, v39
	v_fma_f32 v3, v34, v38, -v3
	v_add_f32_e32 v2, v2, v3
	v_mul_f32_e32 v3, v37, v41
	;; [unrolled: 36-line block ×5, first 2 shown]
	s_waitcnt vmcnt(4) lgkmcnt(0)
	v_mul_f32_e32 v140, v130, v137
	v_fmac_f32_e32 v140, v131, v136
	v_add_f32_e32 v135, v135, v140
	v_mul_f32_e32 v140, v132, v139
	v_fmac_f32_e32 v140, v133, v138
	v_add_f32_e32 v135, v135, v140
	ds_read2_b64 v[140:143], v134 offset0:109 offset1:110
	scratch_load_dwordx4 v[194:197], off, off offset:440
	scratch_load_dwordx4 v[198:201], off, off offset:456
	;; [unrolled: 1-line block ×3, first 2 shown]
	scratch_load_dwordx2 v[210:211], off, off offset:488
	v_fma_f32 v3, v84, v88, -v3
	v_add_f32_e32 v2, v2, v3
	v_mul_f32_e32 v3, v91, v95
	v_fma_f32 v3, v90, v94, -v3
	v_add_f32_e32 v2, v2, v3
	v_mul_f32_e32 v3, v93, v97
	;; [unrolled: 3-line block ×12, first 2 shown]
	v_fma_f32 v3, v132, v138, -v3
	s_waitcnt vmcnt(7) lgkmcnt(0)
	v_mul_f32_e32 v148, v140, v145
	v_add_f32_e32 v2, v2, v3
	v_mul_f32_e32 v3, v141, v145
	v_fmac_f32_e32 v148, v141, v144
	v_fma_f32 v3, v140, v144, -v3
	v_add_f32_e32 v135, v135, v148
	v_mul_f32_e32 v148, v142, v147
	v_add_f32_e32 v2, v2, v3
	v_mul_f32_e32 v3, v143, v147
	v_fmac_f32_e32 v148, v143, v146
	v_fma_f32 v3, v142, v146, -v3
	v_add_f32_e32 v135, v135, v148
	s_waitcnt vmcnt(6)
	v_mul_f32_e32 v148, v170, v175
	v_add_f32_e32 v2, v2, v3
	v_mul_f32_e32 v3, v171, v175
	v_fmac_f32_e32 v148, v171, v174
	v_fma_f32 v3, v170, v174, -v3
	v_add_f32_e32 v135, v135, v148
	v_mul_f32_e32 v148, v172, v177
	v_add_f32_e32 v2, v2, v3
	v_mul_f32_e32 v3, v173, v177
	v_fmac_f32_e32 v148, v173, v176
	v_fma_f32 v3, v172, v176, -v3
	v_add_f32_e32 v135, v135, v148
	s_waitcnt vmcnt(5)
	v_mul_f32_e32 v148, v178, v183
	v_add_f32_e32 v2, v2, v3
	v_mul_f32_e32 v3, v179, v183
	v_fmac_f32_e32 v148, v179, v182
	v_fma_f32 v3, v178, v182, -v3
	v_add_f32_e32 v149, v135, v148
	v_add_f32_e32 v148, v2, v3
	v_mul_f32_e32 v2, v181, v185
	v_mul_f32_e32 v207, v180, v185
	v_fma_f32 v206, v180, v184, -v2
	s_waitcnt vmcnt(4)
	v_mul_f32_e32 v2, v187, v191
	v_mov_b32_e32 v18, v193
	v_fmac_f32_e32 v207, v181, v184
	v_mul_f32_e32 v209, v186, v191
	v_fma_f32 v208, v186, v190, -v2
	ds_read2_b64 v[2:5], v134 offset0:117 offset1:118
	ds_read2_b64 v[6:9], v134 offset0:119 offset1:120
	;; [unrolled: 1-line block ×3, first 2 shown]
	ds_read_b64 v[14:15], v134 offset:984
	v_pk_mul_f32 v[18:19], v[188:189], v[18:19] op_sel:[1,0] op_sel_hi:[0,0]
	v_fmac_f32_e32 v209, v187, v190
	v_pk_add_f32 v[16:17], v[148:149], v[206:207]
	v_pk_fma_f32 v[20:21], v[188:189], v[192:193], v[18:19] neg_lo:[0,0,1] neg_hi:[0,0,1]
	v_pk_fma_f32 v[18:19], v[188:189], v[192:193], v[18:19] op_sel_hi:[1,0,1]
	v_pk_add_f32 v[16:17], v[16:17], v[208:209]
	v_mov_b32_e32 v21, v19
	s_waitcnt vmcnt(3) lgkmcnt(3)
	v_pk_mul_f32 v[18:19], v[2:3], v[194:195] op_sel:[1,1] op_sel_hi:[0,1]
	v_pk_add_f32 v[16:17], v[16:17], v[20:21]
	v_pk_fma_f32 v[20:21], v[2:3], v[194:195], v[18:19] neg_lo:[0,0,1] neg_hi:[0,0,1]
	v_pk_fma_f32 v[2:3], v[2:3], v[194:195], v[18:19] op_sel_hi:[1,0,1]
	s_nop 0
	v_mov_b32_e32 v21, v3
	v_pk_add_f32 v[2:3], v[16:17], v[20:21]
	v_mov_b32_e32 v16, v197
	v_pk_mul_f32 v[16:17], v[4:5], v[16:17] op_sel:[1,0] op_sel_hi:[0,0]
	v_pk_fma_f32 v[18:19], v[4:5], v[196:197], v[16:17] neg_lo:[0,0,1] neg_hi:[0,0,1]
	v_pk_fma_f32 v[4:5], v[4:5], v[196:197], v[16:17] op_sel_hi:[1,0,1]
	s_nop 0
	v_mov_b32_e32 v19, v5
	s_waitcnt vmcnt(2) lgkmcnt(2)
	v_pk_mul_f32 v[4:5], v[6:7], v[198:199] op_sel:[1,1] op_sel_hi:[0,1]
	v_pk_fma_f32 v[16:17], v[6:7], v[198:199], v[4:5] neg_lo:[0,0,1] neg_hi:[0,0,1]
	v_pk_fma_f32 v[4:5], v[6:7], v[198:199], v[4:5] op_sel_hi:[1,0,1]
	v_pk_add_f32 v[2:3], v[2:3], v[18:19]
	v_mov_b32_e32 v4, v201
	v_mov_b32_e32 v17, v5
	v_pk_mul_f32 v[4:5], v[8:9], v[4:5] op_sel:[1,0] op_sel_hi:[0,0]
	v_pk_fma_f32 v[6:7], v[8:9], v[200:201], v[4:5] neg_lo:[0,0,1] neg_hi:[0,0,1]
	v_pk_fma_f32 v[4:5], v[8:9], v[200:201], v[4:5] op_sel_hi:[1,0,1]
	v_pk_add_f32 v[2:3], v[2:3], v[16:17]
	v_mov_b32_e32 v7, v5
	s_waitcnt vmcnt(1) lgkmcnt(1)
	v_pk_mul_f32 v[4:5], v[10:11], v[202:203] op_sel:[1,1] op_sel_hi:[0,1]
	v_pk_add_f32 v[2:3], v[2:3], v[6:7]
	v_pk_fma_f32 v[6:7], v[10:11], v[202:203], v[4:5] neg_lo:[0,0,1] neg_hi:[0,0,1]
	v_pk_fma_f32 v[4:5], v[10:11], v[202:203], v[4:5] op_sel_hi:[1,0,1]
	s_nop 0
	v_mov_b32_e32 v4, v205
	v_mov_b32_e32 v7, v5
	v_pk_mul_f32 v[4:5], v[12:13], v[4:5] op_sel:[1,0] op_sel_hi:[0,0]
	v_pk_add_f32 v[2:3], v[2:3], v[6:7]
	v_pk_fma_f32 v[6:7], v[12:13], v[204:205], v[4:5] neg_lo:[0,0,1] neg_hi:[0,0,1]
	v_pk_fma_f32 v[4:5], v[12:13], v[204:205], v[4:5] op_sel_hi:[1,0,1]
	s_nop 0
	v_mov_b32_e32 v7, v5
	s_waitcnt vmcnt(0) lgkmcnt(0)
	v_pk_mul_f32 v[4:5], v[14:15], v[210:211] op_sel:[1,1] op_sel_hi:[0,1]
	v_pk_add_f32 v[2:3], v[2:3], v[6:7]
	v_pk_fma_f32 v[6:7], v[14:15], v[210:211], v[4:5] neg_lo:[0,0,1] neg_hi:[0,0,1]
	v_pk_fma_f32 v[4:5], v[14:15], v[210:211], v[4:5] op_sel_hi:[1,0,1]
	s_nop 0
	v_mov_b32_e32 v7, v5
	scratch_load_dwordx2 v[4:5], off, off offset:96
	v_pk_add_f32 v[2:3], v[2:3], v[6:7]
	s_waitcnt vmcnt(0)
	v_pk_add_f32 v[2:3], v[4:5], v[2:3] neg_lo:[0,1] neg_hi:[0,1]
	scratch_store_dwordx2 off, v[2:3], off offset:96
	s_and_saveexec_b64 s[0:1], vcc
	s_cbranch_execz .LBB125_363
; %bb.362:
	scratch_load_dwordx2 v[2:3], off, off offset:88
	v_mov_b32_e32 v135, v134
	scratch_store_dwordx2 off, v[134:135], off offset:88
	s_waitcnt vmcnt(1)
	ds_write_b64 v1, v[2:3]
.LBB125_363:
	s_or_b64 exec, exec, s[0:1]
	s_waitcnt lgkmcnt(0)
	; wave barrier
	ds_read_b128 v[14:17], v134 offset:592
	ds_read_b128 v[10:13], v134 offset:608
	ds_read_b128 v[6:9], v134 offset:624
	ds_read_b128 v[2:5], v134 offset:640
	scratch_load_dwordx4 v[18:21], off, off offset:96
	scratch_load_dwordx4 v[38:41], off, off offset:160
	;; [unrolled: 1-line block ×15, first 2 shown]
	v_cmp_lt_u32_e32 vcc, 10, v0
	scratch_load_dwordx4 v[46:49], off, off offset:176
	scratch_load_dwordx4 v[54:57], off, off offset:192
	;; [unrolled: 1-line block ×3, first 2 shown]
	ds_read_b128 v[170:173], v134 offset:880
	ds_read_b128 v[178:181], v134 offset:896
	;; [unrolled: 1-line block ×3, first 2 shown]
	s_waitcnt vmcnt(17) lgkmcnt(6)
	v_mul_f32_e32 v22, v14, v19
	v_fmac_f32_e32 v22, v15, v18
	v_mul_f32_e32 v23, v16, v21
	v_add_f32_e32 v22, 0, v22
	v_fmac_f32_e32 v23, v17, v20
	v_add_f32_e32 v26, v22, v23
	scratch_load_dwordx4 v[22:25], off, off offset:112
	v_mul_f32_e32 v15, v15, v19
	v_fma_f32 v14, v14, v18, -v15
	v_mul_f32_e32 v15, v17, v21
	v_add_f32_e32 v14, 0, v14
	v_fma_f32 v15, v16, v20, -v15
	v_add_f32_e32 v14, v14, v15
	s_waitcnt vmcnt(4) lgkmcnt(0)
	v_mul_f32_e32 v211, v186, v191
	v_mul_f32_e32 v213, v188, v193
	v_fmac_f32_e32 v211, v187, v190
	v_fmac_f32_e32 v213, v189, v192
	s_waitcnt vmcnt(0)
	v_mul_f32_e32 v27, v10, v23
	v_fmac_f32_e32 v27, v11, v22
	v_add_f32_e32 v26, v26, v27
	v_mul_f32_e32 v27, v12, v25
	v_fmac_f32_e32 v27, v13, v24
	v_add_f32_e32 v30, v26, v27
	scratch_load_dwordx4 v[26:29], off, off offset:128
	v_mul_f32_e32 v11, v11, v23
	v_fma_f32 v10, v10, v22, -v11
	v_mul_f32_e32 v11, v13, v25
	v_add_f32_e32 v10, v14, v10
	v_fma_f32 v11, v12, v24, -v11
	v_add_f32_e32 v10, v10, v11
	s_waitcnt vmcnt(0)
	v_mul_f32_e32 v31, v6, v27
	v_fmac_f32_e32 v31, v7, v26
	v_add_f32_e32 v30, v30, v31
	v_mul_f32_e32 v31, v8, v29
	v_fmac_f32_e32 v31, v9, v28
	v_add_f32_e32 v34, v30, v31
	scratch_load_dwordx4 v[30:33], off, off offset:144
	v_mul_f32_e32 v7, v7, v27
	v_fma_f32 v6, v6, v26, -v7
	v_mul_f32_e32 v7, v9, v29
	v_add_f32_e32 v6, v10, v6
	v_fma_f32 v7, v8, v28, -v7
	v_add_f32_e32 v6, v6, v7
	s_waitcnt vmcnt(0)
	v_mul_f32_e32 v35, v2, v31
	v_fmac_f32_e32 v35, v3, v30
	v_add_f32_e32 v34, v34, v35
	v_mul_f32_e32 v35, v4, v33
	v_fmac_f32_e32 v35, v5, v32
	v_add_f32_e32 v42, v34, v35
	ds_read_b128 v[34:37], v134 offset:656
	v_mul_f32_e32 v3, v3, v31
	v_fma_f32 v2, v2, v30, -v3
	v_mul_f32_e32 v3, v5, v33
	v_add_f32_e32 v2, v6, v2
	s_waitcnt lgkmcnt(0)
	v_mul_f32_e32 v43, v34, v39
	v_fmac_f32_e32 v43, v35, v38
	v_add_f32_e32 v42, v42, v43
	v_mul_f32_e32 v43, v36, v41
	v_fmac_f32_e32 v43, v37, v40
	v_add_f32_e32 v50, v42, v43
	ds_read_b128 v[42:45], v134 offset:672
	v_fma_f32 v3, v4, v32, -v3
	v_add_f32_e32 v2, v2, v3
	v_mul_f32_e32 v3, v35, v39
	v_fma_f32 v3, v34, v38, -v3
	s_waitcnt lgkmcnt(0)
	v_mul_f32_e32 v51, v42, v47
	v_fmac_f32_e32 v51, v43, v46
	v_add_f32_e32 v50, v50, v51
	v_mul_f32_e32 v51, v44, v49
	v_fmac_f32_e32 v51, v45, v48
	v_add_f32_e32 v58, v50, v51
	ds_read_b128 v[50:53], v134 offset:688
	v_add_f32_e32 v2, v2, v3
	v_mul_f32_e32 v3, v37, v41
	v_fma_f32 v3, v36, v40, -v3
	v_add_f32_e32 v2, v2, v3
	s_waitcnt lgkmcnt(0)
	v_mul_f32_e32 v59, v50, v55
	v_fmac_f32_e32 v59, v51, v54
	v_add_f32_e32 v58, v58, v59
	v_mul_f32_e32 v59, v52, v57
	v_fmac_f32_e32 v59, v53, v56
	v_add_f32_e32 v66, v58, v59
	ds_read_b128 v[58:61], v134 offset:704
	v_mul_f32_e32 v3, v43, v47
	v_fma_f32 v3, v42, v46, -v3
	v_add_f32_e32 v2, v2, v3
	v_mul_f32_e32 v3, v45, v49
	s_waitcnt lgkmcnt(0)
	v_mul_f32_e32 v67, v58, v63
	v_fmac_f32_e32 v67, v59, v62
	v_add_f32_e32 v66, v66, v67
	v_mul_f32_e32 v67, v60, v65
	v_fmac_f32_e32 v67, v61, v64
	v_add_f32_e32 v74, v66, v67
	ds_read_b128 v[66:69], v134 offset:720
	v_fma_f32 v3, v44, v48, -v3
	v_add_f32_e32 v2, v2, v3
	v_mul_f32_e32 v3, v51, v55
	v_fma_f32 v3, v50, v54, -v3
	s_waitcnt lgkmcnt(0)
	v_mul_f32_e32 v75, v66, v71
	v_fmac_f32_e32 v75, v67, v70
	v_add_f32_e32 v74, v74, v75
	v_mul_f32_e32 v75, v68, v73
	v_fmac_f32_e32 v75, v69, v72
	v_add_f32_e32 v82, v74, v75
	ds_read_b128 v[74:77], v134 offset:736
	v_add_f32_e32 v2, v2, v3
	v_mul_f32_e32 v3, v53, v57
	v_fma_f32 v3, v52, v56, -v3
	v_add_f32_e32 v2, v2, v3
	s_waitcnt lgkmcnt(0)
	v_mul_f32_e32 v83, v74, v79
	v_fmac_f32_e32 v83, v75, v78
	v_add_f32_e32 v82, v82, v83
	v_mul_f32_e32 v83, v76, v81
	v_fmac_f32_e32 v83, v77, v80
	v_add_f32_e32 v90, v82, v83
	ds_read_b128 v[82:85], v134 offset:752
	v_mul_f32_e32 v3, v59, v63
	v_fma_f32 v3, v58, v62, -v3
	v_add_f32_e32 v2, v2, v3
	v_mul_f32_e32 v3, v61, v65
	s_waitcnt lgkmcnt(0)
	v_mul_f32_e32 v91, v82, v87
	v_fmac_f32_e32 v91, v83, v86
	v_add_f32_e32 v90, v90, v91
	v_mul_f32_e32 v91, v84, v89
	v_fmac_f32_e32 v91, v85, v88
	v_add_f32_e32 v98, v90, v91
	ds_read_b128 v[90:93], v134 offset:768
	v_fma_f32 v3, v60, v64, -v3
	v_add_f32_e32 v2, v2, v3
	v_mul_f32_e32 v3, v67, v71
	v_fma_f32 v3, v66, v70, -v3
	s_waitcnt lgkmcnt(0)
	v_mul_f32_e32 v99, v90, v95
	v_fmac_f32_e32 v99, v91, v94
	v_add_f32_e32 v98, v98, v99
	v_mul_f32_e32 v99, v92, v97
	v_fmac_f32_e32 v99, v93, v96
	v_add_f32_e32 v106, v98, v99
	ds_read_b128 v[98:101], v134 offset:784
	v_add_f32_e32 v2, v2, v3
	v_mul_f32_e32 v3, v69, v73
	v_fma_f32 v3, v68, v72, -v3
	v_add_f32_e32 v2, v2, v3
	s_waitcnt lgkmcnt(0)
	v_mul_f32_e32 v107, v98, v103
	v_fmac_f32_e32 v107, v99, v102
	v_add_f32_e32 v106, v106, v107
	v_mul_f32_e32 v107, v100, v105
	v_fmac_f32_e32 v107, v101, v104
	v_add_f32_e32 v114, v106, v107
	ds_read_b128 v[106:109], v134 offset:800
	v_mul_f32_e32 v3, v75, v79
	v_fma_f32 v3, v74, v78, -v3
	v_add_f32_e32 v2, v2, v3
	v_mul_f32_e32 v3, v77, v81
	s_waitcnt lgkmcnt(0)
	v_mul_f32_e32 v115, v106, v111
	v_fmac_f32_e32 v115, v107, v110
	v_add_f32_e32 v114, v114, v115
	v_mul_f32_e32 v115, v108, v113
	v_fmac_f32_e32 v115, v109, v112
	v_add_f32_e32 v122, v114, v115
	ds_read_b128 v[114:117], v134 offset:816
	v_fma_f32 v3, v76, v80, -v3
	v_add_f32_e32 v2, v2, v3
	v_mul_f32_e32 v3, v83, v87
	v_fma_f32 v3, v82, v86, -v3
	s_waitcnt lgkmcnt(0)
	v_mul_f32_e32 v123, v114, v119
	v_fmac_f32_e32 v123, v115, v118
	v_add_f32_e32 v122, v122, v123
	v_mul_f32_e32 v123, v116, v121
	v_fmac_f32_e32 v123, v117, v120
	v_add_f32_e32 v130, v122, v123
	ds_read_b128 v[122:125], v134 offset:832
	v_add_f32_e32 v2, v2, v3
	v_mul_f32_e32 v3, v85, v89
	v_fma_f32 v3, v84, v88, -v3
	v_add_f32_e32 v2, v2, v3
	s_waitcnt lgkmcnt(0)
	v_mul_f32_e32 v131, v122, v127
	v_fmac_f32_e32 v131, v123, v126
	v_add_f32_e32 v130, v130, v131
	v_mul_f32_e32 v131, v124, v129
	v_fmac_f32_e32 v131, v125, v128
	v_add_f32_e32 v135, v130, v131
	ds_read_b128 v[130:133], v134 offset:848
	v_mul_f32_e32 v3, v91, v95
	v_fma_f32 v3, v90, v94, -v3
	v_add_f32_e32 v2, v2, v3
	v_mul_f32_e32 v3, v93, v97
	s_waitcnt lgkmcnt(0)
	v_mul_f32_e32 v140, v130, v137
	v_fmac_f32_e32 v140, v131, v136
	v_add_f32_e32 v135, v135, v140
	v_mul_f32_e32 v140, v132, v139
	v_fmac_f32_e32 v140, v133, v138
	v_add_f32_e32 v135, v135, v140
	ds_read_b128 v[140:143], v134 offset:864
	scratch_load_dwordx4 v[194:197], off, off offset:432
	scratch_load_dwordx4 v[198:201], off, off offset:448
	;; [unrolled: 1-line block ×4, first 2 shown]
	v_fma_f32 v3, v92, v96, -v3
	v_add_f32_e32 v2, v2, v3
	v_mul_f32_e32 v3, v99, v103
	v_fma_f32 v3, v98, v102, -v3
	v_add_f32_e32 v2, v2, v3
	v_mul_f32_e32 v3, v101, v105
	;; [unrolled: 3-line block ×10, first 2 shown]
	v_fma_f32 v3, v132, v138, -v3
	s_waitcnt lgkmcnt(0)
	v_mul_f32_e32 v148, v140, v145
	v_add_f32_e32 v2, v2, v3
	v_mul_f32_e32 v3, v141, v145
	v_fmac_f32_e32 v148, v141, v144
	v_fma_f32 v3, v140, v144, -v3
	v_add_f32_e32 v135, v135, v148
	v_mul_f32_e32 v148, v142, v147
	v_add_f32_e32 v2, v2, v3
	v_mul_f32_e32 v3, v143, v147
	v_fmac_f32_e32 v148, v143, v146
	v_fma_f32 v3, v142, v146, -v3
	v_add_f32_e32 v135, v135, v148
	;; [unrolled: 6-line block ×6, first 2 shown]
	v_add_f32_e32 v148, v2, v3
	v_mul_f32_e32 v2, v187, v191
	v_fma_f32 v210, v186, v190, -v2
	v_mul_f32_e32 v2, v189, v193
	v_fma_f32 v212, v188, v192, -v2
	ds_read_b128 v[2:5], v134 offset:928
	ds_read_b128 v[6:9], v134 offset:944
	;; [unrolled: 1-line block ×4, first 2 shown]
	v_pk_add_f32 v[18:19], v[148:149], v[210:211]
	s_waitcnt vmcnt(3) lgkmcnt(3)
	v_pk_mul_f32 v[20:21], v[2:3], v[194:195] op_sel:[1,1] op_sel_hi:[0,1]
	v_pk_fma_f32 v[22:23], v[2:3], v[194:195], v[20:21] neg_lo:[0,0,1] neg_hi:[0,0,1]
	v_pk_fma_f32 v[2:3], v[2:3], v[194:195], v[20:21] op_sel_hi:[1,0,1]
	v_pk_add_f32 v[18:19], v[18:19], v[212:213]
	v_mov_b32_e32 v23, v3
	v_pk_add_f32 v[2:3], v[18:19], v[22:23]
	v_mov_b32_e32 v18, v197
	v_pk_mul_f32 v[18:19], v[4:5], v[18:19] op_sel:[1,0] op_sel_hi:[0,0]
	v_pk_fma_f32 v[20:21], v[4:5], v[196:197], v[18:19] neg_lo:[0,0,1] neg_hi:[0,0,1]
	v_pk_fma_f32 v[4:5], v[4:5], v[196:197], v[18:19] op_sel_hi:[1,0,1]
	s_nop 0
	v_mov_b32_e32 v21, v5
	s_waitcnt vmcnt(2) lgkmcnt(2)
	v_pk_mul_f32 v[4:5], v[6:7], v[198:199] op_sel:[1,1] op_sel_hi:[0,1]
	v_pk_fma_f32 v[18:19], v[6:7], v[198:199], v[4:5] neg_lo:[0,0,1] neg_hi:[0,0,1]
	v_pk_fma_f32 v[4:5], v[6:7], v[198:199], v[4:5] op_sel_hi:[1,0,1]
	v_pk_add_f32 v[2:3], v[2:3], v[20:21]
	v_mov_b32_e32 v4, v201
	v_mov_b32_e32 v19, v5
	v_pk_mul_f32 v[4:5], v[8:9], v[4:5] op_sel:[1,0] op_sel_hi:[0,0]
	v_pk_fma_f32 v[6:7], v[8:9], v[200:201], v[4:5] neg_lo:[0,0,1] neg_hi:[0,0,1]
	v_pk_fma_f32 v[4:5], v[8:9], v[200:201], v[4:5] op_sel_hi:[1,0,1]
	v_pk_add_f32 v[2:3], v[2:3], v[18:19]
	v_mov_b32_e32 v7, v5
	s_waitcnt vmcnt(1) lgkmcnt(1)
	v_pk_mul_f32 v[4:5], v[10:11], v[202:203] op_sel:[1,1] op_sel_hi:[0,1]
	v_pk_add_f32 v[2:3], v[2:3], v[6:7]
	v_pk_fma_f32 v[6:7], v[10:11], v[202:203], v[4:5] neg_lo:[0,0,1] neg_hi:[0,0,1]
	v_pk_fma_f32 v[4:5], v[10:11], v[202:203], v[4:5] op_sel_hi:[1,0,1]
	s_nop 0
	v_mov_b32_e32 v4, v205
	v_mov_b32_e32 v7, v5
	v_pk_mul_f32 v[4:5], v[12:13], v[4:5] op_sel:[1,0] op_sel_hi:[0,0]
	v_pk_add_f32 v[2:3], v[2:3], v[6:7]
	v_pk_fma_f32 v[6:7], v[12:13], v[204:205], v[4:5] neg_lo:[0,0,1] neg_hi:[0,0,1]
	v_pk_fma_f32 v[4:5], v[12:13], v[204:205], v[4:5] op_sel_hi:[1,0,1]
	s_nop 0
	v_mov_b32_e32 v7, v5
	s_waitcnt vmcnt(0) lgkmcnt(0)
	v_pk_mul_f32 v[4:5], v[14:15], v[206:207] op_sel:[1,1] op_sel_hi:[0,1]
	v_pk_add_f32 v[2:3], v[2:3], v[6:7]
	v_pk_fma_f32 v[6:7], v[14:15], v[206:207], v[4:5] neg_lo:[0,0,1] neg_hi:[0,0,1]
	v_pk_fma_f32 v[4:5], v[14:15], v[206:207], v[4:5] op_sel_hi:[1,0,1]
	s_nop 0
	v_mov_b32_e32 v4, v209
	v_mov_b32_e32 v7, v5
	v_pk_mul_f32 v[4:5], v[16:17], v[4:5] op_sel:[1,0] op_sel_hi:[0,0]
	v_pk_add_f32 v[2:3], v[2:3], v[6:7]
	v_pk_fma_f32 v[6:7], v[16:17], v[208:209], v[4:5] neg_lo:[0,0,1] neg_hi:[0,0,1]
	v_pk_fma_f32 v[4:5], v[16:17], v[208:209], v[4:5] op_sel_hi:[1,0,1]
	s_nop 0
	v_mov_b32_e32 v7, v5
	scratch_load_dwordx2 v[4:5], off, off offset:88
	v_pk_add_f32 v[2:3], v[2:3], v[6:7]
	s_waitcnt vmcnt(0)
	v_pk_add_f32 v[2:3], v[4:5], v[2:3] neg_lo:[0,1] neg_hi:[0,1]
	scratch_store_dwordx2 off, v[2:3], off offset:88
	s_and_saveexec_b64 s[0:1], vcc
	s_cbranch_execz .LBB125_365
; %bb.364:
	scratch_load_dwordx2 v[2:3], off, off offset:80
	v_mov_b32_e32 v4, 0
	v_mov_b32_e32 v5, v4
	scratch_store_dwordx2 off, v[4:5], off offset:80
	s_waitcnt vmcnt(1)
	ds_write_b64 v1, v[2:3]
.LBB125_365:
	s_or_b64 exec, exec, s[0:1]
	s_waitcnt lgkmcnt(0)
	; wave barrier
	scratch_load_dwordx4 v[6:9], off, off offset:88
	scratch_load_dwordx4 v[14:17], off, off offset:104
	;; [unrolled: 1-line block ×10, first 2 shown]
	v_mov_b32_e32 v142, 0
	ds_read2_b64 v[2:5], v142 offset0:73 offset1:74
	ds_read2_b64 v[170:173], v142 offset0:109 offset1:110
	scratch_load_dwordx4 v[86:89], off, off offset:248
	scratch_load_dwordx4 v[94:97], off, off offset:264
	;; [unrolled: 1-line block ×12, first 2 shown]
	v_cmp_lt_u32_e32 vcc, 9, v0
	ds_read2_b64 v[178:181], v142 offset0:111 offset1:112
	ds_read2_b64 v[186:189], v142 offset0:113 offset1:114
	;; [unrolled: 1-line block ×3, first 2 shown]
	s_waitcnt vmcnt(21) lgkmcnt(4)
	v_mul_f32_e32 v10, v2, v7
	v_fmac_f32_e32 v10, v3, v6
	v_mul_f32_e32 v11, v4, v9
	v_add_f32_e32 v10, 0, v10
	v_fmac_f32_e32 v11, v5, v8
	v_add_f32_e32 v18, v10, v11
	ds_read2_b64 v[10:13], v142 offset0:75 offset1:76
	v_mul_f32_e32 v3, v3, v7
	v_fma_f32 v2, v2, v6, -v3
	v_mul_f32_e32 v3, v5, v9
	v_add_f32_e32 v2, 0, v2
	s_waitcnt vmcnt(20) lgkmcnt(0)
	v_mul_f32_e32 v19, v10, v15
	v_fmac_f32_e32 v19, v11, v14
	v_add_f32_e32 v18, v18, v19
	v_mul_f32_e32 v19, v12, v17
	v_fmac_f32_e32 v19, v13, v16
	v_add_f32_e32 v26, v18, v19
	ds_read2_b64 v[18:21], v142 offset0:77 offset1:78
	v_fma_f32 v3, v4, v8, -v3
	v_add_f32_e32 v2, v2, v3
	v_mul_f32_e32 v3, v11, v15
	v_fma_f32 v3, v10, v14, -v3
	s_waitcnt vmcnt(19) lgkmcnt(0)
	v_mul_f32_e32 v27, v18, v23
	v_fmac_f32_e32 v27, v19, v22
	v_add_f32_e32 v26, v26, v27
	v_mul_f32_e32 v27, v20, v25
	v_fmac_f32_e32 v27, v21, v24
	v_add_f32_e32 v34, v26, v27
	ds_read2_b64 v[26:29], v142 offset0:79 offset1:80
	v_add_f32_e32 v2, v2, v3
	v_mul_f32_e32 v3, v13, v17
	v_fma_f32 v3, v12, v16, -v3
	v_add_f32_e32 v2, v2, v3
	s_waitcnt vmcnt(18) lgkmcnt(0)
	v_mul_f32_e32 v35, v26, v31
	v_fmac_f32_e32 v35, v27, v30
	v_add_f32_e32 v34, v34, v35
	v_mul_f32_e32 v35, v28, v33
	v_fmac_f32_e32 v35, v29, v32
	v_add_f32_e32 v42, v34, v35
	ds_read2_b64 v[34:37], v142 offset0:81 offset1:82
	v_mul_f32_e32 v3, v19, v23
	v_fma_f32 v3, v18, v22, -v3
	v_add_f32_e32 v2, v2, v3
	v_mul_f32_e32 v3, v21, v25
	s_waitcnt vmcnt(17) lgkmcnt(0)
	v_mul_f32_e32 v43, v34, v39
	v_fmac_f32_e32 v43, v35, v38
	v_add_f32_e32 v42, v42, v43
	v_mul_f32_e32 v43, v36, v41
	v_fmac_f32_e32 v43, v37, v40
	v_add_f32_e32 v50, v42, v43
	ds_read2_b64 v[42:45], v142 offset0:83 offset1:84
	v_fma_f32 v3, v20, v24, -v3
	v_add_f32_e32 v2, v2, v3
	v_mul_f32_e32 v3, v27, v31
	v_fma_f32 v3, v26, v30, -v3
	s_waitcnt vmcnt(16) lgkmcnt(0)
	v_mul_f32_e32 v51, v42, v47
	v_fmac_f32_e32 v51, v43, v46
	v_add_f32_e32 v50, v50, v51
	v_mul_f32_e32 v51, v44, v49
	v_fmac_f32_e32 v51, v45, v48
	v_add_f32_e32 v58, v50, v51
	ds_read2_b64 v[50:53], v142 offset0:85 offset1:86
	v_add_f32_e32 v2, v2, v3
	v_mul_f32_e32 v3, v29, v33
	v_fma_f32 v3, v28, v32, -v3
	v_add_f32_e32 v2, v2, v3
	s_waitcnt vmcnt(15) lgkmcnt(0)
	v_mul_f32_e32 v59, v50, v55
	v_fmac_f32_e32 v59, v51, v54
	v_add_f32_e32 v58, v58, v59
	v_mul_f32_e32 v59, v52, v57
	v_fmac_f32_e32 v59, v53, v56
	v_add_f32_e32 v66, v58, v59
	ds_read2_b64 v[58:61], v142 offset0:87 offset1:88
	v_mul_f32_e32 v3, v35, v39
	v_fma_f32 v3, v34, v38, -v3
	v_add_f32_e32 v2, v2, v3
	v_mul_f32_e32 v3, v37, v41
	;; [unrolled: 36-line block ×5, first 2 shown]
	s_waitcnt vmcnt(5) lgkmcnt(0)
	v_mul_f32_e32 v139, v130, v135
	v_fmac_f32_e32 v139, v131, v134
	v_add_f32_e32 v138, v138, v139
	v_mul_f32_e32 v139, v132, v137
	v_fmac_f32_e32 v139, v133, v136
	v_add_f32_e32 v143, v138, v139
	ds_read2_b64 v[138:141], v142 offset0:107 offset1:108
	scratch_load_dwordx4 v[202:205], off, off offset:440
	scratch_load_dwordx4 v[206:209], off, off offset:456
	;; [unrolled: 1-line block ×3, first 2 shown]
	scratch_load_dwordx2 v[218:219], off, off offset:488
	v_fma_f32 v3, v84, v88, -v3
	v_add_f32_e32 v2, v2, v3
	v_mul_f32_e32 v3, v91, v95
	v_fma_f32 v3, v90, v94, -v3
	v_add_f32_e32 v2, v2, v3
	v_mul_f32_e32 v3, v93, v97
	;; [unrolled: 3-line block ×12, first 2 shown]
	v_fma_f32 v3, v132, v136, -v3
	s_waitcnt vmcnt(8) lgkmcnt(0)
	v_mul_f32_e32 v148, v138, v145
	v_add_f32_e32 v2, v2, v3
	v_mul_f32_e32 v3, v139, v145
	v_fmac_f32_e32 v148, v139, v144
	v_fma_f32 v3, v138, v144, -v3
	v_add_f32_e32 v143, v143, v148
	v_mul_f32_e32 v148, v140, v147
	v_add_f32_e32 v2, v2, v3
	v_mul_f32_e32 v3, v141, v147
	v_fmac_f32_e32 v148, v141, v146
	v_fma_f32 v3, v140, v146, -v3
	v_add_f32_e32 v143, v143, v148
	s_waitcnt vmcnt(7)
	v_mul_f32_e32 v148, v170, v175
	v_add_f32_e32 v2, v2, v3
	v_mul_f32_e32 v3, v171, v175
	v_fmac_f32_e32 v148, v171, v174
	v_fma_f32 v3, v170, v174, -v3
	v_add_f32_e32 v143, v143, v148
	v_mul_f32_e32 v148, v172, v177
	v_add_f32_e32 v2, v2, v3
	v_mul_f32_e32 v3, v173, v177
	v_fmac_f32_e32 v148, v173, v176
	v_fma_f32 v3, v172, v176, -v3
	v_add_f32_e32 v143, v143, v148
	s_waitcnt vmcnt(6)
	;; [unrolled: 13-line block ×3, first 2 shown]
	v_mul_f32_e32 v148, v186, v191
	v_add_f32_e32 v2, v2, v3
	v_mul_f32_e32 v3, v187, v191
	v_fmac_f32_e32 v148, v187, v190
	v_fma_f32 v3, v186, v190, -v3
	v_add_f32_e32 v149, v143, v148
	v_add_f32_e32 v148, v2, v3
	v_mul_f32_e32 v2, v189, v193
	v_mul_f32_e32 v215, v188, v193
	v_fma_f32 v214, v188, v192, -v2
	s_waitcnt vmcnt(4)
	v_mul_f32_e32 v2, v195, v199
	v_mov_b32_e32 v18, v201
	v_fmac_f32_e32 v215, v189, v192
	v_mul_f32_e32 v217, v194, v199
	v_fma_f32 v216, v194, v198, -v2
	ds_read2_b64 v[2:5], v142 offset0:117 offset1:118
	ds_read2_b64 v[6:9], v142 offset0:119 offset1:120
	;; [unrolled: 1-line block ×3, first 2 shown]
	ds_read_b64 v[14:15], v142 offset:984
	v_pk_mul_f32 v[18:19], v[196:197], v[18:19] op_sel:[1,0] op_sel_hi:[0,0]
	v_fmac_f32_e32 v217, v195, v198
	v_pk_add_f32 v[16:17], v[148:149], v[214:215]
	v_pk_fma_f32 v[20:21], v[196:197], v[200:201], v[18:19] neg_lo:[0,0,1] neg_hi:[0,0,1]
	v_pk_fma_f32 v[18:19], v[196:197], v[200:201], v[18:19] op_sel_hi:[1,0,1]
	v_pk_add_f32 v[16:17], v[16:17], v[216:217]
	v_mov_b32_e32 v21, v19
	s_waitcnt vmcnt(3) lgkmcnt(3)
	v_pk_mul_f32 v[18:19], v[2:3], v[202:203] op_sel:[1,1] op_sel_hi:[0,1]
	v_pk_add_f32 v[16:17], v[16:17], v[20:21]
	v_pk_fma_f32 v[20:21], v[2:3], v[202:203], v[18:19] neg_lo:[0,0,1] neg_hi:[0,0,1]
	v_pk_fma_f32 v[2:3], v[2:3], v[202:203], v[18:19] op_sel_hi:[1,0,1]
	s_nop 0
	v_mov_b32_e32 v21, v3
	v_pk_add_f32 v[2:3], v[16:17], v[20:21]
	v_mov_b32_e32 v16, v205
	v_pk_mul_f32 v[16:17], v[4:5], v[16:17] op_sel:[1,0] op_sel_hi:[0,0]
	v_pk_fma_f32 v[18:19], v[4:5], v[204:205], v[16:17] neg_lo:[0,0,1] neg_hi:[0,0,1]
	v_pk_fma_f32 v[4:5], v[4:5], v[204:205], v[16:17] op_sel_hi:[1,0,1]
	s_nop 0
	v_mov_b32_e32 v19, v5
	s_waitcnt vmcnt(2) lgkmcnt(2)
	v_pk_mul_f32 v[4:5], v[6:7], v[206:207] op_sel:[1,1] op_sel_hi:[0,1]
	v_pk_fma_f32 v[16:17], v[6:7], v[206:207], v[4:5] neg_lo:[0,0,1] neg_hi:[0,0,1]
	v_pk_fma_f32 v[4:5], v[6:7], v[206:207], v[4:5] op_sel_hi:[1,0,1]
	v_pk_add_f32 v[2:3], v[2:3], v[18:19]
	v_mov_b32_e32 v4, v209
	v_mov_b32_e32 v17, v5
	v_pk_mul_f32 v[4:5], v[8:9], v[4:5] op_sel:[1,0] op_sel_hi:[0,0]
	v_pk_fma_f32 v[6:7], v[8:9], v[208:209], v[4:5] neg_lo:[0,0,1] neg_hi:[0,0,1]
	v_pk_fma_f32 v[4:5], v[8:9], v[208:209], v[4:5] op_sel_hi:[1,0,1]
	v_pk_add_f32 v[2:3], v[2:3], v[16:17]
	v_mov_b32_e32 v7, v5
	s_waitcnt vmcnt(1) lgkmcnt(1)
	v_pk_mul_f32 v[4:5], v[10:11], v[210:211] op_sel:[1,1] op_sel_hi:[0,1]
	v_pk_add_f32 v[2:3], v[2:3], v[6:7]
	v_pk_fma_f32 v[6:7], v[10:11], v[210:211], v[4:5] neg_lo:[0,0,1] neg_hi:[0,0,1]
	v_pk_fma_f32 v[4:5], v[10:11], v[210:211], v[4:5] op_sel_hi:[1,0,1]
	s_nop 0
	v_mov_b32_e32 v4, v213
	v_mov_b32_e32 v7, v5
	v_pk_mul_f32 v[4:5], v[12:13], v[4:5] op_sel:[1,0] op_sel_hi:[0,0]
	v_pk_add_f32 v[2:3], v[2:3], v[6:7]
	v_pk_fma_f32 v[6:7], v[12:13], v[212:213], v[4:5] neg_lo:[0,0,1] neg_hi:[0,0,1]
	v_pk_fma_f32 v[4:5], v[12:13], v[212:213], v[4:5] op_sel_hi:[1,0,1]
	s_nop 0
	v_mov_b32_e32 v7, v5
	s_waitcnt vmcnt(0) lgkmcnt(0)
	v_pk_mul_f32 v[4:5], v[14:15], v[218:219] op_sel:[1,1] op_sel_hi:[0,1]
	v_pk_add_f32 v[2:3], v[2:3], v[6:7]
	v_pk_fma_f32 v[6:7], v[14:15], v[218:219], v[4:5] neg_lo:[0,0,1] neg_hi:[0,0,1]
	v_pk_fma_f32 v[4:5], v[14:15], v[218:219], v[4:5] op_sel_hi:[1,0,1]
	s_nop 0
	v_mov_b32_e32 v7, v5
	scratch_load_dwordx2 v[4:5], off, off offset:80
	v_pk_add_f32 v[2:3], v[2:3], v[6:7]
	s_waitcnt vmcnt(0)
	v_pk_add_f32 v[2:3], v[4:5], v[2:3] neg_lo:[0,1] neg_hi:[0,1]
	scratch_store_dwordx2 off, v[2:3], off offset:80
	s_and_saveexec_b64 s[0:1], vcc
	s_cbranch_execz .LBB125_367
; %bb.366:
	scratch_load_dwordx2 v[2:3], off, off offset:72
	v_mov_b32_e32 v143, v142
	scratch_store_dwordx2 off, v[142:143], off offset:72
	s_waitcnt vmcnt(1)
	ds_write_b64 v1, v[2:3]
.LBB125_367:
	s_or_b64 exec, exec, s[0:1]
	s_waitcnt lgkmcnt(0)
	; wave barrier
	ds_read_b128 v[14:17], v142 offset:576
	ds_read_b128 v[10:13], v142 offset:592
	;; [unrolled: 1-line block ×4, first 2 shown]
	scratch_load_dwordx4 v[18:21], off, off offset:80
	scratch_load_dwordx4 v[38:41], off, off offset:144
	;; [unrolled: 1-line block ×16, first 2 shown]
	v_cmp_lt_u32_e32 vcc, 8, v0
	scratch_load_dwordx4 v[46:49], off, off offset:160
	scratch_load_dwordx4 v[54:57], off, off offset:176
	;; [unrolled: 1-line block ×3, first 2 shown]
	ds_read_b128 v[170:173], v142 offset:864
	ds_read_b128 v[178:181], v142 offset:880
	;; [unrolled: 1-line block ×4, first 2 shown]
	s_waitcnt vmcnt(18) lgkmcnt(7)
	v_mul_f32_e32 v22, v14, v19
	v_fmac_f32_e32 v22, v15, v18
	v_mul_f32_e32 v23, v16, v21
	v_add_f32_e32 v22, 0, v22
	v_fmac_f32_e32 v23, v17, v20
	v_add_f32_e32 v26, v22, v23
	scratch_load_dwordx4 v[22:25], off, off offset:96
	v_mul_f32_e32 v15, v15, v19
	v_fma_f32 v14, v14, v18, -v15
	v_mul_f32_e32 v15, v17, v21
	v_add_f32_e32 v14, 0, v14
	v_fma_f32 v15, v16, v20, -v15
	v_add_f32_e32 v14, v14, v15
	s_waitcnt vmcnt(4) lgkmcnt(0)
	v_mul_f32_e32 v219, v194, v199
	v_mul_f32_e32 v221, v196, v201
	v_fmac_f32_e32 v219, v195, v198
	v_fmac_f32_e32 v221, v197, v200
	s_waitcnt vmcnt(0)
	v_mul_f32_e32 v27, v10, v23
	v_fmac_f32_e32 v27, v11, v22
	v_add_f32_e32 v26, v26, v27
	v_mul_f32_e32 v27, v12, v25
	v_fmac_f32_e32 v27, v13, v24
	v_add_f32_e32 v30, v26, v27
	scratch_load_dwordx4 v[26:29], off, off offset:112
	v_mul_f32_e32 v11, v11, v23
	v_fma_f32 v10, v10, v22, -v11
	v_mul_f32_e32 v11, v13, v25
	v_add_f32_e32 v10, v14, v10
	v_fma_f32 v11, v12, v24, -v11
	v_add_f32_e32 v10, v10, v11
	s_waitcnt vmcnt(0)
	v_mul_f32_e32 v31, v6, v27
	v_fmac_f32_e32 v31, v7, v26
	v_add_f32_e32 v30, v30, v31
	v_mul_f32_e32 v31, v8, v29
	v_fmac_f32_e32 v31, v9, v28
	v_add_f32_e32 v34, v30, v31
	scratch_load_dwordx4 v[30:33], off, off offset:128
	v_mul_f32_e32 v7, v7, v27
	v_fma_f32 v6, v6, v26, -v7
	v_mul_f32_e32 v7, v9, v29
	v_add_f32_e32 v6, v10, v6
	v_fma_f32 v7, v8, v28, -v7
	v_add_f32_e32 v6, v6, v7
	s_waitcnt vmcnt(0)
	v_mul_f32_e32 v35, v2, v31
	v_fmac_f32_e32 v35, v3, v30
	v_add_f32_e32 v34, v34, v35
	v_mul_f32_e32 v35, v4, v33
	v_fmac_f32_e32 v35, v5, v32
	v_add_f32_e32 v42, v34, v35
	ds_read_b128 v[34:37], v142 offset:640
	v_mul_f32_e32 v3, v3, v31
	v_fma_f32 v2, v2, v30, -v3
	v_mul_f32_e32 v3, v5, v33
	v_add_f32_e32 v2, v6, v2
	s_waitcnt lgkmcnt(0)
	v_mul_f32_e32 v43, v34, v39
	v_fmac_f32_e32 v43, v35, v38
	v_add_f32_e32 v42, v42, v43
	v_mul_f32_e32 v43, v36, v41
	v_fmac_f32_e32 v43, v37, v40
	v_add_f32_e32 v50, v42, v43
	ds_read_b128 v[42:45], v142 offset:656
	v_fma_f32 v3, v4, v32, -v3
	v_add_f32_e32 v2, v2, v3
	v_mul_f32_e32 v3, v35, v39
	v_fma_f32 v3, v34, v38, -v3
	s_waitcnt lgkmcnt(0)
	v_mul_f32_e32 v51, v42, v47
	v_fmac_f32_e32 v51, v43, v46
	v_add_f32_e32 v50, v50, v51
	v_mul_f32_e32 v51, v44, v49
	v_fmac_f32_e32 v51, v45, v48
	v_add_f32_e32 v58, v50, v51
	ds_read_b128 v[50:53], v142 offset:672
	v_add_f32_e32 v2, v2, v3
	v_mul_f32_e32 v3, v37, v41
	v_fma_f32 v3, v36, v40, -v3
	v_add_f32_e32 v2, v2, v3
	s_waitcnt lgkmcnt(0)
	v_mul_f32_e32 v59, v50, v55
	v_fmac_f32_e32 v59, v51, v54
	v_add_f32_e32 v58, v58, v59
	v_mul_f32_e32 v59, v52, v57
	v_fmac_f32_e32 v59, v53, v56
	v_add_f32_e32 v66, v58, v59
	ds_read_b128 v[58:61], v142 offset:688
	v_mul_f32_e32 v3, v43, v47
	v_fma_f32 v3, v42, v46, -v3
	v_add_f32_e32 v2, v2, v3
	v_mul_f32_e32 v3, v45, v49
	s_waitcnt lgkmcnt(0)
	v_mul_f32_e32 v67, v58, v63
	v_fmac_f32_e32 v67, v59, v62
	v_add_f32_e32 v66, v66, v67
	v_mul_f32_e32 v67, v60, v65
	v_fmac_f32_e32 v67, v61, v64
	v_add_f32_e32 v74, v66, v67
	ds_read_b128 v[66:69], v142 offset:704
	v_fma_f32 v3, v44, v48, -v3
	v_add_f32_e32 v2, v2, v3
	v_mul_f32_e32 v3, v51, v55
	v_fma_f32 v3, v50, v54, -v3
	s_waitcnt lgkmcnt(0)
	v_mul_f32_e32 v75, v66, v71
	v_fmac_f32_e32 v75, v67, v70
	v_add_f32_e32 v74, v74, v75
	v_mul_f32_e32 v75, v68, v73
	v_fmac_f32_e32 v75, v69, v72
	v_add_f32_e32 v82, v74, v75
	ds_read_b128 v[74:77], v142 offset:720
	v_add_f32_e32 v2, v2, v3
	v_mul_f32_e32 v3, v53, v57
	v_fma_f32 v3, v52, v56, -v3
	v_add_f32_e32 v2, v2, v3
	s_waitcnt lgkmcnt(0)
	v_mul_f32_e32 v83, v74, v79
	v_fmac_f32_e32 v83, v75, v78
	v_add_f32_e32 v82, v82, v83
	v_mul_f32_e32 v83, v76, v81
	v_fmac_f32_e32 v83, v77, v80
	v_add_f32_e32 v90, v82, v83
	ds_read_b128 v[82:85], v142 offset:736
	v_mul_f32_e32 v3, v59, v63
	v_fma_f32 v3, v58, v62, -v3
	v_add_f32_e32 v2, v2, v3
	v_mul_f32_e32 v3, v61, v65
	;; [unrolled: 36-line block ×4, first 2 shown]
	s_waitcnt lgkmcnt(0)
	v_mul_f32_e32 v139, v130, v135
	v_fmac_f32_e32 v139, v131, v134
	v_add_f32_e32 v138, v138, v139
	v_mul_f32_e32 v139, v132, v137
	v_fmac_f32_e32 v139, v133, v136
	v_add_f32_e32 v143, v138, v139
	ds_read_b128 v[138:141], v142 offset:848
	scratch_load_dwordx4 v[202:205], off, off offset:432
	scratch_load_dwordx4 v[206:209], off, off offset:448
	scratch_load_dwordx4 v[210:213], off, off offset:464
	scratch_load_dwordx4 v[214:217], off, off offset:480
	v_fma_f32 v3, v92, v96, -v3
	v_add_f32_e32 v2, v2, v3
	v_mul_f32_e32 v3, v99, v103
	v_fma_f32 v3, v98, v102, -v3
	v_add_f32_e32 v2, v2, v3
	v_mul_f32_e32 v3, v101, v105
	;; [unrolled: 3-line block ×10, first 2 shown]
	v_fma_f32 v3, v132, v136, -v3
	s_waitcnt lgkmcnt(0)
	v_mul_f32_e32 v148, v138, v145
	v_add_f32_e32 v2, v2, v3
	v_mul_f32_e32 v3, v139, v145
	v_fmac_f32_e32 v148, v139, v144
	v_fma_f32 v3, v138, v144, -v3
	v_add_f32_e32 v143, v143, v148
	v_mul_f32_e32 v148, v140, v147
	v_add_f32_e32 v2, v2, v3
	v_mul_f32_e32 v3, v141, v147
	v_fmac_f32_e32 v148, v141, v146
	v_fma_f32 v3, v140, v146, -v3
	v_add_f32_e32 v143, v143, v148
	;; [unrolled: 6-line block ×8, first 2 shown]
	v_add_f32_e32 v148, v2, v3
	v_mul_f32_e32 v2, v195, v199
	v_fma_f32 v218, v194, v198, -v2
	v_mul_f32_e32 v2, v197, v201
	v_fma_f32 v220, v196, v200, -v2
	ds_read_b128 v[2:5], v142 offset:928
	ds_read_b128 v[6:9], v142 offset:944
	;; [unrolled: 1-line block ×4, first 2 shown]
	v_pk_add_f32 v[18:19], v[148:149], v[218:219]
	s_waitcnt vmcnt(3) lgkmcnt(3)
	v_pk_mul_f32 v[20:21], v[2:3], v[202:203] op_sel:[1,1] op_sel_hi:[0,1]
	v_pk_fma_f32 v[22:23], v[2:3], v[202:203], v[20:21] neg_lo:[0,0,1] neg_hi:[0,0,1]
	v_pk_fma_f32 v[2:3], v[2:3], v[202:203], v[20:21] op_sel_hi:[1,0,1]
	v_pk_add_f32 v[18:19], v[18:19], v[220:221]
	v_mov_b32_e32 v23, v3
	v_pk_add_f32 v[2:3], v[18:19], v[22:23]
	v_mov_b32_e32 v18, v205
	v_pk_mul_f32 v[18:19], v[4:5], v[18:19] op_sel:[1,0] op_sel_hi:[0,0]
	v_pk_fma_f32 v[20:21], v[4:5], v[204:205], v[18:19] neg_lo:[0,0,1] neg_hi:[0,0,1]
	v_pk_fma_f32 v[4:5], v[4:5], v[204:205], v[18:19] op_sel_hi:[1,0,1]
	s_nop 0
	v_mov_b32_e32 v21, v5
	s_waitcnt vmcnt(2) lgkmcnt(2)
	v_pk_mul_f32 v[4:5], v[6:7], v[206:207] op_sel:[1,1] op_sel_hi:[0,1]
	v_pk_fma_f32 v[18:19], v[6:7], v[206:207], v[4:5] neg_lo:[0,0,1] neg_hi:[0,0,1]
	v_pk_fma_f32 v[4:5], v[6:7], v[206:207], v[4:5] op_sel_hi:[1,0,1]
	v_pk_add_f32 v[2:3], v[2:3], v[20:21]
	v_mov_b32_e32 v4, v209
	v_mov_b32_e32 v19, v5
	v_pk_mul_f32 v[4:5], v[8:9], v[4:5] op_sel:[1,0] op_sel_hi:[0,0]
	v_pk_fma_f32 v[6:7], v[8:9], v[208:209], v[4:5] neg_lo:[0,0,1] neg_hi:[0,0,1]
	v_pk_fma_f32 v[4:5], v[8:9], v[208:209], v[4:5] op_sel_hi:[1,0,1]
	v_pk_add_f32 v[2:3], v[2:3], v[18:19]
	v_mov_b32_e32 v7, v5
	s_waitcnt vmcnt(1) lgkmcnt(1)
	v_pk_mul_f32 v[4:5], v[10:11], v[210:211] op_sel:[1,1] op_sel_hi:[0,1]
	v_pk_add_f32 v[2:3], v[2:3], v[6:7]
	v_pk_fma_f32 v[6:7], v[10:11], v[210:211], v[4:5] neg_lo:[0,0,1] neg_hi:[0,0,1]
	v_pk_fma_f32 v[4:5], v[10:11], v[210:211], v[4:5] op_sel_hi:[1,0,1]
	s_nop 0
	v_mov_b32_e32 v4, v213
	v_mov_b32_e32 v7, v5
	v_pk_mul_f32 v[4:5], v[12:13], v[4:5] op_sel:[1,0] op_sel_hi:[0,0]
	v_pk_add_f32 v[2:3], v[2:3], v[6:7]
	v_pk_fma_f32 v[6:7], v[12:13], v[212:213], v[4:5] neg_lo:[0,0,1] neg_hi:[0,0,1]
	v_pk_fma_f32 v[4:5], v[12:13], v[212:213], v[4:5] op_sel_hi:[1,0,1]
	s_nop 0
	v_mov_b32_e32 v7, v5
	s_waitcnt vmcnt(0) lgkmcnt(0)
	v_pk_mul_f32 v[4:5], v[14:15], v[214:215] op_sel:[1,1] op_sel_hi:[0,1]
	v_pk_add_f32 v[2:3], v[2:3], v[6:7]
	v_pk_fma_f32 v[6:7], v[14:15], v[214:215], v[4:5] neg_lo:[0,0,1] neg_hi:[0,0,1]
	v_pk_fma_f32 v[4:5], v[14:15], v[214:215], v[4:5] op_sel_hi:[1,0,1]
	s_nop 0
	v_mov_b32_e32 v4, v217
	v_mov_b32_e32 v7, v5
	v_pk_mul_f32 v[4:5], v[16:17], v[4:5] op_sel:[1,0] op_sel_hi:[0,0]
	v_pk_add_f32 v[2:3], v[2:3], v[6:7]
	v_pk_fma_f32 v[6:7], v[16:17], v[216:217], v[4:5] neg_lo:[0,0,1] neg_hi:[0,0,1]
	v_pk_fma_f32 v[4:5], v[16:17], v[216:217], v[4:5] op_sel_hi:[1,0,1]
	s_nop 0
	v_mov_b32_e32 v7, v5
	scratch_load_dwordx2 v[4:5], off, off offset:72
	v_pk_add_f32 v[2:3], v[2:3], v[6:7]
	s_waitcnt vmcnt(0)
	v_pk_add_f32 v[2:3], v[4:5], v[2:3] neg_lo:[0,1] neg_hi:[0,1]
	scratch_store_dwordx2 off, v[2:3], off offset:72
	s_and_saveexec_b64 s[0:1], vcc
	s_cbranch_execz .LBB125_369
; %bb.368:
	scratch_load_dwordx2 v[2:3], off, off offset:64
	v_mov_b32_e32 v4, 0
	v_mov_b32_e32 v5, v4
	scratch_store_dwordx2 off, v[4:5], off offset:64
	s_waitcnt vmcnt(1)
	ds_write_b64 v1, v[2:3]
.LBB125_369:
	s_or_b64 exec, exec, s[0:1]
	s_waitcnt lgkmcnt(0)
	; wave barrier
	scratch_load_dwordx4 v[6:9], off, off offset:72
	scratch_load_dwordx4 v[14:17], off, off offset:88
	;; [unrolled: 1-line block ×10, first 2 shown]
	v_mov_b32_e32 v170, 0
	ds_read2_b64 v[2:5], v170 offset0:71 offset1:72
	ds_read2_b64 v[176:179], v170 offset0:109 offset1:110
	scratch_load_dwordx4 v[86:89], off, off offset:232
	scratch_load_dwordx4 v[94:97], off, off offset:248
	;; [unrolled: 1-line block ×13, first 2 shown]
	v_cmp_lt_u32_e32 vcc, 7, v0
	ds_read2_b64 v[184:187], v170 offset0:111 offset1:112
	ds_read2_b64 v[192:195], v170 offset0:113 offset1:114
	;; [unrolled: 1-line block ×3, first 2 shown]
	s_waitcnt vmcnt(22) lgkmcnt(4)
	v_mul_f32_e32 v10, v2, v7
	v_fmac_f32_e32 v10, v3, v6
	v_mul_f32_e32 v11, v4, v9
	v_add_f32_e32 v10, 0, v10
	v_fmac_f32_e32 v11, v5, v8
	v_add_f32_e32 v18, v10, v11
	ds_read2_b64 v[10:13], v170 offset0:73 offset1:74
	v_mul_f32_e32 v3, v3, v7
	v_fma_f32 v2, v2, v6, -v3
	v_mul_f32_e32 v3, v5, v9
	v_add_f32_e32 v2, 0, v2
	s_waitcnt vmcnt(21) lgkmcnt(0)
	v_mul_f32_e32 v19, v10, v15
	v_fmac_f32_e32 v19, v11, v14
	v_add_f32_e32 v18, v18, v19
	v_mul_f32_e32 v19, v12, v17
	v_fmac_f32_e32 v19, v13, v16
	v_add_f32_e32 v26, v18, v19
	ds_read2_b64 v[18:21], v170 offset0:75 offset1:76
	v_fma_f32 v3, v4, v8, -v3
	v_add_f32_e32 v2, v2, v3
	v_mul_f32_e32 v3, v11, v15
	v_fma_f32 v3, v10, v14, -v3
	s_waitcnt vmcnt(20) lgkmcnt(0)
	v_mul_f32_e32 v27, v18, v23
	v_fmac_f32_e32 v27, v19, v22
	v_add_f32_e32 v26, v26, v27
	v_mul_f32_e32 v27, v20, v25
	v_fmac_f32_e32 v27, v21, v24
	v_add_f32_e32 v34, v26, v27
	ds_read2_b64 v[26:29], v170 offset0:77 offset1:78
	v_add_f32_e32 v2, v2, v3
	v_mul_f32_e32 v3, v13, v17
	v_fma_f32 v3, v12, v16, -v3
	v_add_f32_e32 v2, v2, v3
	s_waitcnt vmcnt(19) lgkmcnt(0)
	v_mul_f32_e32 v35, v26, v31
	v_fmac_f32_e32 v35, v27, v30
	v_add_f32_e32 v34, v34, v35
	v_mul_f32_e32 v35, v28, v33
	v_fmac_f32_e32 v35, v29, v32
	v_add_f32_e32 v42, v34, v35
	ds_read2_b64 v[34:37], v170 offset0:79 offset1:80
	v_mul_f32_e32 v3, v19, v23
	v_fma_f32 v3, v18, v22, -v3
	v_add_f32_e32 v2, v2, v3
	v_mul_f32_e32 v3, v21, v25
	s_waitcnt vmcnt(18) lgkmcnt(0)
	v_mul_f32_e32 v43, v34, v39
	v_fmac_f32_e32 v43, v35, v38
	v_add_f32_e32 v42, v42, v43
	v_mul_f32_e32 v43, v36, v41
	v_fmac_f32_e32 v43, v37, v40
	v_add_f32_e32 v50, v42, v43
	ds_read2_b64 v[42:45], v170 offset0:81 offset1:82
	v_fma_f32 v3, v20, v24, -v3
	v_add_f32_e32 v2, v2, v3
	v_mul_f32_e32 v3, v27, v31
	v_fma_f32 v3, v26, v30, -v3
	s_waitcnt vmcnt(17) lgkmcnt(0)
	v_mul_f32_e32 v51, v42, v47
	v_fmac_f32_e32 v51, v43, v46
	v_add_f32_e32 v50, v50, v51
	v_mul_f32_e32 v51, v44, v49
	v_fmac_f32_e32 v51, v45, v48
	v_add_f32_e32 v58, v50, v51
	ds_read2_b64 v[50:53], v170 offset0:83 offset1:84
	v_add_f32_e32 v2, v2, v3
	v_mul_f32_e32 v3, v29, v33
	v_fma_f32 v3, v28, v32, -v3
	v_add_f32_e32 v2, v2, v3
	s_waitcnt vmcnt(16) lgkmcnt(0)
	v_mul_f32_e32 v59, v50, v55
	v_fmac_f32_e32 v59, v51, v54
	v_add_f32_e32 v58, v58, v59
	v_mul_f32_e32 v59, v52, v57
	v_fmac_f32_e32 v59, v53, v56
	v_add_f32_e32 v66, v58, v59
	ds_read2_b64 v[58:61], v170 offset0:85 offset1:86
	v_mul_f32_e32 v3, v35, v39
	v_fma_f32 v3, v34, v38, -v3
	v_add_f32_e32 v2, v2, v3
	v_mul_f32_e32 v3, v37, v41
	;; [unrolled: 36-line block ×5, first 2 shown]
	s_waitcnt vmcnt(6) lgkmcnt(0)
	v_mul_f32_e32 v139, v130, v135
	v_fmac_f32_e32 v139, v131, v134
	v_add_f32_e32 v138, v138, v139
	v_mul_f32_e32 v139, v132, v137
	v_fmac_f32_e32 v139, v133, v136
	v_add_f32_e32 v146, v138, v139
	ds_read2_b64 v[138:141], v170 offset0:105 offset1:106
	v_fma_f32 v3, v84, v88, -v3
	v_add_f32_e32 v2, v2, v3
	v_mul_f32_e32 v3, v91, v95
	v_fma_f32 v3, v90, v94, -v3
	s_waitcnt vmcnt(5) lgkmcnt(0)
	v_mul_f32_e32 v147, v138, v143
	v_fmac_f32_e32 v147, v139, v142
	v_add_f32_e32 v146, v146, v147
	v_mul_f32_e32 v147, v140, v145
	v_fmac_f32_e32 v147, v141, v144
	v_add_f32_e32 v152, v146, v147
	ds_read2_b64 v[146:149], v170 offset0:107 offset1:108
	scratch_load_dwordx4 v[208:211], off, off offset:440
	scratch_load_dwordx4 v[212:215], off, off offset:456
	;; [unrolled: 1-line block ×3, first 2 shown]
	scratch_load_dwordx2 v[226:227], off, off offset:488
	v_add_f32_e32 v2, v2, v3
	v_mul_f32_e32 v3, v93, v97
	v_fma_f32 v3, v92, v96, -v3
	v_add_f32_e32 v2, v2, v3
	v_mul_f32_e32 v3, v99, v103
	v_fma_f32 v3, v98, v102, -v3
	;; [unrolled: 3-line block ×13, first 2 shown]
	v_add_f32_e32 v2, v2, v3
	s_waitcnt vmcnt(8) lgkmcnt(0)
	v_mul_f32_e32 v3, v147, v173
	v_fma_f32 v3, v146, v172, -v3
	v_mul_f32_e32 v153, v146, v173
	v_add_f32_e32 v2, v2, v3
	v_mul_f32_e32 v3, v149, v175
	v_fmac_f32_e32 v153, v147, v172
	v_fma_f32 v3, v148, v174, -v3
	v_add_f32_e32 v152, v152, v153
	v_mul_f32_e32 v153, v148, v175
	v_add_f32_e32 v2, v2, v3
	s_waitcnt vmcnt(7)
	v_mul_f32_e32 v3, v177, v181
	v_fmac_f32_e32 v153, v149, v174
	v_fma_f32 v3, v176, v180, -v3
	v_add_f32_e32 v152, v152, v153
	v_mul_f32_e32 v153, v176, v181
	v_add_f32_e32 v2, v2, v3
	v_mul_f32_e32 v3, v179, v183
	v_fmac_f32_e32 v153, v177, v180
	v_fma_f32 v3, v178, v182, -v3
	v_add_f32_e32 v152, v152, v153
	v_mul_f32_e32 v153, v178, v183
	v_add_f32_e32 v2, v2, v3
	s_waitcnt vmcnt(6)
	v_mul_f32_e32 v3, v185, v189
	v_fmac_f32_e32 v153, v179, v182
	v_fma_f32 v3, v184, v188, -v3
	v_add_f32_e32 v152, v152, v153
	;; [unrolled: 13-line block ×3, first 2 shown]
	v_mul_f32_e32 v153, v192, v197
	v_add_f32_e32 v220, v2, v3
	v_mul_f32_e32 v2, v195, v199
	v_fmac_f32_e32 v153, v193, v196
	v_mul_f32_e32 v223, v194, v199
	v_fma_f32 v222, v194, v198, -v2
	s_waitcnt vmcnt(4)
	v_mul_f32_e32 v2, v201, v205
	v_mov_b32_e32 v18, v207
	v_add_f32_e32 v221, v152, v153
	v_fmac_f32_e32 v223, v195, v198
	v_mul_f32_e32 v225, v200, v205
	v_fma_f32 v224, v200, v204, -v2
	ds_read2_b64 v[2:5], v170 offset0:117 offset1:118
	ds_read2_b64 v[6:9], v170 offset0:119 offset1:120
	;; [unrolled: 1-line block ×3, first 2 shown]
	ds_read_b64 v[14:15], v170 offset:984
	v_pk_mul_f32 v[18:19], v[202:203], v[18:19] op_sel:[1,0] op_sel_hi:[0,0]
	v_fmac_f32_e32 v225, v201, v204
	v_pk_add_f32 v[16:17], v[220:221], v[222:223]
	v_pk_fma_f32 v[20:21], v[202:203], v[206:207], v[18:19] neg_lo:[0,0,1] neg_hi:[0,0,1]
	v_pk_fma_f32 v[18:19], v[202:203], v[206:207], v[18:19] op_sel_hi:[1,0,1]
	v_pk_add_f32 v[16:17], v[16:17], v[224:225]
	v_mov_b32_e32 v21, v19
	s_waitcnt vmcnt(3) lgkmcnt(3)
	v_pk_mul_f32 v[18:19], v[2:3], v[208:209] op_sel:[1,1] op_sel_hi:[0,1]
	v_pk_add_f32 v[16:17], v[16:17], v[20:21]
	v_pk_fma_f32 v[20:21], v[2:3], v[208:209], v[18:19] neg_lo:[0,0,1] neg_hi:[0,0,1]
	v_pk_fma_f32 v[2:3], v[2:3], v[208:209], v[18:19] op_sel_hi:[1,0,1]
	s_nop 0
	v_mov_b32_e32 v21, v3
	v_pk_add_f32 v[2:3], v[16:17], v[20:21]
	v_mov_b32_e32 v16, v211
	v_pk_mul_f32 v[16:17], v[4:5], v[16:17] op_sel:[1,0] op_sel_hi:[0,0]
	v_pk_fma_f32 v[18:19], v[4:5], v[210:211], v[16:17] neg_lo:[0,0,1] neg_hi:[0,0,1]
	v_pk_fma_f32 v[4:5], v[4:5], v[210:211], v[16:17] op_sel_hi:[1,0,1]
	s_nop 0
	v_mov_b32_e32 v19, v5
	s_waitcnt vmcnt(2) lgkmcnt(2)
	v_pk_mul_f32 v[4:5], v[6:7], v[212:213] op_sel:[1,1] op_sel_hi:[0,1]
	v_pk_fma_f32 v[16:17], v[6:7], v[212:213], v[4:5] neg_lo:[0,0,1] neg_hi:[0,0,1]
	v_pk_fma_f32 v[4:5], v[6:7], v[212:213], v[4:5] op_sel_hi:[1,0,1]
	v_pk_add_f32 v[2:3], v[2:3], v[18:19]
	v_mov_b32_e32 v4, v215
	v_mov_b32_e32 v17, v5
	v_pk_mul_f32 v[4:5], v[8:9], v[4:5] op_sel:[1,0] op_sel_hi:[0,0]
	v_pk_fma_f32 v[6:7], v[8:9], v[214:215], v[4:5] neg_lo:[0,0,1] neg_hi:[0,0,1]
	v_pk_fma_f32 v[4:5], v[8:9], v[214:215], v[4:5] op_sel_hi:[1,0,1]
	v_pk_add_f32 v[2:3], v[2:3], v[16:17]
	v_mov_b32_e32 v7, v5
	s_waitcnt vmcnt(1) lgkmcnt(1)
	v_pk_mul_f32 v[4:5], v[10:11], v[216:217] op_sel:[1,1] op_sel_hi:[0,1]
	v_pk_add_f32 v[2:3], v[2:3], v[6:7]
	v_pk_fma_f32 v[6:7], v[10:11], v[216:217], v[4:5] neg_lo:[0,0,1] neg_hi:[0,0,1]
	v_pk_fma_f32 v[4:5], v[10:11], v[216:217], v[4:5] op_sel_hi:[1,0,1]
	s_nop 0
	v_mov_b32_e32 v4, v219
	v_mov_b32_e32 v7, v5
	v_pk_mul_f32 v[4:5], v[12:13], v[4:5] op_sel:[1,0] op_sel_hi:[0,0]
	v_pk_add_f32 v[2:3], v[2:3], v[6:7]
	v_pk_fma_f32 v[6:7], v[12:13], v[218:219], v[4:5] neg_lo:[0,0,1] neg_hi:[0,0,1]
	v_pk_fma_f32 v[4:5], v[12:13], v[218:219], v[4:5] op_sel_hi:[1,0,1]
	s_nop 0
	v_mov_b32_e32 v7, v5
	s_waitcnt vmcnt(0) lgkmcnt(0)
	v_pk_mul_f32 v[4:5], v[14:15], v[226:227] op_sel:[1,1] op_sel_hi:[0,1]
	v_pk_add_f32 v[2:3], v[2:3], v[6:7]
	v_pk_fma_f32 v[6:7], v[14:15], v[226:227], v[4:5] neg_lo:[0,0,1] neg_hi:[0,0,1]
	v_pk_fma_f32 v[4:5], v[14:15], v[226:227], v[4:5] op_sel_hi:[1,0,1]
	s_nop 0
	v_mov_b32_e32 v7, v5
	scratch_load_dwordx2 v[4:5], off, off offset:64
	v_pk_add_f32 v[2:3], v[2:3], v[6:7]
	s_waitcnt vmcnt(0)
	v_pk_add_f32 v[2:3], v[4:5], v[2:3] neg_lo:[0,1] neg_hi:[0,1]
	scratch_store_dwordx2 off, v[2:3], off offset:64
	s_and_saveexec_b64 s[0:1], vcc
	s_cbranch_execz .LBB125_371
; %bb.370:
	scratch_load_dwordx2 v[2:3], off, off offset:56
	v_mov_b32_e32 v171, v170
	scratch_store_dwordx2 off, v[170:171], off offset:56
	s_waitcnt vmcnt(1)
	ds_write_b64 v1, v[2:3]
.LBB125_371:
	s_or_b64 exec, exec, s[0:1]
	s_waitcnt lgkmcnt(0)
	; wave barrier
	ds_read_b128 v[14:17], v170 offset:560
	ds_read_b128 v[10:13], v170 offset:576
	;; [unrolled: 1-line block ×4, first 2 shown]
	scratch_load_dwordx4 v[18:21], off, off offset:64
	scratch_load_dwordx4 v[38:41], off, off offset:128
	;; [unrolled: 1-line block ×17, first 2 shown]
	v_cmp_lt_u32_e32 vcc, 6, v0
	scratch_load_dwordx4 v[46:49], off, off offset:144
	scratch_load_dwordx4 v[54:57], off, off offset:160
	;; [unrolled: 1-line block ×3, first 2 shown]
	ds_read_b128 v[176:179], v170 offset:864
	ds_read_b128 v[184:187], v170 offset:880
	;; [unrolled: 1-line block ×4, first 2 shown]
	s_waitcnt vmcnt(19) lgkmcnt(7)
	v_mul_f32_e32 v22, v14, v19
	v_fmac_f32_e32 v22, v15, v18
	v_mul_f32_e32 v23, v16, v21
	v_add_f32_e32 v22, 0, v22
	v_fmac_f32_e32 v23, v17, v20
	v_add_f32_e32 v26, v22, v23
	scratch_load_dwordx4 v[22:25], off, off offset:80
	v_mul_f32_e32 v15, v15, v19
	v_fma_f32 v14, v14, v18, -v15
	v_mul_f32_e32 v15, v17, v21
	v_add_f32_e32 v14, 0, v14
	v_fma_f32 v15, v16, v20, -v15
	v_add_f32_e32 v14, v14, v15
	s_waitcnt vmcnt(4) lgkmcnt(0)
	v_mul_f32_e32 v227, v200, v205
	v_mul_f32_e32 v229, v202, v207
	v_fmac_f32_e32 v227, v201, v204
	v_fmac_f32_e32 v229, v203, v206
	s_waitcnt vmcnt(0)
	v_mul_f32_e32 v27, v10, v23
	v_fmac_f32_e32 v27, v11, v22
	v_add_f32_e32 v26, v26, v27
	v_mul_f32_e32 v27, v12, v25
	v_fmac_f32_e32 v27, v13, v24
	v_add_f32_e32 v30, v26, v27
	scratch_load_dwordx4 v[26:29], off, off offset:96
	v_mul_f32_e32 v11, v11, v23
	v_fma_f32 v10, v10, v22, -v11
	v_mul_f32_e32 v11, v13, v25
	v_add_f32_e32 v10, v14, v10
	v_fma_f32 v11, v12, v24, -v11
	v_add_f32_e32 v10, v10, v11
	s_waitcnt vmcnt(0)
	v_mul_f32_e32 v31, v6, v27
	v_fmac_f32_e32 v31, v7, v26
	v_add_f32_e32 v30, v30, v31
	v_mul_f32_e32 v31, v8, v29
	v_fmac_f32_e32 v31, v9, v28
	v_add_f32_e32 v34, v30, v31
	scratch_load_dwordx4 v[30:33], off, off offset:112
	v_mul_f32_e32 v7, v7, v27
	v_fma_f32 v6, v6, v26, -v7
	v_mul_f32_e32 v7, v9, v29
	v_add_f32_e32 v6, v10, v6
	v_fma_f32 v7, v8, v28, -v7
	v_add_f32_e32 v6, v6, v7
	s_waitcnt vmcnt(0)
	v_mul_f32_e32 v35, v2, v31
	v_fmac_f32_e32 v35, v3, v30
	v_add_f32_e32 v34, v34, v35
	v_mul_f32_e32 v35, v4, v33
	v_fmac_f32_e32 v35, v5, v32
	v_add_f32_e32 v42, v34, v35
	ds_read_b128 v[34:37], v170 offset:624
	v_mul_f32_e32 v3, v3, v31
	v_fma_f32 v2, v2, v30, -v3
	v_mul_f32_e32 v3, v5, v33
	v_add_f32_e32 v2, v6, v2
	s_waitcnt lgkmcnt(0)
	v_mul_f32_e32 v43, v34, v39
	v_fmac_f32_e32 v43, v35, v38
	v_add_f32_e32 v42, v42, v43
	v_mul_f32_e32 v43, v36, v41
	v_fmac_f32_e32 v43, v37, v40
	v_add_f32_e32 v50, v42, v43
	ds_read_b128 v[42:45], v170 offset:640
	v_fma_f32 v3, v4, v32, -v3
	v_add_f32_e32 v2, v2, v3
	v_mul_f32_e32 v3, v35, v39
	v_fma_f32 v3, v34, v38, -v3
	s_waitcnt lgkmcnt(0)
	v_mul_f32_e32 v51, v42, v47
	v_fmac_f32_e32 v51, v43, v46
	v_add_f32_e32 v50, v50, v51
	v_mul_f32_e32 v51, v44, v49
	v_fmac_f32_e32 v51, v45, v48
	v_add_f32_e32 v58, v50, v51
	ds_read_b128 v[50:53], v170 offset:656
	v_add_f32_e32 v2, v2, v3
	v_mul_f32_e32 v3, v37, v41
	v_fma_f32 v3, v36, v40, -v3
	v_add_f32_e32 v2, v2, v3
	s_waitcnt lgkmcnt(0)
	v_mul_f32_e32 v59, v50, v55
	v_fmac_f32_e32 v59, v51, v54
	v_add_f32_e32 v58, v58, v59
	v_mul_f32_e32 v59, v52, v57
	v_fmac_f32_e32 v59, v53, v56
	v_add_f32_e32 v66, v58, v59
	ds_read_b128 v[58:61], v170 offset:672
	v_mul_f32_e32 v3, v43, v47
	v_fma_f32 v3, v42, v46, -v3
	v_add_f32_e32 v2, v2, v3
	v_mul_f32_e32 v3, v45, v49
	s_waitcnt lgkmcnt(0)
	v_mul_f32_e32 v67, v58, v63
	v_fmac_f32_e32 v67, v59, v62
	v_add_f32_e32 v66, v66, v67
	v_mul_f32_e32 v67, v60, v65
	v_fmac_f32_e32 v67, v61, v64
	v_add_f32_e32 v74, v66, v67
	ds_read_b128 v[66:69], v170 offset:688
	v_fma_f32 v3, v44, v48, -v3
	v_add_f32_e32 v2, v2, v3
	v_mul_f32_e32 v3, v51, v55
	v_fma_f32 v3, v50, v54, -v3
	s_waitcnt lgkmcnt(0)
	v_mul_f32_e32 v75, v66, v71
	v_fmac_f32_e32 v75, v67, v70
	v_add_f32_e32 v74, v74, v75
	v_mul_f32_e32 v75, v68, v73
	v_fmac_f32_e32 v75, v69, v72
	v_add_f32_e32 v82, v74, v75
	ds_read_b128 v[74:77], v170 offset:704
	v_add_f32_e32 v2, v2, v3
	v_mul_f32_e32 v3, v53, v57
	v_fma_f32 v3, v52, v56, -v3
	v_add_f32_e32 v2, v2, v3
	s_waitcnt lgkmcnt(0)
	v_mul_f32_e32 v83, v74, v79
	v_fmac_f32_e32 v83, v75, v78
	v_add_f32_e32 v82, v82, v83
	v_mul_f32_e32 v83, v76, v81
	v_fmac_f32_e32 v83, v77, v80
	v_add_f32_e32 v90, v82, v83
	ds_read_b128 v[82:85], v170 offset:720
	v_mul_f32_e32 v3, v59, v63
	v_fma_f32 v3, v58, v62, -v3
	v_add_f32_e32 v2, v2, v3
	v_mul_f32_e32 v3, v61, v65
	s_waitcnt lgkmcnt(0)
	v_mul_f32_e32 v91, v82, v87
	v_fmac_f32_e32 v91, v83, v86
	v_add_f32_e32 v90, v90, v91
	v_mul_f32_e32 v91, v84, v89
	v_fmac_f32_e32 v91, v85, v88
	v_add_f32_e32 v98, v90, v91
	ds_read_b128 v[90:93], v170 offset:736
	v_fma_f32 v3, v60, v64, -v3
	v_add_f32_e32 v2, v2, v3
	v_mul_f32_e32 v3, v67, v71
	v_fma_f32 v3, v66, v70, -v3
	s_waitcnt lgkmcnt(0)
	v_mul_f32_e32 v99, v90, v95
	v_fmac_f32_e32 v99, v91, v94
	v_add_f32_e32 v98, v98, v99
	v_mul_f32_e32 v99, v92, v97
	v_fmac_f32_e32 v99, v93, v96
	v_add_f32_e32 v106, v98, v99
	ds_read_b128 v[98:101], v170 offset:752
	v_add_f32_e32 v2, v2, v3
	v_mul_f32_e32 v3, v69, v73
	v_fma_f32 v3, v68, v72, -v3
	v_add_f32_e32 v2, v2, v3
	s_waitcnt lgkmcnt(0)
	v_mul_f32_e32 v107, v98, v103
	v_fmac_f32_e32 v107, v99, v102
	v_add_f32_e32 v106, v106, v107
	v_mul_f32_e32 v107, v100, v105
	v_fmac_f32_e32 v107, v101, v104
	v_add_f32_e32 v114, v106, v107
	ds_read_b128 v[106:109], v170 offset:768
	v_mul_f32_e32 v3, v75, v79
	v_fma_f32 v3, v74, v78, -v3
	v_add_f32_e32 v2, v2, v3
	v_mul_f32_e32 v3, v77, v81
	s_waitcnt lgkmcnt(0)
	v_mul_f32_e32 v115, v106, v111
	v_fmac_f32_e32 v115, v107, v110
	v_add_f32_e32 v114, v114, v115
	v_mul_f32_e32 v115, v108, v113
	v_fmac_f32_e32 v115, v109, v112
	v_add_f32_e32 v122, v114, v115
	ds_read_b128 v[114:117], v170 offset:784
	v_fma_f32 v3, v76, v80, -v3
	v_add_f32_e32 v2, v2, v3
	v_mul_f32_e32 v3, v83, v87
	v_fma_f32 v3, v82, v86, -v3
	s_waitcnt lgkmcnt(0)
	v_mul_f32_e32 v123, v114, v119
	v_fmac_f32_e32 v123, v115, v118
	v_add_f32_e32 v122, v122, v123
	v_mul_f32_e32 v123, v116, v121
	v_fmac_f32_e32 v123, v117, v120
	v_add_f32_e32 v130, v122, v123
	ds_read_b128 v[122:125], v170 offset:800
	v_add_f32_e32 v2, v2, v3
	v_mul_f32_e32 v3, v85, v89
	v_fma_f32 v3, v84, v88, -v3
	v_add_f32_e32 v2, v2, v3
	s_waitcnt lgkmcnt(0)
	v_mul_f32_e32 v131, v122, v127
	v_fmac_f32_e32 v131, v123, v126
	v_add_f32_e32 v130, v130, v131
	v_mul_f32_e32 v131, v124, v129
	v_fmac_f32_e32 v131, v125, v128
	v_add_f32_e32 v138, v130, v131
	ds_read_b128 v[130:133], v170 offset:816
	v_mul_f32_e32 v3, v91, v95
	v_fma_f32 v3, v90, v94, -v3
	v_add_f32_e32 v2, v2, v3
	v_mul_f32_e32 v3, v93, v97
	s_waitcnt lgkmcnt(0)
	v_mul_f32_e32 v139, v130, v135
	v_fmac_f32_e32 v139, v131, v134
	v_add_f32_e32 v138, v138, v139
	v_mul_f32_e32 v139, v132, v137
	v_fmac_f32_e32 v139, v133, v136
	v_add_f32_e32 v146, v138, v139
	ds_read_b128 v[138:141], v170 offset:832
	v_fma_f32 v3, v92, v96, -v3
	v_add_f32_e32 v2, v2, v3
	v_mul_f32_e32 v3, v99, v103
	v_fma_f32 v3, v98, v102, -v3
	s_waitcnt lgkmcnt(0)
	v_mul_f32_e32 v147, v138, v143
	v_fmac_f32_e32 v147, v139, v142
	v_add_f32_e32 v146, v146, v147
	v_mul_f32_e32 v147, v140, v145
	v_fmac_f32_e32 v147, v141, v144
	v_add_f32_e32 v152, v146, v147
	ds_read_b128 v[146:149], v170 offset:848
	scratch_load_dwordx4 v[208:211], off, off offset:432
	scratch_load_dwordx4 v[212:215], off, off offset:448
	;; [unrolled: 1-line block ×4, first 2 shown]
	v_add_f32_e32 v2, v2, v3
	v_mul_f32_e32 v3, v101, v105
	v_fma_f32 v3, v100, v104, -v3
	v_add_f32_e32 v2, v2, v3
	v_mul_f32_e32 v3, v107, v111
	v_fma_f32 v3, v106, v110, -v3
	;; [unrolled: 3-line block ×11, first 2 shown]
	v_add_f32_e32 v2, v2, v3
	s_waitcnt lgkmcnt(0)
	v_mul_f32_e32 v3, v147, v173
	v_fma_f32 v3, v146, v172, -v3
	v_add_f32_e32 v2, v2, v3
	v_mul_f32_e32 v3, v149, v175
	v_fma_f32 v3, v148, v174, -v3
	v_mul_f32_e32 v153, v146, v173
	v_add_f32_e32 v2, v2, v3
	v_mul_f32_e32 v3, v177, v181
	v_fmac_f32_e32 v153, v147, v172
	v_fma_f32 v3, v176, v180, -v3
	v_add_f32_e32 v152, v152, v153
	v_mul_f32_e32 v153, v148, v175
	v_add_f32_e32 v2, v2, v3
	v_mul_f32_e32 v3, v179, v183
	v_fmac_f32_e32 v153, v149, v174
	v_fma_f32 v3, v178, v182, -v3
	v_add_f32_e32 v152, v152, v153
	;; [unrolled: 6-line block ×6, first 2 shown]
	v_mul_f32_e32 v153, v192, v197
	v_add_f32_e32 v224, v2, v3
	v_mul_f32_e32 v2, v201, v205
	v_fmac_f32_e32 v153, v193, v196
	v_fma_f32 v226, v200, v204, -v2
	v_mul_f32_e32 v2, v203, v207
	v_add_f32_e32 v152, v152, v153
	v_mul_f32_e32 v153, v194, v199
	v_fma_f32 v228, v202, v206, -v2
	ds_read_b128 v[2:5], v170 offset:928
	ds_read_b128 v[6:9], v170 offset:944
	;; [unrolled: 1-line block ×4, first 2 shown]
	v_fmac_f32_e32 v153, v195, v198
	v_add_f32_e32 v225, v152, v153
	s_waitcnt vmcnt(3) lgkmcnt(3)
	v_pk_mul_f32 v[20:21], v[2:3], v[208:209] op_sel:[1,1] op_sel_hi:[0,1]
	v_pk_add_f32 v[18:19], v[224:225], v[226:227]
	v_pk_fma_f32 v[22:23], v[2:3], v[208:209], v[20:21] neg_lo:[0,0,1] neg_hi:[0,0,1]
	v_pk_fma_f32 v[2:3], v[2:3], v[208:209], v[20:21] op_sel_hi:[1,0,1]
	v_pk_add_f32 v[18:19], v[18:19], v[228:229]
	v_mov_b32_e32 v23, v3
	v_pk_add_f32 v[2:3], v[18:19], v[22:23]
	v_mov_b32_e32 v18, v211
	v_pk_mul_f32 v[18:19], v[4:5], v[18:19] op_sel:[1,0] op_sel_hi:[0,0]
	v_pk_fma_f32 v[20:21], v[4:5], v[210:211], v[18:19] neg_lo:[0,0,1] neg_hi:[0,0,1]
	v_pk_fma_f32 v[4:5], v[4:5], v[210:211], v[18:19] op_sel_hi:[1,0,1]
	s_nop 0
	v_mov_b32_e32 v21, v5
	s_waitcnt vmcnt(2) lgkmcnt(2)
	v_pk_mul_f32 v[4:5], v[6:7], v[212:213] op_sel:[1,1] op_sel_hi:[0,1]
	v_pk_fma_f32 v[18:19], v[6:7], v[212:213], v[4:5] neg_lo:[0,0,1] neg_hi:[0,0,1]
	v_pk_fma_f32 v[4:5], v[6:7], v[212:213], v[4:5] op_sel_hi:[1,0,1]
	v_pk_add_f32 v[2:3], v[2:3], v[20:21]
	v_mov_b32_e32 v4, v215
	v_mov_b32_e32 v19, v5
	v_pk_mul_f32 v[4:5], v[8:9], v[4:5] op_sel:[1,0] op_sel_hi:[0,0]
	v_pk_fma_f32 v[6:7], v[8:9], v[214:215], v[4:5] neg_lo:[0,0,1] neg_hi:[0,0,1]
	v_pk_fma_f32 v[4:5], v[8:9], v[214:215], v[4:5] op_sel_hi:[1,0,1]
	v_pk_add_f32 v[2:3], v[2:3], v[18:19]
	v_mov_b32_e32 v7, v5
	s_waitcnt vmcnt(1) lgkmcnt(1)
	v_pk_mul_f32 v[4:5], v[10:11], v[216:217] op_sel:[1,1] op_sel_hi:[0,1]
	v_pk_add_f32 v[2:3], v[2:3], v[6:7]
	v_pk_fma_f32 v[6:7], v[10:11], v[216:217], v[4:5] neg_lo:[0,0,1] neg_hi:[0,0,1]
	v_pk_fma_f32 v[4:5], v[10:11], v[216:217], v[4:5] op_sel_hi:[1,0,1]
	s_nop 0
	v_mov_b32_e32 v4, v219
	v_mov_b32_e32 v7, v5
	v_pk_mul_f32 v[4:5], v[12:13], v[4:5] op_sel:[1,0] op_sel_hi:[0,0]
	v_pk_add_f32 v[2:3], v[2:3], v[6:7]
	v_pk_fma_f32 v[6:7], v[12:13], v[218:219], v[4:5] neg_lo:[0,0,1] neg_hi:[0,0,1]
	v_pk_fma_f32 v[4:5], v[12:13], v[218:219], v[4:5] op_sel_hi:[1,0,1]
	s_nop 0
	v_mov_b32_e32 v7, v5
	s_waitcnt vmcnt(0) lgkmcnt(0)
	v_pk_mul_f32 v[4:5], v[14:15], v[220:221] op_sel:[1,1] op_sel_hi:[0,1]
	v_pk_add_f32 v[2:3], v[2:3], v[6:7]
	v_pk_fma_f32 v[6:7], v[14:15], v[220:221], v[4:5] neg_lo:[0,0,1] neg_hi:[0,0,1]
	v_pk_fma_f32 v[4:5], v[14:15], v[220:221], v[4:5] op_sel_hi:[1,0,1]
	s_nop 0
	v_mov_b32_e32 v4, v223
	v_mov_b32_e32 v7, v5
	v_pk_mul_f32 v[4:5], v[16:17], v[4:5] op_sel:[1,0] op_sel_hi:[0,0]
	v_pk_add_f32 v[2:3], v[2:3], v[6:7]
	v_pk_fma_f32 v[6:7], v[16:17], v[222:223], v[4:5] neg_lo:[0,0,1] neg_hi:[0,0,1]
	v_pk_fma_f32 v[4:5], v[16:17], v[222:223], v[4:5] op_sel_hi:[1,0,1]
	s_nop 0
	v_mov_b32_e32 v7, v5
	scratch_load_dwordx2 v[4:5], off, off offset:56
	v_pk_add_f32 v[2:3], v[2:3], v[6:7]
	s_waitcnt vmcnt(0)
	v_pk_add_f32 v[2:3], v[4:5], v[2:3] neg_lo:[0,1] neg_hi:[0,1]
	scratch_store_dwordx2 off, v[2:3], off offset:56
	s_and_saveexec_b64 s[0:1], vcc
	s_cbranch_execz .LBB125_373
; %bb.372:
	scratch_load_dwordx2 v[2:3], off, off offset:48
	v_mov_b32_e32 v4, 0
	v_mov_b32_e32 v5, v4
	scratch_store_dwordx2 off, v[4:5], off offset:48
	s_waitcnt vmcnt(1)
	ds_write_b64 v1, v[2:3]
.LBB125_373:
	s_or_b64 exec, exec, s[0:1]
	s_waitcnt lgkmcnt(0)
	; wave barrier
	scratch_load_dwordx4 v[6:9], off, off offset:56
	scratch_load_dwordx4 v[14:17], off, off offset:72
	;; [unrolled: 1-line block ×10, first 2 shown]
	v_mov_b32_e32 v170, 0
	ds_read2_b64 v[2:5], v170 offset0:69 offset1:70
	ds_read2_b64 v[176:179], v170 offset0:107 offset1:108
	scratch_load_dwordx4 v[86:89], off, off offset:216
	scratch_load_dwordx4 v[94:97], off, off offset:232
	;; [unrolled: 1-line block ×14, first 2 shown]
	v_cmp_lt_u32_e32 vcc, 5, v0
	ds_read2_b64 v[184:187], v170 offset0:109 offset1:110
	ds_read2_b64 v[192:195], v170 offset0:111 offset1:112
	;; [unrolled: 1-line block ×4, first 2 shown]
	s_waitcnt vmcnt(23) lgkmcnt(5)
	v_mul_f32_e32 v10, v2, v7
	v_fmac_f32_e32 v10, v3, v6
	v_mul_f32_e32 v11, v4, v9
	v_add_f32_e32 v10, 0, v10
	v_fmac_f32_e32 v11, v5, v8
	v_add_f32_e32 v18, v10, v11
	ds_read2_b64 v[10:13], v170 offset0:71 offset1:72
	v_mul_f32_e32 v3, v3, v7
	v_fma_f32 v2, v2, v6, -v3
	v_mul_f32_e32 v3, v5, v9
	v_add_f32_e32 v2, 0, v2
	s_waitcnt vmcnt(22) lgkmcnt(0)
	v_mul_f32_e32 v19, v10, v15
	v_fmac_f32_e32 v19, v11, v14
	v_add_f32_e32 v18, v18, v19
	v_mul_f32_e32 v19, v12, v17
	v_fmac_f32_e32 v19, v13, v16
	v_add_f32_e32 v26, v18, v19
	ds_read2_b64 v[18:21], v170 offset0:73 offset1:74
	v_fma_f32 v3, v4, v8, -v3
	v_add_f32_e32 v2, v2, v3
	v_mul_f32_e32 v3, v11, v15
	v_fma_f32 v3, v10, v14, -v3
	s_waitcnt vmcnt(21) lgkmcnt(0)
	v_mul_f32_e32 v27, v18, v23
	v_fmac_f32_e32 v27, v19, v22
	v_add_f32_e32 v26, v26, v27
	v_mul_f32_e32 v27, v20, v25
	v_fmac_f32_e32 v27, v21, v24
	v_add_f32_e32 v34, v26, v27
	ds_read2_b64 v[26:29], v170 offset0:75 offset1:76
	v_add_f32_e32 v2, v2, v3
	v_mul_f32_e32 v3, v13, v17
	v_fma_f32 v3, v12, v16, -v3
	v_add_f32_e32 v2, v2, v3
	s_waitcnt vmcnt(20) lgkmcnt(0)
	v_mul_f32_e32 v35, v26, v31
	v_fmac_f32_e32 v35, v27, v30
	v_add_f32_e32 v34, v34, v35
	v_mul_f32_e32 v35, v28, v33
	v_fmac_f32_e32 v35, v29, v32
	v_add_f32_e32 v42, v34, v35
	ds_read2_b64 v[34:37], v170 offset0:77 offset1:78
	v_mul_f32_e32 v3, v19, v23
	v_fma_f32 v3, v18, v22, -v3
	v_add_f32_e32 v2, v2, v3
	v_mul_f32_e32 v3, v21, v25
	s_waitcnt vmcnt(19) lgkmcnt(0)
	v_mul_f32_e32 v43, v34, v39
	v_fmac_f32_e32 v43, v35, v38
	v_add_f32_e32 v42, v42, v43
	v_mul_f32_e32 v43, v36, v41
	v_fmac_f32_e32 v43, v37, v40
	v_add_f32_e32 v50, v42, v43
	ds_read2_b64 v[42:45], v170 offset0:79 offset1:80
	v_fma_f32 v3, v20, v24, -v3
	v_add_f32_e32 v2, v2, v3
	v_mul_f32_e32 v3, v27, v31
	v_fma_f32 v3, v26, v30, -v3
	s_waitcnt vmcnt(18) lgkmcnt(0)
	v_mul_f32_e32 v51, v42, v47
	v_fmac_f32_e32 v51, v43, v46
	v_add_f32_e32 v50, v50, v51
	v_mul_f32_e32 v51, v44, v49
	v_fmac_f32_e32 v51, v45, v48
	v_add_f32_e32 v58, v50, v51
	ds_read2_b64 v[50:53], v170 offset0:81 offset1:82
	v_add_f32_e32 v2, v2, v3
	v_mul_f32_e32 v3, v29, v33
	v_fma_f32 v3, v28, v32, -v3
	v_add_f32_e32 v2, v2, v3
	s_waitcnt vmcnt(17) lgkmcnt(0)
	v_mul_f32_e32 v59, v50, v55
	v_fmac_f32_e32 v59, v51, v54
	v_add_f32_e32 v58, v58, v59
	v_mul_f32_e32 v59, v52, v57
	v_fmac_f32_e32 v59, v53, v56
	v_add_f32_e32 v66, v58, v59
	ds_read2_b64 v[58:61], v170 offset0:83 offset1:84
	v_mul_f32_e32 v3, v35, v39
	v_fma_f32 v3, v34, v38, -v3
	v_add_f32_e32 v2, v2, v3
	v_mul_f32_e32 v3, v37, v41
	;; [unrolled: 36-line block ×5, first 2 shown]
	s_waitcnt vmcnt(7) lgkmcnt(0)
	v_mul_f32_e32 v139, v130, v135
	v_fmac_f32_e32 v139, v131, v134
	v_add_f32_e32 v138, v138, v139
	v_mul_f32_e32 v139, v132, v137
	v_fmac_f32_e32 v139, v133, v136
	v_add_f32_e32 v146, v138, v139
	ds_read2_b64 v[138:141], v170 offset0:103 offset1:104
	v_fma_f32 v3, v84, v88, -v3
	v_add_f32_e32 v2, v2, v3
	v_mul_f32_e32 v3, v91, v95
	v_fma_f32 v3, v90, v94, -v3
	s_waitcnt vmcnt(6) lgkmcnt(0)
	v_mul_f32_e32 v147, v138, v143
	v_fmac_f32_e32 v147, v139, v142
	v_add_f32_e32 v146, v146, v147
	v_mul_f32_e32 v147, v140, v145
	v_fmac_f32_e32 v147, v141, v144
	v_add_f32_e32 v152, v146, v147
	ds_read2_b64 v[146:149], v170 offset0:105 offset1:106
	scratch_load_dwordx4 v[216:219], off, off offset:440
	scratch_load_dwordx4 v[220:223], off, off offset:456
	scratch_load_dwordx4 v[224:227], off, off offset:472
	scratch_load_dwordx2 v[234:235], off, off offset:488
	v_add_f32_e32 v2, v2, v3
	v_mul_f32_e32 v3, v93, v97
	v_fma_f32 v3, v92, v96, -v3
	v_add_f32_e32 v2, v2, v3
	v_mul_f32_e32 v3, v99, v103
	v_fma_f32 v3, v98, v102, -v3
	;; [unrolled: 3-line block ×13, first 2 shown]
	v_add_f32_e32 v2, v2, v3
	s_waitcnt vmcnt(9) lgkmcnt(0)
	v_mul_f32_e32 v3, v147, v173
	v_fma_f32 v3, v146, v172, -v3
	v_mul_f32_e32 v153, v146, v173
	v_add_f32_e32 v2, v2, v3
	v_mul_f32_e32 v3, v149, v175
	v_fmac_f32_e32 v153, v147, v172
	v_fma_f32 v3, v148, v174, -v3
	v_add_f32_e32 v152, v152, v153
	v_mul_f32_e32 v153, v148, v175
	v_add_f32_e32 v2, v2, v3
	s_waitcnt vmcnt(8)
	v_mul_f32_e32 v3, v177, v181
	v_fmac_f32_e32 v153, v149, v174
	v_fma_f32 v3, v176, v180, -v3
	v_add_f32_e32 v152, v152, v153
	v_mul_f32_e32 v153, v176, v181
	v_add_f32_e32 v2, v2, v3
	v_mul_f32_e32 v3, v179, v183
	v_fmac_f32_e32 v153, v177, v180
	v_fma_f32 v3, v178, v182, -v3
	v_add_f32_e32 v152, v152, v153
	v_mul_f32_e32 v153, v178, v183
	v_add_f32_e32 v2, v2, v3
	s_waitcnt vmcnt(7)
	v_mul_f32_e32 v3, v185, v189
	v_fmac_f32_e32 v153, v179, v182
	v_fma_f32 v3, v184, v188, -v3
	v_add_f32_e32 v152, v152, v153
	;; [unrolled: 13-line block ×4, first 2 shown]
	v_mul_f32_e32 v153, v200, v205
	v_add_f32_e32 v228, v2, v3
	v_mul_f32_e32 v2, v203, v207
	v_fmac_f32_e32 v153, v201, v204
	v_mul_f32_e32 v231, v202, v207
	v_fma_f32 v230, v202, v206, -v2
	s_waitcnt vmcnt(4)
	v_mul_f32_e32 v2, v209, v213
	v_mov_b32_e32 v18, v215
	v_add_f32_e32 v229, v152, v153
	v_fmac_f32_e32 v231, v203, v206
	v_mul_f32_e32 v233, v208, v213
	v_fma_f32 v232, v208, v212, -v2
	ds_read2_b64 v[2:5], v170 offset0:117 offset1:118
	ds_read2_b64 v[6:9], v170 offset0:119 offset1:120
	;; [unrolled: 1-line block ×3, first 2 shown]
	ds_read_b64 v[14:15], v170 offset:984
	v_pk_mul_f32 v[18:19], v[210:211], v[18:19] op_sel:[1,0] op_sel_hi:[0,0]
	v_fmac_f32_e32 v233, v209, v212
	v_pk_add_f32 v[16:17], v[228:229], v[230:231]
	v_pk_fma_f32 v[20:21], v[210:211], v[214:215], v[18:19] neg_lo:[0,0,1] neg_hi:[0,0,1]
	v_pk_fma_f32 v[18:19], v[210:211], v[214:215], v[18:19] op_sel_hi:[1,0,1]
	v_pk_add_f32 v[16:17], v[16:17], v[232:233]
	v_mov_b32_e32 v21, v19
	s_waitcnt vmcnt(3) lgkmcnt(3)
	v_pk_mul_f32 v[18:19], v[2:3], v[216:217] op_sel:[1,1] op_sel_hi:[0,1]
	v_pk_add_f32 v[16:17], v[16:17], v[20:21]
	v_pk_fma_f32 v[20:21], v[2:3], v[216:217], v[18:19] neg_lo:[0,0,1] neg_hi:[0,0,1]
	v_pk_fma_f32 v[2:3], v[2:3], v[216:217], v[18:19] op_sel_hi:[1,0,1]
	s_nop 0
	v_mov_b32_e32 v21, v3
	v_pk_add_f32 v[2:3], v[16:17], v[20:21]
	v_mov_b32_e32 v16, v219
	v_pk_mul_f32 v[16:17], v[4:5], v[16:17] op_sel:[1,0] op_sel_hi:[0,0]
	v_pk_fma_f32 v[18:19], v[4:5], v[218:219], v[16:17] neg_lo:[0,0,1] neg_hi:[0,0,1]
	v_pk_fma_f32 v[4:5], v[4:5], v[218:219], v[16:17] op_sel_hi:[1,0,1]
	s_nop 0
	v_mov_b32_e32 v19, v5
	s_waitcnt vmcnt(2) lgkmcnt(2)
	v_pk_mul_f32 v[4:5], v[6:7], v[220:221] op_sel:[1,1] op_sel_hi:[0,1]
	v_pk_fma_f32 v[16:17], v[6:7], v[220:221], v[4:5] neg_lo:[0,0,1] neg_hi:[0,0,1]
	v_pk_fma_f32 v[4:5], v[6:7], v[220:221], v[4:5] op_sel_hi:[1,0,1]
	v_pk_add_f32 v[2:3], v[2:3], v[18:19]
	v_mov_b32_e32 v4, v223
	v_mov_b32_e32 v17, v5
	v_pk_mul_f32 v[4:5], v[8:9], v[4:5] op_sel:[1,0] op_sel_hi:[0,0]
	v_pk_fma_f32 v[6:7], v[8:9], v[222:223], v[4:5] neg_lo:[0,0,1] neg_hi:[0,0,1]
	v_pk_fma_f32 v[4:5], v[8:9], v[222:223], v[4:5] op_sel_hi:[1,0,1]
	v_pk_add_f32 v[2:3], v[2:3], v[16:17]
	v_mov_b32_e32 v7, v5
	s_waitcnt vmcnt(1) lgkmcnt(1)
	v_pk_mul_f32 v[4:5], v[10:11], v[224:225] op_sel:[1,1] op_sel_hi:[0,1]
	v_pk_add_f32 v[2:3], v[2:3], v[6:7]
	v_pk_fma_f32 v[6:7], v[10:11], v[224:225], v[4:5] neg_lo:[0,0,1] neg_hi:[0,0,1]
	v_pk_fma_f32 v[4:5], v[10:11], v[224:225], v[4:5] op_sel_hi:[1,0,1]
	s_nop 0
	v_mov_b32_e32 v4, v227
	v_mov_b32_e32 v7, v5
	v_pk_mul_f32 v[4:5], v[12:13], v[4:5] op_sel:[1,0] op_sel_hi:[0,0]
	v_pk_add_f32 v[2:3], v[2:3], v[6:7]
	v_pk_fma_f32 v[6:7], v[12:13], v[226:227], v[4:5] neg_lo:[0,0,1] neg_hi:[0,0,1]
	v_pk_fma_f32 v[4:5], v[12:13], v[226:227], v[4:5] op_sel_hi:[1,0,1]
	s_nop 0
	v_mov_b32_e32 v7, v5
	s_waitcnt vmcnt(0) lgkmcnt(0)
	v_pk_mul_f32 v[4:5], v[14:15], v[234:235] op_sel:[1,1] op_sel_hi:[0,1]
	v_pk_add_f32 v[2:3], v[2:3], v[6:7]
	v_pk_fma_f32 v[6:7], v[14:15], v[234:235], v[4:5] neg_lo:[0,0,1] neg_hi:[0,0,1]
	v_pk_fma_f32 v[4:5], v[14:15], v[234:235], v[4:5] op_sel_hi:[1,0,1]
	s_nop 0
	v_mov_b32_e32 v7, v5
	scratch_load_dwordx2 v[4:5], off, off offset:48
	v_pk_add_f32 v[2:3], v[2:3], v[6:7]
	s_waitcnt vmcnt(0)
	v_pk_add_f32 v[2:3], v[4:5], v[2:3] neg_lo:[0,1] neg_hi:[0,1]
	scratch_store_dwordx2 off, v[2:3], off offset:48
	s_and_saveexec_b64 s[0:1], vcc
	s_cbranch_execz .LBB125_375
; %bb.374:
	scratch_load_dwordx2 v[2:3], off, off offset:40
	v_mov_b32_e32 v171, v170
	scratch_store_dwordx2 off, v[170:171], off offset:40
	s_waitcnt vmcnt(1)
	ds_write_b64 v1, v[2:3]
.LBB125_375:
	s_or_b64 exec, exec, s[0:1]
	s_waitcnt lgkmcnt(0)
	; wave barrier
	ds_read_b128 v[14:17], v170 offset:544
	ds_read_b128 v[10:13], v170 offset:560
	;; [unrolled: 1-line block ×4, first 2 shown]
	scratch_load_dwordx4 v[18:21], off, off offset:48
	scratch_load_dwordx4 v[38:41], off, off offset:112
	;; [unrolled: 1-line block ×18, first 2 shown]
	v_cmp_lt_u32_e32 vcc, 4, v0
	scratch_load_dwordx4 v[46:49], off, off offset:128
	scratch_load_dwordx4 v[54:57], off, off offset:144
	;; [unrolled: 1-line block ×3, first 2 shown]
	ds_read_b128 v[176:179], v170 offset:848
	ds_read_b128 v[184:187], v170 offset:864
	;; [unrolled: 1-line block ×5, first 2 shown]
	s_waitcnt vmcnt(20) lgkmcnt(8)
	v_mul_f32_e32 v22, v14, v19
	v_fmac_f32_e32 v22, v15, v18
	v_mul_f32_e32 v23, v16, v21
	v_add_f32_e32 v22, 0, v22
	v_fmac_f32_e32 v23, v17, v20
	v_add_f32_e32 v26, v22, v23
	scratch_load_dwordx4 v[22:25], off, off offset:64
	v_mul_f32_e32 v15, v15, v19
	v_fma_f32 v14, v14, v18, -v15
	v_mul_f32_e32 v15, v17, v21
	v_add_f32_e32 v14, 0, v14
	v_fma_f32 v15, v16, v20, -v15
	v_add_f32_e32 v14, v14, v15
	s_waitcnt vmcnt(4) lgkmcnt(0)
	v_mul_f32_e32 v235, v208, v213
	v_mul_f32_e32 v237, v210, v215
	v_fmac_f32_e32 v235, v209, v212
	v_fmac_f32_e32 v237, v211, v214
	s_waitcnt vmcnt(0)
	v_mul_f32_e32 v27, v10, v23
	v_fmac_f32_e32 v27, v11, v22
	v_add_f32_e32 v26, v26, v27
	v_mul_f32_e32 v27, v12, v25
	v_fmac_f32_e32 v27, v13, v24
	v_add_f32_e32 v30, v26, v27
	scratch_load_dwordx4 v[26:29], off, off offset:80
	v_mul_f32_e32 v11, v11, v23
	v_fma_f32 v10, v10, v22, -v11
	v_mul_f32_e32 v11, v13, v25
	v_add_f32_e32 v10, v14, v10
	v_fma_f32 v11, v12, v24, -v11
	v_add_f32_e32 v10, v10, v11
	s_waitcnt vmcnt(0)
	v_mul_f32_e32 v31, v6, v27
	v_fmac_f32_e32 v31, v7, v26
	v_add_f32_e32 v30, v30, v31
	v_mul_f32_e32 v31, v8, v29
	v_fmac_f32_e32 v31, v9, v28
	v_add_f32_e32 v34, v30, v31
	scratch_load_dwordx4 v[30:33], off, off offset:96
	v_mul_f32_e32 v7, v7, v27
	v_fma_f32 v6, v6, v26, -v7
	v_mul_f32_e32 v7, v9, v29
	v_add_f32_e32 v6, v10, v6
	v_fma_f32 v7, v8, v28, -v7
	v_add_f32_e32 v6, v6, v7
	s_waitcnt vmcnt(0)
	v_mul_f32_e32 v35, v2, v31
	v_fmac_f32_e32 v35, v3, v30
	v_add_f32_e32 v34, v34, v35
	v_mul_f32_e32 v35, v4, v33
	v_fmac_f32_e32 v35, v5, v32
	v_add_f32_e32 v42, v34, v35
	ds_read_b128 v[34:37], v170 offset:608
	v_mul_f32_e32 v3, v3, v31
	v_fma_f32 v2, v2, v30, -v3
	v_mul_f32_e32 v3, v5, v33
	v_add_f32_e32 v2, v6, v2
	s_waitcnt lgkmcnt(0)
	v_mul_f32_e32 v43, v34, v39
	v_fmac_f32_e32 v43, v35, v38
	v_add_f32_e32 v42, v42, v43
	v_mul_f32_e32 v43, v36, v41
	v_fmac_f32_e32 v43, v37, v40
	v_add_f32_e32 v50, v42, v43
	ds_read_b128 v[42:45], v170 offset:624
	v_fma_f32 v3, v4, v32, -v3
	v_add_f32_e32 v2, v2, v3
	v_mul_f32_e32 v3, v35, v39
	v_fma_f32 v3, v34, v38, -v3
	s_waitcnt lgkmcnt(0)
	v_mul_f32_e32 v51, v42, v47
	v_fmac_f32_e32 v51, v43, v46
	v_add_f32_e32 v50, v50, v51
	v_mul_f32_e32 v51, v44, v49
	v_fmac_f32_e32 v51, v45, v48
	v_add_f32_e32 v58, v50, v51
	ds_read_b128 v[50:53], v170 offset:640
	v_add_f32_e32 v2, v2, v3
	v_mul_f32_e32 v3, v37, v41
	v_fma_f32 v3, v36, v40, -v3
	v_add_f32_e32 v2, v2, v3
	s_waitcnt lgkmcnt(0)
	v_mul_f32_e32 v59, v50, v55
	v_fmac_f32_e32 v59, v51, v54
	v_add_f32_e32 v58, v58, v59
	v_mul_f32_e32 v59, v52, v57
	v_fmac_f32_e32 v59, v53, v56
	v_add_f32_e32 v66, v58, v59
	ds_read_b128 v[58:61], v170 offset:656
	v_mul_f32_e32 v3, v43, v47
	v_fma_f32 v3, v42, v46, -v3
	v_add_f32_e32 v2, v2, v3
	v_mul_f32_e32 v3, v45, v49
	s_waitcnt lgkmcnt(0)
	v_mul_f32_e32 v67, v58, v63
	v_fmac_f32_e32 v67, v59, v62
	v_add_f32_e32 v66, v66, v67
	v_mul_f32_e32 v67, v60, v65
	v_fmac_f32_e32 v67, v61, v64
	v_add_f32_e32 v74, v66, v67
	ds_read_b128 v[66:69], v170 offset:672
	v_fma_f32 v3, v44, v48, -v3
	v_add_f32_e32 v2, v2, v3
	v_mul_f32_e32 v3, v51, v55
	v_fma_f32 v3, v50, v54, -v3
	s_waitcnt lgkmcnt(0)
	v_mul_f32_e32 v75, v66, v71
	v_fmac_f32_e32 v75, v67, v70
	v_add_f32_e32 v74, v74, v75
	v_mul_f32_e32 v75, v68, v73
	v_fmac_f32_e32 v75, v69, v72
	v_add_f32_e32 v82, v74, v75
	ds_read_b128 v[74:77], v170 offset:688
	v_add_f32_e32 v2, v2, v3
	v_mul_f32_e32 v3, v53, v57
	v_fma_f32 v3, v52, v56, -v3
	v_add_f32_e32 v2, v2, v3
	s_waitcnt lgkmcnt(0)
	v_mul_f32_e32 v83, v74, v79
	v_fmac_f32_e32 v83, v75, v78
	v_add_f32_e32 v82, v82, v83
	v_mul_f32_e32 v83, v76, v81
	v_fmac_f32_e32 v83, v77, v80
	v_add_f32_e32 v90, v82, v83
	ds_read_b128 v[82:85], v170 offset:704
	v_mul_f32_e32 v3, v59, v63
	v_fma_f32 v3, v58, v62, -v3
	v_add_f32_e32 v2, v2, v3
	v_mul_f32_e32 v3, v61, v65
	;; [unrolled: 36-line block ×4, first 2 shown]
	s_waitcnt lgkmcnt(0)
	v_mul_f32_e32 v139, v130, v135
	v_fmac_f32_e32 v139, v131, v134
	v_add_f32_e32 v138, v138, v139
	v_mul_f32_e32 v139, v132, v137
	v_fmac_f32_e32 v139, v133, v136
	v_add_f32_e32 v146, v138, v139
	ds_read_b128 v[138:141], v170 offset:816
	v_fma_f32 v3, v92, v96, -v3
	v_add_f32_e32 v2, v2, v3
	v_mul_f32_e32 v3, v99, v103
	v_fma_f32 v3, v98, v102, -v3
	s_waitcnt lgkmcnt(0)
	v_mul_f32_e32 v147, v138, v143
	v_fmac_f32_e32 v147, v139, v142
	v_add_f32_e32 v146, v146, v147
	v_mul_f32_e32 v147, v140, v145
	v_fmac_f32_e32 v147, v141, v144
	v_add_f32_e32 v152, v146, v147
	ds_read_b128 v[146:149], v170 offset:832
	scratch_load_dwordx4 v[216:219], off, off offset:432
	scratch_load_dwordx4 v[220:223], off, off offset:448
	;; [unrolled: 1-line block ×4, first 2 shown]
	v_add_f32_e32 v2, v2, v3
	v_mul_f32_e32 v3, v101, v105
	v_fma_f32 v3, v100, v104, -v3
	v_add_f32_e32 v2, v2, v3
	v_mul_f32_e32 v3, v107, v111
	v_fma_f32 v3, v106, v110, -v3
	v_add_f32_e32 v2, v2, v3
	v_mul_f32_e32 v3, v109, v113
	v_fma_f32 v3, v108, v112, -v3
	v_add_f32_e32 v2, v2, v3
	v_mul_f32_e32 v3, v115, v119
	v_fma_f32 v3, v114, v118, -v3
	v_add_f32_e32 v2, v2, v3
	v_mul_f32_e32 v3, v117, v121
	v_fma_f32 v3, v116, v120, -v3
	v_add_f32_e32 v2, v2, v3
	v_mul_f32_e32 v3, v123, v127
	v_fma_f32 v3, v122, v126, -v3
	v_add_f32_e32 v2, v2, v3
	v_mul_f32_e32 v3, v125, v129
	v_fma_f32 v3, v124, v128, -v3
	v_add_f32_e32 v2, v2, v3
	v_mul_f32_e32 v3, v131, v135
	v_fma_f32 v3, v130, v134, -v3
	v_add_f32_e32 v2, v2, v3
	v_mul_f32_e32 v3, v133, v137
	v_fma_f32 v3, v132, v136, -v3
	v_add_f32_e32 v2, v2, v3
	v_mul_f32_e32 v3, v139, v143
	v_fma_f32 v3, v138, v142, -v3
	v_add_f32_e32 v2, v2, v3
	v_mul_f32_e32 v3, v141, v145
	v_fma_f32 v3, v140, v144, -v3
	v_add_f32_e32 v2, v2, v3
	s_waitcnt lgkmcnt(0)
	v_mul_f32_e32 v3, v147, v173
	v_fma_f32 v3, v146, v172, -v3
	v_add_f32_e32 v2, v2, v3
	v_mul_f32_e32 v3, v149, v175
	v_fma_f32 v3, v148, v174, -v3
	v_mul_f32_e32 v153, v146, v173
	v_add_f32_e32 v2, v2, v3
	v_mul_f32_e32 v3, v177, v181
	v_fmac_f32_e32 v153, v147, v172
	v_fma_f32 v3, v176, v180, -v3
	v_add_f32_e32 v152, v152, v153
	v_mul_f32_e32 v153, v148, v175
	v_add_f32_e32 v2, v2, v3
	v_mul_f32_e32 v3, v179, v183
	v_fmac_f32_e32 v153, v149, v174
	v_fma_f32 v3, v178, v182, -v3
	v_add_f32_e32 v152, v152, v153
	;; [unrolled: 6-line block ×8, first 2 shown]
	v_mul_f32_e32 v153, v200, v205
	v_add_f32_e32 v232, v2, v3
	v_mul_f32_e32 v2, v209, v213
	v_fmac_f32_e32 v153, v201, v204
	v_fma_f32 v234, v208, v212, -v2
	v_mul_f32_e32 v2, v211, v215
	v_add_f32_e32 v152, v152, v153
	v_mul_f32_e32 v153, v202, v207
	v_fma_f32 v236, v210, v214, -v2
	ds_read_b128 v[2:5], v170 offset:928
	ds_read_b128 v[6:9], v170 offset:944
	;; [unrolled: 1-line block ×4, first 2 shown]
	v_fmac_f32_e32 v153, v203, v206
	v_add_f32_e32 v233, v152, v153
	s_waitcnt vmcnt(3) lgkmcnt(3)
	v_pk_mul_f32 v[20:21], v[2:3], v[216:217] op_sel:[1,1] op_sel_hi:[0,1]
	v_pk_add_f32 v[18:19], v[232:233], v[234:235]
	v_pk_fma_f32 v[22:23], v[2:3], v[216:217], v[20:21] neg_lo:[0,0,1] neg_hi:[0,0,1]
	v_pk_fma_f32 v[2:3], v[2:3], v[216:217], v[20:21] op_sel_hi:[1,0,1]
	v_pk_add_f32 v[18:19], v[18:19], v[236:237]
	v_mov_b32_e32 v23, v3
	v_pk_add_f32 v[2:3], v[18:19], v[22:23]
	v_mov_b32_e32 v18, v219
	v_pk_mul_f32 v[18:19], v[4:5], v[18:19] op_sel:[1,0] op_sel_hi:[0,0]
	v_pk_fma_f32 v[20:21], v[4:5], v[218:219], v[18:19] neg_lo:[0,0,1] neg_hi:[0,0,1]
	v_pk_fma_f32 v[4:5], v[4:5], v[218:219], v[18:19] op_sel_hi:[1,0,1]
	s_nop 0
	v_mov_b32_e32 v21, v5
	s_waitcnt vmcnt(2) lgkmcnt(2)
	v_pk_mul_f32 v[4:5], v[6:7], v[220:221] op_sel:[1,1] op_sel_hi:[0,1]
	v_pk_fma_f32 v[18:19], v[6:7], v[220:221], v[4:5] neg_lo:[0,0,1] neg_hi:[0,0,1]
	v_pk_fma_f32 v[4:5], v[6:7], v[220:221], v[4:5] op_sel_hi:[1,0,1]
	v_pk_add_f32 v[2:3], v[2:3], v[20:21]
	v_mov_b32_e32 v4, v223
	v_mov_b32_e32 v19, v5
	v_pk_mul_f32 v[4:5], v[8:9], v[4:5] op_sel:[1,0] op_sel_hi:[0,0]
	v_pk_fma_f32 v[6:7], v[8:9], v[222:223], v[4:5] neg_lo:[0,0,1] neg_hi:[0,0,1]
	v_pk_fma_f32 v[4:5], v[8:9], v[222:223], v[4:5] op_sel_hi:[1,0,1]
	v_pk_add_f32 v[2:3], v[2:3], v[18:19]
	v_mov_b32_e32 v7, v5
	s_waitcnt vmcnt(1) lgkmcnt(1)
	v_pk_mul_f32 v[4:5], v[10:11], v[224:225] op_sel:[1,1] op_sel_hi:[0,1]
	v_pk_add_f32 v[2:3], v[2:3], v[6:7]
	v_pk_fma_f32 v[6:7], v[10:11], v[224:225], v[4:5] neg_lo:[0,0,1] neg_hi:[0,0,1]
	v_pk_fma_f32 v[4:5], v[10:11], v[224:225], v[4:5] op_sel_hi:[1,0,1]
	s_nop 0
	v_mov_b32_e32 v4, v227
	v_mov_b32_e32 v7, v5
	v_pk_mul_f32 v[4:5], v[12:13], v[4:5] op_sel:[1,0] op_sel_hi:[0,0]
	v_pk_add_f32 v[2:3], v[2:3], v[6:7]
	v_pk_fma_f32 v[6:7], v[12:13], v[226:227], v[4:5] neg_lo:[0,0,1] neg_hi:[0,0,1]
	v_pk_fma_f32 v[4:5], v[12:13], v[226:227], v[4:5] op_sel_hi:[1,0,1]
	s_nop 0
	v_mov_b32_e32 v7, v5
	s_waitcnt vmcnt(0) lgkmcnt(0)
	v_pk_mul_f32 v[4:5], v[14:15], v[228:229] op_sel:[1,1] op_sel_hi:[0,1]
	v_pk_add_f32 v[2:3], v[2:3], v[6:7]
	v_pk_fma_f32 v[6:7], v[14:15], v[228:229], v[4:5] neg_lo:[0,0,1] neg_hi:[0,0,1]
	v_pk_fma_f32 v[4:5], v[14:15], v[228:229], v[4:5] op_sel_hi:[1,0,1]
	s_nop 0
	v_mov_b32_e32 v4, v231
	v_mov_b32_e32 v7, v5
	v_pk_mul_f32 v[4:5], v[16:17], v[4:5] op_sel:[1,0] op_sel_hi:[0,0]
	v_pk_add_f32 v[2:3], v[2:3], v[6:7]
	v_pk_fma_f32 v[6:7], v[16:17], v[230:231], v[4:5] neg_lo:[0,0,1] neg_hi:[0,0,1]
	v_pk_fma_f32 v[4:5], v[16:17], v[230:231], v[4:5] op_sel_hi:[1,0,1]
	s_nop 0
	v_mov_b32_e32 v7, v5
	scratch_load_dwordx2 v[4:5], off, off offset:40
	v_pk_add_f32 v[2:3], v[2:3], v[6:7]
	s_waitcnt vmcnt(0)
	v_pk_add_f32 v[2:3], v[4:5], v[2:3] neg_lo:[0,1] neg_hi:[0,1]
	scratch_store_dwordx2 off, v[2:3], off offset:40
	s_and_saveexec_b64 s[0:1], vcc
	s_cbranch_execz .LBB125_377
; %bb.376:
	scratch_load_dwordx2 v[2:3], off, off offset:32
	v_mov_b32_e32 v4, 0
	v_mov_b32_e32 v5, v4
	scratch_store_dwordx2 off, v[4:5], off offset:32
	s_waitcnt vmcnt(1)
	ds_write_b64 v1, v[2:3]
.LBB125_377:
	s_or_b64 exec, exec, s[0:1]
	s_waitcnt lgkmcnt(0)
	; wave barrier
	scratch_load_dwordx4 v[6:9], off, off offset:40
	scratch_load_dwordx4 v[14:17], off, off offset:56
	;; [unrolled: 1-line block ×10, first 2 shown]
	v_mov_b32_e32 v170, 0
	ds_read2_b64 v[2:5], v170 offset0:67 offset1:68
	ds_read2_b64 v[176:179], v170 offset0:105 offset1:106
	scratch_load_dwordx4 v[86:89], off, off offset:200
	scratch_load_dwordx4 v[94:97], off, off offset:216
	;; [unrolled: 1-line block ×15, first 2 shown]
	v_cmp_lt_u32_e32 vcc, 3, v0
	ds_read2_b64 v[184:187], v170 offset0:107 offset1:108
	ds_read2_b64 v[192:195], v170 offset0:109 offset1:110
	;; [unrolled: 1-line block ×5, first 2 shown]
	s_waitcnt vmcnt(24) lgkmcnt(6)
	v_mul_f32_e32 v10, v2, v7
	v_fmac_f32_e32 v10, v3, v6
	v_mul_f32_e32 v11, v4, v9
	v_add_f32_e32 v10, 0, v10
	v_fmac_f32_e32 v11, v5, v8
	v_add_f32_e32 v18, v10, v11
	ds_read2_b64 v[10:13], v170 offset0:69 offset1:70
	v_mul_f32_e32 v3, v3, v7
	v_fma_f32 v2, v2, v6, -v3
	v_mul_f32_e32 v3, v5, v9
	v_add_f32_e32 v2, 0, v2
	s_waitcnt vmcnt(23) lgkmcnt(0)
	v_mul_f32_e32 v19, v10, v15
	v_fmac_f32_e32 v19, v11, v14
	v_add_f32_e32 v18, v18, v19
	v_mul_f32_e32 v19, v12, v17
	v_fmac_f32_e32 v19, v13, v16
	v_add_f32_e32 v26, v18, v19
	ds_read2_b64 v[18:21], v170 offset0:71 offset1:72
	v_fma_f32 v3, v4, v8, -v3
	v_add_f32_e32 v2, v2, v3
	v_mul_f32_e32 v3, v11, v15
	v_fma_f32 v3, v10, v14, -v3
	s_waitcnt vmcnt(22) lgkmcnt(0)
	v_mul_f32_e32 v27, v18, v23
	v_fmac_f32_e32 v27, v19, v22
	v_add_f32_e32 v26, v26, v27
	v_mul_f32_e32 v27, v20, v25
	v_fmac_f32_e32 v27, v21, v24
	v_add_f32_e32 v34, v26, v27
	ds_read2_b64 v[26:29], v170 offset0:73 offset1:74
	v_add_f32_e32 v2, v2, v3
	v_mul_f32_e32 v3, v13, v17
	v_fma_f32 v3, v12, v16, -v3
	v_add_f32_e32 v2, v2, v3
	s_waitcnt vmcnt(21) lgkmcnt(0)
	v_mul_f32_e32 v35, v26, v31
	v_fmac_f32_e32 v35, v27, v30
	v_add_f32_e32 v34, v34, v35
	v_mul_f32_e32 v35, v28, v33
	v_fmac_f32_e32 v35, v29, v32
	v_add_f32_e32 v42, v34, v35
	ds_read2_b64 v[34:37], v170 offset0:75 offset1:76
	v_mul_f32_e32 v3, v19, v23
	v_fma_f32 v3, v18, v22, -v3
	v_add_f32_e32 v2, v2, v3
	v_mul_f32_e32 v3, v21, v25
	s_waitcnt vmcnt(20) lgkmcnt(0)
	v_mul_f32_e32 v43, v34, v39
	v_fmac_f32_e32 v43, v35, v38
	v_add_f32_e32 v42, v42, v43
	v_mul_f32_e32 v43, v36, v41
	v_fmac_f32_e32 v43, v37, v40
	v_add_f32_e32 v50, v42, v43
	ds_read2_b64 v[42:45], v170 offset0:77 offset1:78
	v_fma_f32 v3, v20, v24, -v3
	v_add_f32_e32 v2, v2, v3
	v_mul_f32_e32 v3, v27, v31
	v_fma_f32 v3, v26, v30, -v3
	s_waitcnt vmcnt(19) lgkmcnt(0)
	v_mul_f32_e32 v51, v42, v47
	v_fmac_f32_e32 v51, v43, v46
	v_add_f32_e32 v50, v50, v51
	v_mul_f32_e32 v51, v44, v49
	v_fmac_f32_e32 v51, v45, v48
	v_add_f32_e32 v58, v50, v51
	ds_read2_b64 v[50:53], v170 offset0:79 offset1:80
	v_add_f32_e32 v2, v2, v3
	v_mul_f32_e32 v3, v29, v33
	v_fma_f32 v3, v28, v32, -v3
	v_add_f32_e32 v2, v2, v3
	s_waitcnt vmcnt(18) lgkmcnt(0)
	v_mul_f32_e32 v59, v50, v55
	v_fmac_f32_e32 v59, v51, v54
	v_add_f32_e32 v58, v58, v59
	v_mul_f32_e32 v59, v52, v57
	v_fmac_f32_e32 v59, v53, v56
	v_add_f32_e32 v66, v58, v59
	ds_read2_b64 v[58:61], v170 offset0:81 offset1:82
	v_mul_f32_e32 v3, v35, v39
	v_fma_f32 v3, v34, v38, -v3
	v_add_f32_e32 v2, v2, v3
	v_mul_f32_e32 v3, v37, v41
	s_waitcnt vmcnt(17) lgkmcnt(0)
	v_mul_f32_e32 v67, v58, v63
	v_fmac_f32_e32 v67, v59, v62
	v_add_f32_e32 v66, v66, v67
	v_mul_f32_e32 v67, v60, v65
	v_fmac_f32_e32 v67, v61, v64
	v_add_f32_e32 v74, v66, v67
	ds_read2_b64 v[66:69], v170 offset0:83 offset1:84
	v_fma_f32 v3, v36, v40, -v3
	v_add_f32_e32 v2, v2, v3
	v_mul_f32_e32 v3, v43, v47
	v_fma_f32 v3, v42, v46, -v3
	s_waitcnt vmcnt(16) lgkmcnt(0)
	v_mul_f32_e32 v75, v66, v71
	v_fmac_f32_e32 v75, v67, v70
	v_add_f32_e32 v74, v74, v75
	v_mul_f32_e32 v75, v68, v73
	v_fmac_f32_e32 v75, v69, v72
	v_add_f32_e32 v82, v74, v75
	ds_read2_b64 v[74:77], v170 offset0:85 offset1:86
	v_add_f32_e32 v2, v2, v3
	v_mul_f32_e32 v3, v45, v49
	v_fma_f32 v3, v44, v48, -v3
	v_add_f32_e32 v2, v2, v3
	s_waitcnt vmcnt(15) lgkmcnt(0)
	v_mul_f32_e32 v83, v74, v79
	v_fmac_f32_e32 v83, v75, v78
	v_add_f32_e32 v82, v82, v83
	v_mul_f32_e32 v83, v76, v81
	v_fmac_f32_e32 v83, v77, v80
	v_add_f32_e32 v90, v82, v83
	ds_read2_b64 v[82:85], v170 offset0:87 offset1:88
	v_mul_f32_e32 v3, v51, v55
	v_fma_f32 v3, v50, v54, -v3
	v_add_f32_e32 v2, v2, v3
	v_mul_f32_e32 v3, v53, v57
	s_waitcnt vmcnt(14) lgkmcnt(0)
	v_mul_f32_e32 v91, v82, v87
	v_fmac_f32_e32 v91, v83, v86
	v_add_f32_e32 v90, v90, v91
	v_mul_f32_e32 v91, v84, v89
	v_fmac_f32_e32 v91, v85, v88
	v_add_f32_e32 v98, v90, v91
	ds_read2_b64 v[90:93], v170 offset0:89 offset1:90
	v_fma_f32 v3, v52, v56, -v3
	v_add_f32_e32 v2, v2, v3
	v_mul_f32_e32 v3, v59, v63
	v_fma_f32 v3, v58, v62, -v3
	s_waitcnt vmcnt(13) lgkmcnt(0)
	v_mul_f32_e32 v99, v90, v95
	v_fmac_f32_e32 v99, v91, v94
	v_add_f32_e32 v98, v98, v99
	v_mul_f32_e32 v99, v92, v97
	v_fmac_f32_e32 v99, v93, v96
	v_add_f32_e32 v106, v98, v99
	ds_read2_b64 v[98:101], v170 offset0:91 offset1:92
	v_add_f32_e32 v2, v2, v3
	v_mul_f32_e32 v3, v61, v65
	v_fma_f32 v3, v60, v64, -v3
	v_add_f32_e32 v2, v2, v3
	s_waitcnt vmcnt(12) lgkmcnt(0)
	v_mul_f32_e32 v107, v98, v103
	v_fmac_f32_e32 v107, v99, v102
	v_add_f32_e32 v106, v106, v107
	v_mul_f32_e32 v107, v100, v105
	v_fmac_f32_e32 v107, v101, v104
	v_add_f32_e32 v114, v106, v107
	ds_read2_b64 v[106:109], v170 offset0:93 offset1:94
	v_mul_f32_e32 v3, v67, v71
	v_fma_f32 v3, v66, v70, -v3
	v_add_f32_e32 v2, v2, v3
	v_mul_f32_e32 v3, v69, v73
	s_waitcnt vmcnt(11) lgkmcnt(0)
	v_mul_f32_e32 v115, v106, v111
	v_fmac_f32_e32 v115, v107, v110
	v_add_f32_e32 v114, v114, v115
	v_mul_f32_e32 v115, v108, v113
	v_fmac_f32_e32 v115, v109, v112
	v_add_f32_e32 v122, v114, v115
	ds_read2_b64 v[114:117], v170 offset0:95 offset1:96
	v_fma_f32 v3, v68, v72, -v3
	v_add_f32_e32 v2, v2, v3
	v_mul_f32_e32 v3, v75, v79
	v_fma_f32 v3, v74, v78, -v3
	s_waitcnt vmcnt(10) lgkmcnt(0)
	v_mul_f32_e32 v123, v114, v119
	v_fmac_f32_e32 v123, v115, v118
	v_add_f32_e32 v122, v122, v123
	v_mul_f32_e32 v123, v116, v121
	v_fmac_f32_e32 v123, v117, v120
	v_add_f32_e32 v130, v122, v123
	ds_read2_b64 v[122:125], v170 offset0:97 offset1:98
	v_add_f32_e32 v2, v2, v3
	v_mul_f32_e32 v3, v77, v81
	v_fma_f32 v3, v76, v80, -v3
	v_add_f32_e32 v2, v2, v3
	s_waitcnt vmcnt(9) lgkmcnt(0)
	v_mul_f32_e32 v131, v122, v127
	v_fmac_f32_e32 v131, v123, v126
	v_add_f32_e32 v130, v130, v131
	v_mul_f32_e32 v131, v124, v129
	v_fmac_f32_e32 v131, v125, v128
	v_add_f32_e32 v138, v130, v131
	ds_read2_b64 v[130:133], v170 offset0:99 offset1:100
	v_mul_f32_e32 v3, v83, v87
	v_fma_f32 v3, v82, v86, -v3
	v_add_f32_e32 v2, v2, v3
	v_mul_f32_e32 v3, v85, v89
	s_waitcnt vmcnt(8) lgkmcnt(0)
	v_mul_f32_e32 v139, v130, v135
	v_fmac_f32_e32 v139, v131, v134
	v_add_f32_e32 v138, v138, v139
	v_mul_f32_e32 v139, v132, v137
	v_fmac_f32_e32 v139, v133, v136
	v_add_f32_e32 v146, v138, v139
	ds_read2_b64 v[138:141], v170 offset0:101 offset1:102
	v_fma_f32 v3, v84, v88, -v3
	v_add_f32_e32 v2, v2, v3
	v_mul_f32_e32 v3, v91, v95
	v_fma_f32 v3, v90, v94, -v3
	s_waitcnt vmcnt(7) lgkmcnt(0)
	v_mul_f32_e32 v147, v138, v143
	v_fmac_f32_e32 v147, v139, v142
	v_add_f32_e32 v146, v146, v147
	v_mul_f32_e32 v147, v140, v145
	v_fmac_f32_e32 v147, v141, v144
	v_add_f32_e32 v152, v146, v147
	ds_read2_b64 v[146:149], v170 offset0:103 offset1:104
	scratch_load_dwordx4 v[224:227], off, off offset:440
	scratch_load_dwordx4 v[228:231], off, off offset:456
	scratch_load_dwordx4 v[232:235], off, off offset:472
	scratch_load_dwordx2 v[242:243], off, off offset:488
	v_add_f32_e32 v2, v2, v3
	v_mul_f32_e32 v3, v93, v97
	v_fma_f32 v3, v92, v96, -v3
	v_add_f32_e32 v2, v2, v3
	v_mul_f32_e32 v3, v99, v103
	v_fma_f32 v3, v98, v102, -v3
	;; [unrolled: 3-line block ×13, first 2 shown]
	v_add_f32_e32 v2, v2, v3
	s_waitcnt vmcnt(10) lgkmcnt(0)
	v_mul_f32_e32 v3, v147, v173
	v_fma_f32 v3, v146, v172, -v3
	v_mul_f32_e32 v153, v146, v173
	v_add_f32_e32 v2, v2, v3
	v_mul_f32_e32 v3, v149, v175
	v_fmac_f32_e32 v153, v147, v172
	v_fma_f32 v3, v148, v174, -v3
	v_add_f32_e32 v152, v152, v153
	v_mul_f32_e32 v153, v148, v175
	v_add_f32_e32 v2, v2, v3
	s_waitcnt vmcnt(9)
	v_mul_f32_e32 v3, v177, v181
	v_fmac_f32_e32 v153, v149, v174
	v_fma_f32 v3, v176, v180, -v3
	v_add_f32_e32 v152, v152, v153
	v_mul_f32_e32 v153, v176, v181
	v_add_f32_e32 v2, v2, v3
	v_mul_f32_e32 v3, v179, v183
	v_fmac_f32_e32 v153, v177, v180
	v_fma_f32 v3, v178, v182, -v3
	v_add_f32_e32 v152, v152, v153
	v_mul_f32_e32 v153, v178, v183
	v_add_f32_e32 v2, v2, v3
	s_waitcnt vmcnt(8)
	v_mul_f32_e32 v3, v185, v189
	v_fmac_f32_e32 v153, v179, v182
	v_fma_f32 v3, v184, v188, -v3
	v_add_f32_e32 v152, v152, v153
	;; [unrolled: 13-line block ×5, first 2 shown]
	v_mul_f32_e32 v153, v208, v213
	v_add_f32_e32 v236, v2, v3
	v_mul_f32_e32 v2, v211, v215
	v_fmac_f32_e32 v153, v209, v212
	v_mul_f32_e32 v239, v210, v215
	v_fma_f32 v238, v210, v214, -v2
	s_waitcnt vmcnt(4)
	v_mul_f32_e32 v2, v217, v221
	v_mov_b32_e32 v18, v223
	v_add_f32_e32 v237, v152, v153
	v_fmac_f32_e32 v239, v211, v214
	v_mul_f32_e32 v241, v216, v221
	v_fma_f32 v240, v216, v220, -v2
	ds_read2_b64 v[2:5], v170 offset0:117 offset1:118
	ds_read2_b64 v[6:9], v170 offset0:119 offset1:120
	;; [unrolled: 1-line block ×3, first 2 shown]
	ds_read_b64 v[14:15], v170 offset:984
	v_pk_mul_f32 v[18:19], v[218:219], v[18:19] op_sel:[1,0] op_sel_hi:[0,0]
	v_fmac_f32_e32 v241, v217, v220
	v_pk_add_f32 v[16:17], v[236:237], v[238:239]
	v_pk_fma_f32 v[20:21], v[218:219], v[222:223], v[18:19] neg_lo:[0,0,1] neg_hi:[0,0,1]
	v_pk_fma_f32 v[18:19], v[218:219], v[222:223], v[18:19] op_sel_hi:[1,0,1]
	v_pk_add_f32 v[16:17], v[16:17], v[240:241]
	v_mov_b32_e32 v21, v19
	s_waitcnt vmcnt(3) lgkmcnt(3)
	v_pk_mul_f32 v[18:19], v[2:3], v[224:225] op_sel:[1,1] op_sel_hi:[0,1]
	v_pk_add_f32 v[16:17], v[16:17], v[20:21]
	v_pk_fma_f32 v[20:21], v[2:3], v[224:225], v[18:19] neg_lo:[0,0,1] neg_hi:[0,0,1]
	v_pk_fma_f32 v[2:3], v[2:3], v[224:225], v[18:19] op_sel_hi:[1,0,1]
	s_nop 0
	v_mov_b32_e32 v21, v3
	v_pk_add_f32 v[2:3], v[16:17], v[20:21]
	v_mov_b32_e32 v16, v227
	v_pk_mul_f32 v[16:17], v[4:5], v[16:17] op_sel:[1,0] op_sel_hi:[0,0]
	v_pk_fma_f32 v[18:19], v[4:5], v[226:227], v[16:17] neg_lo:[0,0,1] neg_hi:[0,0,1]
	v_pk_fma_f32 v[4:5], v[4:5], v[226:227], v[16:17] op_sel_hi:[1,0,1]
	s_nop 0
	v_mov_b32_e32 v19, v5
	s_waitcnt vmcnt(2) lgkmcnt(2)
	v_pk_mul_f32 v[4:5], v[6:7], v[228:229] op_sel:[1,1] op_sel_hi:[0,1]
	v_pk_fma_f32 v[16:17], v[6:7], v[228:229], v[4:5] neg_lo:[0,0,1] neg_hi:[0,0,1]
	v_pk_fma_f32 v[4:5], v[6:7], v[228:229], v[4:5] op_sel_hi:[1,0,1]
	v_pk_add_f32 v[2:3], v[2:3], v[18:19]
	v_mov_b32_e32 v4, v231
	v_mov_b32_e32 v17, v5
	v_pk_mul_f32 v[4:5], v[8:9], v[4:5] op_sel:[1,0] op_sel_hi:[0,0]
	v_pk_fma_f32 v[6:7], v[8:9], v[230:231], v[4:5] neg_lo:[0,0,1] neg_hi:[0,0,1]
	v_pk_fma_f32 v[4:5], v[8:9], v[230:231], v[4:5] op_sel_hi:[1,0,1]
	v_pk_add_f32 v[2:3], v[2:3], v[16:17]
	v_mov_b32_e32 v7, v5
	s_waitcnt vmcnt(1) lgkmcnt(1)
	v_pk_mul_f32 v[4:5], v[10:11], v[232:233] op_sel:[1,1] op_sel_hi:[0,1]
	v_pk_add_f32 v[2:3], v[2:3], v[6:7]
	v_pk_fma_f32 v[6:7], v[10:11], v[232:233], v[4:5] neg_lo:[0,0,1] neg_hi:[0,0,1]
	v_pk_fma_f32 v[4:5], v[10:11], v[232:233], v[4:5] op_sel_hi:[1,0,1]
	s_nop 0
	v_mov_b32_e32 v4, v235
	v_mov_b32_e32 v7, v5
	v_pk_mul_f32 v[4:5], v[12:13], v[4:5] op_sel:[1,0] op_sel_hi:[0,0]
	v_pk_add_f32 v[2:3], v[2:3], v[6:7]
	v_pk_fma_f32 v[6:7], v[12:13], v[234:235], v[4:5] neg_lo:[0,0,1] neg_hi:[0,0,1]
	v_pk_fma_f32 v[4:5], v[12:13], v[234:235], v[4:5] op_sel_hi:[1,0,1]
	s_nop 0
	v_mov_b32_e32 v7, v5
	s_waitcnt vmcnt(0) lgkmcnt(0)
	v_pk_mul_f32 v[4:5], v[14:15], v[242:243] op_sel:[1,1] op_sel_hi:[0,1]
	v_pk_add_f32 v[2:3], v[2:3], v[6:7]
	v_pk_fma_f32 v[6:7], v[14:15], v[242:243], v[4:5] neg_lo:[0,0,1] neg_hi:[0,0,1]
	v_pk_fma_f32 v[4:5], v[14:15], v[242:243], v[4:5] op_sel_hi:[1,0,1]
	s_nop 0
	v_mov_b32_e32 v7, v5
	scratch_load_dwordx2 v[4:5], off, off offset:32
	v_pk_add_f32 v[2:3], v[2:3], v[6:7]
	s_waitcnt vmcnt(0)
	v_pk_add_f32 v[2:3], v[4:5], v[2:3] neg_lo:[0,1] neg_hi:[0,1]
	scratch_store_dwordx2 off, v[2:3], off offset:32
	s_and_saveexec_b64 s[0:1], vcc
	s_cbranch_execz .LBB125_379
; %bb.378:
	scratch_load_dwordx2 v[2:3], off, off offset:24
	v_mov_b32_e32 v171, v170
	scratch_store_dwordx2 off, v[170:171], off offset:24
	s_waitcnt vmcnt(1)
	ds_write_b64 v1, v[2:3]
.LBB125_379:
	s_or_b64 exec, exec, s[0:1]
	s_waitcnt lgkmcnt(0)
	; wave barrier
	ds_read_b128 v[14:17], v170 offset:528
	ds_read_b128 v[10:13], v170 offset:544
	;; [unrolled: 1-line block ×4, first 2 shown]
	scratch_load_dwordx4 v[18:21], off, off offset:32
	scratch_load_dwordx4 v[38:41], off, off offset:96
	;; [unrolled: 1-line block ×19, first 2 shown]
	v_cmp_lt_u32_e32 vcc, 2, v0
	scratch_load_dwordx4 v[46:49], off, off offset:112
	scratch_load_dwordx4 v[54:57], off, off offset:128
	;; [unrolled: 1-line block ×3, first 2 shown]
	ds_read_b128 v[176:179], v170 offset:832
	ds_read_b128 v[184:187], v170 offset:848
	;; [unrolled: 1-line block ×6, first 2 shown]
	s_waitcnt vmcnt(21) lgkmcnt(9)
	v_mul_f32_e32 v22, v14, v19
	v_fmac_f32_e32 v22, v15, v18
	v_mul_f32_e32 v23, v16, v21
	v_add_f32_e32 v22, 0, v22
	v_fmac_f32_e32 v23, v17, v20
	v_add_f32_e32 v26, v22, v23
	scratch_load_dwordx4 v[22:25], off, off offset:48
	v_mul_f32_e32 v15, v15, v19
	v_fma_f32 v14, v14, v18, -v15
	v_mul_f32_e32 v15, v17, v21
	v_add_f32_e32 v14, 0, v14
	v_fma_f32 v15, v16, v20, -v15
	v_add_f32_e32 v14, v14, v15
	s_waitcnt vmcnt(4) lgkmcnt(0)
	v_mul_f32_e32 v243, v216, v221
	v_mul_f32_e32 v245, v218, v223
	v_fmac_f32_e32 v243, v217, v220
	v_fmac_f32_e32 v245, v219, v222
	s_waitcnt vmcnt(0)
	v_mul_f32_e32 v27, v10, v23
	v_fmac_f32_e32 v27, v11, v22
	v_add_f32_e32 v26, v26, v27
	v_mul_f32_e32 v27, v12, v25
	v_fmac_f32_e32 v27, v13, v24
	v_add_f32_e32 v30, v26, v27
	scratch_load_dwordx4 v[26:29], off, off offset:64
	v_mul_f32_e32 v11, v11, v23
	v_fma_f32 v10, v10, v22, -v11
	v_mul_f32_e32 v11, v13, v25
	v_add_f32_e32 v10, v14, v10
	v_fma_f32 v11, v12, v24, -v11
	v_add_f32_e32 v10, v10, v11
	s_waitcnt vmcnt(0)
	v_mul_f32_e32 v31, v6, v27
	v_fmac_f32_e32 v31, v7, v26
	v_add_f32_e32 v30, v30, v31
	v_mul_f32_e32 v31, v8, v29
	v_fmac_f32_e32 v31, v9, v28
	v_add_f32_e32 v34, v30, v31
	scratch_load_dwordx4 v[30:33], off, off offset:80
	v_mul_f32_e32 v7, v7, v27
	v_fma_f32 v6, v6, v26, -v7
	v_mul_f32_e32 v7, v9, v29
	v_add_f32_e32 v6, v10, v6
	v_fma_f32 v7, v8, v28, -v7
	v_add_f32_e32 v6, v6, v7
	s_waitcnt vmcnt(0)
	v_mul_f32_e32 v35, v2, v31
	v_fmac_f32_e32 v35, v3, v30
	v_add_f32_e32 v34, v34, v35
	v_mul_f32_e32 v35, v4, v33
	v_fmac_f32_e32 v35, v5, v32
	v_add_f32_e32 v42, v34, v35
	ds_read_b128 v[34:37], v170 offset:592
	v_mul_f32_e32 v3, v3, v31
	v_fma_f32 v2, v2, v30, -v3
	v_mul_f32_e32 v3, v5, v33
	v_add_f32_e32 v2, v6, v2
	s_waitcnt lgkmcnt(0)
	v_mul_f32_e32 v43, v34, v39
	v_fmac_f32_e32 v43, v35, v38
	v_add_f32_e32 v42, v42, v43
	v_mul_f32_e32 v43, v36, v41
	v_fmac_f32_e32 v43, v37, v40
	v_add_f32_e32 v50, v42, v43
	ds_read_b128 v[42:45], v170 offset:608
	v_fma_f32 v3, v4, v32, -v3
	v_add_f32_e32 v2, v2, v3
	v_mul_f32_e32 v3, v35, v39
	v_fma_f32 v3, v34, v38, -v3
	s_waitcnt lgkmcnt(0)
	v_mul_f32_e32 v51, v42, v47
	v_fmac_f32_e32 v51, v43, v46
	v_add_f32_e32 v50, v50, v51
	v_mul_f32_e32 v51, v44, v49
	v_fmac_f32_e32 v51, v45, v48
	v_add_f32_e32 v58, v50, v51
	ds_read_b128 v[50:53], v170 offset:624
	v_add_f32_e32 v2, v2, v3
	v_mul_f32_e32 v3, v37, v41
	v_fma_f32 v3, v36, v40, -v3
	v_add_f32_e32 v2, v2, v3
	s_waitcnt lgkmcnt(0)
	v_mul_f32_e32 v59, v50, v55
	v_fmac_f32_e32 v59, v51, v54
	v_add_f32_e32 v58, v58, v59
	v_mul_f32_e32 v59, v52, v57
	v_fmac_f32_e32 v59, v53, v56
	v_add_f32_e32 v66, v58, v59
	ds_read_b128 v[58:61], v170 offset:640
	v_mul_f32_e32 v3, v43, v47
	v_fma_f32 v3, v42, v46, -v3
	v_add_f32_e32 v2, v2, v3
	v_mul_f32_e32 v3, v45, v49
	s_waitcnt lgkmcnt(0)
	v_mul_f32_e32 v67, v58, v63
	v_fmac_f32_e32 v67, v59, v62
	v_add_f32_e32 v66, v66, v67
	v_mul_f32_e32 v67, v60, v65
	v_fmac_f32_e32 v67, v61, v64
	v_add_f32_e32 v74, v66, v67
	ds_read_b128 v[66:69], v170 offset:656
	v_fma_f32 v3, v44, v48, -v3
	v_add_f32_e32 v2, v2, v3
	v_mul_f32_e32 v3, v51, v55
	v_fma_f32 v3, v50, v54, -v3
	s_waitcnt lgkmcnt(0)
	v_mul_f32_e32 v75, v66, v71
	v_fmac_f32_e32 v75, v67, v70
	v_add_f32_e32 v74, v74, v75
	v_mul_f32_e32 v75, v68, v73
	v_fmac_f32_e32 v75, v69, v72
	v_add_f32_e32 v82, v74, v75
	ds_read_b128 v[74:77], v170 offset:672
	v_add_f32_e32 v2, v2, v3
	v_mul_f32_e32 v3, v53, v57
	v_fma_f32 v3, v52, v56, -v3
	v_add_f32_e32 v2, v2, v3
	s_waitcnt lgkmcnt(0)
	v_mul_f32_e32 v83, v74, v79
	v_fmac_f32_e32 v83, v75, v78
	v_add_f32_e32 v82, v82, v83
	v_mul_f32_e32 v83, v76, v81
	v_fmac_f32_e32 v83, v77, v80
	v_add_f32_e32 v90, v82, v83
	ds_read_b128 v[82:85], v170 offset:688
	v_mul_f32_e32 v3, v59, v63
	v_fma_f32 v3, v58, v62, -v3
	v_add_f32_e32 v2, v2, v3
	v_mul_f32_e32 v3, v61, v65
	;; [unrolled: 36-line block ×4, first 2 shown]
	s_waitcnt lgkmcnt(0)
	v_mul_f32_e32 v139, v130, v135
	v_fmac_f32_e32 v139, v131, v134
	v_add_f32_e32 v138, v138, v139
	v_mul_f32_e32 v139, v132, v137
	v_fmac_f32_e32 v139, v133, v136
	v_add_f32_e32 v146, v138, v139
	ds_read_b128 v[138:141], v170 offset:800
	v_fma_f32 v3, v92, v96, -v3
	v_add_f32_e32 v2, v2, v3
	v_mul_f32_e32 v3, v99, v103
	v_fma_f32 v3, v98, v102, -v3
	s_waitcnt lgkmcnt(0)
	v_mul_f32_e32 v147, v138, v143
	v_fmac_f32_e32 v147, v139, v142
	v_add_f32_e32 v146, v146, v147
	v_mul_f32_e32 v147, v140, v145
	v_fmac_f32_e32 v147, v141, v144
	v_add_f32_e32 v152, v146, v147
	ds_read_b128 v[146:149], v170 offset:816
	scratch_load_dwordx4 v[224:227], off, off offset:432
	scratch_load_dwordx4 v[228:231], off, off offset:448
	;; [unrolled: 1-line block ×4, first 2 shown]
	v_add_f32_e32 v2, v2, v3
	v_mul_f32_e32 v3, v101, v105
	v_fma_f32 v3, v100, v104, -v3
	v_add_f32_e32 v2, v2, v3
	v_mul_f32_e32 v3, v107, v111
	v_fma_f32 v3, v106, v110, -v3
	;; [unrolled: 3-line block ×11, first 2 shown]
	v_add_f32_e32 v2, v2, v3
	s_waitcnt lgkmcnt(0)
	v_mul_f32_e32 v3, v147, v173
	v_fma_f32 v3, v146, v172, -v3
	v_add_f32_e32 v2, v2, v3
	v_mul_f32_e32 v3, v149, v175
	v_fma_f32 v3, v148, v174, -v3
	v_mul_f32_e32 v153, v146, v173
	v_add_f32_e32 v2, v2, v3
	v_mul_f32_e32 v3, v177, v181
	v_fmac_f32_e32 v153, v147, v172
	v_fma_f32 v3, v176, v180, -v3
	v_add_f32_e32 v152, v152, v153
	v_mul_f32_e32 v153, v148, v175
	v_add_f32_e32 v2, v2, v3
	v_mul_f32_e32 v3, v179, v183
	v_fmac_f32_e32 v153, v149, v174
	v_fma_f32 v3, v178, v182, -v3
	v_add_f32_e32 v152, v152, v153
	v_mul_f32_e32 v153, v176, v181
	v_add_f32_e32 v2, v2, v3
	v_mul_f32_e32 v3, v185, v189
	v_fmac_f32_e32 v153, v177, v180
	v_fma_f32 v3, v184, v188, -v3
	v_add_f32_e32 v152, v152, v153
	v_mul_f32_e32 v153, v178, v183
	v_add_f32_e32 v2, v2, v3
	v_mul_f32_e32 v3, v187, v191
	v_fmac_f32_e32 v153, v179, v182
	v_fma_f32 v3, v186, v190, -v3
	v_add_f32_e32 v152, v152, v153
	v_mul_f32_e32 v153, v184, v189
	v_add_f32_e32 v2, v2, v3
	v_mul_f32_e32 v3, v193, v197
	v_fmac_f32_e32 v153, v185, v188
	v_fma_f32 v3, v192, v196, -v3
	v_add_f32_e32 v152, v152, v153
	v_mul_f32_e32 v153, v186, v191
	v_add_f32_e32 v2, v2, v3
	v_mul_f32_e32 v3, v195, v199
	v_fmac_f32_e32 v153, v187, v190
	v_fma_f32 v3, v194, v198, -v3
	v_add_f32_e32 v152, v152, v153
	v_mul_f32_e32 v153, v192, v197
	v_add_f32_e32 v2, v2, v3
	v_mul_f32_e32 v3, v201, v205
	v_fmac_f32_e32 v153, v193, v196
	v_fma_f32 v3, v200, v204, -v3
	v_add_f32_e32 v152, v152, v153
	v_mul_f32_e32 v153, v194, v199
	v_add_f32_e32 v2, v2, v3
	v_mul_f32_e32 v3, v203, v207
	v_fmac_f32_e32 v153, v195, v198
	v_fma_f32 v3, v202, v206, -v3
	v_add_f32_e32 v152, v152, v153
	v_mul_f32_e32 v153, v200, v205
	v_add_f32_e32 v2, v2, v3
	v_mul_f32_e32 v3, v209, v213
	v_fmac_f32_e32 v153, v201, v204
	v_fma_f32 v3, v208, v212, -v3
	v_add_f32_e32 v152, v152, v153
	v_mul_f32_e32 v153, v202, v207
	v_add_f32_e32 v2, v2, v3
	v_mul_f32_e32 v3, v211, v215
	v_fmac_f32_e32 v153, v203, v206
	v_fma_f32 v3, v210, v214, -v3
	v_add_f32_e32 v152, v152, v153
	v_mul_f32_e32 v153, v208, v213
	v_add_f32_e32 v240, v2, v3
	v_mul_f32_e32 v2, v217, v221
	v_fmac_f32_e32 v153, v209, v212
	v_fma_f32 v242, v216, v220, -v2
	v_mul_f32_e32 v2, v219, v223
	v_add_f32_e32 v152, v152, v153
	v_mul_f32_e32 v153, v210, v215
	v_fma_f32 v244, v218, v222, -v2
	ds_read_b128 v[2:5], v170 offset:928
	ds_read_b128 v[6:9], v170 offset:944
	;; [unrolled: 1-line block ×4, first 2 shown]
	v_fmac_f32_e32 v153, v211, v214
	v_add_f32_e32 v241, v152, v153
	s_waitcnt vmcnt(3) lgkmcnt(3)
	v_pk_mul_f32 v[20:21], v[2:3], v[224:225] op_sel:[1,1] op_sel_hi:[0,1]
	v_pk_add_f32 v[18:19], v[240:241], v[242:243]
	v_pk_fma_f32 v[22:23], v[2:3], v[224:225], v[20:21] neg_lo:[0,0,1] neg_hi:[0,0,1]
	v_pk_fma_f32 v[2:3], v[2:3], v[224:225], v[20:21] op_sel_hi:[1,0,1]
	v_pk_add_f32 v[18:19], v[18:19], v[244:245]
	v_mov_b32_e32 v23, v3
	v_pk_add_f32 v[2:3], v[18:19], v[22:23]
	v_mov_b32_e32 v18, v227
	v_pk_mul_f32 v[18:19], v[4:5], v[18:19] op_sel:[1,0] op_sel_hi:[0,0]
	v_pk_fma_f32 v[20:21], v[4:5], v[226:227], v[18:19] neg_lo:[0,0,1] neg_hi:[0,0,1]
	v_pk_fma_f32 v[4:5], v[4:5], v[226:227], v[18:19] op_sel_hi:[1,0,1]
	s_nop 0
	v_mov_b32_e32 v21, v5
	s_waitcnt vmcnt(2) lgkmcnt(2)
	v_pk_mul_f32 v[4:5], v[6:7], v[228:229] op_sel:[1,1] op_sel_hi:[0,1]
	v_pk_fma_f32 v[18:19], v[6:7], v[228:229], v[4:5] neg_lo:[0,0,1] neg_hi:[0,0,1]
	v_pk_fma_f32 v[4:5], v[6:7], v[228:229], v[4:5] op_sel_hi:[1,0,1]
	v_pk_add_f32 v[2:3], v[2:3], v[20:21]
	v_mov_b32_e32 v4, v231
	v_mov_b32_e32 v19, v5
	v_pk_mul_f32 v[4:5], v[8:9], v[4:5] op_sel:[1,0] op_sel_hi:[0,0]
	v_pk_fma_f32 v[6:7], v[8:9], v[230:231], v[4:5] neg_lo:[0,0,1] neg_hi:[0,0,1]
	v_pk_fma_f32 v[4:5], v[8:9], v[230:231], v[4:5] op_sel_hi:[1,0,1]
	v_pk_add_f32 v[2:3], v[2:3], v[18:19]
	v_mov_b32_e32 v7, v5
	s_waitcnt vmcnt(1) lgkmcnt(1)
	v_pk_mul_f32 v[4:5], v[10:11], v[232:233] op_sel:[1,1] op_sel_hi:[0,1]
	v_pk_add_f32 v[2:3], v[2:3], v[6:7]
	v_pk_fma_f32 v[6:7], v[10:11], v[232:233], v[4:5] neg_lo:[0,0,1] neg_hi:[0,0,1]
	v_pk_fma_f32 v[4:5], v[10:11], v[232:233], v[4:5] op_sel_hi:[1,0,1]
	s_nop 0
	v_mov_b32_e32 v4, v235
	v_mov_b32_e32 v7, v5
	v_pk_mul_f32 v[4:5], v[12:13], v[4:5] op_sel:[1,0] op_sel_hi:[0,0]
	v_pk_add_f32 v[2:3], v[2:3], v[6:7]
	v_pk_fma_f32 v[6:7], v[12:13], v[234:235], v[4:5] neg_lo:[0,0,1] neg_hi:[0,0,1]
	v_pk_fma_f32 v[4:5], v[12:13], v[234:235], v[4:5] op_sel_hi:[1,0,1]
	s_nop 0
	v_mov_b32_e32 v7, v5
	s_waitcnt vmcnt(0) lgkmcnt(0)
	v_pk_mul_f32 v[4:5], v[14:15], v[236:237] op_sel:[1,1] op_sel_hi:[0,1]
	v_pk_add_f32 v[2:3], v[2:3], v[6:7]
	v_pk_fma_f32 v[6:7], v[14:15], v[236:237], v[4:5] neg_lo:[0,0,1] neg_hi:[0,0,1]
	v_pk_fma_f32 v[4:5], v[14:15], v[236:237], v[4:5] op_sel_hi:[1,0,1]
	s_nop 0
	v_mov_b32_e32 v4, v239
	v_mov_b32_e32 v7, v5
	v_pk_mul_f32 v[4:5], v[16:17], v[4:5] op_sel:[1,0] op_sel_hi:[0,0]
	v_pk_add_f32 v[2:3], v[2:3], v[6:7]
	v_pk_fma_f32 v[6:7], v[16:17], v[238:239], v[4:5] neg_lo:[0,0,1] neg_hi:[0,0,1]
	v_pk_fma_f32 v[4:5], v[16:17], v[238:239], v[4:5] op_sel_hi:[1,0,1]
	s_nop 0
	v_mov_b32_e32 v7, v5
	scratch_load_dwordx2 v[4:5], off, off offset:24
	v_pk_add_f32 v[2:3], v[2:3], v[6:7]
	s_waitcnt vmcnt(0)
	v_pk_add_f32 v[2:3], v[4:5], v[2:3] neg_lo:[0,1] neg_hi:[0,1]
	scratch_store_dwordx2 off, v[2:3], off offset:24
	s_and_saveexec_b64 s[0:1], vcc
	s_cbranch_execz .LBB125_381
; %bb.380:
	scratch_load_dwordx2 v[2:3], off, off offset:16
	v_mov_b32_e32 v4, 0
	v_mov_b32_e32 v5, v4
	scratch_store_dwordx2 off, v[4:5], off offset:16
	s_waitcnt vmcnt(1)
	ds_write_b64 v1, v[2:3]
.LBB125_381:
	s_or_b64 exec, exec, s[0:1]
	s_waitcnt lgkmcnt(0)
	; wave barrier
	scratch_load_dwordx4 v[6:9], off, off offset:24
	scratch_load_dwordx4 v[14:17], off, off offset:40
	;; [unrolled: 1-line block ×10, first 2 shown]
	v_mov_b32_e32 v170, 0
	ds_read2_b64 v[2:5], v170 offset0:65 offset1:66
	ds_read2_b64 v[176:179], v170 offset0:103 offset1:104
	scratch_load_dwordx4 v[86:89], off, off offset:184
	scratch_load_dwordx4 v[94:97], off, off offset:200
	;; [unrolled: 1-line block ×16, first 2 shown]
	v_cmp_lt_u32_e32 vcc, 1, v0
	ds_read2_b64 v[184:187], v170 offset0:105 offset1:106
	ds_read2_b64 v[192:195], v170 offset0:107 offset1:108
	ds_read2_b64 v[200:203], v170 offset0:109 offset1:110
	ds_read2_b64 v[208:211], v170 offset0:111 offset1:112
	ds_read2_b64 v[216:219], v170 offset0:113 offset1:114
	ds_read2_b64 v[224:227], v170 offset0:115 offset1:116
	s_waitcnt vmcnt(25) lgkmcnt(7)
	v_mul_f32_e32 v10, v2, v7
	v_fmac_f32_e32 v10, v3, v6
	v_mul_f32_e32 v11, v4, v9
	v_add_f32_e32 v10, 0, v10
	v_fmac_f32_e32 v11, v5, v8
	v_add_f32_e32 v18, v10, v11
	ds_read2_b64 v[10:13], v170 offset0:67 offset1:68
	v_mul_f32_e32 v3, v3, v7
	v_fma_f32 v2, v2, v6, -v3
	v_mul_f32_e32 v3, v5, v9
	v_add_f32_e32 v2, 0, v2
	s_waitcnt vmcnt(24) lgkmcnt(0)
	v_mul_f32_e32 v19, v10, v15
	v_fmac_f32_e32 v19, v11, v14
	v_add_f32_e32 v18, v18, v19
	v_mul_f32_e32 v19, v12, v17
	v_fmac_f32_e32 v19, v13, v16
	v_add_f32_e32 v26, v18, v19
	ds_read2_b64 v[18:21], v170 offset0:69 offset1:70
	v_fma_f32 v3, v4, v8, -v3
	v_add_f32_e32 v2, v2, v3
	v_mul_f32_e32 v3, v11, v15
	v_fma_f32 v3, v10, v14, -v3
	s_waitcnt vmcnt(23) lgkmcnt(0)
	v_mul_f32_e32 v27, v18, v23
	v_fmac_f32_e32 v27, v19, v22
	v_add_f32_e32 v26, v26, v27
	v_mul_f32_e32 v27, v20, v25
	v_fmac_f32_e32 v27, v21, v24
	v_add_f32_e32 v34, v26, v27
	ds_read2_b64 v[26:29], v170 offset0:71 offset1:72
	v_add_f32_e32 v2, v2, v3
	v_mul_f32_e32 v3, v13, v17
	v_fma_f32 v3, v12, v16, -v3
	v_add_f32_e32 v2, v2, v3
	s_waitcnt vmcnt(22) lgkmcnt(0)
	v_mul_f32_e32 v35, v26, v31
	v_fmac_f32_e32 v35, v27, v30
	v_add_f32_e32 v34, v34, v35
	v_mul_f32_e32 v35, v28, v33
	v_fmac_f32_e32 v35, v29, v32
	v_add_f32_e32 v42, v34, v35
	ds_read2_b64 v[34:37], v170 offset0:73 offset1:74
	v_mul_f32_e32 v3, v19, v23
	v_fma_f32 v3, v18, v22, -v3
	v_add_f32_e32 v2, v2, v3
	v_mul_f32_e32 v3, v21, v25
	s_waitcnt vmcnt(21) lgkmcnt(0)
	v_mul_f32_e32 v43, v34, v39
	v_fmac_f32_e32 v43, v35, v38
	v_add_f32_e32 v42, v42, v43
	v_mul_f32_e32 v43, v36, v41
	v_fmac_f32_e32 v43, v37, v40
	v_add_f32_e32 v50, v42, v43
	ds_read2_b64 v[42:45], v170 offset0:75 offset1:76
	v_fma_f32 v3, v20, v24, -v3
	v_add_f32_e32 v2, v2, v3
	v_mul_f32_e32 v3, v27, v31
	v_fma_f32 v3, v26, v30, -v3
	s_waitcnt vmcnt(20) lgkmcnt(0)
	v_mul_f32_e32 v51, v42, v47
	v_fmac_f32_e32 v51, v43, v46
	v_add_f32_e32 v50, v50, v51
	v_mul_f32_e32 v51, v44, v49
	v_fmac_f32_e32 v51, v45, v48
	v_add_f32_e32 v58, v50, v51
	ds_read2_b64 v[50:53], v170 offset0:77 offset1:78
	v_add_f32_e32 v2, v2, v3
	v_mul_f32_e32 v3, v29, v33
	v_fma_f32 v3, v28, v32, -v3
	v_add_f32_e32 v2, v2, v3
	s_waitcnt vmcnt(19) lgkmcnt(0)
	v_mul_f32_e32 v59, v50, v55
	v_fmac_f32_e32 v59, v51, v54
	v_add_f32_e32 v58, v58, v59
	v_mul_f32_e32 v59, v52, v57
	v_fmac_f32_e32 v59, v53, v56
	v_add_f32_e32 v66, v58, v59
	ds_read2_b64 v[58:61], v170 offset0:79 offset1:80
	v_mul_f32_e32 v3, v35, v39
	v_fma_f32 v3, v34, v38, -v3
	v_add_f32_e32 v2, v2, v3
	v_mul_f32_e32 v3, v37, v41
	;; [unrolled: 36-line block ×5, first 2 shown]
	s_waitcnt vmcnt(9) lgkmcnt(0)
	v_mul_f32_e32 v139, v130, v135
	v_fmac_f32_e32 v139, v131, v134
	v_add_f32_e32 v138, v138, v139
	v_mul_f32_e32 v139, v132, v137
	v_fmac_f32_e32 v139, v133, v136
	v_add_f32_e32 v146, v138, v139
	ds_read2_b64 v[138:141], v170 offset0:99 offset1:100
	v_fma_f32 v3, v84, v88, -v3
	v_add_f32_e32 v2, v2, v3
	v_mul_f32_e32 v3, v91, v95
	v_fma_f32 v3, v90, v94, -v3
	s_waitcnt vmcnt(8) lgkmcnt(0)
	v_mul_f32_e32 v147, v138, v143
	v_fmac_f32_e32 v147, v139, v142
	v_add_f32_e32 v146, v146, v147
	v_mul_f32_e32 v147, v140, v145
	v_fmac_f32_e32 v147, v141, v144
	v_add_f32_e32 v152, v146, v147
	ds_read2_b64 v[146:149], v170 offset0:101 offset1:102
	scratch_load_dwordx4 v[232:235], off, off offset:440
	scratch_load_dwordx4 v[236:239], off, off offset:456
	;; [unrolled: 1-line block ×3, first 2 shown]
	scratch_load_dwordx2 v[250:251], off, off offset:488
	v_add_f32_e32 v2, v2, v3
	v_mul_f32_e32 v3, v93, v97
	v_fma_f32 v3, v92, v96, -v3
	v_add_f32_e32 v2, v2, v3
	v_mul_f32_e32 v3, v99, v103
	v_fma_f32 v3, v98, v102, -v3
	;; [unrolled: 3-line block ×13, first 2 shown]
	v_add_f32_e32 v2, v2, v3
	s_waitcnt vmcnt(11) lgkmcnt(0)
	v_mul_f32_e32 v3, v147, v173
	v_fma_f32 v3, v146, v172, -v3
	v_mul_f32_e32 v153, v146, v173
	v_add_f32_e32 v2, v2, v3
	v_mul_f32_e32 v3, v149, v175
	v_fmac_f32_e32 v153, v147, v172
	v_fma_f32 v3, v148, v174, -v3
	v_add_f32_e32 v152, v152, v153
	v_mul_f32_e32 v153, v148, v175
	v_add_f32_e32 v2, v2, v3
	s_waitcnt vmcnt(10)
	v_mul_f32_e32 v3, v177, v181
	v_fmac_f32_e32 v153, v149, v174
	v_fma_f32 v3, v176, v180, -v3
	v_add_f32_e32 v152, v152, v153
	v_mul_f32_e32 v153, v176, v181
	v_add_f32_e32 v2, v2, v3
	v_mul_f32_e32 v3, v179, v183
	v_fmac_f32_e32 v153, v177, v180
	v_fma_f32 v3, v178, v182, -v3
	v_add_f32_e32 v152, v152, v153
	v_mul_f32_e32 v153, v178, v183
	v_add_f32_e32 v2, v2, v3
	s_waitcnt vmcnt(9)
	v_mul_f32_e32 v3, v185, v189
	v_fmac_f32_e32 v153, v179, v182
	v_fma_f32 v3, v184, v188, -v3
	v_add_f32_e32 v152, v152, v153
	v_mul_f32_e32 v153, v184, v189
	v_add_f32_e32 v2, v2, v3
	v_mul_f32_e32 v3, v187, v191
	v_fmac_f32_e32 v153, v185, v188
	v_fma_f32 v3, v186, v190, -v3
	v_add_f32_e32 v152, v152, v153
	v_mul_f32_e32 v153, v186, v191
	v_add_f32_e32 v2, v2, v3
	s_waitcnt vmcnt(8)
	v_mul_f32_e32 v3, v193, v197
	v_fmac_f32_e32 v153, v187, v190
	v_fma_f32 v3, v192, v196, -v3
	v_add_f32_e32 v152, v152, v153
	v_mul_f32_e32 v153, v192, v197
	v_add_f32_e32 v2, v2, v3
	v_mul_f32_e32 v3, v195, v199
	v_fmac_f32_e32 v153, v193, v196
	v_fma_f32 v3, v194, v198, -v3
	v_add_f32_e32 v152, v152, v153
	v_mul_f32_e32 v153, v194, v199
	v_add_f32_e32 v2, v2, v3
	s_waitcnt vmcnt(7)
	v_mul_f32_e32 v3, v201, v205
	v_fmac_f32_e32 v153, v195, v198
	v_fma_f32 v3, v200, v204, -v3
	v_add_f32_e32 v152, v152, v153
	v_mul_f32_e32 v153, v200, v205
	v_add_f32_e32 v2, v2, v3
	v_mul_f32_e32 v3, v203, v207
	v_fmac_f32_e32 v153, v201, v204
	v_fma_f32 v3, v202, v206, -v3
	v_add_f32_e32 v152, v152, v153
	v_mul_f32_e32 v153, v202, v207
	v_add_f32_e32 v2, v2, v3
	s_waitcnt vmcnt(6)
	v_mul_f32_e32 v3, v209, v213
	v_fmac_f32_e32 v153, v203, v206
	v_fma_f32 v3, v208, v212, -v3
	v_add_f32_e32 v152, v152, v153
	v_mul_f32_e32 v153, v208, v213
	v_add_f32_e32 v2, v2, v3
	v_mul_f32_e32 v3, v211, v215
	v_fmac_f32_e32 v153, v209, v212
	v_fma_f32 v3, v210, v214, -v3
	v_add_f32_e32 v152, v152, v153
	v_mul_f32_e32 v153, v210, v215
	v_add_f32_e32 v2, v2, v3
	s_waitcnt vmcnt(5)
	v_mul_f32_e32 v3, v217, v221
	v_fmac_f32_e32 v153, v211, v214
	v_fma_f32 v3, v216, v220, -v3
	v_add_f32_e32 v152, v152, v153
	v_mul_f32_e32 v153, v216, v221
	v_add_f32_e32 v244, v2, v3
	v_mul_f32_e32 v2, v219, v223
	v_fmac_f32_e32 v153, v217, v220
	v_mul_f32_e32 v247, v218, v223
	v_fma_f32 v246, v218, v222, -v2
	s_waitcnt vmcnt(4)
	v_mul_f32_e32 v2, v225, v229
	v_mov_b32_e32 v18, v231
	v_add_f32_e32 v245, v152, v153
	v_fmac_f32_e32 v247, v219, v222
	v_mul_f32_e32 v249, v224, v229
	v_fma_f32 v248, v224, v228, -v2
	ds_read2_b64 v[2:5], v170 offset0:117 offset1:118
	ds_read2_b64 v[6:9], v170 offset0:119 offset1:120
	;; [unrolled: 1-line block ×3, first 2 shown]
	ds_read_b64 v[14:15], v170 offset:984
	v_pk_mul_f32 v[18:19], v[226:227], v[18:19] op_sel:[1,0] op_sel_hi:[0,0]
	v_fmac_f32_e32 v249, v225, v228
	v_pk_add_f32 v[16:17], v[244:245], v[246:247]
	v_pk_fma_f32 v[20:21], v[226:227], v[230:231], v[18:19] neg_lo:[0,0,1] neg_hi:[0,0,1]
	v_pk_fma_f32 v[18:19], v[226:227], v[230:231], v[18:19] op_sel_hi:[1,0,1]
	v_pk_add_f32 v[16:17], v[16:17], v[248:249]
	v_mov_b32_e32 v21, v19
	s_waitcnt vmcnt(3) lgkmcnt(3)
	v_pk_mul_f32 v[18:19], v[2:3], v[232:233] op_sel:[1,1] op_sel_hi:[0,1]
	v_pk_add_f32 v[16:17], v[16:17], v[20:21]
	v_pk_fma_f32 v[20:21], v[2:3], v[232:233], v[18:19] neg_lo:[0,0,1] neg_hi:[0,0,1]
	v_pk_fma_f32 v[2:3], v[2:3], v[232:233], v[18:19] op_sel_hi:[1,0,1]
	s_nop 0
	v_mov_b32_e32 v21, v3
	v_pk_add_f32 v[2:3], v[16:17], v[20:21]
	v_mov_b32_e32 v16, v235
	v_pk_mul_f32 v[16:17], v[4:5], v[16:17] op_sel:[1,0] op_sel_hi:[0,0]
	v_pk_fma_f32 v[18:19], v[4:5], v[234:235], v[16:17] neg_lo:[0,0,1] neg_hi:[0,0,1]
	v_pk_fma_f32 v[4:5], v[4:5], v[234:235], v[16:17] op_sel_hi:[1,0,1]
	s_nop 0
	v_mov_b32_e32 v19, v5
	s_waitcnt vmcnt(2) lgkmcnt(2)
	v_pk_mul_f32 v[4:5], v[6:7], v[236:237] op_sel:[1,1] op_sel_hi:[0,1]
	v_pk_fma_f32 v[16:17], v[6:7], v[236:237], v[4:5] neg_lo:[0,0,1] neg_hi:[0,0,1]
	v_pk_fma_f32 v[4:5], v[6:7], v[236:237], v[4:5] op_sel_hi:[1,0,1]
	v_pk_add_f32 v[2:3], v[2:3], v[18:19]
	v_mov_b32_e32 v4, v239
	v_mov_b32_e32 v17, v5
	v_pk_mul_f32 v[4:5], v[8:9], v[4:5] op_sel:[1,0] op_sel_hi:[0,0]
	v_pk_fma_f32 v[6:7], v[8:9], v[238:239], v[4:5] neg_lo:[0,0,1] neg_hi:[0,0,1]
	v_pk_fma_f32 v[4:5], v[8:9], v[238:239], v[4:5] op_sel_hi:[1,0,1]
	v_pk_add_f32 v[2:3], v[2:3], v[16:17]
	v_mov_b32_e32 v7, v5
	s_waitcnt vmcnt(1) lgkmcnt(1)
	v_pk_mul_f32 v[4:5], v[10:11], v[240:241] op_sel:[1,1] op_sel_hi:[0,1]
	v_pk_add_f32 v[2:3], v[2:3], v[6:7]
	v_pk_fma_f32 v[6:7], v[10:11], v[240:241], v[4:5] neg_lo:[0,0,1] neg_hi:[0,0,1]
	v_pk_fma_f32 v[4:5], v[10:11], v[240:241], v[4:5] op_sel_hi:[1,0,1]
	s_nop 0
	v_mov_b32_e32 v4, v243
	v_mov_b32_e32 v7, v5
	v_pk_mul_f32 v[4:5], v[12:13], v[4:5] op_sel:[1,0] op_sel_hi:[0,0]
	v_pk_add_f32 v[2:3], v[2:3], v[6:7]
	v_pk_fma_f32 v[6:7], v[12:13], v[242:243], v[4:5] neg_lo:[0,0,1] neg_hi:[0,0,1]
	v_pk_fma_f32 v[4:5], v[12:13], v[242:243], v[4:5] op_sel_hi:[1,0,1]
	s_nop 0
	v_mov_b32_e32 v7, v5
	s_waitcnt vmcnt(0) lgkmcnt(0)
	v_pk_mul_f32 v[4:5], v[14:15], v[250:251] op_sel:[1,1] op_sel_hi:[0,1]
	v_pk_add_f32 v[2:3], v[2:3], v[6:7]
	v_pk_fma_f32 v[6:7], v[14:15], v[250:251], v[4:5] neg_lo:[0,0,1] neg_hi:[0,0,1]
	v_pk_fma_f32 v[4:5], v[14:15], v[250:251], v[4:5] op_sel_hi:[1,0,1]
	s_nop 0
	v_mov_b32_e32 v7, v5
	scratch_load_dwordx2 v[4:5], off, off offset:16
	v_pk_add_f32 v[2:3], v[2:3], v[6:7]
	s_waitcnt vmcnt(0)
	v_pk_add_f32 v[2:3], v[4:5], v[2:3] neg_lo:[0,1] neg_hi:[0,1]
	scratch_store_dwordx2 off, v[2:3], off offset:16
	s_and_saveexec_b64 s[0:1], vcc
	s_cbranch_execz .LBB125_383
; %bb.382:
	scratch_load_dwordx2 v[2:3], off, off offset:8
	v_mov_b32_e32 v171, v170
	scratch_store_dwordx2 off, v[170:171], off offset:8
	s_waitcnt vmcnt(1)
	ds_write_b64 v1, v[2:3]
.LBB125_383:
	s_or_b64 exec, exec, s[0:1]
	s_waitcnt lgkmcnt(0)
	; wave barrier
	ds_read_b128 v[14:17], v170 offset:512
	ds_read_b128 v[10:13], v170 offset:528
	;; [unrolled: 1-line block ×4, first 2 shown]
	scratch_load_dwordx4 v[18:21], off, off offset:16
	scratch_load_dwordx4 v[38:41], off, off offset:80
	;; [unrolled: 1-line block ×20, first 2 shown]
	v_cmp_ne_u32_e32 vcc, 0, v0
	scratch_load_dwordx4 v[46:49], off, off offset:96
	scratch_load_dwordx4 v[54:57], off, off offset:112
	;; [unrolled: 1-line block ×3, first 2 shown]
	ds_read_b128 v[176:179], v170 offset:816
	ds_read_b128 v[184:187], v170 offset:832
	;; [unrolled: 1-line block ×7, first 2 shown]
	s_waitcnt vmcnt(22) lgkmcnt(10)
	v_mul_f32_e32 v22, v14, v19
	v_fmac_f32_e32 v22, v15, v18
	v_mul_f32_e32 v23, v16, v21
	v_add_f32_e32 v22, 0, v22
	v_fmac_f32_e32 v23, v17, v20
	v_add_f32_e32 v26, v22, v23
	scratch_load_dwordx4 v[22:25], off, off offset:32
	v_mul_f32_e32 v15, v15, v19
	v_fma_f32 v14, v14, v18, -v15
	v_mul_f32_e32 v15, v17, v21
	v_add_f32_e32 v14, 0, v14
	v_fma_f32 v15, v16, v20, -v15
	v_add_f32_e32 v14, v14, v15
	s_waitcnt vmcnt(4) lgkmcnt(0)
	v_mul_f32_e32 v251, v224, v229
	v_mul_f32_e32 v253, v226, v231
	v_fmac_f32_e32 v251, v225, v228
	v_fmac_f32_e32 v253, v227, v230
	s_waitcnt vmcnt(0)
	v_mul_f32_e32 v27, v10, v23
	v_fmac_f32_e32 v27, v11, v22
	v_add_f32_e32 v26, v26, v27
	v_mul_f32_e32 v27, v12, v25
	v_fmac_f32_e32 v27, v13, v24
	v_add_f32_e32 v30, v26, v27
	scratch_load_dwordx4 v[26:29], off, off offset:48
	v_mul_f32_e32 v11, v11, v23
	v_fma_f32 v10, v10, v22, -v11
	v_mul_f32_e32 v11, v13, v25
	v_add_f32_e32 v10, v14, v10
	v_fma_f32 v11, v12, v24, -v11
	v_add_f32_e32 v10, v10, v11
	s_waitcnt vmcnt(0)
	v_mul_f32_e32 v31, v6, v27
	v_fmac_f32_e32 v31, v7, v26
	v_add_f32_e32 v30, v30, v31
	v_mul_f32_e32 v31, v8, v29
	v_fmac_f32_e32 v31, v9, v28
	v_add_f32_e32 v34, v30, v31
	scratch_load_dwordx4 v[30:33], off, off offset:64
	v_mul_f32_e32 v7, v7, v27
	v_fma_f32 v6, v6, v26, -v7
	v_mul_f32_e32 v7, v9, v29
	v_add_f32_e32 v6, v10, v6
	v_fma_f32 v7, v8, v28, -v7
	v_add_f32_e32 v6, v6, v7
	s_waitcnt vmcnt(0)
	v_mul_f32_e32 v35, v2, v31
	v_fmac_f32_e32 v35, v3, v30
	v_add_f32_e32 v34, v34, v35
	v_mul_f32_e32 v35, v4, v33
	v_fmac_f32_e32 v35, v5, v32
	v_add_f32_e32 v42, v34, v35
	ds_read_b128 v[34:37], v170 offset:576
	v_mul_f32_e32 v3, v3, v31
	v_fma_f32 v2, v2, v30, -v3
	v_mul_f32_e32 v3, v5, v33
	v_add_f32_e32 v2, v6, v2
	s_waitcnt lgkmcnt(0)
	v_mul_f32_e32 v43, v34, v39
	v_fmac_f32_e32 v43, v35, v38
	v_add_f32_e32 v42, v42, v43
	v_mul_f32_e32 v43, v36, v41
	v_fmac_f32_e32 v43, v37, v40
	v_add_f32_e32 v50, v42, v43
	ds_read_b128 v[42:45], v170 offset:592
	v_fma_f32 v3, v4, v32, -v3
	v_add_f32_e32 v2, v2, v3
	v_mul_f32_e32 v3, v35, v39
	v_fma_f32 v3, v34, v38, -v3
	s_waitcnt lgkmcnt(0)
	v_mul_f32_e32 v51, v42, v47
	v_fmac_f32_e32 v51, v43, v46
	v_add_f32_e32 v50, v50, v51
	v_mul_f32_e32 v51, v44, v49
	v_fmac_f32_e32 v51, v45, v48
	v_add_f32_e32 v58, v50, v51
	ds_read_b128 v[50:53], v170 offset:608
	v_add_f32_e32 v2, v2, v3
	v_mul_f32_e32 v3, v37, v41
	v_fma_f32 v3, v36, v40, -v3
	v_add_f32_e32 v2, v2, v3
	s_waitcnt lgkmcnt(0)
	v_mul_f32_e32 v59, v50, v55
	v_fmac_f32_e32 v59, v51, v54
	v_add_f32_e32 v58, v58, v59
	v_mul_f32_e32 v59, v52, v57
	v_fmac_f32_e32 v59, v53, v56
	v_add_f32_e32 v66, v58, v59
	ds_read_b128 v[58:61], v170 offset:624
	v_mul_f32_e32 v3, v43, v47
	v_fma_f32 v3, v42, v46, -v3
	v_add_f32_e32 v2, v2, v3
	v_mul_f32_e32 v3, v45, v49
	s_waitcnt lgkmcnt(0)
	v_mul_f32_e32 v67, v58, v63
	v_fmac_f32_e32 v67, v59, v62
	v_add_f32_e32 v66, v66, v67
	v_mul_f32_e32 v67, v60, v65
	v_fmac_f32_e32 v67, v61, v64
	v_add_f32_e32 v74, v66, v67
	ds_read_b128 v[66:69], v170 offset:640
	v_fma_f32 v3, v44, v48, -v3
	v_add_f32_e32 v2, v2, v3
	v_mul_f32_e32 v3, v51, v55
	v_fma_f32 v3, v50, v54, -v3
	s_waitcnt lgkmcnt(0)
	v_mul_f32_e32 v75, v66, v71
	v_fmac_f32_e32 v75, v67, v70
	v_add_f32_e32 v74, v74, v75
	v_mul_f32_e32 v75, v68, v73
	v_fmac_f32_e32 v75, v69, v72
	v_add_f32_e32 v82, v74, v75
	ds_read_b128 v[74:77], v170 offset:656
	v_add_f32_e32 v2, v2, v3
	v_mul_f32_e32 v3, v53, v57
	v_fma_f32 v3, v52, v56, -v3
	v_add_f32_e32 v2, v2, v3
	s_waitcnt lgkmcnt(0)
	v_mul_f32_e32 v83, v74, v79
	v_fmac_f32_e32 v83, v75, v78
	v_add_f32_e32 v82, v82, v83
	v_mul_f32_e32 v83, v76, v81
	v_fmac_f32_e32 v83, v77, v80
	v_add_f32_e32 v90, v82, v83
	ds_read_b128 v[82:85], v170 offset:672
	v_mul_f32_e32 v3, v59, v63
	v_fma_f32 v3, v58, v62, -v3
	v_add_f32_e32 v2, v2, v3
	v_mul_f32_e32 v3, v61, v65
	;; [unrolled: 36-line block ×4, first 2 shown]
	s_waitcnt lgkmcnt(0)
	v_mul_f32_e32 v139, v130, v135
	v_fmac_f32_e32 v139, v131, v134
	v_add_f32_e32 v138, v138, v139
	v_mul_f32_e32 v139, v132, v137
	v_fmac_f32_e32 v139, v133, v136
	v_add_f32_e32 v146, v138, v139
	ds_read_b128 v[138:141], v170 offset:784
	v_fma_f32 v3, v92, v96, -v3
	v_add_f32_e32 v2, v2, v3
	v_mul_f32_e32 v3, v99, v103
	v_fma_f32 v3, v98, v102, -v3
	s_waitcnt lgkmcnt(0)
	v_mul_f32_e32 v147, v138, v143
	v_fmac_f32_e32 v147, v139, v142
	v_add_f32_e32 v146, v146, v147
	v_mul_f32_e32 v147, v140, v145
	v_fmac_f32_e32 v147, v141, v144
	v_add_f32_e32 v152, v146, v147
	ds_read_b128 v[146:149], v170 offset:800
	scratch_load_dwordx4 v[232:235], off, off offset:432
	scratch_load_dwordx4 v[236:239], off, off offset:448
	;; [unrolled: 1-line block ×4, first 2 shown]
	v_add_f32_e32 v2, v2, v3
	v_mul_f32_e32 v3, v101, v105
	v_fma_f32 v3, v100, v104, -v3
	v_add_f32_e32 v2, v2, v3
	v_mul_f32_e32 v3, v107, v111
	v_fma_f32 v3, v106, v110, -v3
	;; [unrolled: 3-line block ×11, first 2 shown]
	v_add_f32_e32 v2, v2, v3
	s_waitcnt lgkmcnt(0)
	v_mul_f32_e32 v3, v147, v173
	v_fma_f32 v3, v146, v172, -v3
	v_add_f32_e32 v2, v2, v3
	v_mul_f32_e32 v3, v149, v175
	v_fma_f32 v3, v148, v174, -v3
	v_mul_f32_e32 v153, v146, v173
	v_add_f32_e32 v2, v2, v3
	v_mul_f32_e32 v3, v177, v181
	v_fmac_f32_e32 v153, v147, v172
	v_fma_f32 v3, v176, v180, -v3
	v_add_f32_e32 v152, v152, v153
	v_mul_f32_e32 v153, v148, v175
	v_add_f32_e32 v2, v2, v3
	v_mul_f32_e32 v3, v179, v183
	v_fmac_f32_e32 v153, v149, v174
	v_fma_f32 v3, v178, v182, -v3
	v_add_f32_e32 v152, v152, v153
	;; [unrolled: 6-line block ×12, first 2 shown]
	v_mul_f32_e32 v153, v216, v221
	v_add_f32_e32 v248, v2, v3
	v_mul_f32_e32 v2, v225, v229
	v_fmac_f32_e32 v153, v217, v220
	v_fma_f32 v250, v224, v228, -v2
	v_mul_f32_e32 v2, v227, v231
	v_add_f32_e32 v152, v152, v153
	v_mul_f32_e32 v153, v218, v223
	v_fma_f32 v252, v226, v230, -v2
	ds_read_b128 v[2:5], v170 offset:928
	ds_read_b128 v[6:9], v170 offset:944
	;; [unrolled: 1-line block ×4, first 2 shown]
	v_fmac_f32_e32 v153, v219, v222
	v_add_f32_e32 v249, v152, v153
	s_waitcnt vmcnt(3) lgkmcnt(3)
	v_pk_mul_f32 v[20:21], v[2:3], v[232:233] op_sel:[1,1] op_sel_hi:[0,1]
	v_pk_add_f32 v[18:19], v[248:249], v[250:251]
	v_pk_fma_f32 v[22:23], v[2:3], v[232:233], v[20:21] neg_lo:[0,0,1] neg_hi:[0,0,1]
	v_pk_fma_f32 v[2:3], v[2:3], v[232:233], v[20:21] op_sel_hi:[1,0,1]
	v_pk_add_f32 v[18:19], v[18:19], v[252:253]
	v_mov_b32_e32 v23, v3
	v_pk_add_f32 v[2:3], v[18:19], v[22:23]
	v_mov_b32_e32 v18, v235
	v_pk_mul_f32 v[18:19], v[4:5], v[18:19] op_sel:[1,0] op_sel_hi:[0,0]
	v_pk_fma_f32 v[20:21], v[4:5], v[234:235], v[18:19] neg_lo:[0,0,1] neg_hi:[0,0,1]
	v_pk_fma_f32 v[4:5], v[4:5], v[234:235], v[18:19] op_sel_hi:[1,0,1]
	s_nop 0
	v_mov_b32_e32 v21, v5
	s_waitcnt vmcnt(2) lgkmcnt(2)
	v_pk_mul_f32 v[4:5], v[6:7], v[236:237] op_sel:[1,1] op_sel_hi:[0,1]
	v_pk_fma_f32 v[18:19], v[6:7], v[236:237], v[4:5] neg_lo:[0,0,1] neg_hi:[0,0,1]
	v_pk_fma_f32 v[4:5], v[6:7], v[236:237], v[4:5] op_sel_hi:[1,0,1]
	v_pk_add_f32 v[2:3], v[2:3], v[20:21]
	v_mov_b32_e32 v4, v239
	v_mov_b32_e32 v19, v5
	v_pk_mul_f32 v[4:5], v[8:9], v[4:5] op_sel:[1,0] op_sel_hi:[0,0]
	v_pk_fma_f32 v[6:7], v[8:9], v[238:239], v[4:5] neg_lo:[0,0,1] neg_hi:[0,0,1]
	v_pk_fma_f32 v[4:5], v[8:9], v[238:239], v[4:5] op_sel_hi:[1,0,1]
	v_pk_add_f32 v[2:3], v[2:3], v[18:19]
	v_mov_b32_e32 v7, v5
	s_waitcnt vmcnt(1) lgkmcnt(1)
	v_pk_mul_f32 v[4:5], v[10:11], v[240:241] op_sel:[1,1] op_sel_hi:[0,1]
	v_pk_add_f32 v[2:3], v[2:3], v[6:7]
	v_pk_fma_f32 v[6:7], v[10:11], v[240:241], v[4:5] neg_lo:[0,0,1] neg_hi:[0,0,1]
	v_pk_fma_f32 v[4:5], v[10:11], v[240:241], v[4:5] op_sel_hi:[1,0,1]
	s_nop 0
	v_mov_b32_e32 v4, v243
	v_mov_b32_e32 v7, v5
	v_pk_mul_f32 v[4:5], v[12:13], v[4:5] op_sel:[1,0] op_sel_hi:[0,0]
	v_pk_add_f32 v[2:3], v[2:3], v[6:7]
	v_pk_fma_f32 v[6:7], v[12:13], v[242:243], v[4:5] neg_lo:[0,0,1] neg_hi:[0,0,1]
	v_pk_fma_f32 v[4:5], v[12:13], v[242:243], v[4:5] op_sel_hi:[1,0,1]
	s_nop 0
	v_mov_b32_e32 v7, v5
	s_waitcnt vmcnt(0) lgkmcnt(0)
	v_pk_mul_f32 v[4:5], v[14:15], v[244:245] op_sel:[1,1] op_sel_hi:[0,1]
	v_pk_add_f32 v[2:3], v[2:3], v[6:7]
	v_pk_fma_f32 v[6:7], v[14:15], v[244:245], v[4:5] neg_lo:[0,0,1] neg_hi:[0,0,1]
	v_pk_fma_f32 v[4:5], v[14:15], v[244:245], v[4:5] op_sel_hi:[1,0,1]
	s_nop 0
	v_mov_b32_e32 v4, v247
	v_mov_b32_e32 v7, v5
	v_pk_mul_f32 v[4:5], v[16:17], v[4:5] op_sel:[1,0] op_sel_hi:[0,0]
	v_pk_add_f32 v[2:3], v[2:3], v[6:7]
	v_pk_fma_f32 v[6:7], v[16:17], v[246:247], v[4:5] neg_lo:[0,0,1] neg_hi:[0,0,1]
	v_pk_fma_f32 v[4:5], v[16:17], v[246:247], v[4:5] op_sel_hi:[1,0,1]
	s_nop 0
	v_mov_b32_e32 v7, v5
	scratch_load_dwordx2 v[4:5], off, off offset:8
	v_pk_add_f32 v[2:3], v[2:3], v[6:7]
	s_waitcnt vmcnt(0)
	v_pk_add_f32 v[2:3], v[4:5], v[2:3] neg_lo:[0,1] neg_hi:[0,1]
	scratch_store_dwordx2 off, v[2:3], off offset:8
	s_and_saveexec_b64 s[0:1], vcc
	s_cbranch_execz .LBB125_385
; %bb.384:
	scratch_load_dwordx2 v[2:3], off, off
	v_mov_b32_e32 v4, 0
	v_mov_b32_e32 v5, v4
	scratch_store_dwordx2 off, v[4:5], off
	s_waitcnt vmcnt(1)
	ds_write_b64 v1, v[2:3]
.LBB125_385:
	s_or_b64 exec, exec, s[0:1]
	s_waitcnt lgkmcnt(0)
	; wave barrier
	scratch_load_dwordx4 v[4:7], off, off offset:8
	scratch_load_dwordx4 v[12:15], off, off offset:24
	;; [unrolled: 1-line block ×10, first 2 shown]
	v_mov_b32_e32 v148, 0
	ds_read2_b64 v[0:3], v148 offset0:63 offset1:64
	ds_read2_b64 v[174:177], v148 offset0:101 offset1:102
	scratch_load_dwordx4 v[84:87], off, off offset:168
	scratch_load_dwordx4 v[92:95], off, off offset:184
	;; [unrolled: 1-line block ×17, first 2 shown]
	s_and_b64 vcc, exec, s[10:11]
	ds_read2_b64 v[182:185], v148 offset0:103 offset1:104
	ds_read2_b64 v[190:193], v148 offset0:105 offset1:106
	;; [unrolled: 1-line block ×7, first 2 shown]
	s_waitcnt vmcnt(26) lgkmcnt(8)
	v_mul_f32_e32 v8, v0, v5
	v_fmac_f32_e32 v8, v1, v4
	v_mul_f32_e32 v9, v2, v7
	v_add_f32_e32 v8, 0, v8
	v_fmac_f32_e32 v9, v3, v6
	v_add_f32_e32 v16, v8, v9
	ds_read2_b64 v[8:11], v148 offset0:65 offset1:66
	v_mul_f32_e32 v1, v1, v5
	v_fma_f32 v0, v0, v4, -v1
	v_mul_f32_e32 v1, v3, v7
	v_add_f32_e32 v0, 0, v0
	s_waitcnt vmcnt(25) lgkmcnt(0)
	v_mul_f32_e32 v17, v8, v13
	v_fmac_f32_e32 v17, v9, v12
	v_add_f32_e32 v16, v16, v17
	v_mul_f32_e32 v17, v10, v15
	v_fmac_f32_e32 v17, v11, v14
	v_add_f32_e32 v24, v16, v17
	ds_read2_b64 v[16:19], v148 offset0:67 offset1:68
	v_fma_f32 v1, v2, v6, -v1
	v_add_f32_e32 v0, v0, v1
	v_mul_f32_e32 v1, v9, v13
	v_fma_f32 v1, v8, v12, -v1
	s_waitcnt vmcnt(24) lgkmcnt(0)
	v_mul_f32_e32 v25, v16, v21
	v_fmac_f32_e32 v25, v17, v20
	v_add_f32_e32 v24, v24, v25
	v_mul_f32_e32 v25, v18, v23
	v_fmac_f32_e32 v25, v19, v22
	v_add_f32_e32 v32, v24, v25
	ds_read2_b64 v[24:27], v148 offset0:69 offset1:70
	v_add_f32_e32 v0, v0, v1
	v_mul_f32_e32 v1, v11, v15
	v_fma_f32 v1, v10, v14, -v1
	v_add_f32_e32 v0, v0, v1
	s_waitcnt vmcnt(23) lgkmcnt(0)
	v_mul_f32_e32 v33, v24, v29
	v_fmac_f32_e32 v33, v25, v28
	v_add_f32_e32 v32, v32, v33
	v_mul_f32_e32 v33, v26, v31
	v_fmac_f32_e32 v33, v27, v30
	v_add_f32_e32 v40, v32, v33
	ds_read2_b64 v[32:35], v148 offset0:71 offset1:72
	v_mul_f32_e32 v1, v17, v21
	v_fma_f32 v1, v16, v20, -v1
	v_add_f32_e32 v0, v0, v1
	v_mul_f32_e32 v1, v19, v23
	s_waitcnt vmcnt(22) lgkmcnt(0)
	v_mul_f32_e32 v41, v32, v37
	v_fmac_f32_e32 v41, v33, v36
	v_add_f32_e32 v40, v40, v41
	v_mul_f32_e32 v41, v34, v39
	v_fmac_f32_e32 v41, v35, v38
	v_add_f32_e32 v48, v40, v41
	ds_read2_b64 v[40:43], v148 offset0:73 offset1:74
	v_fma_f32 v1, v18, v22, -v1
	v_add_f32_e32 v0, v0, v1
	v_mul_f32_e32 v1, v25, v29
	v_fma_f32 v1, v24, v28, -v1
	s_waitcnt vmcnt(21) lgkmcnt(0)
	v_mul_f32_e32 v49, v40, v45
	v_fmac_f32_e32 v49, v41, v44
	v_add_f32_e32 v48, v48, v49
	v_mul_f32_e32 v49, v42, v47
	v_fmac_f32_e32 v49, v43, v46
	v_add_f32_e32 v56, v48, v49
	ds_read2_b64 v[48:51], v148 offset0:75 offset1:76
	v_add_f32_e32 v0, v0, v1
	v_mul_f32_e32 v1, v27, v31
	v_fma_f32 v1, v26, v30, -v1
	v_add_f32_e32 v0, v0, v1
	s_waitcnt vmcnt(20) lgkmcnt(0)
	v_mul_f32_e32 v57, v48, v53
	v_fmac_f32_e32 v57, v49, v52
	v_add_f32_e32 v56, v56, v57
	v_mul_f32_e32 v57, v50, v55
	v_fmac_f32_e32 v57, v51, v54
	v_add_f32_e32 v64, v56, v57
	ds_read2_b64 v[56:59], v148 offset0:77 offset1:78
	v_mul_f32_e32 v1, v33, v37
	v_fma_f32 v1, v32, v36, -v1
	v_add_f32_e32 v0, v0, v1
	v_mul_f32_e32 v1, v35, v39
	;; [unrolled: 36-line block ×5, first 2 shown]
	s_waitcnt vmcnt(10) lgkmcnt(0)
	v_mul_f32_e32 v137, v128, v133
	v_fmac_f32_e32 v137, v129, v132
	v_add_f32_e32 v136, v136, v137
	v_mul_f32_e32 v137, v130, v135
	v_fmac_f32_e32 v137, v131, v134
	v_add_f32_e32 v144, v136, v137
	ds_read2_b64 v[136:139], v148 offset0:97 offset1:98
	v_fma_f32 v1, v82, v86, -v1
	v_add_f32_e32 v0, v0, v1
	v_mul_f32_e32 v1, v89, v93
	v_fma_f32 v1, v88, v92, -v1
	s_waitcnt vmcnt(9) lgkmcnt(0)
	v_mul_f32_e32 v145, v136, v141
	v_fmac_f32_e32 v145, v137, v140
	v_add_f32_e32 v144, v144, v145
	v_mul_f32_e32 v145, v138, v143
	v_fmac_f32_e32 v145, v139, v142
	v_add_f32_e32 v149, v144, v145
	ds_read2_b64 v[144:147], v148 offset0:99 offset1:100
	v_add_f32_e32 v0, v0, v1
	v_mul_f32_e32 v1, v91, v95
	v_fma_f32 v1, v90, v94, -v1
	v_add_f32_e32 v0, v0, v1
	s_waitcnt vmcnt(8) lgkmcnt(0)
	v_mul_f32_e32 v152, v144, v171
	v_fmac_f32_e32 v152, v145, v170
	v_add_f32_e32 v149, v149, v152
	v_mul_f32_e32 v152, v146, v173
	v_fmac_f32_e32 v152, v147, v172
	v_add_f32_e32 v149, v149, v152
	s_waitcnt vmcnt(7)
	v_mul_f32_e32 v152, v174, v179
	v_fmac_f32_e32 v152, v175, v178
	v_add_f32_e32 v149, v149, v152
	v_mul_f32_e32 v152, v176, v181
	v_fmac_f32_e32 v152, v177, v180
	v_add_f32_e32 v149, v149, v152
	s_waitcnt vmcnt(6)
	;; [unrolled: 7-line block ×7, first 2 shown]
	v_mul_f32_e32 v152, v222, v227
	v_fmac_f32_e32 v152, v223, v226
	v_add_f32_e32 v251, v149, v152
	scratch_load_dwordx4 v[238:241], off, off offset:440
	scratch_load_dwordx4 v[242:245], off, off offset:456
	;; [unrolled: 1-line block ×3, first 2 shown]
	scratch_load_dwordx2 v[152:153], off, off offset:488
	v_mul_f32_e32 v1, v97, v101
	v_fma_f32 v1, v96, v100, -v1
	v_add_f32_e32 v0, v0, v1
	v_mul_f32_e32 v1, v99, v103
	v_fma_f32 v1, v98, v102, -v1
	v_add_f32_e32 v0, v0, v1
	;; [unrolled: 3-line block ×27, first 2 shown]
	v_mul_f32_e32 v0, v225, v229
	v_mul_f32_e32 v253, v224, v229
	v_fma_f32 v252, v224, v228, -v0
	s_waitcnt vmcnt(4)
	v_mul_f32_e32 v0, v231, v235
	v_mov_b32_e32 v16, v237
	v_fmac_f32_e32 v253, v225, v228
	v_mul_f32_e32 v255, v230, v235
	v_fma_f32 v254, v230, v234, -v0
	ds_read2_b64 v[0:3], v148 offset0:117 offset1:118
	ds_read2_b64 v[4:7], v148 offset0:119 offset1:120
	;; [unrolled: 1-line block ×3, first 2 shown]
	ds_read_b64 v[12:13], v148 offset:984
	v_pk_mul_f32 v[16:17], v[232:233], v[16:17] op_sel:[1,0] op_sel_hi:[0,0]
	v_fmac_f32_e32 v255, v231, v234
	v_pk_add_f32 v[14:15], v[250:251], v[252:253]
	v_pk_fma_f32 v[18:19], v[232:233], v[236:237], v[16:17] neg_lo:[0,0,1] neg_hi:[0,0,1]
	v_pk_fma_f32 v[16:17], v[232:233], v[236:237], v[16:17] op_sel_hi:[1,0,1]
	v_pk_add_f32 v[14:15], v[14:15], v[254:255]
	v_mov_b32_e32 v19, v17
	s_waitcnt vmcnt(3) lgkmcnt(3)
	v_pk_mul_f32 v[16:17], v[0:1], v[238:239] op_sel:[1,1] op_sel_hi:[0,1]
	v_pk_add_f32 v[14:15], v[14:15], v[18:19]
	v_pk_fma_f32 v[18:19], v[0:1], v[238:239], v[16:17] neg_lo:[0,0,1] neg_hi:[0,0,1]
	v_pk_fma_f32 v[0:1], v[0:1], v[238:239], v[16:17] op_sel_hi:[1,0,1]
	s_nop 0
	v_mov_b32_e32 v19, v1
	v_pk_add_f32 v[0:1], v[14:15], v[18:19]
	v_mov_b32_e32 v14, v241
	v_pk_mul_f32 v[14:15], v[2:3], v[14:15] op_sel:[1,0] op_sel_hi:[0,0]
	v_pk_fma_f32 v[16:17], v[2:3], v[240:241], v[14:15] neg_lo:[0,0,1] neg_hi:[0,0,1]
	v_pk_fma_f32 v[2:3], v[2:3], v[240:241], v[14:15] op_sel_hi:[1,0,1]
	s_nop 0
	v_mov_b32_e32 v17, v3
	s_waitcnt vmcnt(2) lgkmcnt(2)
	v_pk_mul_f32 v[2:3], v[4:5], v[242:243] op_sel:[1,1] op_sel_hi:[0,1]
	v_pk_fma_f32 v[14:15], v[4:5], v[242:243], v[2:3] neg_lo:[0,0,1] neg_hi:[0,0,1]
	v_pk_fma_f32 v[2:3], v[4:5], v[242:243], v[2:3] op_sel_hi:[1,0,1]
	v_pk_add_f32 v[0:1], v[0:1], v[16:17]
	v_mov_b32_e32 v2, v245
	v_mov_b32_e32 v15, v3
	v_pk_mul_f32 v[2:3], v[6:7], v[2:3] op_sel:[1,0] op_sel_hi:[0,0]
	v_pk_fma_f32 v[4:5], v[6:7], v[244:245], v[2:3] neg_lo:[0,0,1] neg_hi:[0,0,1]
	v_pk_fma_f32 v[2:3], v[6:7], v[244:245], v[2:3] op_sel_hi:[1,0,1]
	v_pk_add_f32 v[0:1], v[0:1], v[14:15]
	v_mov_b32_e32 v5, v3
	s_waitcnt vmcnt(1) lgkmcnt(1)
	v_pk_mul_f32 v[2:3], v[8:9], v[246:247] op_sel:[1,1] op_sel_hi:[0,1]
	v_pk_add_f32 v[0:1], v[0:1], v[4:5]
	v_pk_fma_f32 v[4:5], v[8:9], v[246:247], v[2:3] neg_lo:[0,0,1] neg_hi:[0,0,1]
	v_pk_fma_f32 v[2:3], v[8:9], v[246:247], v[2:3] op_sel_hi:[1,0,1]
	s_nop 0
	v_mov_b32_e32 v2, v249
	v_mov_b32_e32 v5, v3
	v_pk_mul_f32 v[2:3], v[10:11], v[2:3] op_sel:[1,0] op_sel_hi:[0,0]
	v_pk_add_f32 v[0:1], v[0:1], v[4:5]
	v_pk_fma_f32 v[4:5], v[10:11], v[248:249], v[2:3] neg_lo:[0,0,1] neg_hi:[0,0,1]
	v_pk_fma_f32 v[2:3], v[10:11], v[248:249], v[2:3] op_sel_hi:[1,0,1]
	s_nop 0
	v_mov_b32_e32 v5, v3
	s_waitcnt vmcnt(0) lgkmcnt(0)
	v_pk_mul_f32 v[2:3], v[12:13], v[152:153] op_sel:[1,1] op_sel_hi:[0,1]
	v_pk_add_f32 v[0:1], v[0:1], v[4:5]
	v_pk_fma_f32 v[4:5], v[12:13], v[152:153], v[2:3] neg_lo:[0,0,1] neg_hi:[0,0,1]
	v_pk_fma_f32 v[2:3], v[12:13], v[152:153], v[2:3] op_sel_hi:[1,0,1]
	s_nop 0
	v_mov_b32_e32 v5, v3
	scratch_load_dwordx2 v[2:3], off, off
	v_pk_add_f32 v[0:1], v[0:1], v[4:5]
	s_waitcnt vmcnt(0)
	v_pk_add_f32 v[0:1], v[2:3], v[0:1] neg_lo:[0,1] neg_hi:[0,1]
	scratch_store_dwordx2 off, v[0:1], off
	s_cbranch_vccz .LBB125_508
; %bb.386:
	global_load_dword v0, v148, s[8:9] offset:240
	s_waitcnt vmcnt(0)
	v_readfirstlane_b32 s0, v0
	s_add_i32 s0, s0, -1
	s_cmp_lg_u32 s0, 60
	s_cbranch_scc0 .LBB125_388
; %bb.387:
	s_lshl_b32 s0, s0, 3
	s_nop 0
	scratch_load_dwordx2 v[0:1], off, s0
	scratch_load_dwordx2 v[2:3], off, off offset:480
	s_waitcnt vmcnt(1)
	scratch_store_dwordx2 off, v[0:1], off offset:480
	s_waitcnt vmcnt(1)
	scratch_store_dwordx2 off, v[2:3], s0
.LBB125_388:
	v_mov_b32_e32 v0, 0
	global_load_dword v1, v0, s[8:9] offset:236
	s_waitcnt vmcnt(0)
	v_readfirstlane_b32 s0, v1
	s_add_i32 s0, s0, -1
	s_cmp_eq_u32 s0, 59
	s_cbranch_scc1 .LBB125_390
; %bb.389:
	s_lshl_b32 s0, s0, 3
	s_nop 0
	scratch_load_dwordx2 v[2:3], off, s0
	scratch_load_dwordx2 v[4:5], off, off offset:472
	s_waitcnt vmcnt(1)
	scratch_store_dwordx2 off, v[2:3], off offset:472
	s_waitcnt vmcnt(1)
	scratch_store_dwordx2 off, v[4:5], s0
.LBB125_390:
	global_load_dword v0, v0, s[8:9] offset:232
	s_waitcnt vmcnt(0)
	v_readfirstlane_b32 s0, v0
	s_add_i32 s0, s0, -1
	s_cmp_eq_u32 s0, 58
	s_cbranch_scc1 .LBB125_392
; %bb.391:
	s_lshl_b32 s0, s0, 3
	s_nop 0
	scratch_load_dwordx2 v[0:1], off, s0
	scratch_load_dwordx2 v[2:3], off, off offset:464
	s_waitcnt vmcnt(1)
	scratch_store_dwordx2 off, v[0:1], off offset:464
	s_waitcnt vmcnt(1)
	scratch_store_dwordx2 off, v[2:3], s0
.LBB125_392:
	v_mov_b32_e32 v0, 0
	global_load_dword v1, v0, s[8:9] offset:228
	s_waitcnt vmcnt(0)
	v_readfirstlane_b32 s0, v1
	s_add_i32 s0, s0, -1
	s_cmp_eq_u32 s0, 57
	s_cbranch_scc1 .LBB125_394
; %bb.393:
	s_lshl_b32 s0, s0, 3
	s_nop 0
	scratch_load_dwordx2 v[2:3], off, s0
	scratch_load_dwordx2 v[4:5], off, off offset:456
	s_waitcnt vmcnt(1)
	scratch_store_dwordx2 off, v[2:3], off offset:456
	s_waitcnt vmcnt(1)
	scratch_store_dwordx2 off, v[4:5], s0
.LBB125_394:
	global_load_dword v0, v0, s[8:9] offset:224
	s_waitcnt vmcnt(0)
	v_readfirstlane_b32 s0, v0
	s_add_i32 s0, s0, -1
	s_cmp_eq_u32 s0, 56
	s_cbranch_scc1 .LBB125_396
; %bb.395:
	s_lshl_b32 s0, s0, 3
	s_nop 0
	scratch_load_dwordx2 v[0:1], off, s0
	scratch_load_dwordx2 v[2:3], off, off offset:448
	s_waitcnt vmcnt(1)
	scratch_store_dwordx2 off, v[0:1], off offset:448
	s_waitcnt vmcnt(1)
	scratch_store_dwordx2 off, v[2:3], s0
.LBB125_396:
	v_mov_b32_e32 v0, 0
	global_load_dword v1, v0, s[8:9] offset:220
	s_waitcnt vmcnt(0)
	v_readfirstlane_b32 s0, v1
	s_add_i32 s0, s0, -1
	s_cmp_eq_u32 s0, 55
	s_cbranch_scc1 .LBB125_398
; %bb.397:
	s_lshl_b32 s0, s0, 3
	s_nop 0
	scratch_load_dwordx2 v[2:3], off, s0
	scratch_load_dwordx2 v[4:5], off, off offset:440
	s_waitcnt vmcnt(1)
	scratch_store_dwordx2 off, v[2:3], off offset:440
	s_waitcnt vmcnt(1)
	scratch_store_dwordx2 off, v[4:5], s0
.LBB125_398:
	global_load_dword v0, v0, s[8:9] offset:216
	s_waitcnt vmcnt(0)
	v_readfirstlane_b32 s0, v0
	s_add_i32 s0, s0, -1
	s_cmp_eq_u32 s0, 54
	s_cbranch_scc1 .LBB125_400
; %bb.399:
	s_lshl_b32 s0, s0, 3
	s_nop 0
	scratch_load_dwordx2 v[0:1], off, s0
	scratch_load_dwordx2 v[2:3], off, off offset:432
	s_waitcnt vmcnt(1)
	scratch_store_dwordx2 off, v[0:1], off offset:432
	s_waitcnt vmcnt(1)
	scratch_store_dwordx2 off, v[2:3], s0
.LBB125_400:
	v_mov_b32_e32 v0, 0
	global_load_dword v1, v0, s[8:9] offset:212
	s_waitcnt vmcnt(0)
	v_readfirstlane_b32 s0, v1
	s_add_i32 s0, s0, -1
	s_cmp_eq_u32 s0, 53
	s_cbranch_scc1 .LBB125_402
; %bb.401:
	s_lshl_b32 s0, s0, 3
	s_nop 0
	scratch_load_dwordx2 v[2:3], off, s0
	scratch_load_dwordx2 v[4:5], off, off offset:424
	s_waitcnt vmcnt(1)
	scratch_store_dwordx2 off, v[2:3], off offset:424
	s_waitcnt vmcnt(1)
	scratch_store_dwordx2 off, v[4:5], s0
.LBB125_402:
	global_load_dword v0, v0, s[8:9] offset:208
	s_waitcnt vmcnt(0)
	v_readfirstlane_b32 s0, v0
	s_add_i32 s0, s0, -1
	s_cmp_eq_u32 s0, 52
	s_cbranch_scc1 .LBB125_404
; %bb.403:
	s_lshl_b32 s0, s0, 3
	s_nop 0
	scratch_load_dwordx2 v[0:1], off, s0
	scratch_load_dwordx2 v[2:3], off, off offset:416
	s_waitcnt vmcnt(1)
	scratch_store_dwordx2 off, v[0:1], off offset:416
	s_waitcnt vmcnt(1)
	scratch_store_dwordx2 off, v[2:3], s0
.LBB125_404:
	v_mov_b32_e32 v0, 0
	global_load_dword v1, v0, s[8:9] offset:204
	s_waitcnt vmcnt(0)
	v_readfirstlane_b32 s0, v1
	s_add_i32 s0, s0, -1
	s_cmp_eq_u32 s0, 51
	s_cbranch_scc1 .LBB125_406
; %bb.405:
	s_lshl_b32 s0, s0, 3
	s_nop 0
	scratch_load_dwordx2 v[2:3], off, s0
	scratch_load_dwordx2 v[4:5], off, off offset:408
	s_waitcnt vmcnt(1)
	scratch_store_dwordx2 off, v[2:3], off offset:408
	s_waitcnt vmcnt(1)
	scratch_store_dwordx2 off, v[4:5], s0
.LBB125_406:
	global_load_dword v0, v0, s[8:9] offset:200
	s_waitcnt vmcnt(0)
	v_readfirstlane_b32 s0, v0
	s_add_i32 s0, s0, -1
	s_cmp_eq_u32 s0, 50
	s_cbranch_scc1 .LBB125_408
; %bb.407:
	s_lshl_b32 s0, s0, 3
	s_nop 0
	scratch_load_dwordx2 v[0:1], off, s0
	scratch_load_dwordx2 v[2:3], off, off offset:400
	s_waitcnt vmcnt(1)
	scratch_store_dwordx2 off, v[0:1], off offset:400
	s_waitcnt vmcnt(1)
	scratch_store_dwordx2 off, v[2:3], s0
.LBB125_408:
	v_mov_b32_e32 v0, 0
	global_load_dword v1, v0, s[8:9] offset:196
	s_waitcnt vmcnt(0)
	v_readfirstlane_b32 s0, v1
	s_add_i32 s0, s0, -1
	s_cmp_eq_u32 s0, 49
	s_cbranch_scc1 .LBB125_410
; %bb.409:
	s_lshl_b32 s0, s0, 3
	s_nop 0
	scratch_load_dwordx2 v[2:3], off, s0
	scratch_load_dwordx2 v[4:5], off, off offset:392
	s_waitcnt vmcnt(1)
	scratch_store_dwordx2 off, v[2:3], off offset:392
	s_waitcnt vmcnt(1)
	scratch_store_dwordx2 off, v[4:5], s0
.LBB125_410:
	global_load_dword v0, v0, s[8:9] offset:192
	s_waitcnt vmcnt(0)
	v_readfirstlane_b32 s0, v0
	s_add_i32 s0, s0, -1
	s_cmp_eq_u32 s0, 48
	s_cbranch_scc1 .LBB125_412
; %bb.411:
	s_lshl_b32 s0, s0, 3
	s_nop 0
	scratch_load_dwordx2 v[0:1], off, s0
	scratch_load_dwordx2 v[2:3], off, off offset:384
	s_waitcnt vmcnt(1)
	scratch_store_dwordx2 off, v[0:1], off offset:384
	s_waitcnt vmcnt(1)
	scratch_store_dwordx2 off, v[2:3], s0
.LBB125_412:
	v_mov_b32_e32 v0, 0
	global_load_dword v1, v0, s[8:9] offset:188
	s_waitcnt vmcnt(0)
	v_readfirstlane_b32 s0, v1
	s_add_i32 s0, s0, -1
	s_cmp_eq_u32 s0, 47
	s_cbranch_scc1 .LBB125_414
; %bb.413:
	s_lshl_b32 s0, s0, 3
	s_nop 0
	scratch_load_dwordx2 v[2:3], off, s0
	scratch_load_dwordx2 v[4:5], off, off offset:376
	s_waitcnt vmcnt(1)
	scratch_store_dwordx2 off, v[2:3], off offset:376
	s_waitcnt vmcnt(1)
	scratch_store_dwordx2 off, v[4:5], s0
.LBB125_414:
	global_load_dword v0, v0, s[8:9] offset:184
	s_waitcnt vmcnt(0)
	v_readfirstlane_b32 s0, v0
	s_add_i32 s0, s0, -1
	s_cmp_eq_u32 s0, 46
	s_cbranch_scc1 .LBB125_416
; %bb.415:
	s_lshl_b32 s0, s0, 3
	s_nop 0
	scratch_load_dwordx2 v[0:1], off, s0
	scratch_load_dwordx2 v[2:3], off, off offset:368
	s_waitcnt vmcnt(1)
	scratch_store_dwordx2 off, v[0:1], off offset:368
	s_waitcnt vmcnt(1)
	scratch_store_dwordx2 off, v[2:3], s0
.LBB125_416:
	v_mov_b32_e32 v0, 0
	global_load_dword v1, v0, s[8:9] offset:180
	s_waitcnt vmcnt(0)
	v_readfirstlane_b32 s0, v1
	s_add_i32 s0, s0, -1
	s_cmp_eq_u32 s0, 45
	s_cbranch_scc1 .LBB125_418
; %bb.417:
	s_lshl_b32 s0, s0, 3
	s_nop 0
	scratch_load_dwordx2 v[2:3], off, s0
	scratch_load_dwordx2 v[4:5], off, off offset:360
	s_waitcnt vmcnt(1)
	scratch_store_dwordx2 off, v[2:3], off offset:360
	s_waitcnt vmcnt(1)
	scratch_store_dwordx2 off, v[4:5], s0
.LBB125_418:
	global_load_dword v0, v0, s[8:9] offset:176
	s_waitcnt vmcnt(0)
	v_readfirstlane_b32 s0, v0
	s_add_i32 s0, s0, -1
	s_cmp_eq_u32 s0, 44
	s_cbranch_scc1 .LBB125_420
; %bb.419:
	s_lshl_b32 s0, s0, 3
	s_nop 0
	scratch_load_dwordx2 v[0:1], off, s0
	scratch_load_dwordx2 v[2:3], off, off offset:352
	s_waitcnt vmcnt(1)
	scratch_store_dwordx2 off, v[0:1], off offset:352
	s_waitcnt vmcnt(1)
	scratch_store_dwordx2 off, v[2:3], s0
.LBB125_420:
	v_mov_b32_e32 v0, 0
	global_load_dword v1, v0, s[8:9] offset:172
	s_waitcnt vmcnt(0)
	v_readfirstlane_b32 s0, v1
	s_add_i32 s0, s0, -1
	s_cmp_eq_u32 s0, 43
	s_cbranch_scc1 .LBB125_422
; %bb.421:
	s_lshl_b32 s0, s0, 3
	s_nop 0
	scratch_load_dwordx2 v[2:3], off, s0
	scratch_load_dwordx2 v[4:5], off, off offset:344
	s_waitcnt vmcnt(1)
	scratch_store_dwordx2 off, v[2:3], off offset:344
	s_waitcnt vmcnt(1)
	scratch_store_dwordx2 off, v[4:5], s0
.LBB125_422:
	global_load_dword v0, v0, s[8:9] offset:168
	s_waitcnt vmcnt(0)
	v_readfirstlane_b32 s0, v0
	s_add_i32 s0, s0, -1
	s_cmp_eq_u32 s0, 42
	s_cbranch_scc1 .LBB125_424
; %bb.423:
	s_lshl_b32 s0, s0, 3
	s_nop 0
	scratch_load_dwordx2 v[0:1], off, s0
	scratch_load_dwordx2 v[2:3], off, off offset:336
	s_waitcnt vmcnt(1)
	scratch_store_dwordx2 off, v[0:1], off offset:336
	s_waitcnt vmcnt(1)
	scratch_store_dwordx2 off, v[2:3], s0
.LBB125_424:
	v_mov_b32_e32 v0, 0
	global_load_dword v1, v0, s[8:9] offset:164
	s_waitcnt vmcnt(0)
	v_readfirstlane_b32 s0, v1
	s_add_i32 s0, s0, -1
	s_cmp_eq_u32 s0, 41
	s_cbranch_scc1 .LBB125_426
; %bb.425:
	s_lshl_b32 s0, s0, 3
	s_nop 0
	scratch_load_dwordx2 v[2:3], off, s0
	scratch_load_dwordx2 v[4:5], off, off offset:328
	s_waitcnt vmcnt(1)
	scratch_store_dwordx2 off, v[2:3], off offset:328
	s_waitcnt vmcnt(1)
	scratch_store_dwordx2 off, v[4:5], s0
.LBB125_426:
	global_load_dword v0, v0, s[8:9] offset:160
	s_waitcnt vmcnt(0)
	v_readfirstlane_b32 s0, v0
	s_add_i32 s0, s0, -1
	s_cmp_eq_u32 s0, 40
	s_cbranch_scc1 .LBB125_428
; %bb.427:
	s_lshl_b32 s0, s0, 3
	s_nop 0
	scratch_load_dwordx2 v[0:1], off, s0
	scratch_load_dwordx2 v[2:3], off, off offset:320
	s_waitcnt vmcnt(1)
	scratch_store_dwordx2 off, v[0:1], off offset:320
	s_waitcnt vmcnt(1)
	scratch_store_dwordx2 off, v[2:3], s0
.LBB125_428:
	v_mov_b32_e32 v0, 0
	global_load_dword v1, v0, s[8:9] offset:156
	s_waitcnt vmcnt(0)
	v_readfirstlane_b32 s0, v1
	s_add_i32 s0, s0, -1
	s_cmp_eq_u32 s0, 39
	s_cbranch_scc1 .LBB125_430
; %bb.429:
	s_lshl_b32 s0, s0, 3
	s_nop 0
	scratch_load_dwordx2 v[2:3], off, s0
	scratch_load_dwordx2 v[4:5], off, off offset:312
	s_waitcnt vmcnt(1)
	scratch_store_dwordx2 off, v[2:3], off offset:312
	s_waitcnt vmcnt(1)
	scratch_store_dwordx2 off, v[4:5], s0
.LBB125_430:
	global_load_dword v0, v0, s[8:9] offset:152
	s_waitcnt vmcnt(0)
	v_readfirstlane_b32 s0, v0
	s_add_i32 s0, s0, -1
	s_cmp_eq_u32 s0, 38
	s_cbranch_scc1 .LBB125_432
; %bb.431:
	s_lshl_b32 s0, s0, 3
	s_nop 0
	scratch_load_dwordx2 v[0:1], off, s0
	scratch_load_dwordx2 v[2:3], off, off offset:304
	s_waitcnt vmcnt(1)
	scratch_store_dwordx2 off, v[0:1], off offset:304
	s_waitcnt vmcnt(1)
	scratch_store_dwordx2 off, v[2:3], s0
.LBB125_432:
	v_mov_b32_e32 v0, 0
	global_load_dword v1, v0, s[8:9] offset:148
	s_waitcnt vmcnt(0)
	v_readfirstlane_b32 s0, v1
	s_add_i32 s0, s0, -1
	s_cmp_eq_u32 s0, 37
	s_cbranch_scc1 .LBB125_434
; %bb.433:
	s_lshl_b32 s0, s0, 3
	s_nop 0
	scratch_load_dwordx2 v[2:3], off, s0
	scratch_load_dwordx2 v[4:5], off, off offset:296
	s_waitcnt vmcnt(1)
	scratch_store_dwordx2 off, v[2:3], off offset:296
	s_waitcnt vmcnt(1)
	scratch_store_dwordx2 off, v[4:5], s0
.LBB125_434:
	global_load_dword v0, v0, s[8:9] offset:144
	s_waitcnt vmcnt(0)
	v_readfirstlane_b32 s0, v0
	s_add_i32 s0, s0, -1
	s_cmp_eq_u32 s0, 36
	s_cbranch_scc1 .LBB125_436
; %bb.435:
	s_lshl_b32 s0, s0, 3
	s_nop 0
	scratch_load_dwordx2 v[0:1], off, s0
	scratch_load_dwordx2 v[2:3], off, off offset:288
	s_waitcnt vmcnt(1)
	scratch_store_dwordx2 off, v[0:1], off offset:288
	s_waitcnt vmcnt(1)
	scratch_store_dwordx2 off, v[2:3], s0
.LBB125_436:
	v_mov_b32_e32 v0, 0
	global_load_dword v1, v0, s[8:9] offset:140
	s_waitcnt vmcnt(0)
	v_readfirstlane_b32 s0, v1
	s_add_i32 s0, s0, -1
	s_cmp_eq_u32 s0, 35
	s_cbranch_scc1 .LBB125_438
; %bb.437:
	s_lshl_b32 s0, s0, 3
	s_nop 0
	scratch_load_dwordx2 v[2:3], off, s0
	scratch_load_dwordx2 v[4:5], off, off offset:280
	s_waitcnt vmcnt(1)
	scratch_store_dwordx2 off, v[2:3], off offset:280
	s_waitcnt vmcnt(1)
	scratch_store_dwordx2 off, v[4:5], s0
.LBB125_438:
	global_load_dword v0, v0, s[8:9] offset:136
	s_waitcnt vmcnt(0)
	v_readfirstlane_b32 s0, v0
	s_add_i32 s0, s0, -1
	s_cmp_eq_u32 s0, 34
	s_cbranch_scc1 .LBB125_440
; %bb.439:
	s_lshl_b32 s0, s0, 3
	s_nop 0
	scratch_load_dwordx2 v[0:1], off, s0
	scratch_load_dwordx2 v[2:3], off, off offset:272
	s_waitcnt vmcnt(1)
	scratch_store_dwordx2 off, v[0:1], off offset:272
	s_waitcnt vmcnt(1)
	scratch_store_dwordx2 off, v[2:3], s0
.LBB125_440:
	v_mov_b32_e32 v0, 0
	global_load_dword v1, v0, s[8:9] offset:132
	s_waitcnt vmcnt(0)
	v_readfirstlane_b32 s0, v1
	s_add_i32 s0, s0, -1
	s_cmp_eq_u32 s0, 33
	s_cbranch_scc1 .LBB125_442
; %bb.441:
	s_lshl_b32 s0, s0, 3
	s_nop 0
	scratch_load_dwordx2 v[2:3], off, s0
	scratch_load_dwordx2 v[4:5], off, off offset:264
	s_waitcnt vmcnt(1)
	scratch_store_dwordx2 off, v[2:3], off offset:264
	s_waitcnt vmcnt(1)
	scratch_store_dwordx2 off, v[4:5], s0
.LBB125_442:
	global_load_dword v0, v0, s[8:9] offset:128
	s_waitcnt vmcnt(0)
	v_readfirstlane_b32 s0, v0
	s_add_i32 s0, s0, -1
	s_cmp_eq_u32 s0, 32
	s_cbranch_scc1 .LBB125_444
; %bb.443:
	s_lshl_b32 s0, s0, 3
	s_nop 0
	scratch_load_dwordx2 v[0:1], off, s0
	scratch_load_dwordx2 v[2:3], off, off offset:256
	s_waitcnt vmcnt(1)
	scratch_store_dwordx2 off, v[0:1], off offset:256
	s_waitcnt vmcnt(1)
	scratch_store_dwordx2 off, v[2:3], s0
.LBB125_444:
	v_mov_b32_e32 v0, 0
	global_load_dword v1, v0, s[8:9] offset:124
	s_waitcnt vmcnt(0)
	v_readfirstlane_b32 s0, v1
	s_add_i32 s0, s0, -1
	s_cmp_eq_u32 s0, 31
	s_cbranch_scc1 .LBB125_446
; %bb.445:
	s_lshl_b32 s0, s0, 3
	s_nop 0
	scratch_load_dwordx2 v[2:3], off, s0
	scratch_load_dwordx2 v[4:5], off, off offset:248
	s_waitcnt vmcnt(1)
	scratch_store_dwordx2 off, v[2:3], off offset:248
	s_waitcnt vmcnt(1)
	scratch_store_dwordx2 off, v[4:5], s0
.LBB125_446:
	global_load_dword v0, v0, s[8:9] offset:120
	s_waitcnt vmcnt(0)
	v_readfirstlane_b32 s0, v0
	s_add_i32 s0, s0, -1
	s_cmp_eq_u32 s0, 30
	s_cbranch_scc1 .LBB125_448
; %bb.447:
	s_lshl_b32 s0, s0, 3
	s_nop 0
	scratch_load_dwordx2 v[0:1], off, s0
	scratch_load_dwordx2 v[2:3], off, off offset:240
	s_waitcnt vmcnt(1)
	scratch_store_dwordx2 off, v[0:1], off offset:240
	s_waitcnt vmcnt(1)
	scratch_store_dwordx2 off, v[2:3], s0
.LBB125_448:
	v_mov_b32_e32 v0, 0
	global_load_dword v1, v0, s[8:9] offset:116
	s_waitcnt vmcnt(0)
	v_readfirstlane_b32 s0, v1
	s_add_i32 s0, s0, -1
	s_cmp_eq_u32 s0, 29
	s_cbranch_scc1 .LBB125_450
; %bb.449:
	s_lshl_b32 s0, s0, 3
	s_nop 0
	scratch_load_dwordx2 v[2:3], off, s0
	scratch_load_dwordx2 v[4:5], off, off offset:232
	s_waitcnt vmcnt(1)
	scratch_store_dwordx2 off, v[2:3], off offset:232
	s_waitcnt vmcnt(1)
	scratch_store_dwordx2 off, v[4:5], s0
.LBB125_450:
	global_load_dword v0, v0, s[8:9] offset:112
	s_waitcnt vmcnt(0)
	v_readfirstlane_b32 s0, v0
	s_add_i32 s0, s0, -1
	s_cmp_eq_u32 s0, 28
	s_cbranch_scc1 .LBB125_452
; %bb.451:
	s_lshl_b32 s0, s0, 3
	s_nop 0
	scratch_load_dwordx2 v[0:1], off, s0
	scratch_load_dwordx2 v[2:3], off, off offset:224
	s_waitcnt vmcnt(1)
	scratch_store_dwordx2 off, v[0:1], off offset:224
	s_waitcnt vmcnt(1)
	scratch_store_dwordx2 off, v[2:3], s0
.LBB125_452:
	v_mov_b32_e32 v0, 0
	global_load_dword v1, v0, s[8:9] offset:108
	s_waitcnt vmcnt(0)
	v_readfirstlane_b32 s0, v1
	s_add_i32 s0, s0, -1
	s_cmp_eq_u32 s0, 27
	s_cbranch_scc1 .LBB125_454
; %bb.453:
	s_lshl_b32 s0, s0, 3
	s_nop 0
	scratch_load_dwordx2 v[2:3], off, s0
	scratch_load_dwordx2 v[4:5], off, off offset:216
	s_waitcnt vmcnt(1)
	scratch_store_dwordx2 off, v[2:3], off offset:216
	s_waitcnt vmcnt(1)
	scratch_store_dwordx2 off, v[4:5], s0
.LBB125_454:
	global_load_dword v0, v0, s[8:9] offset:104
	s_waitcnt vmcnt(0)
	v_readfirstlane_b32 s0, v0
	s_add_i32 s0, s0, -1
	s_cmp_eq_u32 s0, 26
	s_cbranch_scc1 .LBB125_456
; %bb.455:
	s_lshl_b32 s0, s0, 3
	s_nop 0
	scratch_load_dwordx2 v[0:1], off, s0
	scratch_load_dwordx2 v[2:3], off, off offset:208
	s_waitcnt vmcnt(1)
	scratch_store_dwordx2 off, v[0:1], off offset:208
	s_waitcnt vmcnt(1)
	scratch_store_dwordx2 off, v[2:3], s0
.LBB125_456:
	v_mov_b32_e32 v0, 0
	global_load_dword v1, v0, s[8:9] offset:100
	s_waitcnt vmcnt(0)
	v_readfirstlane_b32 s0, v1
	s_add_i32 s0, s0, -1
	s_cmp_eq_u32 s0, 25
	s_cbranch_scc1 .LBB125_458
; %bb.457:
	s_lshl_b32 s0, s0, 3
	s_nop 0
	scratch_load_dwordx2 v[2:3], off, s0
	scratch_load_dwordx2 v[4:5], off, off offset:200
	s_waitcnt vmcnt(1)
	scratch_store_dwordx2 off, v[2:3], off offset:200
	s_waitcnt vmcnt(1)
	scratch_store_dwordx2 off, v[4:5], s0
.LBB125_458:
	global_load_dword v0, v0, s[8:9] offset:96
	s_waitcnt vmcnt(0)
	v_readfirstlane_b32 s0, v0
	s_add_i32 s0, s0, -1
	s_cmp_eq_u32 s0, 24
	s_cbranch_scc1 .LBB125_460
; %bb.459:
	s_lshl_b32 s0, s0, 3
	s_nop 0
	scratch_load_dwordx2 v[0:1], off, s0
	scratch_load_dwordx2 v[2:3], off, off offset:192
	s_waitcnt vmcnt(1)
	scratch_store_dwordx2 off, v[0:1], off offset:192
	s_waitcnt vmcnt(1)
	scratch_store_dwordx2 off, v[2:3], s0
.LBB125_460:
	v_mov_b32_e32 v0, 0
	global_load_dword v1, v0, s[8:9] offset:92
	s_waitcnt vmcnt(0)
	v_readfirstlane_b32 s0, v1
	s_add_i32 s0, s0, -1
	s_cmp_eq_u32 s0, 23
	s_cbranch_scc1 .LBB125_462
; %bb.461:
	s_lshl_b32 s0, s0, 3
	s_nop 0
	scratch_load_dwordx2 v[2:3], off, s0
	scratch_load_dwordx2 v[4:5], off, off offset:184
	s_waitcnt vmcnt(1)
	scratch_store_dwordx2 off, v[2:3], off offset:184
	s_waitcnt vmcnt(1)
	scratch_store_dwordx2 off, v[4:5], s0
.LBB125_462:
	global_load_dword v0, v0, s[8:9] offset:88
	s_waitcnt vmcnt(0)
	v_readfirstlane_b32 s0, v0
	s_add_i32 s0, s0, -1
	s_cmp_eq_u32 s0, 22
	s_cbranch_scc1 .LBB125_464
; %bb.463:
	s_lshl_b32 s0, s0, 3
	s_nop 0
	scratch_load_dwordx2 v[0:1], off, s0
	scratch_load_dwordx2 v[2:3], off, off offset:176
	s_waitcnt vmcnt(1)
	scratch_store_dwordx2 off, v[0:1], off offset:176
	s_waitcnt vmcnt(1)
	scratch_store_dwordx2 off, v[2:3], s0
.LBB125_464:
	v_mov_b32_e32 v0, 0
	global_load_dword v1, v0, s[8:9] offset:84
	s_waitcnt vmcnt(0)
	v_readfirstlane_b32 s0, v1
	s_add_i32 s0, s0, -1
	s_cmp_eq_u32 s0, 21
	s_cbranch_scc1 .LBB125_466
; %bb.465:
	s_lshl_b32 s0, s0, 3
	s_nop 0
	scratch_load_dwordx2 v[2:3], off, s0
	scratch_load_dwordx2 v[4:5], off, off offset:168
	s_waitcnt vmcnt(1)
	scratch_store_dwordx2 off, v[2:3], off offset:168
	s_waitcnt vmcnt(1)
	scratch_store_dwordx2 off, v[4:5], s0
.LBB125_466:
	global_load_dword v0, v0, s[8:9] offset:80
	s_waitcnt vmcnt(0)
	v_readfirstlane_b32 s0, v0
	s_add_i32 s0, s0, -1
	s_cmp_eq_u32 s0, 20
	s_cbranch_scc1 .LBB125_468
; %bb.467:
	s_lshl_b32 s0, s0, 3
	s_nop 0
	scratch_load_dwordx2 v[0:1], off, s0
	scratch_load_dwordx2 v[2:3], off, off offset:160
	s_waitcnt vmcnt(1)
	scratch_store_dwordx2 off, v[0:1], off offset:160
	s_waitcnt vmcnt(1)
	scratch_store_dwordx2 off, v[2:3], s0
.LBB125_468:
	v_mov_b32_e32 v0, 0
	global_load_dword v1, v0, s[8:9] offset:76
	s_waitcnt vmcnt(0)
	v_readfirstlane_b32 s0, v1
	s_add_i32 s0, s0, -1
	s_cmp_eq_u32 s0, 19
	s_cbranch_scc1 .LBB125_470
; %bb.469:
	s_lshl_b32 s0, s0, 3
	s_nop 0
	scratch_load_dwordx2 v[2:3], off, s0
	scratch_load_dwordx2 v[4:5], off, off offset:152
	s_waitcnt vmcnt(1)
	scratch_store_dwordx2 off, v[2:3], off offset:152
	s_waitcnt vmcnt(1)
	scratch_store_dwordx2 off, v[4:5], s0
.LBB125_470:
	global_load_dword v0, v0, s[8:9] offset:72
	s_waitcnt vmcnt(0)
	v_readfirstlane_b32 s0, v0
	s_add_i32 s0, s0, -1
	s_cmp_eq_u32 s0, 18
	s_cbranch_scc1 .LBB125_472
; %bb.471:
	s_lshl_b32 s0, s0, 3
	s_nop 0
	scratch_load_dwordx2 v[0:1], off, s0
	scratch_load_dwordx2 v[2:3], off, off offset:144
	s_waitcnt vmcnt(1)
	scratch_store_dwordx2 off, v[0:1], off offset:144
	s_waitcnt vmcnt(1)
	scratch_store_dwordx2 off, v[2:3], s0
.LBB125_472:
	v_mov_b32_e32 v0, 0
	global_load_dword v1, v0, s[8:9] offset:68
	s_waitcnt vmcnt(0)
	v_readfirstlane_b32 s0, v1
	s_add_i32 s0, s0, -1
	s_cmp_eq_u32 s0, 17
	s_cbranch_scc1 .LBB125_474
; %bb.473:
	s_lshl_b32 s0, s0, 3
	s_nop 0
	scratch_load_dwordx2 v[2:3], off, s0
	scratch_load_dwordx2 v[4:5], off, off offset:136
	s_waitcnt vmcnt(1)
	scratch_store_dwordx2 off, v[2:3], off offset:136
	s_waitcnt vmcnt(1)
	scratch_store_dwordx2 off, v[4:5], s0
.LBB125_474:
	global_load_dword v0, v0, s[8:9] offset:64
	s_waitcnt vmcnt(0)
	v_readfirstlane_b32 s0, v0
	s_add_i32 s0, s0, -1
	s_cmp_eq_u32 s0, 16
	s_cbranch_scc1 .LBB125_476
; %bb.475:
	s_lshl_b32 s0, s0, 3
	s_nop 0
	scratch_load_dwordx2 v[0:1], off, s0
	scratch_load_dwordx2 v[2:3], off, off offset:128
	s_waitcnt vmcnt(1)
	scratch_store_dwordx2 off, v[0:1], off offset:128
	s_waitcnt vmcnt(1)
	scratch_store_dwordx2 off, v[2:3], s0
.LBB125_476:
	v_mov_b32_e32 v0, 0
	global_load_dword v1, v0, s[8:9] offset:60
	s_waitcnt vmcnt(0)
	v_readfirstlane_b32 s0, v1
	s_add_i32 s0, s0, -1
	s_cmp_eq_u32 s0, 15
	s_cbranch_scc1 .LBB125_478
; %bb.477:
	s_lshl_b32 s0, s0, 3
	s_nop 0
	scratch_load_dwordx2 v[2:3], off, s0
	scratch_load_dwordx2 v[4:5], off, off offset:120
	s_waitcnt vmcnt(1)
	scratch_store_dwordx2 off, v[2:3], off offset:120
	s_waitcnt vmcnt(1)
	scratch_store_dwordx2 off, v[4:5], s0
.LBB125_478:
	global_load_dword v0, v0, s[8:9] offset:56
	s_waitcnt vmcnt(0)
	v_readfirstlane_b32 s0, v0
	s_add_i32 s0, s0, -1
	s_cmp_eq_u32 s0, 14
	s_cbranch_scc1 .LBB125_480
; %bb.479:
	s_lshl_b32 s0, s0, 3
	s_nop 0
	scratch_load_dwordx2 v[0:1], off, s0
	scratch_load_dwordx2 v[2:3], off, off offset:112
	s_waitcnt vmcnt(1)
	scratch_store_dwordx2 off, v[0:1], off offset:112
	s_waitcnt vmcnt(1)
	scratch_store_dwordx2 off, v[2:3], s0
.LBB125_480:
	v_mov_b32_e32 v0, 0
	global_load_dword v1, v0, s[8:9] offset:52
	s_waitcnt vmcnt(0)
	v_readfirstlane_b32 s0, v1
	s_add_i32 s0, s0, -1
	s_cmp_eq_u32 s0, 13
	s_cbranch_scc1 .LBB125_482
; %bb.481:
	s_lshl_b32 s0, s0, 3
	s_nop 0
	scratch_load_dwordx2 v[2:3], off, s0
	scratch_load_dwordx2 v[4:5], off, off offset:104
	s_waitcnt vmcnt(1)
	scratch_store_dwordx2 off, v[2:3], off offset:104
	s_waitcnt vmcnt(1)
	scratch_store_dwordx2 off, v[4:5], s0
.LBB125_482:
	global_load_dword v0, v0, s[8:9] offset:48
	s_waitcnt vmcnt(0)
	v_readfirstlane_b32 s0, v0
	s_add_i32 s0, s0, -1
	s_cmp_eq_u32 s0, 12
	s_cbranch_scc1 .LBB125_484
; %bb.483:
	s_lshl_b32 s0, s0, 3
	s_nop 0
	scratch_load_dwordx2 v[0:1], off, s0
	scratch_load_dwordx2 v[2:3], off, off offset:96
	s_waitcnt vmcnt(1)
	scratch_store_dwordx2 off, v[0:1], off offset:96
	s_waitcnt vmcnt(1)
	scratch_store_dwordx2 off, v[2:3], s0
.LBB125_484:
	v_mov_b32_e32 v0, 0
	global_load_dword v1, v0, s[8:9] offset:44
	s_waitcnt vmcnt(0)
	v_readfirstlane_b32 s0, v1
	s_add_i32 s0, s0, -1
	s_cmp_eq_u32 s0, 11
	s_cbranch_scc1 .LBB125_486
; %bb.485:
	s_lshl_b32 s0, s0, 3
	s_nop 0
	scratch_load_dwordx2 v[2:3], off, s0
	scratch_load_dwordx2 v[4:5], off, off offset:88
	s_waitcnt vmcnt(1)
	scratch_store_dwordx2 off, v[2:3], off offset:88
	s_waitcnt vmcnt(1)
	scratch_store_dwordx2 off, v[4:5], s0
.LBB125_486:
	global_load_dword v0, v0, s[8:9] offset:40
	s_waitcnt vmcnt(0)
	v_readfirstlane_b32 s0, v0
	s_add_i32 s0, s0, -1
	s_cmp_eq_u32 s0, 10
	s_cbranch_scc1 .LBB125_488
; %bb.487:
	s_lshl_b32 s0, s0, 3
	s_nop 0
	scratch_load_dwordx2 v[0:1], off, s0
	scratch_load_dwordx2 v[2:3], off, off offset:80
	s_waitcnt vmcnt(1)
	scratch_store_dwordx2 off, v[0:1], off offset:80
	s_waitcnt vmcnt(1)
	scratch_store_dwordx2 off, v[2:3], s0
.LBB125_488:
	v_mov_b32_e32 v0, 0
	global_load_dword v1, v0, s[8:9] offset:36
	s_waitcnt vmcnt(0)
	v_readfirstlane_b32 s0, v1
	s_add_i32 s0, s0, -1
	s_cmp_eq_u32 s0, 9
	s_cbranch_scc1 .LBB125_490
; %bb.489:
	s_lshl_b32 s0, s0, 3
	s_nop 0
	scratch_load_dwordx2 v[2:3], off, s0
	scratch_load_dwordx2 v[4:5], off, off offset:72
	s_waitcnt vmcnt(1)
	scratch_store_dwordx2 off, v[2:3], off offset:72
	s_waitcnt vmcnt(1)
	scratch_store_dwordx2 off, v[4:5], s0
.LBB125_490:
	global_load_dword v0, v0, s[8:9] offset:32
	s_waitcnt vmcnt(0)
	v_readfirstlane_b32 s0, v0
	s_add_i32 s0, s0, -1
	s_cmp_eq_u32 s0, 8
	s_cbranch_scc1 .LBB125_492
; %bb.491:
	s_lshl_b32 s0, s0, 3
	s_nop 0
	scratch_load_dwordx2 v[0:1], off, s0
	scratch_load_dwordx2 v[2:3], off, off offset:64
	s_waitcnt vmcnt(1)
	scratch_store_dwordx2 off, v[0:1], off offset:64
	s_waitcnt vmcnt(1)
	scratch_store_dwordx2 off, v[2:3], s0
.LBB125_492:
	v_mov_b32_e32 v0, 0
	global_load_dword v1, v0, s[8:9] offset:28
	s_waitcnt vmcnt(0)
	v_readfirstlane_b32 s0, v1
	s_add_i32 s0, s0, -1
	s_cmp_eq_u32 s0, 7
	s_cbranch_scc1 .LBB125_494
; %bb.493:
	s_lshl_b32 s0, s0, 3
	s_nop 0
	scratch_load_dwordx2 v[2:3], off, s0
	scratch_load_dwordx2 v[4:5], off, off offset:56
	s_waitcnt vmcnt(1)
	scratch_store_dwordx2 off, v[2:3], off offset:56
	s_waitcnt vmcnt(1)
	scratch_store_dwordx2 off, v[4:5], s0
.LBB125_494:
	global_load_dword v0, v0, s[8:9] offset:24
	s_waitcnt vmcnt(0)
	v_readfirstlane_b32 s0, v0
	s_add_i32 s0, s0, -1
	s_cmp_eq_u32 s0, 6
	s_cbranch_scc1 .LBB125_496
; %bb.495:
	s_lshl_b32 s0, s0, 3
	s_nop 0
	scratch_load_dwordx2 v[0:1], off, s0
	scratch_load_dwordx2 v[2:3], off, off offset:48
	s_waitcnt vmcnt(1)
	scratch_store_dwordx2 off, v[0:1], off offset:48
	s_waitcnt vmcnt(1)
	scratch_store_dwordx2 off, v[2:3], s0
.LBB125_496:
	v_mov_b32_e32 v0, 0
	global_load_dword v1, v0, s[8:9] offset:20
	s_waitcnt vmcnt(0)
	v_readfirstlane_b32 s0, v1
	s_add_i32 s0, s0, -1
	s_cmp_eq_u32 s0, 5
	s_cbranch_scc1 .LBB125_498
; %bb.497:
	s_lshl_b32 s0, s0, 3
	s_nop 0
	scratch_load_dwordx2 v[2:3], off, s0
	scratch_load_dwordx2 v[4:5], off, off offset:40
	s_waitcnt vmcnt(1)
	scratch_store_dwordx2 off, v[2:3], off offset:40
	s_waitcnt vmcnt(1)
	scratch_store_dwordx2 off, v[4:5], s0
.LBB125_498:
	global_load_dword v0, v0, s[8:9] offset:16
	s_waitcnt vmcnt(0)
	v_readfirstlane_b32 s0, v0
	s_add_i32 s0, s0, -1
	s_cmp_eq_u32 s0, 4
	s_cbranch_scc1 .LBB125_500
; %bb.499:
	s_lshl_b32 s0, s0, 3
	s_nop 0
	scratch_load_dwordx2 v[0:1], off, s0
	scratch_load_dwordx2 v[2:3], off, off offset:32
	s_waitcnt vmcnt(1)
	scratch_store_dwordx2 off, v[0:1], off offset:32
	s_waitcnt vmcnt(1)
	scratch_store_dwordx2 off, v[2:3], s0
.LBB125_500:
	v_mov_b32_e32 v0, 0
	global_load_dword v1, v0, s[8:9] offset:12
	s_waitcnt vmcnt(0)
	v_readfirstlane_b32 s0, v1
	s_add_i32 s0, s0, -1
	s_cmp_eq_u32 s0, 3
	s_cbranch_scc1 .LBB125_502
; %bb.501:
	s_lshl_b32 s0, s0, 3
	s_nop 0
	scratch_load_dwordx2 v[2:3], off, s0
	scratch_load_dwordx2 v[4:5], off, off offset:24
	s_waitcnt vmcnt(1)
	scratch_store_dwordx2 off, v[2:3], off offset:24
	s_waitcnt vmcnt(1)
	scratch_store_dwordx2 off, v[4:5], s0
.LBB125_502:
	global_load_dword v0, v0, s[8:9] offset:8
	s_waitcnt vmcnt(0)
	v_readfirstlane_b32 s0, v0
	s_add_i32 s0, s0, -1
	s_cmp_eq_u32 s0, 2
	s_cbranch_scc1 .LBB125_504
; %bb.503:
	s_lshl_b32 s0, s0, 3
	s_nop 0
	scratch_load_dwordx2 v[0:1], off, s0
	scratch_load_dwordx2 v[2:3], off, off offset:16
	s_waitcnt vmcnt(1)
	scratch_store_dwordx2 off, v[0:1], off offset:16
	s_waitcnt vmcnt(1)
	scratch_store_dwordx2 off, v[2:3], s0
.LBB125_504:
	v_mov_b32_e32 v0, 0
	global_load_dword v1, v0, s[8:9] offset:4
	s_waitcnt vmcnt(0)
	v_readfirstlane_b32 s0, v1
	s_add_i32 s0, s0, -1
	s_cmp_eq_u32 s0, 1
	s_cbranch_scc1 .LBB125_506
; %bb.505:
	s_lshl_b32 s0, s0, 3
	s_nop 0
	scratch_load_dwordx2 v[2:3], off, s0
	scratch_load_dwordx2 v[4:5], off, off offset:8
	s_waitcnt vmcnt(1)
	scratch_store_dwordx2 off, v[2:3], off offset:8
	s_waitcnt vmcnt(1)
	scratch_store_dwordx2 off, v[4:5], s0
.LBB125_506:
	global_load_dword v2, v0, s[8:9]
	s_nop 0
	scratch_load_dwordx2 v[0:1], off, off
	s_waitcnt vmcnt(1)
	v_readfirstlane_b32 s0, v2
	s_add_i32 s0, s0, -1
	s_cmp_eq_u32 s0, 0
	s_cbranch_scc1 .LBB125_508
; %bb.507:
	s_lshl_b32 s0, s0, 3
	s_nop 0
	scratch_load_dwordx2 v[2:3], off, s0
	s_waitcnt vmcnt(0)
	scratch_store_dwordx2 off, v[2:3], off
	scratch_store_dwordx2 off, v[0:1], s0
	scratch_load_dwordx2 v[0:1], off, off
.LBB125_508:
	s_waitcnt vmcnt(0)
	flat_store_dwordx2 v[150:151], v[0:1]
	scratch_load_dwordx2 v[0:1], off, off offset:8
	v_accvgpr_read_b32 v3, a1
	v_accvgpr_read_b32 v2, a0
	s_waitcnt vmcnt(0)
	flat_store_dwordx2 v[2:3], v[0:1]
	scratch_load_dwordx2 v[0:1], off, off offset:16
	v_accvgpr_read_b32 v2, a2
	v_accvgpr_read_b32 v3, a3
	;; [unrolled: 5-line block ×53, first 2 shown]
	s_waitcnt vmcnt(0)
	flat_store_dwordx2 v[2:3], v[0:1]
	scratch_load_dwordx2 v[0:1], off, off offset:432
	s_waitcnt vmcnt(0)
	flat_store_dwordx2 v[154:155], v[0:1]
	scratch_load_dwordx2 v[0:1], off, off offset:440
	s_waitcnt vmcnt(0)
	flat_store_dwordx2 v[156:157], v[0:1]
	scratch_load_dwordx2 v[0:1], off, off offset:448
	s_waitcnt vmcnt(0)
	flat_store_dwordx2 v[158:159], v[0:1]
	scratch_load_dwordx2 v[0:1], off, off offset:456
	s_waitcnt vmcnt(0)
	flat_store_dwordx2 v[160:161], v[0:1]
	scratch_load_dwordx2 v[0:1], off, off offset:464
	s_waitcnt vmcnt(0)
	flat_store_dwordx2 v[162:163], v[0:1]
	scratch_load_dwordx2 v[0:1], off, off offset:472
	s_waitcnt vmcnt(0)
	flat_store_dwordx2 v[164:165], v[0:1]
	scratch_load_dwordx2 v[0:1], off, off offset:480
	s_waitcnt vmcnt(0)
	flat_store_dwordx2 v[166:167], v[0:1]
	scratch_load_dwordx2 v[0:1], off, off offset:488
	s_waitcnt vmcnt(0)
	flat_store_dwordx2 v[168:169], v[0:1]
	s_endpgm
	.section	.rodata,"a",@progbits
	.p2align	6, 0x0
	.amdhsa_kernel _ZN9rocsolver6v33100L18getri_kernel_smallILi62E19rocblas_complex_numIfEPKPS3_EEvT1_iilPiilS8_bb
		.amdhsa_group_segment_fixed_size 996
		.amdhsa_private_segment_fixed_size 512
		.amdhsa_kernarg_size 60
		.amdhsa_user_sgpr_count 2
		.amdhsa_user_sgpr_dispatch_ptr 0
		.amdhsa_user_sgpr_queue_ptr 0
		.amdhsa_user_sgpr_kernarg_segment_ptr 1
		.amdhsa_user_sgpr_dispatch_id 0
		.amdhsa_user_sgpr_kernarg_preload_length 0
		.amdhsa_user_sgpr_kernarg_preload_offset 0
		.amdhsa_user_sgpr_private_segment_size 0
		.amdhsa_uses_dynamic_stack 0
		.amdhsa_enable_private_segment 1
		.amdhsa_system_sgpr_workgroup_id_x 1
		.amdhsa_system_sgpr_workgroup_id_y 0
		.amdhsa_system_sgpr_workgroup_id_z 0
		.amdhsa_system_sgpr_workgroup_info 0
		.amdhsa_system_vgpr_workitem_id 0
		.amdhsa_next_free_vgpr 362
		.amdhsa_next_free_sgpr 17
		.amdhsa_accum_offset 256
		.amdhsa_reserve_vcc 1
		.amdhsa_float_round_mode_32 0
		.amdhsa_float_round_mode_16_64 0
		.amdhsa_float_denorm_mode_32 3
		.amdhsa_float_denorm_mode_16_64 3
		.amdhsa_dx10_clamp 1
		.amdhsa_ieee_mode 1
		.amdhsa_fp16_overflow 0
		.amdhsa_tg_split 0
		.amdhsa_exception_fp_ieee_invalid_op 0
		.amdhsa_exception_fp_denorm_src 0
		.amdhsa_exception_fp_ieee_div_zero 0
		.amdhsa_exception_fp_ieee_overflow 0
		.amdhsa_exception_fp_ieee_underflow 0
		.amdhsa_exception_fp_ieee_inexact 0
		.amdhsa_exception_int_div_zero 0
	.end_amdhsa_kernel
	.section	.text._ZN9rocsolver6v33100L18getri_kernel_smallILi62E19rocblas_complex_numIfEPKPS3_EEvT1_iilPiilS8_bb,"axG",@progbits,_ZN9rocsolver6v33100L18getri_kernel_smallILi62E19rocblas_complex_numIfEPKPS3_EEvT1_iilPiilS8_bb,comdat
.Lfunc_end125:
	.size	_ZN9rocsolver6v33100L18getri_kernel_smallILi62E19rocblas_complex_numIfEPKPS3_EEvT1_iilPiilS8_bb, .Lfunc_end125-_ZN9rocsolver6v33100L18getri_kernel_smallILi62E19rocblas_complex_numIfEPKPS3_EEvT1_iilPiilS8_bb
                                        ; -- End function
	.set _ZN9rocsolver6v33100L18getri_kernel_smallILi62E19rocblas_complex_numIfEPKPS3_EEvT1_iilPiilS8_bb.num_vgpr, 256
	.set _ZN9rocsolver6v33100L18getri_kernel_smallILi62E19rocblas_complex_numIfEPKPS3_EEvT1_iilPiilS8_bb.num_agpr, 106
	.set _ZN9rocsolver6v33100L18getri_kernel_smallILi62E19rocblas_complex_numIfEPKPS3_EEvT1_iilPiilS8_bb.numbered_sgpr, 17
	.set _ZN9rocsolver6v33100L18getri_kernel_smallILi62E19rocblas_complex_numIfEPKPS3_EEvT1_iilPiilS8_bb.num_named_barrier, 0
	.set _ZN9rocsolver6v33100L18getri_kernel_smallILi62E19rocblas_complex_numIfEPKPS3_EEvT1_iilPiilS8_bb.private_seg_size, 512
	.set _ZN9rocsolver6v33100L18getri_kernel_smallILi62E19rocblas_complex_numIfEPKPS3_EEvT1_iilPiilS8_bb.uses_vcc, 1
	.set _ZN9rocsolver6v33100L18getri_kernel_smallILi62E19rocblas_complex_numIfEPKPS3_EEvT1_iilPiilS8_bb.uses_flat_scratch, 0
	.set _ZN9rocsolver6v33100L18getri_kernel_smallILi62E19rocblas_complex_numIfEPKPS3_EEvT1_iilPiilS8_bb.has_dyn_sized_stack, 0
	.set _ZN9rocsolver6v33100L18getri_kernel_smallILi62E19rocblas_complex_numIfEPKPS3_EEvT1_iilPiilS8_bb.has_recursion, 0
	.set _ZN9rocsolver6v33100L18getri_kernel_smallILi62E19rocblas_complex_numIfEPKPS3_EEvT1_iilPiilS8_bb.has_indirect_call, 0
	.section	.AMDGPU.csdata,"",@progbits
; Kernel info:
; codeLenInByte = 106668
; TotalNumSgprs: 23
; NumVgprs: 256
; NumAgprs: 106
; TotalNumVgprs: 362
; ScratchSize: 512
; MemoryBound: 0
; FloatMode: 240
; IeeeMode: 1
; LDSByteSize: 996 bytes/workgroup (compile time only)
; SGPRBlocks: 2
; VGPRBlocks: 45
; NumSGPRsForWavesPerEU: 23
; NumVGPRsForWavesPerEU: 362
; AccumOffset: 256
; Occupancy: 1
; WaveLimiterHint : 1
; COMPUTE_PGM_RSRC2:SCRATCH_EN: 1
; COMPUTE_PGM_RSRC2:USER_SGPR: 2
; COMPUTE_PGM_RSRC2:TRAP_HANDLER: 0
; COMPUTE_PGM_RSRC2:TGID_X_EN: 1
; COMPUTE_PGM_RSRC2:TGID_Y_EN: 0
; COMPUTE_PGM_RSRC2:TGID_Z_EN: 0
; COMPUTE_PGM_RSRC2:TIDIG_COMP_CNT: 0
; COMPUTE_PGM_RSRC3_GFX90A:ACCUM_OFFSET: 63
; COMPUTE_PGM_RSRC3_GFX90A:TG_SPLIT: 0
	.section	.text._ZN9rocsolver6v33100L18getri_kernel_smallILi63E19rocblas_complex_numIfEPKPS3_EEvT1_iilPiilS8_bb,"axG",@progbits,_ZN9rocsolver6v33100L18getri_kernel_smallILi63E19rocblas_complex_numIfEPKPS3_EEvT1_iilPiilS8_bb,comdat
	.globl	_ZN9rocsolver6v33100L18getri_kernel_smallILi63E19rocblas_complex_numIfEPKPS3_EEvT1_iilPiilS8_bb ; -- Begin function _ZN9rocsolver6v33100L18getri_kernel_smallILi63E19rocblas_complex_numIfEPKPS3_EEvT1_iilPiilS8_bb
	.p2align	8
	.type	_ZN9rocsolver6v33100L18getri_kernel_smallILi63E19rocblas_complex_numIfEPKPS3_EEvT1_iilPiilS8_bb,@function
_ZN9rocsolver6v33100L18getri_kernel_smallILi63E19rocblas_complex_numIfEPKPS3_EEvT1_iilPiilS8_bb: ; @_ZN9rocsolver6v33100L18getri_kernel_smallILi63E19rocblas_complex_numIfEPKPS3_EEvT1_iilPiilS8_bb
; %bb.0:
	v_cmp_gt_u32_e32 vcc, 63, v0
	s_and_saveexec_b64 s[4:5], vcc
	s_cbranch_execz .LBB126_266
; %bb.1:
	s_load_dword s14, s[0:1], 0x38
	s_load_dwordx2 s[8:9], s[0:1], 0x0
	s_load_dwordx4 s[4:7], s[0:1], 0x28
	s_waitcnt lgkmcnt(0)
	s_bitcmp1_b32 s14, 8
	s_cselect_b64 s[10:11], -1, 0
	s_ashr_i32 s3, s2, 31
	s_lshl_b64 s[12:13], s[2:3], 3
	s_add_u32 s8, s8, s12
	s_addc_u32 s9, s9, s13
	s_load_dwordx2 s[12:13], s[8:9], 0x0
	s_bfe_u32 s8, s14, 0x10008
	s_cmp_eq_u32 s8, 0
                                        ; implicit-def: $sgpr8_sgpr9
	s_cbranch_scc1 .LBB126_3
; %bb.2:
	s_load_dword s8, s[0:1], 0x20
	s_load_dwordx2 s[14:15], s[0:1], 0x18
	s_mul_i32 s9, s4, s3
	s_mul_hi_u32 s16, s4, s2
	s_add_i32 s16, s16, s9
	s_mul_i32 s5, s5, s2
	s_add_i32 s5, s16, s5
	s_mul_i32 s4, s4, s2
	s_waitcnt lgkmcnt(0)
	s_ashr_i32 s9, s8, 31
	s_lshl_b64 s[4:5], s[4:5], 2
	s_add_u32 s14, s14, s4
	s_addc_u32 s15, s15, s5
	s_lshl_b64 s[4:5], s[8:9], 2
	s_add_u32 s8, s14, s4
	s_addc_u32 s9, s15, s5
.LBB126_3:
	s_load_dwordx2 s[4:5], s[0:1], 0x8
	s_load_dword s14, s[0:1], 0x38
	v_lshlrev_b32_e32 v2, 3, v0
	v_mov_b32_e32 v3, 0
	s_waitcnt lgkmcnt(0)
	s_ashr_i32 s1, s4, 31
	s_mov_b32 s0, s4
	s_lshl_b64 s[0:1], s[0:1], 3
	s_add_u32 s0, s12, s0
	s_addc_u32 s1, s13, s1
	v_lshl_add_u64 v[150:151], s[0:1], 0, v[2:3]
	flat_load_dwordx2 v[4:5], v[150:151]
	s_mov_b32 s12, s5
	s_ashr_i32 s13, s5, 31
	v_lshl_add_u64 v[6:7], s[12:13], 3, v[150:151]
	v_accvgpr_write_b32 a0, v6
	s_add_i32 s4, s5, s5
	v_accvgpr_write_b32 a1, v7
	s_bitcmp0_b32 s14, 0
	s_waitcnt vmcnt(0) lgkmcnt(0)
	scratch_store_dwordx2 off, v[4:5], off
	flat_load_dwordx2 v[4:5], v[6:7]
	v_add_u32_e32 v6, s4, v0
	v_ashrrev_i32_e32 v7, 31, v6
	v_lshl_add_u64 v[8:9], v[6:7], 3, s[0:1]
	v_add_u32_e32 v6, s5, v6
	v_accvgpr_write_b32 a2, v8
	v_ashrrev_i32_e32 v7, 31, v6
	v_accvgpr_write_b32 a3, v9
	s_waitcnt vmcnt(0) lgkmcnt(0)
	scratch_store_dwordx2 off, v[4:5], off offset:8
	flat_load_dwordx2 v[4:5], v[8:9]
	v_lshl_add_u64 v[8:9], v[6:7], 3, s[0:1]
	v_add_u32_e32 v6, s5, v6
	v_accvgpr_write_b32 a4, v8
	v_ashrrev_i32_e32 v7, 31, v6
	v_accvgpr_write_b32 a5, v9
	s_waitcnt vmcnt(0) lgkmcnt(0)
	scratch_store_dwordx2 off, v[4:5], off offset:16
	flat_load_dwordx2 v[4:5], v[8:9]
	;; [unrolled: 8-line block ×53, first 2 shown]
	v_lshl_add_u64 v[8:9], v[6:7], 3, s[0:1]
	v_add_u32_e32 v6, s5, v6
	v_ashrrev_i32_e32 v7, 31, v6
	v_lshl_add_u64 v[158:159], v[6:7], 3, s[0:1]
	v_add_u32_e32 v6, s5, v6
	v_ashrrev_i32_e32 v7, 31, v6
	;; [unrolled: 3-line block ×7, first 2 shown]
	v_lshl_add_u64 v[170:171], v[6:7], 3, s[0:1]
	v_accvgpr_write_b32 a109, v9
	v_accvgpr_write_b32 a108, v8
	s_mov_b64 s[4:5], -1
	s_waitcnt vmcnt(0) lgkmcnt(0)
	scratch_store_dwordx2 off, v[4:5], off offset:432
	flat_load_dwordx2 v[4:5], v[8:9]
	s_waitcnt vmcnt(0) lgkmcnt(0)
	scratch_store_dwordx2 off, v[4:5], off offset:440
	flat_load_dwordx2 v[4:5], v[158:159]
	;; [unrolled: 3-line block ×8, first 2 shown]
	s_waitcnt vmcnt(0) lgkmcnt(0)
	scratch_store_dwordx2 off, v[4:5], off offset:496
	s_cbranch_scc1 .LBB126_264
; %bb.4:
	v_cmp_eq_u32_e64 s[0:1], 0, v0
	s_and_saveexec_b64 s[4:5], s[0:1]
; %bb.5:
	v_mov_b32_e32 v1, 0
	ds_write_b32 v1, v1 offset:504
; %bb.6:
	s_or_b64 exec, exec, s[4:5]
	s_waitcnt lgkmcnt(0)
	; wave barrier
	scratch_load_dwordx2 v[4:5], v2, off
	s_waitcnt vmcnt(0)
	v_cmp_eq_f32_e32 vcc, 0, v4
	v_cmp_eq_f32_e64 s[4:5], 0, v5
	s_and_b64 s[4:5], vcc, s[4:5]
	s_and_saveexec_b64 s[12:13], s[4:5]
	s_cbranch_execz .LBB126_10
; %bb.7:
	v_mov_b32_e32 v1, 0
	ds_read_b32 v4, v1 offset:504
	v_add_u32_e32 v3, 1, v0
	s_waitcnt lgkmcnt(0)
	v_readfirstlane_b32 s4, v4
	s_cmp_eq_u32 s4, 0
	s_cselect_b64 s[14:15], -1, 0
	v_cmp_gt_i32_e32 vcc, s4, v3
	s_or_b64 s[14:15], s[14:15], vcc
	s_and_b64 exec, exec, s[14:15]
	s_cbranch_execz .LBB126_10
; %bb.8:
	s_mov_b64 s[14:15], 0
	v_mov_b32_e32 v4, s4
.LBB126_9:                              ; =>This Inner Loop Header: Depth=1
	ds_cmpst_rtn_b32 v4, v1, v4, v3 offset:504
	s_waitcnt lgkmcnt(0)
	v_cmp_ne_u32_e32 vcc, 0, v4
	v_cmp_le_i32_e64 s[4:5], v4, v3
	s_and_b64 s[4:5], vcc, s[4:5]
	s_and_b64 s[4:5], exec, s[4:5]
	s_or_b64 s[14:15], s[4:5], s[14:15]
	s_andn2_b64 exec, exec, s[14:15]
	s_cbranch_execnz .LBB126_9
.LBB126_10:
	s_or_b64 exec, exec, s[12:13]
	v_mov_b32_e32 v3, 0
	; wave barrier
	ds_read_b32 v1, v3 offset:504
	s_and_saveexec_b64 s[4:5], s[0:1]
	s_cbranch_execz .LBB126_12
; %bb.11:
	s_lshl_b64 s[12:13], s[2:3], 2
	s_add_u32 s12, s6, s12
	s_addc_u32 s13, s7, s13
	s_waitcnt lgkmcnt(0)
	global_store_dword v3, v1, s[12:13]
.LBB126_12:
	s_or_b64 exec, exec, s[4:5]
	s_waitcnt lgkmcnt(0)
	v_cmp_ne_u32_e32 vcc, 0, v1
	s_mov_b64 s[4:5], 0
	s_cbranch_vccnz .LBB126_264
; %bb.13:
	v_mov_b32_e32 v3, v2
	scratch_load_dwordx2 v[4:5], v3, off
                                        ; implicit-def: $vgpr7
                                        ; implicit-def: $vgpr8
	s_waitcnt vmcnt(0)
	v_cmp_ngt_f32_e64 s[4:5], |v4|, |v5|
	s_and_saveexec_b64 s[12:13], s[4:5]
	s_xor_b64 s[4:5], exec, s[12:13]
	s_cbranch_execz .LBB126_15
; %bb.14:
	v_div_scale_f32 v1, s[12:13], v5, v5, v4
	v_rcp_f32_e32 v6, v1
	v_div_scale_f32 v7, vcc, v4, v5, v4
	v_fma_f32 v8, -v1, v6, 1.0
	v_fmac_f32_e32 v6, v8, v6
	v_mul_f32_e32 v8, v7, v6
	v_fma_f32 v9, -v1, v8, v7
	v_fmac_f32_e32 v8, v9, v6
	v_fma_f32 v1, -v1, v8, v7
	v_div_fmas_f32 v1, v1, v6, v8
	v_div_fixup_f32 v1, v1, v5, v4
	v_fmac_f32_e32 v5, v4, v1
	v_div_scale_f32 v4, s[12:13], v5, v5, -1.0
	v_rcp_f32_e32 v6, v4
	s_nop 0
	v_fma_f32 v7, -v4, v6, 1.0
	v_fmac_f32_e32 v6, v7, v6
	v_div_scale_f32 v7, vcc, -1.0, v5, -1.0
	v_mul_f32_e32 v8, v7, v6
	v_fma_f32 v9, -v4, v8, v7
	v_fmac_f32_e32 v8, v9, v6
	v_fma_f32 v4, -v4, v8, v7
	v_div_fmas_f32 v4, v4, v6, v8
	v_div_fixup_f32 v7, v4, v5, -1.0
	v_mul_f32_e32 v8, v1, v7
	v_xor_b32_e32 v6, 0x80000000, v8
                                        ; implicit-def: $vgpr4_vgpr5
.LBB126_15:
	s_andn2_saveexec_b64 s[4:5], s[4:5]
	s_cbranch_execz .LBB126_17
; %bb.16:
	v_div_scale_f32 v1, s[12:13], v4, v4, v5
	v_rcp_f32_e32 v6, v1
	v_div_scale_f32 v7, vcc, v5, v4, v5
	v_fma_f32 v8, -v1, v6, 1.0
	v_fmac_f32_e32 v6, v8, v6
	v_mul_f32_e32 v8, v7, v6
	v_fma_f32 v9, -v1, v8, v7
	v_fmac_f32_e32 v8, v9, v6
	v_fma_f32 v1, -v1, v8, v7
	v_div_fmas_f32 v1, v1, v6, v8
	v_div_fixup_f32 v1, v1, v4, v5
	v_fmac_f32_e32 v4, v5, v1
	v_div_scale_f32 v5, s[12:13], v4, v4, 1.0
	v_rcp_f32_e32 v6, v5
	s_nop 0
	v_fma_f32 v7, -v5, v6, 1.0
	v_fmac_f32_e32 v6, v7, v6
	v_div_scale_f32 v7, vcc, 1.0, v4, 1.0
	v_mul_f32_e32 v8, v7, v6
	v_fma_f32 v9, -v5, v8, v7
	v_fmac_f32_e32 v8, v9, v6
	v_fma_f32 v5, -v5, v8, v7
	v_div_fmas_f32 v5, v5, v6, v8
	v_div_fixup_f32 v6, v5, v4, 1.0
	v_xor_b32_e32 v8, 0x80000000, v6
	v_mul_f32_e64 v7, v1, -v6
.LBB126_17:
	s_or_b64 exec, exec, s[4:5]
	scratch_store_dwordx2 v3, v[6:7], off
	scratch_load_dwordx2 v[4:5], off, off offset:8
	v_xor_b32_e32 v9, 0x80000000, v7
	v_or_b32_e32 v1, 0x200, v2
	s_waitcnt vmcnt(0)
	ds_write2st64_b64 v2, v[8:9], v[4:5] offset1:1
	s_waitcnt lgkmcnt(0)
	; wave barrier
	s_and_saveexec_b64 s[4:5], s[0:1]
	s_cbranch_execz .LBB126_19
; %bb.18:
	scratch_load_dwordx2 v[4:5], v3, off
	ds_read_b64 v[6:7], v1
	v_mov_b32_e32 v8, 0
	ds_read_b64 v[8:9], v8 offset:8
	s_waitcnt vmcnt(0) lgkmcnt(1)
	v_pk_mul_f32 v[10:11], v[6:7], v[4:5] op_sel:[1,1] op_sel_hi:[0,1]
	v_pk_fma_f32 v[12:13], v[6:7], v[4:5], v[10:11] neg_lo:[0,0,1] neg_hi:[0,0,1]
	v_pk_fma_f32 v[4:5], v[6:7], v[4:5], v[10:11] op_sel_hi:[1,0,1]
	s_nop 0
	v_mov_b32_e32 v13, v5
	v_pk_add_f32 v[4:5], v[12:13], 0 op_sel_hi:[1,0]
	s_waitcnt lgkmcnt(0)
	v_pk_mul_f32 v[6:7], v[4:5], v[8:9] op_sel:[1,1] op_sel_hi:[0,1]
	v_pk_fma_f32 v[10:11], v[4:5], v[8:9], v[6:7] neg_lo:[0,0,1] neg_hi:[0,0,1]
	v_pk_fma_f32 v[4:5], v[4:5], v[8:9], v[6:7] op_sel_hi:[1,0,1]
	s_nop 0
	v_mov_b32_e32 v11, v5
	scratch_store_dwordx2 off, v[10:11], off offset:8
.LBB126_19:
	s_or_b64 exec, exec, s[4:5]
	; wave barrier
	scratch_load_dwordx2 v[4:5], off, off offset:16
	v_cmp_gt_u32_e32 vcc, 2, v0
	s_waitcnt vmcnt(0)
	ds_write_b64 v1, v[4:5]
	s_waitcnt lgkmcnt(0)
	; wave barrier
	s_and_saveexec_b64 s[4:5], vcc
	s_cbranch_execz .LBB126_23
; %bb.20:
	scratch_load_dwordx2 v[4:5], v3, off
	ds_read_b64 v[6:7], v1
	s_waitcnt vmcnt(0) lgkmcnt(0)
	v_pk_mul_f32 v[8:9], v[6:7], v[4:5] op_sel:[1,1] op_sel_hi:[0,1]
	v_pk_fma_f32 v[10:11], v[6:7], v[4:5], v[8:9] neg_lo:[0,0,1] neg_hi:[0,0,1]
	v_pk_fma_f32 v[4:5], v[6:7], v[4:5], v[8:9] op_sel_hi:[1,0,1]
	s_nop 0
	v_mov_b32_e32 v11, v5
	v_pk_add_f32 v[4:5], v[10:11], 0 op_sel_hi:[1,0]
	s_and_saveexec_b64 s[12:13], s[0:1]
	s_cbranch_execz .LBB126_22
; %bb.21:
	scratch_load_dwordx2 v[6:7], off, off offset:8
	v_mov_b32_e32 v3, 0
	ds_read_b64 v[8:9], v3 offset:520
	s_waitcnt vmcnt(0) lgkmcnt(0)
	v_pk_mul_f32 v[10:11], v[8:9], v[6:7] op_sel:[1,1] op_sel_hi:[0,1]
	v_pk_fma_f32 v[12:13], v[8:9], v[6:7], v[10:11] neg_lo:[0,0,1] neg_hi:[0,0,1]
	v_pk_fma_f32 v[6:7], v[8:9], v[6:7], v[10:11] op_sel_hi:[1,0,1]
	s_nop 0
	v_mov_b32_e32 v13, v7
	v_pk_add_f32 v[4:5], v[4:5], v[12:13]
.LBB126_22:
	s_or_b64 exec, exec, s[12:13]
	v_mov_b32_e32 v3, 0
	ds_read_b64 v[6:7], v3 offset:16
	s_waitcnt lgkmcnt(0)
	v_pk_mul_f32 v[8:9], v[4:5], v[6:7] op_sel:[1,1] op_sel_hi:[0,1]
	v_pk_fma_f32 v[10:11], v[4:5], v[6:7], v[8:9] neg_lo:[0,0,1] neg_hi:[0,0,1]
	v_pk_fma_f32 v[4:5], v[4:5], v[6:7], v[8:9] op_sel_hi:[1,0,1]
	s_nop 0
	v_mov_b32_e32 v11, v5
	scratch_store_dwordx2 off, v[10:11], off offset:16
.LBB126_23:
	s_or_b64 exec, exec, s[4:5]
	; wave barrier
	scratch_load_dwordx2 v[4:5], off, off offset:24
	v_cmp_gt_u32_e32 vcc, 3, v0
	v_add_u32_e32 v6, -1, v0
	s_waitcnt vmcnt(0)
	ds_write_b64 v1, v[4:5]
	s_waitcnt lgkmcnt(0)
	; wave barrier
	s_and_saveexec_b64 s[0:1], vcc
	s_cbranch_execz .LBB126_27
; %bb.24:
	v_mov_b32_e32 v4, 0
	v_add_u32_e32 v3, -1, v0
	v_or_b32_e32 v7, 0x200, v2
	v_mov_b32_e32 v8, v2
	s_mov_b64 s[4:5], 0
	v_mov_b32_e32 v5, v4
.LBB126_25:                             ; =>This Inner Loop Header: Depth=1
	scratch_load_dwordx2 v[10:11], v8, off
	ds_read_b64 v[12:13], v7
	v_add_u32_e32 v3, 1, v3
	v_cmp_lt_u32_e32 vcc, 1, v3
	v_add_u32_e32 v7, 8, v7
	v_add_u32_e32 v8, 8, v8
	s_or_b64 s[4:5], vcc, s[4:5]
	s_waitcnt vmcnt(0) lgkmcnt(0)
	v_pk_mul_f32 v[14:15], v[12:13], v[10:11] op_sel:[1,1] op_sel_hi:[0,1]
	v_pk_fma_f32 v[16:17], v[12:13], v[10:11], v[14:15] neg_lo:[0,0,1] neg_hi:[0,0,1]
	v_pk_fma_f32 v[10:11], v[12:13], v[10:11], v[14:15] op_sel_hi:[1,0,1]
	s_nop 0
	v_mov_b32_e32 v17, v11
	v_pk_add_f32 v[4:5], v[4:5], v[16:17]
	s_andn2_b64 exec, exec, s[4:5]
	s_cbranch_execnz .LBB126_25
; %bb.26:
	s_or_b64 exec, exec, s[4:5]
	v_mov_b32_e32 v3, 0
	ds_read_b64 v[8:9], v3 offset:24
	s_waitcnt lgkmcnt(0)
	v_pk_mul_f32 v[10:11], v[4:5], v[8:9] op_sel:[1,1] op_sel_hi:[0,1]
	v_pk_fma_f32 v[12:13], v[4:5], v[8:9], v[10:11] neg_lo:[0,0,1] neg_hi:[0,0,1]
	v_pk_fma_f32 v[4:5], v[4:5], v[8:9], v[10:11] op_sel_hi:[1,0,1]
	s_nop 0
	v_mov_b32_e32 v13, v5
	scratch_store_dwordx2 off, v[12:13], off offset:24
.LBB126_27:
	s_or_b64 exec, exec, s[0:1]
	; wave barrier
	scratch_load_dwordx2 v[4:5], off, off offset:32
	v_cmp_gt_u32_e32 vcc, 4, v0
	s_waitcnt vmcnt(0)
	ds_write_b64 v1, v[4:5]
	s_waitcnt lgkmcnt(0)
	; wave barrier
	s_and_saveexec_b64 s[0:1], vcc
	s_cbranch_execz .LBB126_31
; %bb.28:
	v_mov_b32_e32 v4, 0
	v_add_u32_e32 v3, -1, v0
	v_or_b32_e32 v7, 0x200, v2
	v_mov_b32_e32 v8, v2
	s_mov_b64 s[4:5], 0
	v_mov_b32_e32 v5, v4
.LBB126_29:                             ; =>This Inner Loop Header: Depth=1
	scratch_load_dwordx2 v[10:11], v8, off
	ds_read_b64 v[12:13], v7
	v_add_u32_e32 v3, 1, v3
	v_cmp_lt_u32_e32 vcc, 2, v3
	v_add_u32_e32 v7, 8, v7
	v_add_u32_e32 v8, 8, v8
	s_or_b64 s[4:5], vcc, s[4:5]
	s_waitcnt vmcnt(0) lgkmcnt(0)
	v_pk_mul_f32 v[14:15], v[12:13], v[10:11] op_sel:[1,1] op_sel_hi:[0,1]
	v_pk_fma_f32 v[16:17], v[12:13], v[10:11], v[14:15] neg_lo:[0,0,1] neg_hi:[0,0,1]
	v_pk_fma_f32 v[10:11], v[12:13], v[10:11], v[14:15] op_sel_hi:[1,0,1]
	s_nop 0
	v_mov_b32_e32 v17, v11
	v_pk_add_f32 v[4:5], v[4:5], v[16:17]
	s_andn2_b64 exec, exec, s[4:5]
	s_cbranch_execnz .LBB126_29
; %bb.30:
	s_or_b64 exec, exec, s[4:5]
	v_mov_b32_e32 v3, 0
	ds_read_b64 v[8:9], v3 offset:32
	s_waitcnt lgkmcnt(0)
	v_pk_mul_f32 v[10:11], v[4:5], v[8:9] op_sel:[1,1] op_sel_hi:[0,1]
	v_pk_fma_f32 v[12:13], v[4:5], v[8:9], v[10:11] neg_lo:[0,0,1] neg_hi:[0,0,1]
	v_pk_fma_f32 v[4:5], v[4:5], v[8:9], v[10:11] op_sel_hi:[1,0,1]
	s_nop 0
	v_mov_b32_e32 v13, v5
	scratch_store_dwordx2 off, v[12:13], off offset:32
.LBB126_31:
	s_or_b64 exec, exec, s[0:1]
	; wave barrier
	scratch_load_dwordx2 v[4:5], off, off offset:40
	v_cmp_gt_u32_e32 vcc, 5, v0
	;; [unrolled: 46-line block ×19, first 2 shown]
	s_waitcnt vmcnt(0)
	ds_write_b64 v1, v[4:5]
	s_waitcnt lgkmcnt(0)
	; wave barrier
	s_and_saveexec_b64 s[0:1], vcc
	s_cbranch_execz .LBB126_103
; %bb.100:
	v_mov_b32_e32 v4, 0
	v_add_u32_e32 v3, -1, v0
	v_or_b32_e32 v7, 0x200, v2
	v_mov_b32_e32 v8, v2
	s_mov_b64 s[4:5], 0
	v_mov_b32_e32 v5, v4
.LBB126_101:                            ; =>This Inner Loop Header: Depth=1
	scratch_load_dwordx2 v[10:11], v8, off
	ds_read_b64 v[12:13], v7
	v_add_u32_e32 v3, 1, v3
	v_cmp_lt_u32_e32 vcc, 20, v3
	v_add_u32_e32 v7, 8, v7
	v_add_u32_e32 v8, 8, v8
	s_or_b64 s[4:5], vcc, s[4:5]
	s_waitcnt vmcnt(0) lgkmcnt(0)
	v_pk_mul_f32 v[14:15], v[12:13], v[10:11] op_sel:[1,1] op_sel_hi:[0,1]
	v_pk_fma_f32 v[16:17], v[12:13], v[10:11], v[14:15] neg_lo:[0,0,1] neg_hi:[0,0,1]
	v_pk_fma_f32 v[10:11], v[12:13], v[10:11], v[14:15] op_sel_hi:[1,0,1]
	s_nop 0
	v_mov_b32_e32 v17, v11
	v_pk_add_f32 v[4:5], v[4:5], v[16:17]
	s_andn2_b64 exec, exec, s[4:5]
	s_cbranch_execnz .LBB126_101
; %bb.102:
	s_or_b64 exec, exec, s[4:5]
	v_mov_b32_e32 v3, 0
	ds_read_b64 v[8:9], v3 offset:176
	s_waitcnt lgkmcnt(0)
	v_pk_mul_f32 v[10:11], v[4:5], v[8:9] op_sel:[1,1] op_sel_hi:[0,1]
	v_pk_fma_f32 v[12:13], v[4:5], v[8:9], v[10:11] neg_lo:[0,0,1] neg_hi:[0,0,1]
	v_pk_fma_f32 v[4:5], v[4:5], v[8:9], v[10:11] op_sel_hi:[1,0,1]
	s_nop 0
	v_mov_b32_e32 v13, v5
	scratch_store_dwordx2 off, v[12:13], off offset:176
.LBB126_103:
	s_or_b64 exec, exec, s[0:1]
	; wave barrier
	scratch_load_dwordx2 v[4:5], off, off offset:184
	v_cmp_gt_u32_e32 vcc, 23, v0
	s_waitcnt vmcnt(0)
	ds_write_b64 v1, v[4:5]
	s_waitcnt lgkmcnt(0)
	; wave barrier
	s_and_saveexec_b64 s[0:1], vcc
	s_cbranch_execz .LBB126_107
; %bb.104:
	v_mov_b32_e32 v4, 0
	v_add_u32_e32 v3, -1, v0
	v_or_b32_e32 v7, 0x200, v2
	v_mov_b32_e32 v8, v2
	s_mov_b64 s[4:5], 0
	v_mov_b32_e32 v5, v4
.LBB126_105:                            ; =>This Inner Loop Header: Depth=1
	scratch_load_dwordx2 v[10:11], v8, off
	ds_read_b64 v[12:13], v7
	v_add_u32_e32 v3, 1, v3
	v_cmp_lt_u32_e32 vcc, 21, v3
	v_add_u32_e32 v7, 8, v7
	v_add_u32_e32 v8, 8, v8
	s_or_b64 s[4:5], vcc, s[4:5]
	s_waitcnt vmcnt(0) lgkmcnt(0)
	v_pk_mul_f32 v[14:15], v[12:13], v[10:11] op_sel:[1,1] op_sel_hi:[0,1]
	v_pk_fma_f32 v[16:17], v[12:13], v[10:11], v[14:15] neg_lo:[0,0,1] neg_hi:[0,0,1]
	v_pk_fma_f32 v[10:11], v[12:13], v[10:11], v[14:15] op_sel_hi:[1,0,1]
	s_nop 0
	v_mov_b32_e32 v17, v11
	v_pk_add_f32 v[4:5], v[4:5], v[16:17]
	s_andn2_b64 exec, exec, s[4:5]
	s_cbranch_execnz .LBB126_105
; %bb.106:
	s_or_b64 exec, exec, s[4:5]
	v_mov_b32_e32 v3, 0
	ds_read_b64 v[8:9], v3 offset:184
	s_waitcnt lgkmcnt(0)
	v_pk_mul_f32 v[10:11], v[4:5], v[8:9] op_sel:[1,1] op_sel_hi:[0,1]
	v_pk_fma_f32 v[12:13], v[4:5], v[8:9], v[10:11] neg_lo:[0,0,1] neg_hi:[0,0,1]
	v_pk_fma_f32 v[4:5], v[4:5], v[8:9], v[10:11] op_sel_hi:[1,0,1]
	s_nop 0
	v_mov_b32_e32 v13, v5
	scratch_store_dwordx2 off, v[12:13], off offset:184
.LBB126_107:
	s_or_b64 exec, exec, s[0:1]
	; wave barrier
	scratch_load_dwordx2 v[4:5], off, off offset:192
	v_cmp_gt_u32_e32 vcc, 24, v0
	;; [unrolled: 46-line block ×39, first 2 shown]
	s_waitcnt vmcnt(0)
	ds_write_b64 v1, v[4:5]
	s_waitcnt lgkmcnt(0)
	; wave barrier
	s_and_saveexec_b64 s[0:1], vcc
	s_cbranch_execz .LBB126_259
; %bb.256:
	v_mov_b32_e32 v4, 0
	v_add_u32_e32 v3, -1, v0
	v_or_b32_e32 v7, 0x200, v2
	v_mov_b32_e32 v8, v2
	s_mov_b64 s[4:5], 0
	v_mov_b32_e32 v5, v4
.LBB126_257:                            ; =>This Inner Loop Header: Depth=1
	scratch_load_dwordx2 v[10:11], v8, off
	ds_read_b64 v[12:13], v7
	v_add_u32_e32 v3, 1, v3
	v_cmp_lt_u32_e32 vcc, 59, v3
	v_add_u32_e32 v7, 8, v7
	v_add_u32_e32 v8, 8, v8
	s_or_b64 s[4:5], vcc, s[4:5]
	s_waitcnt vmcnt(0) lgkmcnt(0)
	v_pk_mul_f32 v[14:15], v[12:13], v[10:11] op_sel:[1,1] op_sel_hi:[0,1]
	v_pk_fma_f32 v[16:17], v[12:13], v[10:11], v[14:15] neg_lo:[0,0,1] neg_hi:[0,0,1]
	v_pk_fma_f32 v[10:11], v[12:13], v[10:11], v[14:15] op_sel_hi:[1,0,1]
	s_nop 0
	v_mov_b32_e32 v17, v11
	v_pk_add_f32 v[4:5], v[4:5], v[16:17]
	s_andn2_b64 exec, exec, s[4:5]
	s_cbranch_execnz .LBB126_257
; %bb.258:
	s_or_b64 exec, exec, s[4:5]
	v_mov_b32_e32 v3, 0
	ds_read_b64 v[8:9], v3 offset:488
	s_waitcnt lgkmcnt(0)
	v_pk_mul_f32 v[10:11], v[4:5], v[8:9] op_sel:[1,1] op_sel_hi:[0,1]
	v_pk_fma_f32 v[12:13], v[4:5], v[8:9], v[10:11] neg_lo:[0,0,1] neg_hi:[0,0,1]
	v_pk_fma_f32 v[4:5], v[4:5], v[8:9], v[10:11] op_sel_hi:[1,0,1]
	s_nop 0
	v_mov_b32_e32 v13, v5
	scratch_store_dwordx2 off, v[12:13], off offset:488
.LBB126_259:
	s_or_b64 exec, exec, s[0:1]
	; wave barrier
	scratch_load_dwordx2 v[4:5], off, off offset:496
	v_cmp_ne_u32_e32 vcc, 62, v0
	s_waitcnt vmcnt(0)
	ds_write_b64 v1, v[4:5]
	s_waitcnt lgkmcnt(0)
	; wave barrier
	s_and_saveexec_b64 s[0:1], vcc
	s_cbranch_execz .LBB126_263
; %bb.260:
	v_or_b32_e32 v1, 0x200, v2
	v_mov_b32_e32 v4, v2
	v_mov_b32_e32 v2, 0
	s_mov_b64 s[4:5], 0
	v_mov_b32_e32 v3, v2
.LBB126_261:                            ; =>This Inner Loop Header: Depth=1
	scratch_load_dwordx2 v[8:9], v4, off
	ds_read_b64 v[10:11], v1
	v_add_u32_e32 v6, 1, v6
	v_cmp_lt_u32_e32 vcc, 60, v6
	v_add_u32_e32 v1, 8, v1
	v_add_u32_e32 v4, 8, v4
	s_or_b64 s[4:5], vcc, s[4:5]
	s_waitcnt vmcnt(0) lgkmcnt(0)
	v_pk_mul_f32 v[12:13], v[10:11], v[8:9] op_sel:[1,1] op_sel_hi:[0,1]
	v_pk_fma_f32 v[14:15], v[10:11], v[8:9], v[12:13] neg_lo:[0,0,1] neg_hi:[0,0,1]
	v_pk_fma_f32 v[8:9], v[10:11], v[8:9], v[12:13] op_sel_hi:[1,0,1]
	s_nop 0
	v_mov_b32_e32 v15, v9
	v_pk_add_f32 v[2:3], v[2:3], v[14:15]
	s_andn2_b64 exec, exec, s[4:5]
	s_cbranch_execnz .LBB126_261
; %bb.262:
	s_or_b64 exec, exec, s[4:5]
	v_mov_b32_e32 v1, 0
	ds_read_b64 v[4:5], v1 offset:496
	s_waitcnt lgkmcnt(0)
	v_pk_mul_f32 v[6:7], v[2:3], v[4:5] op_sel:[1,1] op_sel_hi:[0,1]
	v_pk_fma_f32 v[8:9], v[2:3], v[4:5], v[6:7] neg_lo:[0,0,1] neg_hi:[0,0,1]
	v_pk_fma_f32 v[2:3], v[2:3], v[4:5], v[6:7] op_sel_hi:[1,0,1]
	s_nop 0
	v_mov_b32_e32 v9, v3
	scratch_store_dwordx2 off, v[8:9], off offset:496
.LBB126_263:
	s_or_b64 exec, exec, s[0:1]
	s_mov_b64 s[4:5], -1
	; wave barrier
.LBB126_264:
	s_and_b64 vcc, exec, s[4:5]
	s_cbranch_vccz .LBB126_266
; %bb.265:
	s_lshl_b64 s[0:1], s[2:3], 2
	s_add_u32 s0, s6, s0
	s_addc_u32 s1, s7, s1
	v_mov_b32_e32 v1, 0
	global_load_dword v1, v1, s[0:1]
	s_waitcnt vmcnt(0)
	v_cmp_ne_u32_e32 vcc, 0, v1
	s_cbranch_vccz .LBB126_267
.LBB126_266:
	s_endpgm
.LBB126_267:
	v_mov_b32_e32 v1, 0x200
	v_lshl_or_b32 v1, v0, 3, v1
	v_cmp_eq_u32_e32 vcc, 62, v0
	s_and_saveexec_b64 s[0:1], vcc
	s_cbranch_execz .LBB126_269
; %bb.268:
	scratch_load_dwordx2 v[2:3], off, off offset:488
	v_mov_b32_e32 v4, 0
	v_mov_b32_e32 v5, v4
	scratch_store_dwordx2 off, v[4:5], off offset:488
	s_waitcnt vmcnt(1)
	ds_write_b64 v1, v[2:3]
.LBB126_269:
	s_or_b64 exec, exec, s[0:1]
	s_waitcnt lgkmcnt(0)
	; wave barrier
	scratch_load_dwordx2 v[4:5], off, off offset:496
	scratch_load_dwordx2 v[6:7], off, off offset:488
	v_mov_b32_e32 v2, 0
	ds_read_b64 v[8:9], v2 offset:1008
	v_cmp_lt_u32_e32 vcc, 60, v0
	s_waitcnt vmcnt(1) lgkmcnt(0)
	v_pk_mul_f32 v[10:11], v[8:9], v[4:5] op_sel:[1,1] op_sel_hi:[0,1]
	v_pk_fma_f32 v[12:13], v[8:9], v[4:5], v[10:11] neg_lo:[0,0,1] neg_hi:[0,0,1]
	v_pk_fma_f32 v[4:5], v[8:9], v[4:5], v[10:11] op_sel_hi:[1,0,1]
	s_nop 0
	v_mov_b32_e32 v13, v5
	v_pk_add_f32 v[4:5], v[12:13], 0 op_sel_hi:[1,0]
	s_waitcnt vmcnt(0)
	v_pk_add_f32 v[4:5], v[6:7], v[4:5] neg_lo:[0,1] neg_hi:[0,1]
	scratch_store_dwordx2 off, v[4:5], off offset:488
	s_and_saveexec_b64 s[0:1], vcc
	s_cbranch_execz .LBB126_271
; %bb.270:
	scratch_load_dwordx2 v[4:5], off, off offset:480
	v_mov_b32_e32 v3, v2
	scratch_store_dwordx2 off, v[2:3], off offset:480
	s_waitcnt vmcnt(1)
	ds_write_b64 v1, v[4:5]
.LBB126_271:
	s_or_b64 exec, exec, s[0:1]
	s_waitcnt lgkmcnt(0)
	; wave barrier
	scratch_load_dwordx4 v[4:7], off, off offset:488
	scratch_load_dwordx2 v[12:13], off, off offset:480
	ds_read2_b64 v[8:11], v2 offset0:125 offset1:126
	v_cmp_lt_u32_e32 vcc, 59, v0
	s_waitcnt vmcnt(1) lgkmcnt(0)
	v_pk_mul_f32 v[2:3], v[8:9], v[4:5] op_sel:[1,1] op_sel_hi:[0,1]
	v_mov_b32_e32 v14, v7
	v_pk_fma_f32 v[16:17], v[8:9], v[4:5], v[2:3] neg_lo:[0,0,1] neg_hi:[0,0,1]
	v_pk_fma_f32 v[2:3], v[8:9], v[4:5], v[2:3] op_sel_hi:[1,0,1]
	v_pk_mul_f32 v[4:5], v[10:11], v[14:15] op_sel:[1,0] op_sel_hi:[0,0]
	v_mov_b32_e32 v17, v3
	v_pk_fma_f32 v[2:3], v[10:11], v[6:7], v[4:5] neg_lo:[0,0,1] neg_hi:[0,0,1]
	v_pk_fma_f32 v[4:5], v[10:11], v[6:7], v[4:5] op_sel_hi:[1,0,1]
	v_pk_add_f32 v[6:7], v[16:17], 0 op_sel_hi:[1,0]
	v_mov_b32_e32 v3, v5
	v_pk_add_f32 v[2:3], v[6:7], v[2:3]
	s_waitcnt vmcnt(0)
	v_pk_add_f32 v[2:3], v[12:13], v[2:3] neg_lo:[0,1] neg_hi:[0,1]
	scratch_store_dwordx2 off, v[2:3], off offset:480
	s_and_saveexec_b64 s[0:1], vcc
	s_cbranch_execz .LBB126_273
; %bb.272:
	scratch_load_dwordx2 v[2:3], off, off offset:472
	v_mov_b32_e32 v4, 0
	v_mov_b32_e32 v5, v4
	scratch_store_dwordx2 off, v[4:5], off offset:472
	s_waitcnt vmcnt(1)
	ds_write_b64 v1, v[2:3]
.LBB126_273:
	s_or_b64 exec, exec, s[0:1]
	s_waitcnt lgkmcnt(0)
	; wave barrier
	scratch_load_dwordx4 v[4:7], off, off offset:480
	scratch_load_dwordx2 v[12:13], off, off offset:496
	scratch_load_dwordx2 v[14:15], off, off offset:472
	v_mov_b32_e32 v2, 0
	ds_read_b128 v[8:11], v2 offset:992
	ds_read_b64 v[16:17], v2 offset:1008
	v_cmp_lt_u32_e32 vcc, 58, v0
	s_waitcnt vmcnt(2) lgkmcnt(1)
	v_pk_mul_f32 v[18:19], v[8:9], v[4:5] op_sel:[1,1] op_sel_hi:[0,1]
	v_mov_b32_e32 v20, v7
	v_pk_fma_f32 v[24:25], v[8:9], v[4:5], v[18:19] neg_lo:[0,0,1] neg_hi:[0,0,1]
	v_pk_fma_f32 v[4:5], v[8:9], v[4:5], v[18:19] op_sel_hi:[1,0,1]
	v_pk_mul_f32 v[8:9], v[10:11], v[20:21] op_sel:[1,0] op_sel_hi:[0,0]
	s_waitcnt vmcnt(1) lgkmcnt(0)
	v_pk_mul_f32 v[22:23], v[16:17], v[12:13] op_sel:[1,1] op_sel_hi:[0,1]
	v_mov_b32_e32 v25, v5
	v_pk_fma_f32 v[4:5], v[10:11], v[6:7], v[8:9] neg_lo:[0,0,1] neg_hi:[0,0,1]
	v_pk_fma_f32 v[6:7], v[10:11], v[6:7], v[8:9] op_sel_hi:[1,0,1]
	v_pk_fma_f32 v[18:19], v[16:17], v[12:13], v[22:23] neg_lo:[0,0,1] neg_hi:[0,0,1]
	v_pk_fma_f32 v[12:13], v[16:17], v[12:13], v[22:23] op_sel_hi:[1,0,1]
	v_pk_add_f32 v[8:9], v[24:25], 0 op_sel_hi:[1,0]
	v_mov_b32_e32 v5, v7
	v_mov_b32_e32 v19, v13
	v_pk_add_f32 v[4:5], v[8:9], v[4:5]
	s_nop 0
	v_pk_add_f32 v[4:5], v[4:5], v[18:19]
	s_waitcnt vmcnt(0)
	v_pk_add_f32 v[4:5], v[14:15], v[4:5] neg_lo:[0,1] neg_hi:[0,1]
	scratch_store_dwordx2 off, v[4:5], off offset:472
	s_and_saveexec_b64 s[0:1], vcc
	s_cbranch_execz .LBB126_275
; %bb.274:
	scratch_load_dwordx2 v[4:5], off, off offset:464
	v_mov_b32_e32 v3, v2
	scratch_store_dwordx2 off, v[2:3], off offset:464
	s_waitcnt vmcnt(1)
	ds_write_b64 v1, v[4:5]
.LBB126_275:
	s_or_b64 exec, exec, s[0:1]
	s_waitcnt lgkmcnt(0)
	; wave barrier
	scratch_load_dwordx4 v[4:7], off, off offset:472
	scratch_load_dwordx4 v[8:11], off, off offset:488
	scratch_load_dwordx2 v[20:21], off, off offset:464
	ds_read2_b64 v[12:15], v2 offset0:123 offset1:124
	ds_read2_b64 v[16:19], v2 offset0:125 offset1:126
	v_cmp_lt_u32_e32 vcc, 57, v0
	s_waitcnt vmcnt(2) lgkmcnt(1)
	v_pk_mul_f32 v[2:3], v[12:13], v[4:5] op_sel:[1,1] op_sel_hi:[0,1]
	v_mov_b32_e32 v22, v7
	s_waitcnt vmcnt(1) lgkmcnt(0)
	v_pk_mul_f32 v[24:25], v[16:17], v[8:9] op_sel:[1,1] op_sel_hi:[0,1]
	v_mov_b32_e32 v26, v11
	v_pk_fma_f32 v[28:29], v[12:13], v[4:5], v[2:3] neg_lo:[0,0,1] neg_hi:[0,0,1]
	v_pk_fma_f32 v[2:3], v[12:13], v[4:5], v[2:3] op_sel_hi:[1,0,1]
	v_pk_mul_f32 v[4:5], v[14:15], v[22:23] op_sel:[1,0] op_sel_hi:[0,0]
	v_pk_fma_f32 v[12:13], v[16:17], v[8:9], v[24:25] neg_lo:[0,0,1] neg_hi:[0,0,1]
	v_pk_fma_f32 v[8:9], v[16:17], v[8:9], v[24:25] op_sel_hi:[1,0,1]
	v_pk_mul_f32 v[16:17], v[18:19], v[26:27] op_sel:[1,0] op_sel_hi:[0,0]
	v_mov_b32_e32 v29, v3
	v_pk_fma_f32 v[2:3], v[14:15], v[6:7], v[4:5] neg_lo:[0,0,1] neg_hi:[0,0,1]
	v_pk_fma_f32 v[4:5], v[14:15], v[6:7], v[4:5] op_sel_hi:[1,0,1]
	v_mov_b32_e32 v13, v9
	v_pk_fma_f32 v[6:7], v[18:19], v[10:11], v[16:17] neg_lo:[0,0,1] neg_hi:[0,0,1]
	v_pk_fma_f32 v[8:9], v[18:19], v[10:11], v[16:17] op_sel_hi:[1,0,1]
	v_pk_add_f32 v[10:11], v[28:29], 0 op_sel_hi:[1,0]
	v_mov_b32_e32 v3, v5
	v_pk_add_f32 v[2:3], v[10:11], v[2:3]
	v_mov_b32_e32 v7, v9
	v_pk_add_f32 v[2:3], v[2:3], v[12:13]
	s_nop 0
	v_pk_add_f32 v[2:3], v[2:3], v[6:7]
	s_waitcnt vmcnt(0)
	v_pk_add_f32 v[2:3], v[20:21], v[2:3] neg_lo:[0,1] neg_hi:[0,1]
	scratch_store_dwordx2 off, v[2:3], off offset:464
	s_and_saveexec_b64 s[0:1], vcc
	s_cbranch_execz .LBB126_277
; %bb.276:
	scratch_load_dwordx2 v[2:3], off, off offset:456
	v_mov_b32_e32 v4, 0
	v_mov_b32_e32 v5, v4
	scratch_store_dwordx2 off, v[4:5], off offset:456
	s_waitcnt vmcnt(1)
	ds_write_b64 v1, v[2:3]
.LBB126_277:
	s_or_b64 exec, exec, s[0:1]
	s_waitcnt lgkmcnt(0)
	; wave barrier
	scratch_load_dwordx4 v[4:7], off, off offset:464
	scratch_load_dwordx4 v[8:11], off, off offset:480
	scratch_load_dwordx2 v[20:21], off, off offset:496
	scratch_load_dwordx2 v[22:23], off, off offset:456
	v_mov_b32_e32 v2, 0
	ds_read_b128 v[12:15], v2 offset:976
	ds_read_b128 v[16:19], v2 offset:992
	ds_read_b64 v[24:25], v2 offset:1008
	v_cmp_lt_u32_e32 vcc, 56, v0
	s_waitcnt vmcnt(3) lgkmcnt(2)
	v_pk_mul_f32 v[26:27], v[12:13], v[4:5] op_sel:[1,1] op_sel_hi:[0,1]
	v_mov_b32_e32 v28, v7
	v_pk_fma_f32 v[36:37], v[12:13], v[4:5], v[26:27] neg_lo:[0,0,1] neg_hi:[0,0,1]
	v_pk_fma_f32 v[4:5], v[12:13], v[4:5], v[26:27] op_sel_hi:[1,0,1]
	v_pk_mul_f32 v[12:13], v[14:15], v[28:29] op_sel:[1,0] op_sel_hi:[0,0]
	s_waitcnt vmcnt(2) lgkmcnt(1)
	v_pk_mul_f32 v[30:31], v[16:17], v[8:9] op_sel:[1,1] op_sel_hi:[0,1]
	v_mov_b32_e32 v32, v11
	v_mov_b32_e32 v37, v5
	v_pk_fma_f32 v[4:5], v[14:15], v[6:7], v[12:13] neg_lo:[0,0,1] neg_hi:[0,0,1]
	v_pk_fma_f32 v[6:7], v[14:15], v[6:7], v[12:13] op_sel_hi:[1,0,1]
	v_pk_fma_f32 v[26:27], v[16:17], v[8:9], v[30:31] neg_lo:[0,0,1] neg_hi:[0,0,1]
	v_pk_fma_f32 v[8:9], v[16:17], v[8:9], v[30:31] op_sel_hi:[1,0,1]
	v_pk_mul_f32 v[16:17], v[18:19], v[32:33] op_sel:[1,0] op_sel_hi:[0,0]
	v_pk_add_f32 v[12:13], v[36:37], 0 op_sel_hi:[1,0]
	v_mov_b32_e32 v5, v7
	s_waitcnt vmcnt(1) lgkmcnt(0)
	v_pk_mul_f32 v[34:35], v[24:25], v[20:21] op_sel:[1,1] op_sel_hi:[0,1]
	v_mov_b32_e32 v27, v9
	v_pk_fma_f32 v[8:9], v[18:19], v[10:11], v[16:17] neg_lo:[0,0,1] neg_hi:[0,0,1]
	v_pk_fma_f32 v[10:11], v[18:19], v[10:11], v[16:17] op_sel_hi:[1,0,1]
	v_pk_add_f32 v[4:5], v[12:13], v[4:5]
	v_pk_fma_f32 v[28:29], v[24:25], v[20:21], v[34:35] neg_lo:[0,0,1] neg_hi:[0,0,1]
	v_pk_fma_f32 v[20:21], v[24:25], v[20:21], v[34:35] op_sel_hi:[1,0,1]
	v_mov_b32_e32 v9, v11
	v_pk_add_f32 v[4:5], v[4:5], v[26:27]
	v_mov_b32_e32 v29, v21
	v_pk_add_f32 v[4:5], v[4:5], v[8:9]
	s_nop 0
	v_pk_add_f32 v[4:5], v[4:5], v[28:29]
	s_waitcnt vmcnt(0)
	v_pk_add_f32 v[4:5], v[22:23], v[4:5] neg_lo:[0,1] neg_hi:[0,1]
	scratch_store_dwordx2 off, v[4:5], off offset:456
	s_and_saveexec_b64 s[0:1], vcc
	s_cbranch_execz .LBB126_279
; %bb.278:
	scratch_load_dwordx2 v[4:5], off, off offset:448
	v_mov_b32_e32 v3, v2
	scratch_store_dwordx2 off, v[2:3], off offset:448
	s_waitcnt vmcnt(1)
	ds_write_b64 v1, v[4:5]
.LBB126_279:
	s_or_b64 exec, exec, s[0:1]
	s_waitcnt lgkmcnt(0)
	; wave barrier
	scratch_load_dwordx4 v[4:7], off, off offset:456
	scratch_load_dwordx4 v[8:11], off, off offset:472
	scratch_load_dwordx4 v[12:15], off, off offset:488
	scratch_load_dwordx2 v[28:29], off, off offset:448
	ds_read2_b64 v[16:19], v2 offset0:121 offset1:122
	ds_read2_b64 v[20:23], v2 offset0:123 offset1:124
	;; [unrolled: 1-line block ×3, first 2 shown]
	v_cmp_lt_u32_e32 vcc, 55, v0
	s_waitcnt vmcnt(3) lgkmcnt(2)
	v_pk_mul_f32 v[2:3], v[16:17], v[4:5] op_sel:[1,1] op_sel_hi:[0,1]
	v_mov_b32_e32 v30, v7
	s_waitcnt vmcnt(2) lgkmcnt(1)
	v_pk_mul_f32 v[32:33], v[20:21], v[8:9] op_sel:[1,1] op_sel_hi:[0,1]
	v_mov_b32_e32 v34, v11
	;; [unrolled: 3-line block ×3, first 2 shown]
	v_pk_fma_f32 v[40:41], v[16:17], v[4:5], v[2:3] neg_lo:[0,0,1] neg_hi:[0,0,1]
	v_pk_fma_f32 v[2:3], v[16:17], v[4:5], v[2:3] op_sel_hi:[1,0,1]
	v_pk_mul_f32 v[4:5], v[18:19], v[30:31] op_sel:[1,0] op_sel_hi:[0,0]
	v_pk_fma_f32 v[16:17], v[20:21], v[8:9], v[32:33] neg_lo:[0,0,1] neg_hi:[0,0,1]
	v_pk_fma_f32 v[8:9], v[20:21], v[8:9], v[32:33] op_sel_hi:[1,0,1]
	v_pk_mul_f32 v[20:21], v[22:23], v[34:35] op_sel:[1,0] op_sel_hi:[0,0]
	v_pk_fma_f32 v[30:31], v[24:25], v[12:13], v[36:37] neg_lo:[0,0,1] neg_hi:[0,0,1]
	v_pk_fma_f32 v[12:13], v[24:25], v[12:13], v[36:37] op_sel_hi:[1,0,1]
	v_pk_mul_f32 v[24:25], v[26:27], v[38:39] op_sel:[1,0] op_sel_hi:[0,0]
	v_mov_b32_e32 v41, v3
	v_pk_fma_f32 v[2:3], v[18:19], v[6:7], v[4:5] neg_lo:[0,0,1] neg_hi:[0,0,1]
	v_pk_fma_f32 v[4:5], v[18:19], v[6:7], v[4:5] op_sel_hi:[1,0,1]
	v_mov_b32_e32 v17, v9
	v_pk_fma_f32 v[6:7], v[22:23], v[10:11], v[20:21] neg_lo:[0,0,1] neg_hi:[0,0,1]
	v_pk_fma_f32 v[8:9], v[22:23], v[10:11], v[20:21] op_sel_hi:[1,0,1]
	;; [unrolled: 3-line block ×3, first 2 shown]
	v_pk_add_f32 v[14:15], v[40:41], 0 op_sel_hi:[1,0]
	v_mov_b32_e32 v3, v5
	v_pk_add_f32 v[2:3], v[14:15], v[2:3]
	v_mov_b32_e32 v7, v9
	v_pk_add_f32 v[2:3], v[2:3], v[16:17]
	;; [unrolled: 2-line block ×3, first 2 shown]
	s_nop 0
	v_pk_add_f32 v[2:3], v[2:3], v[30:31]
	s_nop 0
	v_pk_add_f32 v[2:3], v[2:3], v[10:11]
	s_waitcnt vmcnt(0)
	v_pk_add_f32 v[2:3], v[28:29], v[2:3] neg_lo:[0,1] neg_hi:[0,1]
	scratch_store_dwordx2 off, v[2:3], off offset:448
	s_and_saveexec_b64 s[0:1], vcc
	s_cbranch_execz .LBB126_281
; %bb.280:
	scratch_load_dwordx2 v[2:3], off, off offset:440
	v_mov_b32_e32 v4, 0
	v_mov_b32_e32 v5, v4
	scratch_store_dwordx2 off, v[4:5], off offset:440
	s_waitcnt vmcnt(1)
	ds_write_b64 v1, v[2:3]
.LBB126_281:
	s_or_b64 exec, exec, s[0:1]
	s_waitcnt lgkmcnt(0)
	; wave barrier
	scratch_load_dwordx4 v[4:7], off, off offset:448
	scratch_load_dwordx4 v[8:11], off, off offset:464
	;; [unrolled: 1-line block ×3, first 2 shown]
	scratch_load_dwordx2 v[28:29], off, off offset:496
	v_mov_b32_e32 v2, 0
	ds_read_b128 v[16:19], v2 offset:960
	ds_read_b128 v[20:23], v2 offset:976
	;; [unrolled: 1-line block ×3, first 2 shown]
	ds_read_b64 v[30:31], v2 offset:1008
	v_cmp_lt_u32_e32 vcc, 54, v0
	s_waitcnt vmcnt(3) lgkmcnt(3)
	v_pk_mul_f32 v[32:33], v[16:17], v[4:5] op_sel:[1,1] op_sel_hi:[0,1]
	v_pk_fma_f32 v[34:35], v[16:17], v[4:5], v[32:33] neg_lo:[0,0,1] neg_hi:[0,0,1]
	v_pk_fma_f32 v[4:5], v[16:17], v[4:5], v[32:33] op_sel_hi:[1,0,1]
	v_mov_b32_e32 v16, v7
	v_pk_mul_f32 v[16:17], v[18:19], v[16:17] op_sel:[1,0] op_sel_hi:[0,0]
	v_pk_fma_f32 v[32:33], v[18:19], v[6:7], v[16:17] neg_lo:[0,0,1] neg_hi:[0,0,1]
	v_pk_fma_f32 v[6:7], v[18:19], v[6:7], v[16:17] op_sel_hi:[1,0,1]
	v_mov_b32_e32 v35, v5
	v_mov_b32_e32 v33, v7
	s_waitcnt vmcnt(2) lgkmcnt(2)
	v_pk_mul_f32 v[6:7], v[20:21], v[8:9] op_sel:[1,1] op_sel_hi:[0,1]
	v_pk_fma_f32 v[16:17], v[20:21], v[8:9], v[6:7] neg_lo:[0,0,1] neg_hi:[0,0,1]
	v_pk_fma_f32 v[6:7], v[20:21], v[8:9], v[6:7] op_sel_hi:[1,0,1]
	v_pk_add_f32 v[4:5], v[34:35], 0 op_sel_hi:[1,0]
	v_mov_b32_e32 v6, v11
	v_mov_b32_e32 v17, v7
	v_pk_mul_f32 v[6:7], v[22:23], v[6:7] op_sel:[1,0] op_sel_hi:[0,0]
	v_pk_add_f32 v[4:5], v[4:5], v[32:33]
	v_pk_fma_f32 v[8:9], v[22:23], v[10:11], v[6:7] neg_lo:[0,0,1] neg_hi:[0,0,1]
	v_pk_fma_f32 v[6:7], v[22:23], v[10:11], v[6:7] op_sel_hi:[1,0,1]
	v_pk_add_f32 v[4:5], v[4:5], v[16:17]
	v_mov_b32_e32 v9, v7
	s_waitcnt vmcnt(1) lgkmcnt(1)
	v_pk_mul_f32 v[6:7], v[24:25], v[12:13] op_sel:[1,1] op_sel_hi:[0,1]
	v_pk_add_f32 v[4:5], v[4:5], v[8:9]
	v_pk_fma_f32 v[8:9], v[24:25], v[12:13], v[6:7] neg_lo:[0,0,1] neg_hi:[0,0,1]
	v_pk_fma_f32 v[6:7], v[24:25], v[12:13], v[6:7] op_sel_hi:[1,0,1]
	s_nop 0
	v_mov_b32_e32 v6, v15
	v_mov_b32_e32 v9, v7
	v_pk_mul_f32 v[6:7], v[26:27], v[6:7] op_sel:[1,0] op_sel_hi:[0,0]
	v_pk_add_f32 v[4:5], v[4:5], v[8:9]
	v_pk_fma_f32 v[8:9], v[26:27], v[14:15], v[6:7] neg_lo:[0,0,1] neg_hi:[0,0,1]
	v_pk_fma_f32 v[6:7], v[26:27], v[14:15], v[6:7] op_sel_hi:[1,0,1]
	s_nop 0
	v_mov_b32_e32 v9, v7
	s_waitcnt vmcnt(0) lgkmcnt(0)
	v_pk_mul_f32 v[6:7], v[30:31], v[28:29] op_sel:[1,1] op_sel_hi:[0,1]
	v_pk_add_f32 v[4:5], v[4:5], v[8:9]
	v_pk_fma_f32 v[8:9], v[30:31], v[28:29], v[6:7] neg_lo:[0,0,1] neg_hi:[0,0,1]
	v_pk_fma_f32 v[6:7], v[30:31], v[28:29], v[6:7] op_sel_hi:[1,0,1]
	s_nop 0
	v_mov_b32_e32 v9, v7
	scratch_load_dwordx2 v[6:7], off, off offset:440
	v_pk_add_f32 v[4:5], v[4:5], v[8:9]
	s_waitcnt vmcnt(0)
	v_pk_add_f32 v[4:5], v[6:7], v[4:5] neg_lo:[0,1] neg_hi:[0,1]
	scratch_store_dwordx2 off, v[4:5], off offset:440
	s_and_saveexec_b64 s[0:1], vcc
	s_cbranch_execz .LBB126_283
; %bb.282:
	scratch_load_dwordx2 v[4:5], off, off offset:432
	v_mov_b32_e32 v3, v2
	scratch_store_dwordx2 off, v[2:3], off offset:432
	s_waitcnt vmcnt(1)
	ds_write_b64 v1, v[4:5]
.LBB126_283:
	s_or_b64 exec, exec, s[0:1]
	s_waitcnt lgkmcnt(0)
	; wave barrier
	scratch_load_dwordx4 v[4:7], off, off offset:440
	scratch_load_dwordx4 v[8:11], off, off offset:456
	scratch_load_dwordx4 v[12:15], off, off offset:472
	scratch_load_dwordx4 v[16:19], off, off offset:488
	ds_read2_b64 v[20:23], v2 offset0:119 offset1:120
	ds_read2_b64 v[24:27], v2 offset0:121 offset1:122
	;; [unrolled: 1-line block ×4, first 2 shown]
	v_cmp_lt_u32_e32 vcc, 53, v0
	s_waitcnt vmcnt(3) lgkmcnt(3)
	v_pk_mul_f32 v[2:3], v[20:21], v[4:5] op_sel:[1,1] op_sel_hi:[0,1]
	v_pk_fma_f32 v[36:37], v[20:21], v[4:5], v[2:3] neg_lo:[0,0,1] neg_hi:[0,0,1]
	v_pk_fma_f32 v[2:3], v[20:21], v[4:5], v[2:3] op_sel_hi:[1,0,1]
	v_mov_b32_e32 v4, v7
	v_pk_mul_f32 v[4:5], v[22:23], v[4:5] op_sel:[1,0] op_sel_hi:[0,0]
	v_pk_fma_f32 v[20:21], v[22:23], v[6:7], v[4:5] neg_lo:[0,0,1] neg_hi:[0,0,1]
	v_pk_fma_f32 v[4:5], v[22:23], v[6:7], v[4:5] op_sel_hi:[1,0,1]
	v_mov_b32_e32 v37, v3
	v_mov_b32_e32 v21, v5
	s_waitcnt vmcnt(2) lgkmcnt(2)
	v_pk_mul_f32 v[4:5], v[24:25], v[8:9] op_sel:[1,1] op_sel_hi:[0,1]
	v_pk_fma_f32 v[6:7], v[24:25], v[8:9], v[4:5] neg_lo:[0,0,1] neg_hi:[0,0,1]
	v_pk_fma_f32 v[4:5], v[24:25], v[8:9], v[4:5] op_sel_hi:[1,0,1]
	v_pk_add_f32 v[2:3], v[36:37], 0 op_sel_hi:[1,0]
	v_mov_b32_e32 v4, v11
	v_pk_add_f32 v[2:3], v[2:3], v[20:21]
	v_mov_b32_e32 v7, v5
	v_pk_mul_f32 v[4:5], v[26:27], v[4:5] op_sel:[1,0] op_sel_hi:[0,0]
	v_pk_add_f32 v[2:3], v[2:3], v[6:7]
	v_pk_fma_f32 v[6:7], v[26:27], v[10:11], v[4:5] neg_lo:[0,0,1] neg_hi:[0,0,1]
	v_pk_fma_f32 v[4:5], v[26:27], v[10:11], v[4:5] op_sel_hi:[1,0,1]
	s_nop 0
	v_mov_b32_e32 v7, v5
	s_waitcnt vmcnt(1) lgkmcnt(1)
	v_pk_mul_f32 v[4:5], v[28:29], v[12:13] op_sel:[1,1] op_sel_hi:[0,1]
	v_pk_add_f32 v[2:3], v[2:3], v[6:7]
	v_pk_fma_f32 v[6:7], v[28:29], v[12:13], v[4:5] neg_lo:[0,0,1] neg_hi:[0,0,1]
	v_pk_fma_f32 v[4:5], v[28:29], v[12:13], v[4:5] op_sel_hi:[1,0,1]
	s_nop 0
	v_mov_b32_e32 v4, v15
	v_mov_b32_e32 v7, v5
	v_pk_mul_f32 v[4:5], v[30:31], v[4:5] op_sel:[1,0] op_sel_hi:[0,0]
	v_pk_add_f32 v[2:3], v[2:3], v[6:7]
	v_pk_fma_f32 v[6:7], v[30:31], v[14:15], v[4:5] neg_lo:[0,0,1] neg_hi:[0,0,1]
	v_pk_fma_f32 v[4:5], v[30:31], v[14:15], v[4:5] op_sel_hi:[1,0,1]
	s_nop 0
	v_mov_b32_e32 v7, v5
	s_waitcnt vmcnt(0) lgkmcnt(0)
	v_pk_mul_f32 v[4:5], v[32:33], v[16:17] op_sel:[1,1] op_sel_hi:[0,1]
	v_pk_add_f32 v[2:3], v[2:3], v[6:7]
	v_pk_fma_f32 v[6:7], v[32:33], v[16:17], v[4:5] neg_lo:[0,0,1] neg_hi:[0,0,1]
	v_pk_fma_f32 v[4:5], v[32:33], v[16:17], v[4:5] op_sel_hi:[1,0,1]
	s_nop 0
	v_mov_b32_e32 v4, v19
	v_mov_b32_e32 v7, v5
	v_pk_mul_f32 v[4:5], v[34:35], v[4:5] op_sel:[1,0] op_sel_hi:[0,0]
	v_pk_add_f32 v[2:3], v[2:3], v[6:7]
	v_pk_fma_f32 v[6:7], v[34:35], v[18:19], v[4:5] neg_lo:[0,0,1] neg_hi:[0,0,1]
	v_pk_fma_f32 v[4:5], v[34:35], v[18:19], v[4:5] op_sel_hi:[1,0,1]
	s_nop 0
	v_mov_b32_e32 v7, v5
	scratch_load_dwordx2 v[4:5], off, off offset:432
	v_pk_add_f32 v[2:3], v[2:3], v[6:7]
	s_waitcnt vmcnt(0)
	v_pk_add_f32 v[2:3], v[4:5], v[2:3] neg_lo:[0,1] neg_hi:[0,1]
	scratch_store_dwordx2 off, v[2:3], off offset:432
	s_and_saveexec_b64 s[0:1], vcc
	s_cbranch_execz .LBB126_285
; %bb.284:
	scratch_load_dwordx2 v[2:3], off, off offset:424
	v_mov_b32_e32 v4, 0
	v_mov_b32_e32 v5, v4
	scratch_store_dwordx2 off, v[4:5], off offset:424
	s_waitcnt vmcnt(1)
	ds_write_b64 v1, v[2:3]
.LBB126_285:
	s_or_b64 exec, exec, s[0:1]
	v_mov_b32_e32 v2, 0
	s_waitcnt lgkmcnt(0)
	; wave barrier
	ds_read_b128 v[4:7], v2 offset:944
	ds_read_b128 v[8:11], v2 offset:960
	;; [unrolled: 1-line block ×4, first 2 shown]
	scratch_load_dwordx4 v[20:23], off, off offset:432
	scratch_load_dwordx4 v[24:27], off, off offset:448
	;; [unrolled: 1-line block ×4, first 2 shown]
	scratch_load_dwordx2 v[38:39], off, off offset:496
	v_cmp_lt_u32_e32 vcc, 52, v0
	s_waitcnt vmcnt(4) lgkmcnt(3)
	v_mul_f32_e32 v37, v4, v21
	v_mul_f32_e32 v3, v5, v21
	v_fmac_f32_e32 v37, v5, v20
	v_fma_f32 v36, v4, v20, -v3
	v_pk_add_f32 v[20:21], v[36:37], 0 op_sel_hi:[1,0]
	v_mov_b32_e32 v36, v23
	v_pk_mul_f32 v[36:37], v[6:7], v[36:37] op_sel:[1,0] op_sel_hi:[0,0]
	v_pk_fma_f32 v[40:41], v[6:7], v[22:23], v[36:37] neg_lo:[0,0,1] neg_hi:[0,0,1]
	v_pk_fma_f32 v[6:7], v[6:7], v[22:23], v[36:37] op_sel_hi:[1,0,1]
	ds_read_b64 v[4:5], v2 offset:1008
	v_mov_b32_e32 v41, v7
	v_pk_add_f32 v[6:7], v[20:21], v[40:41]
	s_waitcnt vmcnt(3) lgkmcnt(3)
	v_pk_mul_f32 v[20:21], v[8:9], v[24:25] op_sel:[1,1] op_sel_hi:[0,1]
	v_pk_fma_f32 v[22:23], v[8:9], v[24:25], v[20:21] neg_lo:[0,0,1] neg_hi:[0,0,1]
	v_pk_fma_f32 v[8:9], v[8:9], v[24:25], v[20:21] op_sel_hi:[1,0,1]
	s_nop 0
	v_mov_b32_e32 v8, v27
	v_mov_b32_e32 v23, v9
	v_pk_mul_f32 v[8:9], v[10:11], v[8:9] op_sel:[1,0] op_sel_hi:[0,0]
	v_pk_fma_f32 v[20:21], v[10:11], v[26:27], v[8:9] neg_lo:[0,0,1] neg_hi:[0,0,1]
	v_pk_fma_f32 v[8:9], v[10:11], v[26:27], v[8:9] op_sel_hi:[1,0,1]
	v_pk_add_f32 v[6:7], v[6:7], v[22:23]
	v_mov_b32_e32 v21, v9
	s_waitcnt vmcnt(2) lgkmcnt(2)
	v_pk_mul_f32 v[8:9], v[12:13], v[28:29] op_sel:[1,1] op_sel_hi:[0,1]
	v_pk_fma_f32 v[10:11], v[12:13], v[28:29], v[8:9] neg_lo:[0,0,1] neg_hi:[0,0,1]
	v_pk_fma_f32 v[8:9], v[12:13], v[28:29], v[8:9] op_sel_hi:[1,0,1]
	v_pk_add_f32 v[6:7], v[6:7], v[20:21]
	v_mov_b32_e32 v8, v31
	v_mov_b32_e32 v11, v9
	v_pk_mul_f32 v[8:9], v[14:15], v[8:9] op_sel:[1,0] op_sel_hi:[0,0]
	v_pk_add_f32 v[6:7], v[6:7], v[10:11]
	v_pk_fma_f32 v[10:11], v[14:15], v[30:31], v[8:9] neg_lo:[0,0,1] neg_hi:[0,0,1]
	v_pk_fma_f32 v[8:9], v[14:15], v[30:31], v[8:9] op_sel_hi:[1,0,1]
	s_nop 0
	v_mov_b32_e32 v11, v9
	s_waitcnt vmcnt(1) lgkmcnt(1)
	v_pk_mul_f32 v[8:9], v[16:17], v[32:33] op_sel:[1,1] op_sel_hi:[0,1]
	v_pk_add_f32 v[6:7], v[6:7], v[10:11]
	v_pk_fma_f32 v[10:11], v[16:17], v[32:33], v[8:9] neg_lo:[0,0,1] neg_hi:[0,0,1]
	v_pk_fma_f32 v[8:9], v[16:17], v[32:33], v[8:9] op_sel_hi:[1,0,1]
	s_nop 0
	v_mov_b32_e32 v8, v35
	v_mov_b32_e32 v11, v9
	v_pk_mul_f32 v[8:9], v[18:19], v[8:9] op_sel:[1,0] op_sel_hi:[0,0]
	v_pk_add_f32 v[6:7], v[6:7], v[10:11]
	v_pk_fma_f32 v[10:11], v[18:19], v[34:35], v[8:9] neg_lo:[0,0,1] neg_hi:[0,0,1]
	v_pk_fma_f32 v[8:9], v[18:19], v[34:35], v[8:9] op_sel_hi:[1,0,1]
	s_nop 0
	v_mov_b32_e32 v11, v9
	s_waitcnt vmcnt(0) lgkmcnt(0)
	v_pk_mul_f32 v[8:9], v[4:5], v[38:39] op_sel:[1,1] op_sel_hi:[0,1]
	v_pk_add_f32 v[6:7], v[6:7], v[10:11]
	v_pk_fma_f32 v[10:11], v[4:5], v[38:39], v[8:9] neg_lo:[0,0,1] neg_hi:[0,0,1]
	v_pk_fma_f32 v[4:5], v[4:5], v[38:39], v[8:9] op_sel_hi:[1,0,1]
	s_nop 0
	v_mov_b32_e32 v11, v5
	v_pk_add_f32 v[4:5], v[6:7], v[10:11]
	scratch_load_dwordx2 v[6:7], off, off offset:424
	s_waitcnt vmcnt(0)
	v_pk_add_f32 v[4:5], v[6:7], v[4:5] neg_lo:[0,1] neg_hi:[0,1]
	scratch_store_dwordx2 off, v[4:5], off offset:424
	s_and_saveexec_b64 s[0:1], vcc
	s_cbranch_execz .LBB126_287
; %bb.286:
	scratch_load_dwordx2 v[4:5], off, off offset:416
	v_mov_b32_e32 v3, v2
	scratch_store_dwordx2 off, v[2:3], off offset:416
	s_waitcnt vmcnt(1)
	ds_write_b64 v1, v[4:5]
.LBB126_287:
	s_or_b64 exec, exec, s[0:1]
	s_waitcnt lgkmcnt(0)
	; wave barrier
	scratch_load_dwordx4 v[8:11], off, off offset:424
	ds_read2_b64 v[4:7], v2 offset0:117 offset1:118
	scratch_load_dwordx4 v[12:15], off, off offset:440
	scratch_load_dwordx4 v[16:19], off, off offset:456
	;; [unrolled: 1-line block ×4, first 2 shown]
	v_cmp_lt_u32_e32 vcc, 51, v0
	s_waitcnt vmcnt(4) lgkmcnt(0)
	v_mul_f32_e32 v3, v5, v9
	v_mul_f32_e32 v37, v4, v9
	v_mul_f32_e32 v39, v6, v11
	v_fma_f32 v36, v4, v8, -v3
	v_mul_f32_e32 v3, v7, v11
	v_fmac_f32_e32 v37, v5, v8
	v_fmac_f32_e32 v39, v7, v10
	v_fma_f32 v38, v6, v10, -v3
	ds_read2_b64 v[4:7], v2 offset0:119 offset1:120
	ds_read2_b64 v[8:11], v2 offset0:121 offset1:122
	ds_read2_b64 v[28:31], v2 offset0:123 offset1:124
	ds_read2_b64 v[32:35], v2 offset0:125 offset1:126
	v_pk_add_f32 v[2:3], v[36:37], 0 op_sel_hi:[1,0]
	s_waitcnt vmcnt(3) lgkmcnt(3)
	v_pk_mul_f32 v[36:37], v[4:5], v[12:13] op_sel:[1,1] op_sel_hi:[0,1]
	v_pk_add_f32 v[2:3], v[2:3], v[38:39]
	v_pk_fma_f32 v[38:39], v[4:5], v[12:13], v[36:37] neg_lo:[0,0,1] neg_hi:[0,0,1]
	v_pk_fma_f32 v[4:5], v[4:5], v[12:13], v[36:37] op_sel_hi:[1,0,1]
	s_nop 0
	v_mov_b32_e32 v4, v15
	v_mov_b32_e32 v39, v5
	v_pk_mul_f32 v[4:5], v[6:7], v[4:5] op_sel:[1,0] op_sel_hi:[0,0]
	v_pk_fma_f32 v[12:13], v[6:7], v[14:15], v[4:5] neg_lo:[0,0,1] neg_hi:[0,0,1]
	v_pk_fma_f32 v[4:5], v[6:7], v[14:15], v[4:5] op_sel_hi:[1,0,1]
	v_pk_add_f32 v[2:3], v[2:3], v[38:39]
	v_mov_b32_e32 v13, v5
	s_waitcnt vmcnt(2) lgkmcnt(2)
	v_pk_mul_f32 v[4:5], v[8:9], v[16:17] op_sel:[1,1] op_sel_hi:[0,1]
	v_pk_fma_f32 v[6:7], v[8:9], v[16:17], v[4:5] neg_lo:[0,0,1] neg_hi:[0,0,1]
	v_pk_fma_f32 v[4:5], v[8:9], v[16:17], v[4:5] op_sel_hi:[1,0,1]
	v_pk_add_f32 v[2:3], v[2:3], v[12:13]
	v_mov_b32_e32 v4, v19
	v_mov_b32_e32 v7, v5
	v_pk_mul_f32 v[4:5], v[10:11], v[4:5] op_sel:[1,0] op_sel_hi:[0,0]
	v_pk_add_f32 v[2:3], v[2:3], v[6:7]
	v_pk_fma_f32 v[6:7], v[10:11], v[18:19], v[4:5] neg_lo:[0,0,1] neg_hi:[0,0,1]
	v_pk_fma_f32 v[4:5], v[10:11], v[18:19], v[4:5] op_sel_hi:[1,0,1]
	s_nop 0
	v_mov_b32_e32 v7, v5
	s_waitcnt vmcnt(1) lgkmcnt(1)
	v_pk_mul_f32 v[4:5], v[28:29], v[20:21] op_sel:[1,1] op_sel_hi:[0,1]
	v_pk_add_f32 v[2:3], v[2:3], v[6:7]
	v_pk_fma_f32 v[6:7], v[28:29], v[20:21], v[4:5] neg_lo:[0,0,1] neg_hi:[0,0,1]
	v_pk_fma_f32 v[4:5], v[28:29], v[20:21], v[4:5] op_sel_hi:[1,0,1]
	s_nop 0
	v_mov_b32_e32 v4, v23
	v_mov_b32_e32 v7, v5
	v_pk_mul_f32 v[4:5], v[30:31], v[4:5] op_sel:[1,0] op_sel_hi:[0,0]
	v_pk_add_f32 v[2:3], v[2:3], v[6:7]
	v_pk_fma_f32 v[6:7], v[30:31], v[22:23], v[4:5] neg_lo:[0,0,1] neg_hi:[0,0,1]
	v_pk_fma_f32 v[4:5], v[30:31], v[22:23], v[4:5] op_sel_hi:[1,0,1]
	s_nop 0
	v_mov_b32_e32 v7, v5
	s_waitcnt vmcnt(0) lgkmcnt(0)
	v_pk_mul_f32 v[4:5], v[32:33], v[24:25] op_sel:[1,1] op_sel_hi:[0,1]
	v_pk_add_f32 v[2:3], v[2:3], v[6:7]
	v_pk_fma_f32 v[6:7], v[32:33], v[24:25], v[4:5] neg_lo:[0,0,1] neg_hi:[0,0,1]
	v_pk_fma_f32 v[4:5], v[32:33], v[24:25], v[4:5] op_sel_hi:[1,0,1]
	s_nop 0
	v_mov_b32_e32 v4, v27
	v_mov_b32_e32 v7, v5
	v_pk_mul_f32 v[4:5], v[34:35], v[4:5] op_sel:[1,0] op_sel_hi:[0,0]
	v_pk_add_f32 v[2:3], v[2:3], v[6:7]
	v_pk_fma_f32 v[6:7], v[34:35], v[26:27], v[4:5] neg_lo:[0,0,1] neg_hi:[0,0,1]
	v_pk_fma_f32 v[4:5], v[34:35], v[26:27], v[4:5] op_sel_hi:[1,0,1]
	s_nop 0
	v_mov_b32_e32 v7, v5
	scratch_load_dwordx2 v[4:5], off, off offset:416
	v_pk_add_f32 v[2:3], v[2:3], v[6:7]
	s_waitcnt vmcnt(0)
	v_pk_add_f32 v[2:3], v[4:5], v[2:3] neg_lo:[0,1] neg_hi:[0,1]
	scratch_store_dwordx2 off, v[2:3], off offset:416
	s_and_saveexec_b64 s[0:1], vcc
	s_cbranch_execz .LBB126_289
; %bb.288:
	scratch_load_dwordx2 v[2:3], off, off offset:408
	v_mov_b32_e32 v4, 0
	v_mov_b32_e32 v5, v4
	scratch_store_dwordx2 off, v[4:5], off offset:408
	s_waitcnt vmcnt(1)
	ds_write_b64 v1, v[2:3]
.LBB126_289:
	s_or_b64 exec, exec, s[0:1]
	s_waitcnt lgkmcnt(0)
	; wave barrier
	scratch_load_dwordx4 v[4:7], off, off offset:416
	scratch_load_dwordx4 v[8:11], off, off offset:432
	;; [unrolled: 1-line block ×5, first 2 shown]
	scratch_load_dwordx2 v[44:45], off, off offset:496
	scratch_load_dwordx2 v[46:47], off, off offset:408
	v_mov_b32_e32 v2, 0
	ds_read_b128 v[24:27], v2 offset:928
	ds_read_b128 v[28:31], v2 offset:944
	;; [unrolled: 1-line block ×5, first 2 shown]
	ds_read_b64 v[48:49], v2 offset:1008
	v_cmp_lt_u32_e32 vcc, 50, v0
	s_waitcnt vmcnt(6) lgkmcnt(5)
	v_mul_f32_e32 v3, v24, v5
	v_mul_f32_e32 v5, v25, v5
	;; [unrolled: 1-line block ×3, first 2 shown]
	s_waitcnt vmcnt(5) lgkmcnt(4)
	v_mul_f32_e32 v53, v28, v9
	v_mul_f32_e32 v7, v27, v7
	;; [unrolled: 1-line block ×3, first 2 shown]
	v_mov_b32_e32 v54, v11
	s_waitcnt vmcnt(3) lgkmcnt(2)
	v_pk_mul_f32 v[60:61], v[36:37], v[16:17] op_sel:[1,1] op_sel_hi:[0,1]
	s_waitcnt vmcnt(2) lgkmcnt(1)
	v_pk_mul_f32 v[64:65], v[40:41], v[20:21] op_sel:[1,1] op_sel_hi:[0,1]
	;; [unrolled: 2-line block ×3, first 2 shown]
	v_fmac_f32_e32 v3, v25, v4
	v_fma_f32 v55, v24, v4, -v5
	v_fmac_f32_e32 v51, v27, v6
	v_fmac_f32_e32 v53, v29, v8
	v_fma_f32 v50, v26, v6, -v7
	v_fma_f32 v52, v28, v8, -v9
	v_pk_mul_f32 v[4:5], v[30:31], v[54:55] op_sel:[1,0] op_sel_hi:[0,0]
	v_pk_fma_f32 v[24:25], v[36:37], v[16:17], v[60:61] neg_lo:[0,0,1] neg_hi:[0,0,1]
	v_pk_fma_f32 v[16:17], v[36:37], v[16:17], v[60:61] op_sel_hi:[1,0,1]
	v_pk_fma_f32 v[28:29], v[40:41], v[20:21], v[64:65] neg_lo:[0,0,1] neg_hi:[0,0,1]
	v_pk_fma_f32 v[20:21], v[40:41], v[20:21], v[64:65] op_sel_hi:[1,0,1]
	;; [unrolled: 2-line block ×3, first 2 shown]
	v_add_f32_e32 v45, 0, v3
	v_add_f32_e32 v44, 0, v55
	v_pk_mul_f32 v[56:57], v[32:33], v[12:13] op_sel:[1,1] op_sel_hi:[0,1]
	v_mov_b32_e32 v58, v15
	v_pk_fma_f32 v[48:49], v[30:31], v[10:11], v[4:5] neg_lo:[0,0,1] neg_hi:[0,0,1]
	v_pk_fma_f32 v[4:5], v[30:31], v[10:11], v[4:5] op_sel_hi:[1,0,1]
	v_mov_b32_e32 v29, v21
	v_pk_add_f32 v[20:21], v[44:45], v[50:51]
	v_pk_fma_f32 v[6:7], v[32:33], v[12:13], v[56:57] neg_lo:[0,0,1] neg_hi:[0,0,1]
	v_pk_fma_f32 v[8:9], v[32:33], v[12:13], v[56:57] op_sel_hi:[1,0,1]
	v_pk_mul_f32 v[12:13], v[34:35], v[58:59] op_sel:[1,0] op_sel_hi:[0,0]
	v_mov_b32_e32 v49, v5
	v_pk_add_f32 v[4:5], v[20:21], v[52:53]
	v_mov_b32_e32 v62, v19
	v_mov_b32_e32 v7, v9
	v_pk_fma_f32 v[8:9], v[34:35], v[14:15], v[12:13] neg_lo:[0,0,1] neg_hi:[0,0,1]
	v_pk_fma_f32 v[10:11], v[34:35], v[14:15], v[12:13] op_sel_hi:[1,0,1]
	v_pk_add_f32 v[4:5], v[4:5], v[48:49]
	v_pk_mul_f32 v[26:27], v[38:39], v[62:63] op_sel:[1,0] op_sel_hi:[0,0]
	v_mov_b32_e32 v9, v11
	v_pk_add_f32 v[4:5], v[4:5], v[6:7]
	v_mov_b32_e32 v66, v23
	v_mov_b32_e32 v25, v17
	v_pk_fma_f32 v[12:13], v[38:39], v[18:19], v[26:27] neg_lo:[0,0,1] neg_hi:[0,0,1]
	v_pk_fma_f32 v[14:15], v[38:39], v[18:19], v[26:27] op_sel_hi:[1,0,1]
	v_pk_add_f32 v[4:5], v[4:5], v[8:9]
	v_pk_mul_f32 v[32:33], v[42:43], v[66:67] op_sel:[1,0] op_sel_hi:[0,0]
	v_mov_b32_e32 v13, v15
	v_pk_add_f32 v[4:5], v[4:5], v[24:25]
	v_pk_fma_f32 v[16:17], v[42:43], v[22:23], v[32:33] neg_lo:[0,0,1] neg_hi:[0,0,1]
	v_pk_fma_f32 v[18:19], v[42:43], v[22:23], v[32:33] op_sel_hi:[1,0,1]
	v_pk_add_f32 v[4:5], v[4:5], v[12:13]
	v_mov_b32_e32 v17, v19
	v_pk_add_f32 v[4:5], v[4:5], v[28:29]
	v_mov_b32_e32 v37, v41
	v_pk_add_f32 v[4:5], v[4:5], v[16:17]
	s_nop 0
	v_pk_add_f32 v[4:5], v[4:5], v[36:37]
	s_waitcnt vmcnt(0)
	v_pk_add_f32 v[4:5], v[46:47], v[4:5] neg_lo:[0,1] neg_hi:[0,1]
	scratch_store_dwordx2 off, v[4:5], off offset:408
	s_and_saveexec_b64 s[0:1], vcc
	s_cbranch_execz .LBB126_291
; %bb.290:
	scratch_load_dwordx2 v[4:5], off, off offset:400
	v_mov_b32_e32 v3, v2
	scratch_store_dwordx2 off, v[2:3], off offset:400
	s_waitcnt vmcnt(1)
	ds_write_b64 v1, v[4:5]
.LBB126_291:
	s_or_b64 exec, exec, s[0:1]
	s_waitcnt lgkmcnt(0)
	; wave barrier
	scratch_load_dwordx4 v[4:7], off, off offset:408
	scratch_load_dwordx4 v[8:11], off, off offset:424
	;; [unrolled: 1-line block ×6, first 2 shown]
	scratch_load_dwordx2 v[52:53], off, off offset:400
	ds_read2_b64 v[28:31], v2 offset0:115 offset1:116
	ds_read2_b64 v[32:35], v2 offset0:117 offset1:118
	;; [unrolled: 1-line block ×6, first 2 shown]
	v_cmp_lt_u32_e32 vcc, 49, v0
	s_waitcnt vmcnt(6) lgkmcnt(5)
	v_mul_f32_e32 v59, v28, v5
	v_mul_f32_e32 v63, v30, v7
	s_waitcnt vmcnt(5) lgkmcnt(4)
	v_mul_f32_e32 v3, v32, v9
	v_mul_f32_e32 v2, v29, v5
	;; [unrolled: 1-line block ×4, first 2 shown]
	s_waitcnt vmcnt(1) lgkmcnt(0)
	v_pk_mul_f32 v[68:69], v[48:49], v[24:25] op_sel:[1,1] op_sel_hi:[0,1]
	v_pk_mul_f32 v[56:57], v[36:37], v[12:13] op_sel:[1,1] op_sel_hi:[0,1]
	v_fmac_f32_e32 v59, v29, v4
	v_fmac_f32_e32 v3, v33, v8
	v_fma_f32 v67, v28, v4, -v2
	v_fma_f32 v2, v32, v8, -v7
	v_pk_fma_f32 v[32:33], v[48:49], v[24:25], v[68:69] neg_lo:[0,0,1] neg_hi:[0,0,1]
	v_pk_fma_f32 v[24:25], v[48:49], v[24:25], v[68:69] op_sel_hi:[1,0,1]
	v_fmac_f32_e32 v63, v31, v6
	v_fma_f32 v71, v30, v6, -v5
	v_pk_fma_f32 v[4:5], v[36:37], v[12:13], v[56:57] neg_lo:[0,0,1] neg_hi:[0,0,1]
	v_pk_fma_f32 v[6:7], v[36:37], v[12:13], v[56:57] op_sel_hi:[1,0,1]
	v_add_f32_e32 v24, 0, v59
	v_add_f32_e32 v36, 0, v67
	v_mul_f32_e32 v55, v34, v11
	v_mul_f32_e32 v9, v35, v11
	v_mov_b32_e32 v58, v15
	v_mov_b32_e32 v33, v25
	v_add_f32_e32 v25, v24, v63
	v_add_f32_e32 v24, v36, v71
	v_fmac_f32_e32 v55, v35, v10
	v_fma_f32 v54, v34, v10, -v9
	v_pk_mul_f32 v[8:9], v[38:39], v[58:59] op_sel:[1,0] op_sel_hi:[0,0]
	v_pk_add_f32 v[2:3], v[24:25], v[2:3]
	v_pk_mul_f32 v[60:61], v[40:41], v[16:17] op_sel:[1,1] op_sel_hi:[0,1]
	v_mov_b32_e32 v62, v19
	v_mov_b32_e32 v5, v7
	v_pk_fma_f32 v[6:7], v[38:39], v[14:15], v[8:9] neg_lo:[0,0,1] neg_hi:[0,0,1]
	v_pk_fma_f32 v[8:9], v[38:39], v[14:15], v[8:9] op_sel_hi:[1,0,1]
	v_pk_add_f32 v[2:3], v[2:3], v[54:55]
	v_pk_fma_f32 v[10:11], v[40:41], v[16:17], v[60:61] neg_lo:[0,0,1] neg_hi:[0,0,1]
	v_pk_fma_f32 v[12:13], v[40:41], v[16:17], v[60:61] op_sel_hi:[1,0,1]
	v_pk_mul_f32 v[16:17], v[42:43], v[62:63] op_sel:[1,0] op_sel_hi:[0,0]
	v_mov_b32_e32 v7, v9
	v_pk_add_f32 v[2:3], v[2:3], v[4:5]
	v_pk_mul_f32 v[64:65], v[44:45], v[20:21] op_sel:[1,1] op_sel_hi:[0,1]
	v_mov_b32_e32 v66, v23
	v_mov_b32_e32 v11, v13
	v_pk_fma_f32 v[12:13], v[42:43], v[18:19], v[16:17] neg_lo:[0,0,1] neg_hi:[0,0,1]
	v_pk_fma_f32 v[14:15], v[42:43], v[18:19], v[16:17] op_sel_hi:[1,0,1]
	v_pk_add_f32 v[2:3], v[2:3], v[6:7]
	v_pk_fma_f32 v[28:29], v[44:45], v[20:21], v[64:65] neg_lo:[0,0,1] neg_hi:[0,0,1]
	v_pk_fma_f32 v[20:21], v[44:45], v[20:21], v[64:65] op_sel_hi:[1,0,1]
	v_pk_mul_f32 v[30:31], v[46:47], v[66:67] op_sel:[1,0] op_sel_hi:[0,0]
	v_mov_b32_e32 v13, v15
	v_pk_add_f32 v[2:3], v[2:3], v[10:11]
	v_mov_b32_e32 v70, v27
	v_mov_b32_e32 v29, v21
	v_pk_fma_f32 v[16:17], v[46:47], v[22:23], v[30:31] neg_lo:[0,0,1] neg_hi:[0,0,1]
	v_pk_fma_f32 v[18:19], v[46:47], v[22:23], v[30:31] op_sel_hi:[1,0,1]
	v_pk_add_f32 v[2:3], v[2:3], v[12:13]
	v_pk_mul_f32 v[34:35], v[50:51], v[70:71] op_sel:[1,0] op_sel_hi:[0,0]
	v_mov_b32_e32 v17, v19
	v_pk_add_f32 v[2:3], v[2:3], v[28:29]
	v_pk_fma_f32 v[20:21], v[50:51], v[26:27], v[34:35] neg_lo:[0,0,1] neg_hi:[0,0,1]
	v_pk_fma_f32 v[22:23], v[50:51], v[26:27], v[34:35] op_sel_hi:[1,0,1]
	v_pk_add_f32 v[2:3], v[2:3], v[16:17]
	v_mov_b32_e32 v21, v23
	v_pk_add_f32 v[2:3], v[2:3], v[32:33]
	s_nop 0
	v_pk_add_f32 v[2:3], v[2:3], v[20:21]
	s_waitcnt vmcnt(0)
	v_pk_add_f32 v[2:3], v[52:53], v[2:3] neg_lo:[0,1] neg_hi:[0,1]
	scratch_store_dwordx2 off, v[2:3], off offset:400
	s_and_saveexec_b64 s[0:1], vcc
	s_cbranch_execz .LBB126_293
; %bb.292:
	scratch_load_dwordx2 v[2:3], off, off offset:392
	v_mov_b32_e32 v4, 0
	v_mov_b32_e32 v5, v4
	scratch_store_dwordx2 off, v[4:5], off offset:392
	s_waitcnt vmcnt(1)
	ds_write_b64 v1, v[2:3]
.LBB126_293:
	s_or_b64 exec, exec, s[0:1]
	s_waitcnt lgkmcnt(0)
	; wave barrier
	scratch_load_dwordx4 v[4:7], off, off offset:400
	scratch_load_dwordx4 v[8:11], off, off offset:416
	;; [unrolled: 1-line block ×6, first 2 shown]
	scratch_load_dwordx2 v[52:53], off, off offset:496
	scratch_load_dwordx2 v[54:55], off, off offset:392
	v_mov_b32_e32 v2, 0
	ds_read_b128 v[28:31], v2 offset:912
	ds_read_b128 v[32:35], v2 offset:928
	;; [unrolled: 1-line block ×6, first 2 shown]
	ds_read_b64 v[56:57], v2 offset:1008
	v_cmp_lt_u32_e32 vcc, 48, v0
	s_waitcnt vmcnt(7) lgkmcnt(6)
	v_mul_f32_e32 v63, v30, v7
	v_mul_f32_e32 v3, v28, v5
	s_waitcnt vmcnt(5) lgkmcnt(4)
	v_mul_f32_e32 v61, v36, v13
	v_mul_f32_e32 v5, v29, v5
	v_mov_b32_e32 v62, v15
	s_waitcnt vmcnt(2) lgkmcnt(1)
	v_pk_mul_f32 v[72:73], v[48:49], v[24:25] op_sel:[1,1] op_sel_hi:[0,1]
	v_fmac_f32_e32 v63, v31, v6
	v_mul_f32_e32 v7, v31, v7
	v_mul_f32_e32 v13, v37, v13
	v_fmac_f32_e32 v3, v29, v4
	v_fmac_f32_e32 v61, v37, v12
	v_fma_f32 v37, v28, v4, -v5
	v_pk_mul_f32 v[4:5], v[38:39], v[62:63] op_sel:[1,0] op_sel_hi:[0,0]
	v_pk_fma_f32 v[28:29], v[48:49], v[24:25], v[72:73] neg_lo:[0,0,1] neg_hi:[0,0,1]
	v_pk_fma_f32 v[24:25], v[48:49], v[24:25], v[72:73] op_sel_hi:[1,0,1]
	v_mul_f32_e32 v67, v32, v9
	v_mul_f32_e32 v9, v33, v9
	v_fma_f32 v71, v30, v6, -v7
	v_fma_f32 v60, v36, v12, -v13
	v_add_f32_e32 v3, 0, v3
	v_add_f32_e32 v24, 0, v37
	v_pk_fma_f32 v[36:37], v[38:39], v[14:15], v[4:5] neg_lo:[0,0,1] neg_hi:[0,0,1]
	v_pk_fma_f32 v[4:5], v[38:39], v[14:15], v[4:5] op_sel_hi:[1,0,1]
	v_mul_f32_e32 v59, v34, v11
	v_mul_f32_e32 v11, v35, v11
	v_fmac_f32_e32 v67, v33, v8
	v_fma_f32 v75, v32, v8, -v9
	v_add_f32_e32 v3, v3, v63
	v_add_f32_e32 v4, v24, v71
	v_fmac_f32_e32 v59, v35, v10
	v_fma_f32 v58, v34, v10, -v11
	v_mov_b32_e32 v37, v5
	v_add_f32_e32 v5, v3, v67
	v_add_f32_e32 v4, v4, v75
	v_pk_mul_f32 v[64:65], v[40:41], v[16:17] op_sel:[1,1] op_sel_hi:[0,1]
	v_mov_b32_e32 v66, v19
	v_pk_add_f32 v[4:5], v[4:5], v[58:59]
	v_pk_fma_f32 v[6:7], v[40:41], v[16:17], v[64:65] neg_lo:[0,0,1] neg_hi:[0,0,1]
	v_pk_fma_f32 v[8:9], v[40:41], v[16:17], v[64:65] op_sel_hi:[1,0,1]
	v_pk_mul_f32 v[10:11], v[42:43], v[66:67] op_sel:[1,0] op_sel_hi:[0,0]
	v_pk_add_f32 v[4:5], v[4:5], v[60:61]
	v_pk_mul_f32 v[68:69], v[44:45], v[20:21] op_sel:[1,1] op_sel_hi:[0,1]
	v_mov_b32_e32 v70, v23
	v_mov_b32_e32 v7, v9
	v_pk_fma_f32 v[8:9], v[42:43], v[18:19], v[10:11] neg_lo:[0,0,1] neg_hi:[0,0,1]
	v_pk_fma_f32 v[10:11], v[42:43], v[18:19], v[10:11] op_sel_hi:[1,0,1]
	v_pk_add_f32 v[4:5], v[4:5], v[36:37]
	v_pk_fma_f32 v[12:13], v[44:45], v[20:21], v[68:69] neg_lo:[0,0,1] neg_hi:[0,0,1]
	v_pk_fma_f32 v[16:17], v[44:45], v[20:21], v[68:69] op_sel_hi:[1,0,1]
	v_pk_mul_f32 v[20:21], v[46:47], v[70:71] op_sel:[1,0] op_sel_hi:[0,0]
	v_mov_b32_e32 v9, v11
	v_pk_add_f32 v[4:5], v[4:5], v[6:7]
	v_mov_b32_e32 v74, v27
	v_mov_b32_e32 v13, v17
	v_pk_fma_f32 v[14:15], v[46:47], v[22:23], v[20:21] neg_lo:[0,0,1] neg_hi:[0,0,1]
	v_pk_fma_f32 v[16:17], v[46:47], v[22:23], v[20:21] op_sel_hi:[1,0,1]
	v_pk_add_f32 v[4:5], v[4:5], v[8:9]
	v_pk_mul_f32 v[30:31], v[50:51], v[74:75] op_sel:[1,0] op_sel_hi:[0,0]
	v_mov_b32_e32 v15, v17
	v_pk_add_f32 v[4:5], v[4:5], v[12:13]
	s_waitcnt vmcnt(1) lgkmcnt(0)
	v_pk_mul_f32 v[76:77], v[56:57], v[52:53] op_sel:[1,1] op_sel_hi:[0,1]
	v_mov_b32_e32 v29, v25
	v_pk_fma_f32 v[18:19], v[50:51], v[26:27], v[30:31] neg_lo:[0,0,1] neg_hi:[0,0,1]
	v_pk_fma_f32 v[20:21], v[50:51], v[26:27], v[30:31] op_sel_hi:[1,0,1]
	v_pk_add_f32 v[4:5], v[4:5], v[14:15]
	v_pk_fma_f32 v[32:33], v[56:57], v[52:53], v[76:77] neg_lo:[0,0,1] neg_hi:[0,0,1]
	v_pk_fma_f32 v[34:35], v[56:57], v[52:53], v[76:77] op_sel_hi:[1,0,1]
	v_mov_b32_e32 v19, v21
	v_pk_add_f32 v[4:5], v[4:5], v[28:29]
	v_mov_b32_e32 v33, v35
	v_pk_add_f32 v[4:5], v[4:5], v[18:19]
	s_nop 0
	v_pk_add_f32 v[4:5], v[4:5], v[32:33]
	s_waitcnt vmcnt(0)
	v_pk_add_f32 v[4:5], v[54:55], v[4:5] neg_lo:[0,1] neg_hi:[0,1]
	scratch_store_dwordx2 off, v[4:5], off offset:392
	s_and_saveexec_b64 s[0:1], vcc
	s_cbranch_execz .LBB126_295
; %bb.294:
	scratch_load_dwordx2 v[4:5], off, off offset:384
	v_mov_b32_e32 v3, v2
	scratch_store_dwordx2 off, v[2:3], off offset:384
	s_waitcnt vmcnt(1)
	ds_write_b64 v1, v[4:5]
.LBB126_295:
	s_or_b64 exec, exec, s[0:1]
	s_waitcnt lgkmcnt(0)
	; wave barrier
	scratch_load_dwordx4 v[4:7], off, off offset:392
	scratch_load_dwordx4 v[8:11], off, off offset:408
	;; [unrolled: 1-line block ×7, first 2 shown]
	ds_read2_b64 v[32:35], v2 offset0:113 offset1:114
	ds_read2_b64 v[36:39], v2 offset0:115 offset1:116
	;; [unrolled: 1-line block ×6, first 2 shown]
	scratch_load_dwordx2 v[60:61], off, off offset:384
	ds_read2_b64 v[56:59], v2 offset0:125 offset1:126
	v_cmp_lt_u32_e32 vcc, 47, v0
	s_waitcnt vmcnt(7) lgkmcnt(6)
	v_mul_f32_e32 v67, v32, v5
	v_mul_f32_e32 v71, v34, v7
	s_waitcnt vmcnt(6) lgkmcnt(5)
	v_mul_f32_e32 v75, v36, v9
	v_mul_f32_e32 v79, v38, v11
	;; [unrolled: 3-line block ×3, first 2 shown]
	v_mul_f32_e32 v2, v33, v5
	v_mul_f32_e32 v5, v35, v7
	;; [unrolled: 1-line block ×6, first 2 shown]
	s_waitcnt vmcnt(4) lgkmcnt(3)
	v_pk_mul_f32 v[64:65], v[44:45], v[16:17] op_sel:[1,1] op_sel_hi:[0,1]
	v_mov_b32_e32 v66, v19
	s_waitcnt vmcnt(3) lgkmcnt(2)
	v_pk_mul_f32 v[68:69], v[48:49], v[20:21] op_sel:[1,1] op_sel_hi:[0,1]
	v_mov_b32_e32 v70, v23
	s_waitcnt vmcnt(1) lgkmcnt(0)
	v_pk_mul_f32 v[76:77], v[56:57], v[28:29] op_sel:[1,1] op_sel_hi:[0,1]
	v_fmac_f32_e32 v67, v33, v4
	v_fmac_f32_e32 v71, v35, v6
	v_fmac_f32_e32 v75, v37, v8
	v_fmac_f32_e32 v79, v39, v10
	v_fmac_f32_e32 v3, v41, v12
	v_fmac_f32_e32 v63, v43, v14
	v_fma_f32 v37, v32, v4, -v2
	v_fma_f32 v39, v34, v6, -v5
	;; [unrolled: 1-line block ×6, first 2 shown]
	v_pk_fma_f32 v[4:5], v[44:45], v[16:17], v[64:65] neg_lo:[0,0,1] neg_hi:[0,0,1]
	v_pk_fma_f32 v[6:7], v[44:45], v[16:17], v[64:65] op_sel_hi:[1,0,1]
	v_pk_mul_f32 v[8:9], v[46:47], v[66:67] op_sel:[1,0] op_sel_hi:[0,0]
	v_pk_fma_f32 v[10:11], v[48:49], v[20:21], v[68:69] neg_lo:[0,0,1] neg_hi:[0,0,1]
	v_pk_fma_f32 v[12:13], v[48:49], v[20:21], v[68:69] op_sel_hi:[1,0,1]
	v_pk_mul_f32 v[14:15], v[50:51], v[70:71] op_sel:[1,0] op_sel_hi:[0,0]
	v_pk_fma_f32 v[32:33], v[56:57], v[28:29], v[76:77] neg_lo:[0,0,1] neg_hi:[0,0,1]
	v_pk_fma_f32 v[28:29], v[56:57], v[28:29], v[76:77] op_sel_hi:[1,0,1]
	v_add_f32_e32 v37, 0, v37
	v_add_f32_e32 v28, 0, v67
	v_mov_b32_e32 v5, v7
	v_pk_fma_f32 v[6:7], v[46:47], v[18:19], v[8:9] neg_lo:[0,0,1] neg_hi:[0,0,1]
	v_pk_fma_f32 v[8:9], v[46:47], v[18:19], v[8:9] op_sel_hi:[1,0,1]
	v_mov_b32_e32 v11, v13
	v_pk_fma_f32 v[12:13], v[50:51], v[22:23], v[14:15] neg_lo:[0,0,1] neg_hi:[0,0,1]
	v_pk_fma_f32 v[14:15], v[50:51], v[22:23], v[14:15] op_sel_hi:[1,0,1]
	v_add_f32_e32 v8, v28, v71
	v_add_f32_e32 v14, v37, v39
	;; [unrolled: 1-line block ×4, first 2 shown]
	v_mov_b32_e32 v7, v9
	v_add_f32_e32 v9, v8, v79
	v_add_f32_e32 v8, v14, v38
	v_pk_add_f32 v[2:3], v[8:9], v[2:3]
	v_pk_mul_f32 v[72:73], v[52:53], v[24:25] op_sel:[1,1] op_sel_hi:[0,1]
	v_pk_add_f32 v[2:3], v[2:3], v[62:63]
	v_mov_b32_e32 v74, v27
	v_pk_add_f32 v[2:3], v[2:3], v[4:5]
	v_pk_fma_f32 v[16:17], v[52:53], v[24:25], v[72:73] neg_lo:[0,0,1] neg_hi:[0,0,1]
	v_pk_add_f32 v[2:3], v[2:3], v[6:7]
	v_pk_fma_f32 v[20:21], v[52:53], v[24:25], v[72:73] op_sel_hi:[1,0,1]
	v_pk_mul_f32 v[24:25], v[54:55], v[74:75] op_sel:[1,0] op_sel_hi:[0,0]
	v_mov_b32_e32 v13, v15
	v_pk_add_f32 v[2:3], v[2:3], v[10:11]
	v_mov_b32_e32 v78, v31
	v_mov_b32_e32 v17, v21
	v_pk_fma_f32 v[18:19], v[54:55], v[26:27], v[24:25] neg_lo:[0,0,1] neg_hi:[0,0,1]
	v_pk_fma_f32 v[20:21], v[54:55], v[26:27], v[24:25] op_sel_hi:[1,0,1]
	v_pk_add_f32 v[2:3], v[2:3], v[12:13]
	v_pk_mul_f32 v[34:35], v[58:59], v[78:79] op_sel:[1,0] op_sel_hi:[0,0]
	v_mov_b32_e32 v19, v21
	v_pk_add_f32 v[2:3], v[2:3], v[16:17]
	v_mov_b32_e32 v33, v29
	v_pk_fma_f32 v[22:23], v[58:59], v[30:31], v[34:35] neg_lo:[0,0,1] neg_hi:[0,0,1]
	v_pk_fma_f32 v[24:25], v[58:59], v[30:31], v[34:35] op_sel_hi:[1,0,1]
	v_pk_add_f32 v[2:3], v[2:3], v[18:19]
	v_mov_b32_e32 v23, v25
	v_pk_add_f32 v[2:3], v[2:3], v[32:33]
	s_nop 0
	v_pk_add_f32 v[2:3], v[2:3], v[22:23]
	s_waitcnt vmcnt(0)
	v_pk_add_f32 v[2:3], v[60:61], v[2:3] neg_lo:[0,1] neg_hi:[0,1]
	scratch_store_dwordx2 off, v[2:3], off offset:384
	s_and_saveexec_b64 s[0:1], vcc
	s_cbranch_execz .LBB126_297
; %bb.296:
	scratch_load_dwordx2 v[2:3], off, off offset:376
	v_mov_b32_e32 v4, 0
	v_mov_b32_e32 v5, v4
	scratch_store_dwordx2 off, v[4:5], off offset:376
	s_waitcnt vmcnt(1)
	ds_write_b64 v1, v[2:3]
.LBB126_297:
	s_or_b64 exec, exec, s[0:1]
	s_waitcnt lgkmcnt(0)
	; wave barrier
	scratch_load_dwordx4 v[4:7], off, off offset:384
	scratch_load_dwordx4 v[8:11], off, off offset:400
	;; [unrolled: 1-line block ×7, first 2 shown]
	scratch_load_dwordx2 v[60:61], off, off offset:496
	scratch_load_dwordx2 v[62:63], off, off offset:376
	v_mov_b32_e32 v2, 0
	ds_read_b128 v[32:35], v2 offset:896
	ds_read_b128 v[36:39], v2 offset:912
	;; [unrolled: 1-line block ×7, first 2 shown]
	ds_read_b64 v[64:65], v2 offset:1008
	v_cmp_lt_u32_e32 vcc, 46, v0
	s_waitcnt vmcnt(8) lgkmcnt(7)
	v_mul_f32_e32 v71, v34, v7
	v_mul_f32_e32 v3, v32, v5
	s_waitcnt vmcnt(7) lgkmcnt(6)
	v_mul_f32_e32 v75, v36, v9
	s_waitcnt vmcnt(6) lgkmcnt(5)
	v_mul_f32_e32 v83, v40, v13
	v_mul_f32_e32 v67, v42, v15
	;; [unrolled: 1-line block ×5, first 2 shown]
	s_waitcnt vmcnt(5)
	v_mov_b32_e32 v70, v19
	s_waitcnt vmcnt(3) lgkmcnt(2)
	v_pk_mul_f32 v[76:77], v[52:53], v[24:25] op_sel:[1,1] op_sel_hi:[0,1]
	s_waitcnt vmcnt(2) lgkmcnt(1)
	v_pk_mul_f32 v[80:81], v[56:57], v[28:29] op_sel:[1,1] op_sel_hi:[0,1]
	v_fmac_f32_e32 v71, v35, v6
	v_mul_f32_e32 v7, v35, v7
	v_mul_f32_e32 v9, v37, v9
	v_fmac_f32_e32 v3, v33, v4
	v_fmac_f32_e32 v75, v37, v8
	;; [unrolled: 1-line block ×4, first 2 shown]
	v_fma_f32 v32, v32, v4, -v5
	v_fma_f32 v37, v40, v12, -v13
	;; [unrolled: 1-line block ×3, first 2 shown]
	v_pk_mul_f32 v[4:5], v[46:47], v[70:71] op_sel:[1,0] op_sel_hi:[0,0]
	v_pk_fma_f32 v[12:13], v[52:53], v[24:25], v[76:77] neg_lo:[0,0,1] neg_hi:[0,0,1]
	v_pk_fma_f32 v[14:15], v[52:53], v[24:25], v[76:77] op_sel_hi:[1,0,1]
	v_pk_fma_f32 v[24:25], v[56:57], v[28:29], v[80:81] op_sel_hi:[1,0,1]
	v_fma_f32 v34, v34, v6, -v7
	v_add_f32_e32 v3, 0, v3
	v_add_f32_e32 v24, 0, v32
	v_pk_fma_f32 v[32:33], v[46:47], v[18:19], v[4:5] neg_lo:[0,0,1] neg_hi:[0,0,1]
	v_pk_fma_f32 v[4:5], v[46:47], v[18:19], v[4:5] op_sel_hi:[1,0,1]
	v_mul_f32_e32 v79, v38, v11
	v_mul_f32_e32 v11, v39, v11
	v_fma_f32 v35, v36, v8, -v9
	v_add_f32_e32 v3, v3, v71
	v_add_f32_e32 v4, v24, v34
	v_fmac_f32_e32 v79, v39, v10
	v_fma_f32 v36, v38, v10, -v11
	v_add_f32_e32 v3, v3, v75
	v_add_f32_e32 v4, v4, v35
	;; [unrolled: 1-line block ×4, first 2 shown]
	v_mul_f32_e32 v69, v44, v17
	v_mul_f32_e32 v17, v45, v17
	v_mov_b32_e32 v33, v5
	v_add_f32_e32 v5, v3, v83
	v_add_f32_e32 v4, v4, v37
	v_pk_mul_f32 v[72:73], v[48:49], v[20:21] op_sel:[1,1] op_sel_hi:[0,1]
	v_mov_b32_e32 v74, v23
	v_fmac_f32_e32 v69, v45, v16
	v_fma_f32 v68, v44, v16, -v17
	v_pk_add_f32 v[4:5], v[4:5], v[66:67]
	v_pk_fma_f32 v[6:7], v[48:49], v[20:21], v[72:73] neg_lo:[0,0,1] neg_hi:[0,0,1]
	v_pk_fma_f32 v[8:9], v[48:49], v[20:21], v[72:73] op_sel_hi:[1,0,1]
	v_pk_mul_f32 v[10:11], v[50:51], v[74:75] op_sel:[1,0] op_sel_hi:[0,0]
	v_pk_add_f32 v[4:5], v[4:5], v[68:69]
	v_mov_b32_e32 v78, v27
	v_mov_b32_e32 v7, v9
	v_pk_fma_f32 v[8:9], v[50:51], v[22:23], v[10:11] neg_lo:[0,0,1] neg_hi:[0,0,1]
	v_pk_fma_f32 v[10:11], v[50:51], v[22:23], v[10:11] op_sel_hi:[1,0,1]
	v_pk_add_f32 v[4:5], v[4:5], v[32:33]
	v_pk_mul_f32 v[16:17], v[54:55], v[78:79] op_sel:[1,0] op_sel_hi:[0,0]
	v_mov_b32_e32 v9, v11
	v_pk_add_f32 v[4:5], v[4:5], v[6:7]
	v_mov_b32_e32 v82, v31
	v_mov_b32_e32 v13, v15
	v_pk_fma_f32 v[14:15], v[54:55], v[26:27], v[16:17] neg_lo:[0,0,1] neg_hi:[0,0,1]
	v_pk_fma_f32 v[16:17], v[54:55], v[26:27], v[16:17] op_sel_hi:[1,0,1]
	v_pk_add_f32 v[4:5], v[4:5], v[8:9]
	v_pk_fma_f32 v[20:21], v[56:57], v[28:29], v[80:81] neg_lo:[0,0,1] neg_hi:[0,0,1]
	v_pk_mul_f32 v[28:29], v[58:59], v[82:83] op_sel:[1,0] op_sel_hi:[0,0]
	v_mov_b32_e32 v15, v17
	v_pk_add_f32 v[4:5], v[4:5], v[12:13]
	v_mov_b32_e32 v21, v25
	v_pk_add_f32 v[4:5], v[4:5], v[14:15]
	v_pk_fma_f32 v[6:7], v[58:59], v[30:31], v[28:29] neg_lo:[0,0,1] neg_hi:[0,0,1]
	v_pk_fma_f32 v[8:9], v[58:59], v[30:31], v[28:29] op_sel_hi:[1,0,1]
	v_pk_add_f32 v[4:5], v[4:5], v[20:21]
	v_mov_b32_e32 v7, v9
	v_pk_add_f32 v[4:5], v[4:5], v[6:7]
	s_waitcnt vmcnt(1) lgkmcnt(0)
	v_pk_mul_f32 v[6:7], v[64:65], v[60:61] op_sel:[1,1] op_sel_hi:[0,1]
	v_pk_fma_f32 v[8:9], v[64:65], v[60:61], v[6:7] neg_lo:[0,0,1] neg_hi:[0,0,1]
	v_pk_fma_f32 v[6:7], v[64:65], v[60:61], v[6:7] op_sel_hi:[1,0,1]
	s_nop 0
	v_mov_b32_e32 v9, v7
	v_pk_add_f32 v[4:5], v[4:5], v[8:9]
	s_waitcnt vmcnt(0)
	v_pk_add_f32 v[4:5], v[62:63], v[4:5] neg_lo:[0,1] neg_hi:[0,1]
	scratch_store_dwordx2 off, v[4:5], off offset:376
	s_and_saveexec_b64 s[0:1], vcc
	s_cbranch_execz .LBB126_299
; %bb.298:
	scratch_load_dwordx2 v[4:5], off, off offset:368
	v_mov_b32_e32 v3, v2
	scratch_store_dwordx2 off, v[2:3], off offset:368
	s_waitcnt vmcnt(1)
	ds_write_b64 v1, v[4:5]
.LBB126_299:
	s_or_b64 exec, exec, s[0:1]
	s_waitcnt lgkmcnt(0)
	; wave barrier
	scratch_load_dwordx4 v[4:7], off, off offset:376
	scratch_load_dwordx4 v[8:11], off, off offset:392
	;; [unrolled: 1-line block ×7, first 2 shown]
	ds_read2_b64 v[32:35], v2 offset0:111 offset1:112
	ds_read2_b64 v[36:39], v2 offset0:113 offset1:114
	;; [unrolled: 1-line block ×4, first 2 shown]
	scratch_load_dwordx4 v[48:51], off, off offset:488
	ds_read2_b64 v[52:55], v2 offset0:119 offset1:120
	ds_read2_b64 v[56:59], v2 offset0:121 offset1:122
	;; [unrolled: 1-line block ×4, first 2 shown]
	scratch_load_dwordx2 v[2:3], off, off offset:368
	v_cmp_lt_u32_e32 vcc, 45, v0
	s_waitcnt vmcnt(8) lgkmcnt(7)
	v_mul_f32_e32 v75, v32, v5
	v_mul_f32_e32 v79, v34, v7
	s_waitcnt vmcnt(7) lgkmcnt(6)
	v_mul_f32_e32 v83, v36, v9
	v_mul_f32_e32 v84, v38, v11
	;; [unrolled: 3-line block ×3, first 2 shown]
	v_mul_f32_e32 v5, v33, v5
	v_mul_f32_e32 v7, v35, v7
	;; [unrolled: 1-line block ×6, first 2 shown]
	s_waitcnt vmcnt(4) lgkmcnt(3)
	v_pk_mul_f32 v[72:73], v[52:53], v[20:21] op_sel:[1,1] op_sel_hi:[0,1]
	v_mov_b32_e32 v74, v23
	s_waitcnt vmcnt(3) lgkmcnt(2)
	v_pk_mul_f32 v[76:77], v[56:57], v[24:25] op_sel:[1,1] op_sel_hi:[0,1]
	v_mov_b32_e32 v78, v27
	v_fmac_f32_e32 v75, v33, v4
	v_fmac_f32_e32 v79, v35, v6
	;; [unrolled: 1-line block ×6, first 2 shown]
	v_fma_f32 v32, v32, v4, -v5
	v_fma_f32 v33, v34, v6, -v7
	;; [unrolled: 1-line block ×6, first 2 shown]
	v_pk_fma_f32 v[4:5], v[52:53], v[20:21], v[72:73] neg_lo:[0,0,1] neg_hi:[0,0,1]
	v_pk_fma_f32 v[6:7], v[52:53], v[20:21], v[72:73] op_sel_hi:[1,0,1]
	v_pk_mul_f32 v[8:9], v[54:55], v[74:75] op_sel:[1,0] op_sel_hi:[0,0]
	v_pk_fma_f32 v[10:11], v[56:57], v[24:25], v[76:77] neg_lo:[0,0,1] neg_hi:[0,0,1]
	v_pk_fma_f32 v[12:13], v[56:57], v[24:25], v[76:77] op_sel_hi:[1,0,1]
	v_pk_mul_f32 v[14:15], v[58:59], v[78:79] op_sel:[1,0] op_sel_hi:[0,0]
	v_add_f32_e32 v24, 0, v75
	v_add_f32_e32 v25, 0, v32
	v_mov_b32_e32 v5, v7
	v_pk_fma_f32 v[6:7], v[54:55], v[22:23], v[8:9] neg_lo:[0,0,1] neg_hi:[0,0,1]
	v_pk_fma_f32 v[8:9], v[54:55], v[22:23], v[8:9] op_sel_hi:[1,0,1]
	v_mov_b32_e32 v11, v13
	v_pk_fma_f32 v[12:13], v[58:59], v[26:27], v[14:15] neg_lo:[0,0,1] neg_hi:[0,0,1]
	v_pk_fma_f32 v[14:15], v[58:59], v[26:27], v[14:15] op_sel_hi:[1,0,1]
	v_add_f32_e32 v8, v24, v79
	v_add_f32_e32 v14, v25, v33
	v_mov_b32_e32 v7, v9
	v_add_f32_e32 v8, v8, v83
	v_add_f32_e32 v9, v14, v34
	;; [unrolled: 1-line block ×4, first 2 shown]
	v_mul_f32_e32 v69, v44, v17
	v_mul_f32_e32 v17, v45, v17
	v_add_f32_e32 v8, v8, v85
	v_add_f32_e32 v14, v9, v36
	v_mul_f32_e32 v71, v46, v19
	v_mul_f32_e32 v19, v47, v19
	v_fmac_f32_e32 v69, v45, v16
	v_fma_f32 v68, v44, v16, -v17
	v_add_f32_e32 v9, v8, v86
	v_add_f32_e32 v8, v14, v37
	v_fmac_f32_e32 v71, v47, v18
	v_fma_f32 v70, v46, v18, -v19
	v_pk_add_f32 v[8:9], v[8:9], v[68:69]
	s_waitcnt vmcnt(2) lgkmcnt(1)
	v_pk_mul_f32 v[80:81], v[60:61], v[28:29] op_sel:[1,1] op_sel_hi:[0,1]
	v_mov_b32_e32 v82, v31
	v_pk_add_f32 v[8:9], v[8:9], v[70:71]
	v_pk_fma_f32 v[16:17], v[60:61], v[28:29], v[80:81] neg_lo:[0,0,1] neg_hi:[0,0,1]
	v_pk_fma_f32 v[18:19], v[60:61], v[28:29], v[80:81] op_sel_hi:[1,0,1]
	v_pk_mul_f32 v[20:21], v[62:63], v[82:83] op_sel:[1,0] op_sel_hi:[0,0]
	v_pk_add_f32 v[4:5], v[8:9], v[4:5]
	v_mov_b32_e32 v17, v19
	v_pk_fma_f32 v[18:19], v[62:63], v[30:31], v[20:21] neg_lo:[0,0,1] neg_hi:[0,0,1]
	v_pk_add_f32 v[4:5], v[4:5], v[6:7]
	v_pk_fma_f32 v[6:7], v[62:63], v[30:31], v[20:21] op_sel_hi:[1,0,1]
	v_mov_b32_e32 v13, v15
	v_pk_add_f32 v[4:5], v[4:5], v[10:11]
	v_mov_b32_e32 v19, v7
	s_waitcnt vmcnt(1) lgkmcnt(0)
	v_pk_mul_f32 v[6:7], v[64:65], v[48:49] op_sel:[1,1] op_sel_hi:[0,1]
	v_pk_add_f32 v[4:5], v[4:5], v[12:13]
	v_pk_fma_f32 v[8:9], v[64:65], v[48:49], v[6:7] neg_lo:[0,0,1] neg_hi:[0,0,1]
	v_pk_fma_f32 v[6:7], v[64:65], v[48:49], v[6:7] op_sel_hi:[1,0,1]
	v_pk_add_f32 v[4:5], v[4:5], v[16:17]
	v_mov_b32_e32 v6, v51
	v_pk_add_f32 v[4:5], v[4:5], v[18:19]
	v_mov_b32_e32 v9, v7
	v_pk_mul_f32 v[6:7], v[66:67], v[6:7] op_sel:[1,0] op_sel_hi:[0,0]
	v_pk_add_f32 v[4:5], v[4:5], v[8:9]
	v_pk_fma_f32 v[8:9], v[66:67], v[50:51], v[6:7] neg_lo:[0,0,1] neg_hi:[0,0,1]
	v_pk_fma_f32 v[6:7], v[66:67], v[50:51], v[6:7] op_sel_hi:[1,0,1]
	s_nop 0
	v_mov_b32_e32 v9, v7
	v_pk_add_f32 v[4:5], v[4:5], v[8:9]
	s_waitcnt vmcnt(0)
	v_pk_add_f32 v[2:3], v[2:3], v[4:5] neg_lo:[0,1] neg_hi:[0,1]
	scratch_store_dwordx2 off, v[2:3], off offset:368
	s_and_saveexec_b64 s[0:1], vcc
	s_cbranch_execz .LBB126_301
; %bb.300:
	scratch_load_dwordx2 v[2:3], off, off offset:360
	v_mov_b32_e32 v4, 0
	v_mov_b32_e32 v5, v4
	scratch_store_dwordx2 off, v[4:5], off offset:360
	s_waitcnt vmcnt(1)
	ds_write_b64 v1, v[2:3]
.LBB126_301:
	s_or_b64 exec, exec, s[0:1]
	s_waitcnt lgkmcnt(0)
	; wave barrier
	scratch_load_dwordx4 v[4:7], off, off offset:368
	scratch_load_dwordx4 v[8:11], off, off offset:384
	;; [unrolled: 1-line block ×8, first 2 shown]
	scratch_load_dwordx2 v[68:69], off, off offset:496
	scratch_load_dwordx2 v[70:71], off, off offset:360
	v_mov_b32_e32 v2, 0
	ds_read_b128 v[36:39], v2 offset:880
	ds_read_b128 v[40:43], v2 offset:896
	;; [unrolled: 1-line block ×8, first 2 shown]
	ds_read_b64 v[72:73], v2 offset:1008
	v_cmp_lt_u32_e32 vcc, 44, v0
	s_waitcnt vmcnt(9) lgkmcnt(8)
	v_mul_f32_e32 v79, v38, v7
	v_mul_f32_e32 v3, v36, v5
	s_waitcnt vmcnt(8) lgkmcnt(7)
	v_mul_f32_e32 v83, v40, v9
	s_waitcnt vmcnt(7) lgkmcnt(6)
	v_mul_f32_e32 v87, v44, v13
	v_mul_f32_e32 v5, v37, v5
	;; [unrolled: 1-line block ×5, first 2 shown]
	s_waitcnt vmcnt(5)
	v_mov_b32_e32 v78, v23
	s_waitcnt vmcnt(3) lgkmcnt(2)
	v_pk_mul_f32 v[84:85], v[60:61], v[28:29] op_sel:[1,1] op_sel_hi:[0,1]
	v_fmac_f32_e32 v79, v39, v6
	v_mul_f32_e32 v86, v42, v11
	v_mul_f32_e32 v89, v48, v17
	;; [unrolled: 1-line block ×4, first 2 shown]
	v_fmac_f32_e32 v3, v37, v4
	v_fmac_f32_e32 v87, v45, v12
	v_fma_f32 v36, v36, v4, -v5
	v_fma_f32 v37, v38, v6, -v7
	;; [unrolled: 1-line block ×4, first 2 shown]
	v_pk_mul_f32 v[4:5], v[54:55], v[78:79] op_sel:[1,0] op_sel_hi:[0,0]
	v_pk_fma_f32 v[12:13], v[60:61], v[28:29], v[84:85] neg_lo:[0,0,1] neg_hi:[0,0,1]
	v_fmac_f32_e32 v89, v49, v16
	v_fma_f32 v39, v42, v10, -v11
	v_fma_f32 v42, v48, v16, -v17
	v_add_f32_e32 v3, 0, v3
	v_add_f32_e32 v13, 0, v36
	v_pk_fma_f32 v[16:17], v[54:55], v[22:23], v[4:5] neg_lo:[0,0,1] neg_hi:[0,0,1]
	v_pk_fma_f32 v[4:5], v[54:55], v[22:23], v[4:5] op_sel_hi:[1,0,1]
	v_fmac_f32_e32 v83, v41, v8
	v_add_f32_e32 v3, v3, v79
	v_add_f32_e32 v4, v13, v37
	v_fmac_f32_e32 v86, v43, v10
	v_add_f32_e32 v3, v3, v83
	v_add_f32_e32 v4, v4, v38
	v_mul_f32_e32 v88, v46, v15
	v_mul_f32_e32 v15, v47, v15
	v_add_f32_e32 v3, v3, v86
	v_add_f32_e32 v4, v4, v39
	v_fmac_f32_e32 v88, v47, v14
	v_fma_f32 v41, v46, v14, -v15
	v_add_f32_e32 v3, v3, v87
	v_add_f32_e32 v4, v4, v40
	v_mul_f32_e32 v75, v50, v19
	v_mul_f32_e32 v19, v51, v19
	v_add_f32_e32 v3, v3, v88
	v_add_f32_e32 v4, v4, v41
	v_mul_f32_e32 v77, v52, v21
	v_mul_f32_e32 v21, v53, v21
	v_fmac_f32_e32 v75, v51, v18
	v_fma_f32 v74, v50, v18, -v19
	v_mov_b32_e32 v17, v5
	v_add_f32_e32 v5, v3, v89
	v_add_f32_e32 v4, v4, v42
	v_pk_mul_f32 v[80:81], v[56:57], v[24:25] op_sel:[1,1] op_sel_hi:[0,1]
	v_fmac_f32_e32 v77, v53, v20
	v_fma_f32 v76, v52, v20, -v21
	v_pk_add_f32 v[4:5], v[4:5], v[74:75]
	v_mov_b32_e32 v82, v27
	v_pk_fma_f32 v[6:7], v[56:57], v[24:25], v[80:81] neg_lo:[0,0,1] neg_hi:[0,0,1]
	v_pk_fma_f32 v[8:9], v[56:57], v[24:25], v[80:81] op_sel_hi:[1,0,1]
	v_pk_add_f32 v[4:5], v[4:5], v[76:77]
	v_pk_mul_f32 v[10:11], v[58:59], v[82:83] op_sel:[1,0] op_sel_hi:[0,0]
	v_mov_b32_e32 v7, v9
	v_pk_add_f32 v[4:5], v[4:5], v[16:17]
	v_pk_fma_f32 v[8:9], v[58:59], v[26:27], v[10:11] neg_lo:[0,0,1] neg_hi:[0,0,1]
	v_pk_fma_f32 v[10:11], v[58:59], v[26:27], v[10:11] op_sel_hi:[1,0,1]
	v_pk_add_f32 v[4:5], v[4:5], v[6:7]
	v_mov_b32_e32 v6, v31
	v_pk_fma_f32 v[14:15], v[60:61], v[28:29], v[84:85] op_sel_hi:[1,0,1]
	v_mov_b32_e32 v9, v11
	v_pk_mul_f32 v[6:7], v[62:63], v[6:7] op_sel:[1,0] op_sel_hi:[0,0]
	v_pk_add_f32 v[4:5], v[4:5], v[8:9]
	v_mov_b32_e32 v13, v15
	v_pk_fma_f32 v[8:9], v[62:63], v[30:31], v[6:7] neg_lo:[0,0,1] neg_hi:[0,0,1]
	v_pk_fma_f32 v[6:7], v[62:63], v[30:31], v[6:7] op_sel_hi:[1,0,1]
	v_pk_add_f32 v[4:5], v[4:5], v[12:13]
	v_mov_b32_e32 v9, v7
	s_waitcnt vmcnt(2) lgkmcnt(1)
	v_pk_mul_f32 v[6:7], v[64:65], v[32:33] op_sel:[1,1] op_sel_hi:[0,1]
	v_pk_add_f32 v[4:5], v[4:5], v[8:9]
	v_pk_fma_f32 v[8:9], v[64:65], v[32:33], v[6:7] neg_lo:[0,0,1] neg_hi:[0,0,1]
	v_pk_fma_f32 v[6:7], v[64:65], v[32:33], v[6:7] op_sel_hi:[1,0,1]
	s_nop 0
	v_mov_b32_e32 v6, v35
	v_mov_b32_e32 v9, v7
	v_pk_mul_f32 v[6:7], v[66:67], v[6:7] op_sel:[1,0] op_sel_hi:[0,0]
	v_pk_add_f32 v[4:5], v[4:5], v[8:9]
	v_pk_fma_f32 v[8:9], v[66:67], v[34:35], v[6:7] neg_lo:[0,0,1] neg_hi:[0,0,1]
	v_pk_fma_f32 v[6:7], v[66:67], v[34:35], v[6:7] op_sel_hi:[1,0,1]
	s_nop 0
	v_mov_b32_e32 v9, v7
	s_waitcnt vmcnt(1) lgkmcnt(0)
	v_pk_mul_f32 v[6:7], v[72:73], v[68:69] op_sel:[1,1] op_sel_hi:[0,1]
	v_pk_add_f32 v[4:5], v[4:5], v[8:9]
	v_pk_fma_f32 v[8:9], v[72:73], v[68:69], v[6:7] neg_lo:[0,0,1] neg_hi:[0,0,1]
	v_pk_fma_f32 v[6:7], v[72:73], v[68:69], v[6:7] op_sel_hi:[1,0,1]
	s_nop 0
	v_mov_b32_e32 v9, v7
	v_pk_add_f32 v[4:5], v[4:5], v[8:9]
	s_waitcnt vmcnt(0)
	v_pk_add_f32 v[4:5], v[70:71], v[4:5] neg_lo:[0,1] neg_hi:[0,1]
	scratch_store_dwordx2 off, v[4:5], off offset:360
	s_and_saveexec_b64 s[0:1], vcc
	s_cbranch_execz .LBB126_303
; %bb.302:
	scratch_load_dwordx2 v[4:5], off, off offset:352
	v_mov_b32_e32 v3, v2
	scratch_store_dwordx2 off, v[2:3], off offset:352
	s_waitcnt vmcnt(1)
	ds_write_b64 v1, v[4:5]
.LBB126_303:
	s_or_b64 exec, exec, s[0:1]
	s_waitcnt lgkmcnt(0)
	; wave barrier
	scratch_load_dwordx4 v[4:7], off, off offset:360
	scratch_load_dwordx4 v[8:11], off, off offset:376
	scratch_load_dwordx4 v[12:15], off, off offset:392
	scratch_load_dwordx4 v[16:19], off, off offset:408
	scratch_load_dwordx4 v[20:23], off, off offset:424
	scratch_load_dwordx4 v[24:27], off, off offset:440
	scratch_load_dwordx4 v[28:31], off, off offset:456
	ds_read2_b64 v[32:35], v2 offset0:109 offset1:110
	ds_read2_b64 v[36:39], v2 offset0:111 offset1:112
	ds_read2_b64 v[40:43], v2 offset0:113 offset1:114
	ds_read2_b64 v[44:47], v2 offset0:115 offset1:116
	scratch_load_dwordx4 v[48:51], off, off offset:472
	scratch_load_dwordx4 v[52:55], off, off offset:488
	ds_read2_b64 v[56:59], v2 offset0:117 offset1:118
	ds_read2_b64 v[60:63], v2 offset0:119 offset1:120
	;; [unrolled: 1-line block ×5, first 2 shown]
	scratch_load_dwordx2 v[2:3], off, off offset:352
	v_cmp_lt_u32_e32 vcc, 43, v0
	s_waitcnt vmcnt(9) lgkmcnt(8)
	v_mul_f32_e32 v83, v32, v5
	v_mul_f32_e32 v86, v34, v7
	s_waitcnt vmcnt(8) lgkmcnt(7)
	v_mul_f32_e32 v87, v36, v9
	s_waitcnt vmcnt(7) lgkmcnt(6)
	v_mul_f32_e32 v89, v40, v13
	v_mul_f32_e32 v5, v33, v5
	;; [unrolled: 1-line block ×5, first 2 shown]
	s_waitcnt vmcnt(4) lgkmcnt(3)
	v_pk_mul_f32 v[80:81], v[60:61], v[24:25] op_sel:[1,1] op_sel_hi:[0,1]
	v_mov_b32_e32 v82, v27
	s_waitcnt vmcnt(3) lgkmcnt(2)
	v_pk_mul_f32 v[84:85], v[64:65], v[28:29] op_sel:[1,1] op_sel_hi:[0,1]
	v_fmac_f32_e32 v83, v33, v4
	v_mul_f32_e32 v90, v42, v15
	v_mul_f32_e32 v91, v44, v17
	;; [unrolled: 1-line block ×4, first 2 shown]
	v_fmac_f32_e32 v86, v35, v6
	v_fmac_f32_e32 v87, v37, v8
	v_fmac_f32_e32 v89, v41, v12
	v_fma_f32 v32, v32, v4, -v5
	v_fma_f32 v33, v34, v6, -v7
	;; [unrolled: 1-line block ×4, first 2 shown]
	v_pk_fma_f32 v[4:5], v[60:61], v[24:25], v[80:81] neg_lo:[0,0,1] neg_hi:[0,0,1]
	v_pk_fma_f32 v[6:7], v[60:61], v[24:25], v[80:81] op_sel_hi:[1,0,1]
	v_pk_mul_f32 v[8:9], v[62:63], v[82:83] op_sel:[1,0] op_sel_hi:[0,0]
	v_pk_fma_f32 v[12:13], v[64:65], v[28:29], v[84:85] op_sel_hi:[1,0,1]
	v_fmac_f32_e32 v90, v43, v14
	v_fma_f32 v14, v42, v14, -v15
	v_fma_f32 v15, v44, v16, -v17
	v_add_f32_e32 v12, 0, v83
	v_add_f32_e32 v17, 0, v32
	v_mov_b32_e32 v5, v7
	v_pk_fma_f32 v[6:7], v[62:63], v[26:27], v[8:9] neg_lo:[0,0,1] neg_hi:[0,0,1]
	v_pk_fma_f32 v[8:9], v[62:63], v[26:27], v[8:9] op_sel_hi:[1,0,1]
	v_mul_f32_e32 v88, v38, v11
	v_mul_f32_e32 v11, v39, v11
	v_add_f32_e32 v8, v12, v86
	v_add_f32_e32 v12, v17, v33
	v_fmac_f32_e32 v88, v39, v10
	v_fma_f32 v35, v38, v10, -v11
	v_mov_b32_e32 v7, v9
	v_add_f32_e32 v8, v8, v87
	v_add_f32_e32 v9, v12, v34
	;; [unrolled: 1-line block ×6, first 2 shown]
	v_mul_f32_e32 v92, v46, v19
	v_mul_f32_e32 v19, v47, v19
	v_fmac_f32_e32 v91, v45, v16
	v_add_f32_e32 v8, v8, v90
	v_add_f32_e32 v9, v9, v14
	v_mul_f32_e32 v77, v56, v21
	v_mul_f32_e32 v21, v57, v21
	v_fmac_f32_e32 v92, v47, v18
	v_fma_f32 v16, v46, v18, -v19
	v_add_f32_e32 v8, v8, v91
	v_add_f32_e32 v12, v9, v15
	v_mul_f32_e32 v79, v58, v23
	v_mul_f32_e32 v23, v59, v23
	v_fmac_f32_e32 v77, v57, v20
	v_fma_f32 v76, v56, v20, -v21
	v_add_f32_e32 v9, v8, v92
	v_add_f32_e32 v8, v12, v16
	v_fmac_f32_e32 v79, v59, v22
	v_fma_f32 v78, v58, v22, -v23
	v_pk_add_f32 v[8:9], v[8:9], v[76:77]
	v_pk_fma_f32 v[10:11], v[64:65], v[28:29], v[84:85] neg_lo:[0,0,1] neg_hi:[0,0,1]
	v_pk_add_f32 v[8:9], v[8:9], v[78:79]
	v_mov_b32_e32 v11, v13
	v_pk_add_f32 v[4:5], v[8:9], v[4:5]
	s_nop 0
	v_pk_add_f32 v[4:5], v[4:5], v[6:7]
	v_mov_b32_e32 v6, v31
	v_pk_mul_f32 v[6:7], v[66:67], v[6:7] op_sel:[1,0] op_sel_hi:[0,0]
	v_pk_fma_f32 v[8:9], v[66:67], v[30:31], v[6:7] neg_lo:[0,0,1] neg_hi:[0,0,1]
	v_pk_fma_f32 v[6:7], v[66:67], v[30:31], v[6:7] op_sel_hi:[1,0,1]
	v_pk_add_f32 v[4:5], v[4:5], v[10:11]
	v_mov_b32_e32 v9, v7
	s_waitcnt vmcnt(2) lgkmcnt(1)
	v_pk_mul_f32 v[6:7], v[68:69], v[48:49] op_sel:[1,1] op_sel_hi:[0,1]
	v_pk_add_f32 v[4:5], v[4:5], v[8:9]
	v_pk_fma_f32 v[8:9], v[68:69], v[48:49], v[6:7] neg_lo:[0,0,1] neg_hi:[0,0,1]
	v_pk_fma_f32 v[6:7], v[68:69], v[48:49], v[6:7] op_sel_hi:[1,0,1]
	s_nop 0
	v_mov_b32_e32 v6, v51
	v_mov_b32_e32 v9, v7
	v_pk_mul_f32 v[6:7], v[70:71], v[6:7] op_sel:[1,0] op_sel_hi:[0,0]
	v_pk_add_f32 v[4:5], v[4:5], v[8:9]
	v_pk_fma_f32 v[8:9], v[70:71], v[50:51], v[6:7] neg_lo:[0,0,1] neg_hi:[0,0,1]
	v_pk_fma_f32 v[6:7], v[70:71], v[50:51], v[6:7] op_sel_hi:[1,0,1]
	s_nop 0
	v_mov_b32_e32 v9, v7
	s_waitcnt vmcnt(1) lgkmcnt(0)
	v_pk_mul_f32 v[6:7], v[72:73], v[52:53] op_sel:[1,1] op_sel_hi:[0,1]
	v_pk_add_f32 v[4:5], v[4:5], v[8:9]
	v_pk_fma_f32 v[8:9], v[72:73], v[52:53], v[6:7] neg_lo:[0,0,1] neg_hi:[0,0,1]
	v_pk_fma_f32 v[6:7], v[72:73], v[52:53], v[6:7] op_sel_hi:[1,0,1]
	s_nop 0
	v_mov_b32_e32 v6, v55
	v_mov_b32_e32 v9, v7
	v_pk_mul_f32 v[6:7], v[74:75], v[6:7] op_sel:[1,0] op_sel_hi:[0,0]
	v_pk_add_f32 v[4:5], v[4:5], v[8:9]
	v_pk_fma_f32 v[8:9], v[74:75], v[54:55], v[6:7] neg_lo:[0,0,1] neg_hi:[0,0,1]
	v_pk_fma_f32 v[6:7], v[74:75], v[54:55], v[6:7] op_sel_hi:[1,0,1]
	s_nop 0
	v_mov_b32_e32 v9, v7
	v_pk_add_f32 v[4:5], v[4:5], v[8:9]
	s_waitcnt vmcnt(0)
	v_pk_add_f32 v[2:3], v[2:3], v[4:5] neg_lo:[0,1] neg_hi:[0,1]
	scratch_store_dwordx2 off, v[2:3], off offset:352
	s_and_saveexec_b64 s[0:1], vcc
	s_cbranch_execz .LBB126_305
; %bb.304:
	scratch_load_dwordx2 v[2:3], off, off offset:344
	v_mov_b32_e32 v4, 0
	v_mov_b32_e32 v5, v4
	scratch_store_dwordx2 off, v[4:5], off offset:344
	s_waitcnt vmcnt(1)
	ds_write_b64 v1, v[2:3]
.LBB126_305:
	s_or_b64 exec, exec, s[0:1]
	s_waitcnt lgkmcnt(0)
	; wave barrier
	scratch_load_dwordx4 v[4:7], off, off offset:352
	scratch_load_dwordx4 v[8:11], off, off offset:368
	;; [unrolled: 1-line block ×9, first 2 shown]
	scratch_load_dwordx2 v[76:77], off, off offset:496
	scratch_load_dwordx2 v[78:79], off, off offset:344
	v_mov_b32_e32 v2, 0
	ds_read_b128 v[40:43], v2 offset:864
	ds_read_b128 v[44:47], v2 offset:880
	;; [unrolled: 1-line block ×9, first 2 shown]
	ds_read_b64 v[80:81], v2 offset:1008
	v_cmp_lt_u32_e32 vcc, 42, v0
	s_waitcnt vmcnt(10) lgkmcnt(9)
	v_mul_f32_e32 v87, v42, v7
	v_mul_f32_e32 v3, v40, v5
	;; [unrolled: 1-line block ×3, first 2 shown]
	v_fmac_f32_e32 v87, v43, v6
	s_waitcnt vmcnt(9) lgkmcnt(8)
	v_mul_f32_e32 v88, v44, v9
	s_waitcnt vmcnt(5)
	v_mov_b32_e32 v86, v27
	v_mul_f32_e32 v89, v46, v11
	s_waitcnt lgkmcnt(7)
	v_mul_f32_e32 v91, v50, v15
	v_mul_f32_e32 v7, v43, v7
	;; [unrolled: 1-line block ×5, first 2 shown]
	v_fmac_f32_e32 v3, v41, v4
	v_fma_f32 v40, v40, v4, -v5
	s_waitcnt lgkmcnt(4)
	v_pk_mul_f32 v[4:5], v[62:63], v[86:87] op_sel:[1,0] op_sel_hi:[0,0]
	v_fmac_f32_e32 v88, v45, v8
	v_fma_f32 v41, v42, v6, -v7
	v_fma_f32 v8, v44, v8, -v9
	;; [unrolled: 1-line block ×4, first 2 shown]
	v_add_f32_e32 v3, 0, v3
	v_add_f32_e32 v15, 0, v40
	v_pk_fma_f32 v[6:7], v[62:63], v[26:27], v[4:5] neg_lo:[0,0,1] neg_hi:[0,0,1]
	v_pk_fma_f32 v[4:5], v[62:63], v[26:27], v[4:5] op_sel_hi:[1,0,1]
	v_add_f32_e32 v3, v3, v87
	v_add_f32_e32 v4, v15, v41
	v_mul_f32_e32 v90, v48, v13
	v_mul_f32_e32 v13, v49, v13
	v_fmac_f32_e32 v89, v47, v10
	v_add_f32_e32 v3, v3, v88
	v_add_f32_e32 v4, v4, v8
	v_fmac_f32_e32 v90, v49, v12
	v_fma_f32 v10, v48, v12, -v13
	v_add_f32_e32 v3, v3, v89
	v_add_f32_e32 v4, v4, v9
	v_mul_f32_e32 v92, v52, v17
	v_mul_f32_e32 v17, v53, v17
	v_fmac_f32_e32 v91, v51, v14
	v_add_f32_e32 v3, v3, v90
	v_add_f32_e32 v4, v4, v10
	v_mul_f32_e32 v93, v54, v19
	v_mul_f32_e32 v19, v55, v19
	v_fmac_f32_e32 v92, v53, v16
	v_fma_f32 v12, v52, v16, -v17
	v_add_f32_e32 v3, v3, v91
	v_add_f32_e32 v4, v4, v11
	v_mul_f32_e32 v94, v56, v21
	v_mul_f32_e32 v21, v57, v21
	v_fmac_f32_e32 v93, v55, v18
	v_fma_f32 v13, v54, v18, -v19
	;; [unrolled: 6-line block ×4, first 2 shown]
	v_mov_b32_e32 v7, v5
	v_add_f32_e32 v5, v3, v94
	v_add_f32_e32 v4, v4, v14
	v_fmac_f32_e32 v85, v61, v24
	v_fma_f32 v84, v60, v24, -v25
	v_pk_add_f32 v[4:5], v[4:5], v[82:83]
	s_nop 0
	v_pk_add_f32 v[4:5], v[4:5], v[84:85]
	s_nop 0
	v_pk_add_f32 v[4:5], v[4:5], v[6:7]
	s_waitcnt vmcnt(4) lgkmcnt(3)
	v_pk_mul_f32 v[6:7], v[64:65], v[28:29] op_sel:[1,1] op_sel_hi:[0,1]
	v_pk_fma_f32 v[8:9], v[64:65], v[28:29], v[6:7] neg_lo:[0,0,1] neg_hi:[0,0,1]
	v_pk_fma_f32 v[6:7], v[64:65], v[28:29], v[6:7] op_sel_hi:[1,0,1]
	s_nop 0
	v_mov_b32_e32 v6, v31
	v_mov_b32_e32 v9, v7
	v_pk_mul_f32 v[6:7], v[66:67], v[6:7] op_sel:[1,0] op_sel_hi:[0,0]
	v_pk_add_f32 v[4:5], v[4:5], v[8:9]
	v_pk_fma_f32 v[8:9], v[66:67], v[30:31], v[6:7] neg_lo:[0,0,1] neg_hi:[0,0,1]
	v_pk_fma_f32 v[6:7], v[66:67], v[30:31], v[6:7] op_sel_hi:[1,0,1]
	s_nop 0
	v_mov_b32_e32 v9, v7
	s_waitcnt vmcnt(3) lgkmcnt(2)
	v_pk_mul_f32 v[6:7], v[68:69], v[32:33] op_sel:[1,1] op_sel_hi:[0,1]
	v_pk_add_f32 v[4:5], v[4:5], v[8:9]
	v_pk_fma_f32 v[8:9], v[68:69], v[32:33], v[6:7] neg_lo:[0,0,1] neg_hi:[0,0,1]
	v_pk_fma_f32 v[6:7], v[68:69], v[32:33], v[6:7] op_sel_hi:[1,0,1]
	s_nop 0
	v_mov_b32_e32 v6, v35
	v_mov_b32_e32 v9, v7
	v_pk_mul_f32 v[6:7], v[70:71], v[6:7] op_sel:[1,0] op_sel_hi:[0,0]
	v_pk_add_f32 v[4:5], v[4:5], v[8:9]
	v_pk_fma_f32 v[8:9], v[70:71], v[34:35], v[6:7] neg_lo:[0,0,1] neg_hi:[0,0,1]
	v_pk_fma_f32 v[6:7], v[70:71], v[34:35], v[6:7] op_sel_hi:[1,0,1]
	s_nop 0
	v_mov_b32_e32 v9, v7
	s_waitcnt vmcnt(2) lgkmcnt(1)
	v_pk_mul_f32 v[6:7], v[72:73], v[36:37] op_sel:[1,1] op_sel_hi:[0,1]
	v_pk_add_f32 v[4:5], v[4:5], v[8:9]
	v_pk_fma_f32 v[8:9], v[72:73], v[36:37], v[6:7] neg_lo:[0,0,1] neg_hi:[0,0,1]
	v_pk_fma_f32 v[6:7], v[72:73], v[36:37], v[6:7] op_sel_hi:[1,0,1]
	s_nop 0
	v_mov_b32_e32 v6, v39
	v_mov_b32_e32 v9, v7
	v_pk_mul_f32 v[6:7], v[74:75], v[6:7] op_sel:[1,0] op_sel_hi:[0,0]
	v_pk_add_f32 v[4:5], v[4:5], v[8:9]
	v_pk_fma_f32 v[8:9], v[74:75], v[38:39], v[6:7] neg_lo:[0,0,1] neg_hi:[0,0,1]
	v_pk_fma_f32 v[6:7], v[74:75], v[38:39], v[6:7] op_sel_hi:[1,0,1]
	s_nop 0
	v_mov_b32_e32 v9, v7
	s_waitcnt vmcnt(1) lgkmcnt(0)
	v_pk_mul_f32 v[6:7], v[80:81], v[76:77] op_sel:[1,1] op_sel_hi:[0,1]
	v_pk_add_f32 v[4:5], v[4:5], v[8:9]
	v_pk_fma_f32 v[8:9], v[80:81], v[76:77], v[6:7] neg_lo:[0,0,1] neg_hi:[0,0,1]
	v_pk_fma_f32 v[6:7], v[80:81], v[76:77], v[6:7] op_sel_hi:[1,0,1]
	s_nop 0
	v_mov_b32_e32 v9, v7
	v_pk_add_f32 v[4:5], v[4:5], v[8:9]
	s_waitcnt vmcnt(0)
	v_pk_add_f32 v[4:5], v[78:79], v[4:5] neg_lo:[0,1] neg_hi:[0,1]
	scratch_store_dwordx2 off, v[4:5], off offset:344
	s_and_saveexec_b64 s[0:1], vcc
	s_cbranch_execz .LBB126_307
; %bb.306:
	scratch_load_dwordx2 v[4:5], off, off offset:336
	v_mov_b32_e32 v3, v2
	scratch_store_dwordx2 off, v[2:3], off offset:336
	s_waitcnt vmcnt(1)
	ds_write_b64 v1, v[4:5]
.LBB126_307:
	s_or_b64 exec, exec, s[0:1]
	s_waitcnt lgkmcnt(0)
	; wave barrier
	scratch_load_dwordx4 v[4:7], off, off offset:344
	scratch_load_dwordx4 v[8:11], off, off offset:360
	scratch_load_dwordx4 v[12:15], off, off offset:376
	scratch_load_dwordx4 v[16:19], off, off offset:392
	scratch_load_dwordx4 v[20:23], off, off offset:408
	scratch_load_dwordx4 v[24:27], off, off offset:424
	scratch_load_dwordx4 v[28:31], off, off offset:440
	ds_read2_b64 v[32:35], v2 offset0:107 offset1:108
	ds_read2_b64 v[36:39], v2 offset0:109 offset1:110
	;; [unrolled: 1-line block ×6, first 2 shown]
	scratch_load_dwordx4 v[56:59], off, off offset:456
	scratch_load_dwordx4 v[60:63], off, off offset:472
	;; [unrolled: 1-line block ×3, first 2 shown]
	ds_read2_b64 v[68:71], v2 offset0:119 offset1:120
	ds_read2_b64 v[72:75], v2 offset0:121 offset1:122
	;; [unrolled: 1-line block ×4, first 2 shown]
	scratch_load_dwordx2 v[2:3], off, off offset:336
	v_cmp_lt_u32_e32 vcc, 41, v0
	s_waitcnt vmcnt(10) lgkmcnt(9)
	v_mul_f32_e32 v90, v32, v5
	v_mul_f32_e32 v5, v33, v5
	;; [unrolled: 1-line block ×3, first 2 shown]
	s_waitcnt vmcnt(9) lgkmcnt(8)
	v_mul_f32_e32 v92, v36, v9
	s_waitcnt vmcnt(8) lgkmcnt(7)
	v_mul_f32_e32 v95, v42, v15
	v_mul_f32_e32 v7, v35, v7
	;; [unrolled: 1-line block ×4, first 2 shown]
	v_fmac_f32_e32 v90, v33, v4
	v_fma_f32 v4, v32, v4, -v5
	v_fmac_f32_e32 v91, v35, v6
	v_fmac_f32_e32 v95, v43, v14
	v_fma_f32 v5, v34, v6, -v7
	v_fma_f32 v6, v36, v8, -v9
	;; [unrolled: 1-line block ×3, first 2 shown]
	v_add_f32_e32 v14, 0, v90
	v_add_f32_e32 v4, 0, v4
	v_mul_f32_e32 v93, v38, v11
	v_mul_f32_e32 v11, v39, v11
	v_fmac_f32_e32 v92, v37, v8
	v_add_f32_e32 v14, v14, v91
	v_add_f32_e32 v4, v4, v5
	v_mul_f32_e32 v94, v40, v13
	v_mul_f32_e32 v13, v41, v13
	v_fmac_f32_e32 v93, v39, v10
	v_fma_f32 v7, v38, v10, -v11
	v_add_f32_e32 v5, v14, v92
	v_add_f32_e32 v4, v4, v6
	v_fmac_f32_e32 v94, v41, v12
	v_fma_f32 v8, v40, v12, -v13
	v_add_f32_e32 v5, v5, v93
	v_add_f32_e32 v4, v4, v7
	s_waitcnt vmcnt(7) lgkmcnt(6)
	v_mul_f32_e32 v96, v44, v17
	v_mul_f32_e32 v17, v45, v17
	v_add_f32_e32 v5, v5, v94
	v_add_f32_e32 v4, v4, v8
	v_mul_f32_e32 v97, v46, v19
	v_mul_f32_e32 v19, v47, v19
	v_fmac_f32_e32 v96, v45, v16
	v_fma_f32 v10, v44, v16, -v17
	v_add_f32_e32 v5, v5, v95
	v_add_f32_e32 v4, v4, v9
	s_waitcnt vmcnt(6) lgkmcnt(5)
	v_mul_f32_e32 v98, v48, v21
	v_mul_f32_e32 v21, v49, v21
	v_fmac_f32_e32 v97, v47, v18
	v_fma_f32 v11, v46, v18, -v19
	v_add_f32_e32 v5, v5, v96
	v_add_f32_e32 v4, v4, v10
	v_mul_f32_e32 v99, v50, v23
	v_mul_f32_e32 v23, v51, v23
	v_fmac_f32_e32 v98, v49, v20
	v_fma_f32 v12, v48, v20, -v21
	v_add_f32_e32 v5, v5, v97
	v_add_f32_e32 v4, v4, v11
	s_waitcnt vmcnt(5) lgkmcnt(4)
	v_mul_f32_e32 v85, v52, v25
	v_mul_f32_e32 v25, v53, v25
	v_fmac_f32_e32 v99, v51, v22
	v_fma_f32 v13, v50, v22, -v23
	v_add_f32_e32 v5, v5, v98
	v_add_f32_e32 v4, v4, v12
	v_mul_f32_e32 v87, v54, v27
	v_mul_f32_e32 v27, v55, v27
	s_waitcnt vmcnt(4) lgkmcnt(3)
	v_pk_mul_f32 v[88:89], v[68:69], v[28:29] op_sel:[1,1] op_sel_hi:[0,1]
	v_fmac_f32_e32 v85, v53, v24
	v_fma_f32 v84, v52, v24, -v25
	v_add_f32_e32 v5, v5, v99
	v_add_f32_e32 v4, v4, v13
	v_fmac_f32_e32 v87, v55, v26
	v_fma_f32 v86, v54, v26, -v27
	v_pk_add_f32 v[4:5], v[4:5], v[84:85]
	v_pk_fma_f32 v[6:7], v[68:69], v[28:29], v[88:89] neg_lo:[0,0,1] neg_hi:[0,0,1]
	v_pk_fma_f32 v[8:9], v[68:69], v[28:29], v[88:89] op_sel_hi:[1,0,1]
	v_pk_add_f32 v[4:5], v[4:5], v[86:87]
	v_mov_b32_e32 v7, v9
	v_pk_add_f32 v[4:5], v[4:5], v[6:7]
	v_mov_b32_e32 v6, v31
	v_pk_mul_f32 v[6:7], v[70:71], v[6:7] op_sel:[1,0] op_sel_hi:[0,0]
	v_pk_fma_f32 v[8:9], v[70:71], v[30:31], v[6:7] neg_lo:[0,0,1] neg_hi:[0,0,1]
	v_pk_fma_f32 v[6:7], v[70:71], v[30:31], v[6:7] op_sel_hi:[1,0,1]
	s_nop 0
	v_mov_b32_e32 v9, v7
	s_waitcnt vmcnt(3) lgkmcnt(2)
	v_pk_mul_f32 v[6:7], v[72:73], v[56:57] op_sel:[1,1] op_sel_hi:[0,1]
	v_pk_add_f32 v[4:5], v[4:5], v[8:9]
	v_pk_fma_f32 v[8:9], v[72:73], v[56:57], v[6:7] neg_lo:[0,0,1] neg_hi:[0,0,1]
	v_pk_fma_f32 v[6:7], v[72:73], v[56:57], v[6:7] op_sel_hi:[1,0,1]
	s_nop 0
	v_mov_b32_e32 v6, v59
	v_mov_b32_e32 v9, v7
	v_pk_mul_f32 v[6:7], v[74:75], v[6:7] op_sel:[1,0] op_sel_hi:[0,0]
	v_pk_add_f32 v[4:5], v[4:5], v[8:9]
	v_pk_fma_f32 v[8:9], v[74:75], v[58:59], v[6:7] neg_lo:[0,0,1] neg_hi:[0,0,1]
	v_pk_fma_f32 v[6:7], v[74:75], v[58:59], v[6:7] op_sel_hi:[1,0,1]
	s_nop 0
	v_mov_b32_e32 v9, v7
	s_waitcnt vmcnt(2) lgkmcnt(1)
	v_pk_mul_f32 v[6:7], v[76:77], v[60:61] op_sel:[1,1] op_sel_hi:[0,1]
	v_pk_add_f32 v[4:5], v[4:5], v[8:9]
	v_pk_fma_f32 v[8:9], v[76:77], v[60:61], v[6:7] neg_lo:[0,0,1] neg_hi:[0,0,1]
	v_pk_fma_f32 v[6:7], v[76:77], v[60:61], v[6:7] op_sel_hi:[1,0,1]
	s_nop 0
	v_mov_b32_e32 v6, v63
	v_mov_b32_e32 v9, v7
	v_pk_mul_f32 v[6:7], v[78:79], v[6:7] op_sel:[1,0] op_sel_hi:[0,0]
	v_pk_add_f32 v[4:5], v[4:5], v[8:9]
	;; [unrolled: 14-line block ×3, first 2 shown]
	v_pk_fma_f32 v[8:9], v[82:83], v[66:67], v[6:7] neg_lo:[0,0,1] neg_hi:[0,0,1]
	v_pk_fma_f32 v[6:7], v[82:83], v[66:67], v[6:7] op_sel_hi:[1,0,1]
	s_nop 0
	v_mov_b32_e32 v9, v7
	v_pk_add_f32 v[4:5], v[4:5], v[8:9]
	s_waitcnt vmcnt(0)
	v_pk_add_f32 v[2:3], v[2:3], v[4:5] neg_lo:[0,1] neg_hi:[0,1]
	scratch_store_dwordx2 off, v[2:3], off offset:336
	s_and_saveexec_b64 s[0:1], vcc
	s_cbranch_execz .LBB126_309
; %bb.308:
	scratch_load_dwordx2 v[2:3], off, off offset:328
	v_mov_b32_e32 v4, 0
	v_mov_b32_e32 v5, v4
	scratch_store_dwordx2 off, v[4:5], off offset:328
	s_waitcnt vmcnt(1)
	ds_write_b64 v1, v[2:3]
.LBB126_309:
	s_or_b64 exec, exec, s[0:1]
	s_waitcnt lgkmcnt(0)
	; wave barrier
	scratch_load_dwordx4 v[2:5], off, off offset:336
	scratch_load_dwordx4 v[6:9], off, off offset:352
	scratch_load_dwordx4 v[12:15], off, off offset:368
	scratch_load_dwordx4 v[16:19], off, off offset:384
	scratch_load_dwordx4 v[20:23], off, off offset:400
	scratch_load_dwordx4 v[24:27], off, off offset:416
	scratch_load_dwordx4 v[28:31], off, off offset:432
	scratch_load_dwordx4 v[32:35], off, off offset:448
	scratch_load_dwordx4 v[36:39], off, off offset:464
	scratch_load_dwordx4 v[40:43], off, off offset:480
	scratch_load_dwordx2 v[76:77], off, off offset:496
	scratch_load_dwordx2 v[78:79], off, off offset:328
	v_mov_b32_e32 v10, 0
	ds_read_b128 v[44:47], v10 offset:848
	ds_read_b128 v[48:51], v10 offset:864
	;; [unrolled: 1-line block ×8, first 2 shown]
	v_cmp_lt_u32_e32 vcc, 40, v0
	s_waitcnt vmcnt(11) lgkmcnt(7)
	v_mul_f32_e32 v11, v44, v3
	v_mul_f32_e32 v3, v45, v3
	;; [unrolled: 1-line block ×4, first 2 shown]
	v_fmac_f32_e32 v11, v45, v2
	v_fma_f32 v2, v44, v2, -v3
	s_waitcnt vmcnt(10) lgkmcnt(6)
	v_mul_f32_e32 v82, v48, v7
	v_mul_f32_e32 v7, v49, v7
	v_fma_f32 v3, v46, v4, -v5
	v_add_f32_e32 v2, 0, v2
	v_mul_f32_e32 v84, v50, v9
	v_mul_f32_e32 v9, v51, v9
	v_fmac_f32_e32 v80, v47, v4
	v_fma_f32 v4, v48, v6, -v7
	v_add_f32_e32 v11, 0, v11
	v_add_f32_e32 v2, v2, v3
	s_waitcnt vmcnt(9) lgkmcnt(5)
	v_mul_f32_e32 v85, v52, v13
	v_mul_f32_e32 v13, v53, v13
	v_fmac_f32_e32 v82, v49, v6
	v_fma_f32 v5, v50, v8, -v9
	v_add_f32_e32 v11, v11, v80
	v_add_f32_e32 v2, v2, v4
	v_mul_f32_e32 v86, v54, v15
	v_mul_f32_e32 v15, v55, v15
	v_fmac_f32_e32 v84, v51, v8
	v_fma_f32 v6, v52, v12, -v13
	v_add_f32_e32 v3, v11, v82
	v_add_f32_e32 v2, v2, v5
	s_waitcnt vmcnt(8) lgkmcnt(4)
	v_mul_f32_e32 v87, v56, v17
	v_mul_f32_e32 v17, v57, v17
	v_fmac_f32_e32 v85, v53, v12
	v_fma_f32 v7, v54, v14, -v15
	v_add_f32_e32 v3, v3, v84
	;; [unrolled: 13-line block ×4, first 2 shown]
	v_add_f32_e32 v2, v2, v12
	v_fmac_f32_e32 v90, v63, v22
	v_fma_f32 v14, v64, v24, -v25
	v_add_f32_e32 v3, v3, v89
	v_add_f32_e32 v2, v2, v13
	v_mul_f32_e32 v81, v66, v27
	v_fmac_f32_e32 v91, v65, v24
	v_add_f32_e32 v3, v3, v90
	v_add_f32_e32 v12, v2, v14
	v_mul_f32_e32 v2, v67, v27
	s_waitcnt vmcnt(5)
	v_mov_b32_e32 v16, v31
	s_waitcnt lgkmcnt(1)
	v_mul_f32_e32 v83, v68, v29
	v_fmac_f32_e32 v81, v67, v26
	v_add_f32_e32 v13, v3, v91
	v_fma_f32 v80, v66, v26, -v2
	v_mul_f32_e32 v2, v69, v29
	v_pk_mul_f32 v[16:17], v[70:71], v[16:17] op_sel:[1,0] op_sel_hi:[0,0]
	v_fmac_f32_e32 v83, v69, v28
	v_fma_f32 v82, v68, v28, -v2
	v_pk_add_f32 v[12:13], v[12:13], v[80:81]
	v_pk_fma_f32 v[18:19], v[70:71], v[30:31], v[16:17] neg_lo:[0,0,1] neg_hi:[0,0,1]
	v_pk_fma_f32 v[16:17], v[70:71], v[30:31], v[16:17] op_sel_hi:[1,0,1]
	v_pk_add_f32 v[12:13], v[12:13], v[82:83]
	v_mov_b32_e32 v19, v17
	s_waitcnt vmcnt(4) lgkmcnt(0)
	v_pk_mul_f32 v[16:17], v[72:73], v[32:33] op_sel:[1,1] op_sel_hi:[0,1]
	v_pk_add_f32 v[12:13], v[12:13], v[18:19]
	v_pk_fma_f32 v[18:19], v[72:73], v[32:33], v[16:17] neg_lo:[0,0,1] neg_hi:[0,0,1]
	v_pk_fma_f32 v[16:17], v[72:73], v[32:33], v[16:17] op_sel_hi:[1,0,1]
	ds_read_b128 v[2:5], v10 offset:976
	ds_read_b128 v[6:9], v10 offset:992
	ds_read_b64 v[14:15], v10 offset:1008
	v_mov_b32_e32 v16, v35
	v_mov_b32_e32 v19, v17
	v_pk_mul_f32 v[16:17], v[74:75], v[16:17] op_sel:[1,0] op_sel_hi:[0,0]
	v_pk_add_f32 v[12:13], v[12:13], v[18:19]
	v_pk_fma_f32 v[18:19], v[74:75], v[34:35], v[16:17] neg_lo:[0,0,1] neg_hi:[0,0,1]
	v_pk_fma_f32 v[16:17], v[74:75], v[34:35], v[16:17] op_sel_hi:[1,0,1]
	s_nop 0
	v_mov_b32_e32 v19, v17
	s_waitcnt vmcnt(3) lgkmcnt(2)
	v_pk_mul_f32 v[16:17], v[2:3], v[36:37] op_sel:[1,1] op_sel_hi:[0,1]
	v_pk_add_f32 v[12:13], v[12:13], v[18:19]
	v_pk_fma_f32 v[18:19], v[2:3], v[36:37], v[16:17] neg_lo:[0,0,1] neg_hi:[0,0,1]
	v_pk_fma_f32 v[2:3], v[2:3], v[36:37], v[16:17] op_sel_hi:[1,0,1]
	s_nop 0
	v_mov_b32_e32 v19, v3
	v_pk_add_f32 v[2:3], v[12:13], v[18:19]
	v_mov_b32_e32 v12, v39
	v_pk_mul_f32 v[12:13], v[4:5], v[12:13] op_sel:[1,0] op_sel_hi:[0,0]
	v_pk_fma_f32 v[16:17], v[4:5], v[38:39], v[12:13] neg_lo:[0,0,1] neg_hi:[0,0,1]
	v_pk_fma_f32 v[4:5], v[4:5], v[38:39], v[12:13] op_sel_hi:[1,0,1]
	s_nop 0
	v_mov_b32_e32 v17, v5
	s_waitcnt vmcnt(2) lgkmcnt(1)
	v_pk_mul_f32 v[4:5], v[6:7], v[40:41] op_sel:[1,1] op_sel_hi:[0,1]
	v_pk_fma_f32 v[12:13], v[6:7], v[40:41], v[4:5] neg_lo:[0,0,1] neg_hi:[0,0,1]
	v_pk_fma_f32 v[4:5], v[6:7], v[40:41], v[4:5] op_sel_hi:[1,0,1]
	v_pk_add_f32 v[2:3], v[2:3], v[16:17]
	v_mov_b32_e32 v4, v43
	v_mov_b32_e32 v13, v5
	v_pk_mul_f32 v[4:5], v[8:9], v[4:5] op_sel:[1,0] op_sel_hi:[0,0]
	v_pk_fma_f32 v[6:7], v[8:9], v[42:43], v[4:5] neg_lo:[0,0,1] neg_hi:[0,0,1]
	v_pk_fma_f32 v[4:5], v[8:9], v[42:43], v[4:5] op_sel_hi:[1,0,1]
	v_pk_add_f32 v[2:3], v[2:3], v[12:13]
	v_mov_b32_e32 v7, v5
	s_waitcnt vmcnt(1) lgkmcnt(0)
	v_pk_mul_f32 v[4:5], v[14:15], v[76:77] op_sel:[1,1] op_sel_hi:[0,1]
	v_pk_add_f32 v[2:3], v[2:3], v[6:7]
	v_pk_fma_f32 v[6:7], v[14:15], v[76:77], v[4:5] neg_lo:[0,0,1] neg_hi:[0,0,1]
	v_pk_fma_f32 v[4:5], v[14:15], v[76:77], v[4:5] op_sel_hi:[1,0,1]
	s_nop 0
	v_mov_b32_e32 v7, v5
	v_pk_add_f32 v[2:3], v[2:3], v[6:7]
	s_waitcnt vmcnt(0)
	v_pk_add_f32 v[2:3], v[78:79], v[2:3] neg_lo:[0,1] neg_hi:[0,1]
	scratch_store_dwordx2 off, v[2:3], off offset:328
	s_and_saveexec_b64 s[0:1], vcc
	s_cbranch_execz .LBB126_311
; %bb.310:
	scratch_load_dwordx2 v[2:3], off, off offset:320
	v_mov_b32_e32 v11, v10
	scratch_store_dwordx2 off, v[10:11], off offset:320
	s_waitcnt vmcnt(1)
	ds_write_b64 v1, v[2:3]
.LBB126_311:
	s_or_b64 exec, exec, s[0:1]
	s_waitcnt lgkmcnt(0)
	; wave barrier
	scratch_load_dwordx4 v[6:9], off, off offset:328
	scratch_load_dwordx4 v[12:15], off, off offset:344
	scratch_load_dwordx4 v[16:19], off, off offset:360
	scratch_load_dwordx4 v[20:23], off, off offset:376
	scratch_load_dwordx4 v[24:27], off, off offset:392
	scratch_load_dwordx4 v[28:31], off, off offset:408
	scratch_load_dwordx4 v[32:35], off, off offset:424
	ds_read2_b64 v[36:39], v10 offset0:105 offset1:106
	ds_read2_b64 v[40:43], v10 offset0:107 offset1:108
	;; [unrolled: 1-line block ×6, first 2 shown]
	scratch_load_dwordx4 v[60:63], off, off offset:440
	scratch_load_dwordx4 v[64:67], off, off offset:456
	scratch_load_dwordx4 v[68:71], off, off offset:472
	scratch_load_dwordx4 v[2:5], off, off offset:488
	ds_read2_b64 v[72:75], v10 offset0:117 offset1:118
	ds_read2_b64 v[76:79], v10 offset0:119 offset1:120
	scratch_load_dwordx2 v[80:81], off, off offset:320
	v_cmp_lt_u32_e32 vcc, 39, v0
	s_waitcnt vmcnt(11) lgkmcnt(7)
	v_mul_f32_e32 v11, v36, v7
	v_mul_f32_e32 v82, v38, v9
	v_mul_f32_e32 v7, v37, v7
	v_fmac_f32_e32 v11, v37, v6
	s_waitcnt vmcnt(10) lgkmcnt(6)
	v_mul_f32_e32 v84, v40, v13
	v_mul_f32_e32 v9, v39, v9
	v_fmac_f32_e32 v82, v39, v8
	v_fma_f32 v6, v36, v6, -v7
	v_add_f32_e32 v11, 0, v11
	v_mul_f32_e32 v86, v42, v15
	v_fmac_f32_e32 v84, v41, v12
	v_fma_f32 v7, v38, v8, -v9
	v_add_f32_e32 v6, 0, v6
	v_add_f32_e32 v11, v11, v82
	s_waitcnt vmcnt(9) lgkmcnt(5)
	v_mul_f32_e32 v87, v44, v17
	v_mul_f32_e32 v13, v41, v13
	v_fmac_f32_e32 v86, v43, v14
	v_add_f32_e32 v6, v6, v7
	v_add_f32_e32 v7, v11, v84
	v_mul_f32_e32 v88, v46, v19
	v_mul_f32_e32 v15, v43, v15
	v_fmac_f32_e32 v87, v45, v16
	v_fma_f32 v8, v40, v12, -v13
	v_add_f32_e32 v7, v7, v86
	s_waitcnt vmcnt(8) lgkmcnt(4)
	v_mul_f32_e32 v89, v48, v21
	v_mul_f32_e32 v17, v45, v17
	v_fmac_f32_e32 v88, v47, v18
	v_fma_f32 v9, v42, v14, -v15
	v_add_f32_e32 v6, v6, v8
	v_add_f32_e32 v7, v7, v87
	v_mul_f32_e32 v90, v50, v23
	v_mul_f32_e32 v19, v47, v19
	v_fmac_f32_e32 v89, v49, v20
	v_fma_f32 v12, v44, v16, -v17
	v_add_f32_e32 v6, v6, v9
	v_add_f32_e32 v7, v7, v88
	s_waitcnt vmcnt(7) lgkmcnt(3)
	v_mul_f32_e32 v91, v52, v25
	v_mul_f32_e32 v21, v49, v21
	v_fmac_f32_e32 v90, v51, v22
	v_fma_f32 v13, v46, v18, -v19
	v_add_f32_e32 v6, v6, v12
	v_add_f32_e32 v7, v7, v89
	v_mul_f32_e32 v92, v54, v27
	v_mul_f32_e32 v23, v51, v23
	v_fmac_f32_e32 v91, v53, v24
	v_fma_f32 v14, v48, v20, -v21
	v_add_f32_e32 v6, v6, v13
	;; [unrolled: 13-line block ×3, first 2 shown]
	v_add_f32_e32 v7, v7, v92
	v_mul_f32_e32 v29, v57, v29
	v_fmac_f32_e32 v94, v59, v30
	v_fma_f32 v17, v54, v26, -v27
	v_add_f32_e32 v6, v6, v16
	v_add_f32_e32 v7, v7, v93
	v_fma_f32 v18, v56, v28, -v29
	v_add_f32_e32 v6, v6, v17
	v_add_f32_e32 v21, v7, v94
	v_mul_f32_e32 v7, v59, v31
	v_add_f32_e32 v6, v6, v18
	v_fma_f32 v7, v58, v30, -v7
	s_waitcnt vmcnt(5) lgkmcnt(1)
	v_mul_f32_e32 v83, v72, v33
	v_add_f32_e32 v20, v6, v7
	v_mul_f32_e32 v6, v73, v33
	v_fmac_f32_e32 v83, v73, v32
	v_fma_f32 v82, v72, v32, -v6
	v_mul_f32_e32 v6, v75, v35
	v_fma_f32 v84, v74, v34, -v6
	ds_read2_b64 v[6:9], v10 offset0:121 offset1:122
	ds_read2_b64 v[12:15], v10 offset0:123 offset1:124
	;; [unrolled: 1-line block ×3, first 2 shown]
	v_pk_add_f32 v[10:11], v[20:21], v[82:83]
	s_waitcnt vmcnt(4) lgkmcnt(3)
	v_pk_mul_f32 v[20:21], v[76:77], v[60:61] op_sel:[1,1] op_sel_hi:[0,1]
	v_mul_f32_e32 v85, v74, v35
	v_pk_fma_f32 v[22:23], v[76:77], v[60:61], v[20:21] neg_lo:[0,0,1] neg_hi:[0,0,1]
	v_pk_fma_f32 v[20:21], v[76:77], v[60:61], v[20:21] op_sel_hi:[1,0,1]
	v_fmac_f32_e32 v85, v75, v34
	v_mov_b32_e32 v20, v63
	v_pk_add_f32 v[10:11], v[10:11], v[84:85]
	v_mov_b32_e32 v23, v21
	v_pk_mul_f32 v[20:21], v[78:79], v[20:21] op_sel:[1,0] op_sel_hi:[0,0]
	v_pk_add_f32 v[10:11], v[10:11], v[22:23]
	v_pk_fma_f32 v[22:23], v[78:79], v[62:63], v[20:21] neg_lo:[0,0,1] neg_hi:[0,0,1]
	v_pk_fma_f32 v[20:21], v[78:79], v[62:63], v[20:21] op_sel_hi:[1,0,1]
	s_nop 0
	v_mov_b32_e32 v23, v21
	s_waitcnt vmcnt(3) lgkmcnt(2)
	v_pk_mul_f32 v[20:21], v[6:7], v[64:65] op_sel:[1,1] op_sel_hi:[0,1]
	v_pk_add_f32 v[10:11], v[10:11], v[22:23]
	v_pk_fma_f32 v[22:23], v[6:7], v[64:65], v[20:21] neg_lo:[0,0,1] neg_hi:[0,0,1]
	v_pk_fma_f32 v[6:7], v[6:7], v[64:65], v[20:21] op_sel_hi:[1,0,1]
	s_nop 0
	v_mov_b32_e32 v23, v7
	v_pk_add_f32 v[6:7], v[10:11], v[22:23]
	v_mov_b32_e32 v10, v67
	v_pk_mul_f32 v[10:11], v[8:9], v[10:11] op_sel:[1,0] op_sel_hi:[0,0]
	v_pk_fma_f32 v[20:21], v[8:9], v[66:67], v[10:11] neg_lo:[0,0,1] neg_hi:[0,0,1]
	v_pk_fma_f32 v[8:9], v[8:9], v[66:67], v[10:11] op_sel_hi:[1,0,1]
	s_nop 0
	v_mov_b32_e32 v21, v9
	s_waitcnt vmcnt(2) lgkmcnt(1)
	v_pk_mul_f32 v[8:9], v[12:13], v[68:69] op_sel:[1,1] op_sel_hi:[0,1]
	v_pk_fma_f32 v[10:11], v[12:13], v[68:69], v[8:9] neg_lo:[0,0,1] neg_hi:[0,0,1]
	v_pk_fma_f32 v[8:9], v[12:13], v[68:69], v[8:9] op_sel_hi:[1,0,1]
	v_pk_add_f32 v[6:7], v[6:7], v[20:21]
	v_mov_b32_e32 v8, v71
	v_mov_b32_e32 v11, v9
	v_pk_mul_f32 v[8:9], v[14:15], v[8:9] op_sel:[1,0] op_sel_hi:[0,0]
	v_pk_add_f32 v[6:7], v[6:7], v[10:11]
	v_pk_fma_f32 v[10:11], v[14:15], v[70:71], v[8:9] neg_lo:[0,0,1] neg_hi:[0,0,1]
	v_pk_fma_f32 v[8:9], v[14:15], v[70:71], v[8:9] op_sel_hi:[1,0,1]
	s_nop 0
	v_mov_b32_e32 v11, v9
	s_waitcnt vmcnt(1) lgkmcnt(0)
	v_pk_mul_f32 v[8:9], v[16:17], v[2:3] op_sel:[1,1] op_sel_hi:[0,1]
	v_pk_add_f32 v[6:7], v[6:7], v[10:11]
	v_pk_fma_f32 v[10:11], v[16:17], v[2:3], v[8:9] neg_lo:[0,0,1] neg_hi:[0,0,1]
	v_pk_fma_f32 v[2:3], v[16:17], v[2:3], v[8:9] op_sel_hi:[1,0,1]
	s_nop 0
	v_mov_b32_e32 v11, v3
	v_pk_add_f32 v[2:3], v[6:7], v[10:11]
	v_mov_b32_e32 v6, v5
	v_pk_mul_f32 v[6:7], v[18:19], v[6:7] op_sel:[1,0] op_sel_hi:[0,0]
	v_pk_fma_f32 v[8:9], v[18:19], v[4:5], v[6:7] neg_lo:[0,0,1] neg_hi:[0,0,1]
	v_pk_fma_f32 v[4:5], v[18:19], v[4:5], v[6:7] op_sel_hi:[1,0,1]
	s_nop 0
	v_mov_b32_e32 v9, v5
	v_pk_add_f32 v[2:3], v[2:3], v[8:9]
	s_waitcnt vmcnt(0)
	v_pk_add_f32 v[2:3], v[80:81], v[2:3] neg_lo:[0,1] neg_hi:[0,1]
	scratch_store_dwordx2 off, v[2:3], off offset:320
	s_and_saveexec_b64 s[0:1], vcc
	s_cbranch_execz .LBB126_313
; %bb.312:
	scratch_load_dwordx2 v[2:3], off, off offset:312
	v_mov_b32_e32 v4, 0
	v_mov_b32_e32 v5, v4
	scratch_store_dwordx2 off, v[4:5], off offset:312
	s_waitcnt vmcnt(1)
	ds_write_b64 v1, v[2:3]
.LBB126_313:
	s_or_b64 exec, exec, s[0:1]
	s_waitcnt lgkmcnt(0)
	; wave barrier
	scratch_load_dwordx4 v[6:9], off, off offset:320
	scratch_load_dwordx4 v[14:17], off, off offset:336
	;; [unrolled: 1-line block ×11, first 2 shown]
	scratch_load_dwordx2 v[22:23], off, off offset:496
	scratch_load_dwordx2 v[36:37], off, off offset:312
	v_mov_b32_e32 v38, 0
	ds_read_b128 v[52:55], v38 offset:832
	ds_read_b128 v[56:59], v38 offset:848
	;; [unrolled: 1-line block ×8, first 2 shown]
	v_cmp_lt_u32_e32 vcc, 38, v0
	s_waitcnt vmcnt(12) lgkmcnt(7)
	v_mul_f32_e32 v39, v52, v7
	v_mul_f32_e32 v84, v54, v9
	v_mul_f32_e32 v7, v53, v7
	v_fmac_f32_e32 v39, v53, v6
	s_waitcnt vmcnt(8) lgkmcnt(3)
	v_mul_f32_e32 v93, v68, v19
	v_mul_f32_e32 v19, v69, v19
	;; [unrolled: 1-line block ×4, first 2 shown]
	v_fmac_f32_e32 v84, v55, v8
	v_fmac_f32_e32 v93, v69, v18
	v_fma_f32 v6, v52, v6, -v7
	v_fma_f32 v18, v68, v18, -v19
	v_add_f32_e32 v19, 0, v39
	v_mul_f32_e32 v88, v58, v17
	v_fmac_f32_e32 v86, v57, v14
	v_fma_f32 v7, v54, v8, -v9
	v_add_f32_e32 v6, 0, v6
	v_add_f32_e32 v19, v19, v84
	v_mul_f32_e32 v89, v60, v25
	v_fmac_f32_e32 v88, v59, v16
	v_add_f32_e32 v6, v6, v7
	v_add_f32_e32 v7, v19, v86
	v_mul_f32_e32 v90, v62, v27
	v_fmac_f32_e32 v89, v61, v24
	v_add_f32_e32 v7, v7, v88
	v_mul_f32_e32 v91, v64, v29
	v_mul_f32_e32 v15, v57, v15
	v_fmac_f32_e32 v90, v63, v26
	v_add_f32_e32 v7, v7, v89
	v_mul_f32_e32 v92, v66, v31
	v_mul_f32_e32 v17, v59, v17
	v_fmac_f32_e32 v91, v65, v28
	v_fma_f32 v8, v56, v14, -v15
	v_add_f32_e32 v7, v7, v90
	v_mul_f32_e32 v25, v61, v25
	v_fmac_f32_e32 v92, v67, v30
	v_fma_f32 v9, v58, v16, -v17
	v_add_f32_e32 v6, v6, v8
	v_add_f32_e32 v7, v7, v91
	v_mul_f32_e32 v94, v70, v21
	v_mul_f32_e32 v27, v63, v27
	v_fma_f32 v14, v60, v24, -v25
	v_add_f32_e32 v6, v6, v9
	v_add_f32_e32 v7, v7, v92
	s_waitcnt vmcnt(7) lgkmcnt(2)
	v_mul_f32_e32 v95, v72, v33
	v_mul_f32_e32 v29, v65, v29
	v_fmac_f32_e32 v94, v71, v20
	v_fma_f32 v15, v62, v26, -v27
	v_add_f32_e32 v6, v6, v14
	v_add_f32_e32 v7, v7, v93
	v_mul_f32_e32 v96, v74, v35
	v_mul_f32_e32 v31, v67, v31
	v_fmac_f32_e32 v95, v73, v32
	v_fma_f32 v16, v64, v28, -v29
	v_add_f32_e32 v6, v6, v15
	v_add_f32_e32 v7, v7, v94
	s_waitcnt vmcnt(6) lgkmcnt(1)
	v_mul_f32_e32 v97, v76, v41
	v_fmac_f32_e32 v96, v75, v34
	v_fma_f32 v17, v66, v30, -v31
	v_add_f32_e32 v6, v6, v16
	v_add_f32_e32 v7, v7, v95
	v_mul_f32_e32 v21, v71, v21
	v_fmac_f32_e32 v97, v77, v40
	v_add_f32_e32 v6, v6, v17
	v_add_f32_e32 v7, v7, v96
	;; [unrolled: 1-line block ×4, first 2 shown]
	v_fma_f32 v7, v70, v20, -v21
	v_add_f32_e32 v6, v6, v7
	v_mul_f32_e32 v7, v73, v33
	v_fma_f32 v7, v72, v32, -v7
	v_add_f32_e32 v6, v6, v7
	v_mul_f32_e32 v7, v75, v35
	;; [unrolled: 3-line block ×4, first 2 shown]
	v_mul_f32_e32 v85, v78, v43
	v_fma_f32 v84, v78, v42, -v6
	s_waitcnt vmcnt(5) lgkmcnt(0)
	v_mul_f32_e32 v6, v81, v45
	v_mov_b32_e32 v28, v47
	v_mul_f32_e32 v87, v80, v45
	v_fmac_f32_e32 v85, v79, v42
	v_fma_f32 v86, v80, v44, -v6
	ds_read_b128 v[6:9], v38 offset:960
	ds_read_b128 v[14:17], v38 offset:976
	;; [unrolled: 1-line block ×3, first 2 shown]
	ds_read_b64 v[26:27], v38 offset:1008
	v_pk_mul_f32 v[28:29], v[82:83], v[28:29] op_sel:[1,0] op_sel_hi:[0,0]
	v_fmac_f32_e32 v87, v81, v44
	v_pk_add_f32 v[24:25], v[24:25], v[84:85]
	v_pk_fma_f32 v[30:31], v[82:83], v[46:47], v[28:29] neg_lo:[0,0,1] neg_hi:[0,0,1]
	v_pk_fma_f32 v[28:29], v[82:83], v[46:47], v[28:29] op_sel_hi:[1,0,1]
	v_pk_add_f32 v[24:25], v[24:25], v[86:87]
	v_mov_b32_e32 v31, v29
	s_waitcnt vmcnt(4) lgkmcnt(3)
	v_pk_mul_f32 v[28:29], v[6:7], v[48:49] op_sel:[1,1] op_sel_hi:[0,1]
	v_pk_add_f32 v[24:25], v[24:25], v[30:31]
	v_pk_fma_f32 v[30:31], v[6:7], v[48:49], v[28:29] neg_lo:[0,0,1] neg_hi:[0,0,1]
	v_pk_fma_f32 v[6:7], v[6:7], v[48:49], v[28:29] op_sel_hi:[1,0,1]
	s_nop 0
	v_mov_b32_e32 v31, v7
	v_pk_add_f32 v[6:7], v[24:25], v[30:31]
	v_mov_b32_e32 v24, v51
	v_pk_mul_f32 v[24:25], v[8:9], v[24:25] op_sel:[1,0] op_sel_hi:[0,0]
	v_pk_fma_f32 v[28:29], v[8:9], v[50:51], v[24:25] neg_lo:[0,0,1] neg_hi:[0,0,1]
	v_pk_fma_f32 v[8:9], v[8:9], v[50:51], v[24:25] op_sel_hi:[1,0,1]
	s_nop 0
	v_mov_b32_e32 v29, v9
	s_waitcnt vmcnt(3) lgkmcnt(2)
	v_pk_mul_f32 v[8:9], v[14:15], v[10:11] op_sel:[1,1] op_sel_hi:[0,1]
	v_pk_fma_f32 v[24:25], v[14:15], v[10:11], v[8:9] neg_lo:[0,0,1] neg_hi:[0,0,1]
	v_pk_fma_f32 v[8:9], v[14:15], v[10:11], v[8:9] op_sel_hi:[1,0,1]
	v_pk_add_f32 v[6:7], v[6:7], v[28:29]
	v_mov_b32_e32 v8, v13
	v_mov_b32_e32 v25, v9
	v_pk_mul_f32 v[8:9], v[16:17], v[8:9] op_sel:[1,0] op_sel_hi:[0,0]
	v_pk_fma_f32 v[10:11], v[16:17], v[12:13], v[8:9] neg_lo:[0,0,1] neg_hi:[0,0,1]
	v_pk_fma_f32 v[8:9], v[16:17], v[12:13], v[8:9] op_sel_hi:[1,0,1]
	v_pk_add_f32 v[6:7], v[6:7], v[24:25]
	v_mov_b32_e32 v11, v9
	s_waitcnt vmcnt(2) lgkmcnt(1)
	v_pk_mul_f32 v[8:9], v[18:19], v[2:3] op_sel:[1,1] op_sel_hi:[0,1]
	v_pk_add_f32 v[6:7], v[6:7], v[10:11]
	v_pk_fma_f32 v[10:11], v[18:19], v[2:3], v[8:9] neg_lo:[0,0,1] neg_hi:[0,0,1]
	v_pk_fma_f32 v[2:3], v[18:19], v[2:3], v[8:9] op_sel_hi:[1,0,1]
	s_nop 0
	v_mov_b32_e32 v11, v3
	v_pk_add_f32 v[2:3], v[6:7], v[10:11]
	v_mov_b32_e32 v6, v5
	v_pk_mul_f32 v[6:7], v[20:21], v[6:7] op_sel:[1,0] op_sel_hi:[0,0]
	v_pk_fma_f32 v[8:9], v[20:21], v[4:5], v[6:7] neg_lo:[0,0,1] neg_hi:[0,0,1]
	v_pk_fma_f32 v[4:5], v[20:21], v[4:5], v[6:7] op_sel_hi:[1,0,1]
	s_nop 0
	v_mov_b32_e32 v9, v5
	s_waitcnt vmcnt(1) lgkmcnt(0)
	v_pk_mul_f32 v[4:5], v[26:27], v[22:23] op_sel:[1,1] op_sel_hi:[0,1]
	v_pk_fma_f32 v[6:7], v[26:27], v[22:23], v[4:5] neg_lo:[0,0,1] neg_hi:[0,0,1]
	v_pk_fma_f32 v[4:5], v[26:27], v[22:23], v[4:5] op_sel_hi:[1,0,1]
	v_pk_add_f32 v[2:3], v[2:3], v[8:9]
	v_mov_b32_e32 v7, v5
	v_pk_add_f32 v[2:3], v[2:3], v[6:7]
	s_waitcnt vmcnt(0)
	v_pk_add_f32 v[2:3], v[36:37], v[2:3] neg_lo:[0,1] neg_hi:[0,1]
	scratch_store_dwordx2 off, v[2:3], off offset:312
	s_and_saveexec_b64 s[0:1], vcc
	s_cbranch_execz .LBB126_315
; %bb.314:
	scratch_load_dwordx2 v[2:3], off, off offset:304
	v_mov_b32_e32 v39, v38
	scratch_store_dwordx2 off, v[38:39], off offset:304
	s_waitcnt vmcnt(1)
	ds_write_b64 v1, v[2:3]
.LBB126_315:
	s_or_b64 exec, exec, s[0:1]
	s_waitcnt lgkmcnt(0)
	; wave barrier
	scratch_load_dwordx4 v[2:5], off, off offset:312
	scratch_load_dwordx4 v[14:17], off, off offset:328
	;; [unrolled: 1-line block ×8, first 2 shown]
	ds_read2_b64 v[48:51], v38 offset0:103 offset1:104
	ds_read2_b64 v[52:55], v38 offset0:105 offset1:106
	;; [unrolled: 1-line block ×8, first 2 shown]
	scratch_load_dwordx4 v[80:83], off, off offset:440
	scratch_load_dwordx4 v[26:29], off, off offset:456
	;; [unrolled: 1-line block ×4, first 2 shown]
	scratch_load_dwordx2 v[84:85], off, off offset:304
	v_cmp_lt_u32_e32 vcc, 37, v0
	s_waitcnt vmcnt(12) lgkmcnt(7)
	v_mul_f32_e32 v39, v48, v3
	v_mul_f32_e32 v86, v50, v5
	;; [unrolled: 1-line block ×3, first 2 shown]
	v_fmac_f32_e32 v39, v49, v2
	s_waitcnt vmcnt(8) lgkmcnt(3)
	v_mul_f32_e32 v95, v64, v19
	v_mul_f32_e32 v19, v65, v19
	;; [unrolled: 1-line block ×4, first 2 shown]
	v_fmac_f32_e32 v86, v51, v4
	v_fmac_f32_e32 v95, v65, v18
	v_fma_f32 v2, v48, v2, -v3
	v_fma_f32 v18, v64, v18, -v19
	v_add_f32_e32 v19, 0, v39
	v_mul_f32_e32 v90, v54, v17
	v_fmac_f32_e32 v88, v53, v14
	v_fma_f32 v3, v50, v4, -v5
	v_add_f32_e32 v2, 0, v2
	v_add_f32_e32 v19, v19, v86
	v_mul_f32_e32 v91, v56, v31
	v_fmac_f32_e32 v90, v55, v16
	v_add_f32_e32 v2, v2, v3
	v_add_f32_e32 v3, v19, v88
	v_mul_f32_e32 v92, v58, v33
	v_fmac_f32_e32 v91, v57, v30
	v_add_f32_e32 v3, v3, v90
	v_mul_f32_e32 v93, v60, v41
	v_fmac_f32_e32 v92, v59, v32
	;; [unrolled: 3-line block ×4, first 2 shown]
	v_add_f32_e32 v3, v3, v93
	v_mul_f32_e32 v96, v66, v21
	v_mul_f32_e32 v17, v55, v17
	v_fma_f32 v4, v52, v14, -v15
	v_add_f32_e32 v3, v3, v94
	s_waitcnt vmcnt(7) lgkmcnt(2)
	v_mul_f32_e32 v97, v68, v23
	v_mul_f32_e32 v31, v57, v31
	v_fmac_f32_e32 v96, v67, v20
	v_fma_f32 v5, v54, v16, -v17
	v_add_f32_e32 v2, v2, v4
	v_add_f32_e32 v3, v3, v95
	v_mul_f32_e32 v98, v70, v25
	v_mul_f32_e32 v33, v59, v33
	v_fmac_f32_e32 v97, v69, v22
	v_fma_f32 v14, v56, v30, -v31
	v_add_f32_e32 v2, v2, v5
	v_add_f32_e32 v3, v3, v96
	s_waitcnt vmcnt(6) lgkmcnt(1)
	v_mul_f32_e32 v99, v72, v35
	v_mul_f32_e32 v41, v61, v41
	v_fmac_f32_e32 v98, v71, v24
	v_fma_f32 v15, v58, v32, -v33
	v_add_f32_e32 v2, v2, v14
	v_add_f32_e32 v3, v3, v97
	v_mul_f32_e32 v100, v74, v37
	v_mul_f32_e32 v43, v63, v43
	v_fmac_f32_e32 v99, v73, v34
	v_fma_f32 v16, v60, v40, -v41
	v_add_f32_e32 v2, v2, v15
	v_add_f32_e32 v3, v3, v98
	v_fmac_f32_e32 v100, v75, v36
	v_fma_f32 v17, v62, v42, -v43
	v_add_f32_e32 v2, v2, v16
	v_add_f32_e32 v3, v3, v99
	;; [unrolled: 1-line block ×4, first 2 shown]
	v_mul_f32_e32 v3, v67, v21
	v_add_f32_e32 v2, v2, v18
	v_fma_f32 v3, v66, v20, -v3
	v_add_f32_e32 v2, v2, v3
	v_mul_f32_e32 v3, v69, v23
	v_fma_f32 v3, v68, v22, -v3
	v_add_f32_e32 v2, v2, v3
	v_mul_f32_e32 v3, v71, v25
	;; [unrolled: 3-line block ×4, first 2 shown]
	v_fma_f32 v3, v74, v36, -v3
	v_add_f32_e32 v30, v2, v3
	s_waitcnt vmcnt(5) lgkmcnt(0)
	v_mul_f32_e32 v2, v77, v45
	v_fma_f32 v86, v76, v44, -v2
	v_mul_f32_e32 v2, v79, v47
	v_fma_f32 v88, v78, v46, -v2
	ds_read2_b64 v[2:5], v38 offset0:119 offset1:120
	ds_read2_b64 v[14:17], v38 offset0:121 offset1:122
	ds_read2_b64 v[18:21], v38 offset0:123 offset1:124
	ds_read2_b64 v[22:25], v38 offset0:125 offset1:126
	v_mul_f32_e32 v87, v76, v45
	v_mul_f32_e32 v89, v78, v47
	v_fmac_f32_e32 v87, v77, v44
	s_waitcnt vmcnt(4) lgkmcnt(3)
	v_pk_mul_f32 v[32:33], v[2:3], v[80:81] op_sel:[1,1] op_sel_hi:[0,1]
	v_fmac_f32_e32 v89, v79, v46
	v_pk_add_f32 v[30:31], v[30:31], v[86:87]
	v_pk_fma_f32 v[34:35], v[2:3], v[80:81], v[32:33] neg_lo:[0,0,1] neg_hi:[0,0,1]
	v_pk_fma_f32 v[2:3], v[2:3], v[80:81], v[32:33] op_sel_hi:[1,0,1]
	v_pk_add_f32 v[30:31], v[30:31], v[88:89]
	v_mov_b32_e32 v35, v3
	v_pk_add_f32 v[2:3], v[30:31], v[34:35]
	v_mov_b32_e32 v30, v83
	v_pk_mul_f32 v[30:31], v[4:5], v[30:31] op_sel:[1,0] op_sel_hi:[0,0]
	v_pk_fma_f32 v[32:33], v[4:5], v[82:83], v[30:31] neg_lo:[0,0,1] neg_hi:[0,0,1]
	v_pk_fma_f32 v[4:5], v[4:5], v[82:83], v[30:31] op_sel_hi:[1,0,1]
	s_nop 0
	v_mov_b32_e32 v33, v5
	s_waitcnt vmcnt(3) lgkmcnt(2)
	v_pk_mul_f32 v[4:5], v[14:15], v[26:27] op_sel:[1,1] op_sel_hi:[0,1]
	v_pk_fma_f32 v[30:31], v[14:15], v[26:27], v[4:5] neg_lo:[0,0,1] neg_hi:[0,0,1]
	v_pk_fma_f32 v[4:5], v[14:15], v[26:27], v[4:5] op_sel_hi:[1,0,1]
	v_pk_add_f32 v[2:3], v[2:3], v[32:33]
	v_mov_b32_e32 v4, v29
	v_mov_b32_e32 v31, v5
	v_pk_mul_f32 v[4:5], v[16:17], v[4:5] op_sel:[1,0] op_sel_hi:[0,0]
	v_pk_fma_f32 v[14:15], v[16:17], v[28:29], v[4:5] neg_lo:[0,0,1] neg_hi:[0,0,1]
	v_pk_fma_f32 v[4:5], v[16:17], v[28:29], v[4:5] op_sel_hi:[1,0,1]
	v_pk_add_f32 v[2:3], v[2:3], v[30:31]
	v_mov_b32_e32 v15, v5
	s_waitcnt vmcnt(2) lgkmcnt(1)
	v_pk_mul_f32 v[4:5], v[18:19], v[10:11] op_sel:[1,1] op_sel_hi:[0,1]
	v_pk_add_f32 v[2:3], v[2:3], v[14:15]
	v_pk_fma_f32 v[14:15], v[18:19], v[10:11], v[4:5] neg_lo:[0,0,1] neg_hi:[0,0,1]
	v_pk_fma_f32 v[4:5], v[18:19], v[10:11], v[4:5] op_sel_hi:[1,0,1]
	s_nop 0
	v_mov_b32_e32 v4, v13
	v_mov_b32_e32 v15, v5
	v_pk_mul_f32 v[4:5], v[20:21], v[4:5] op_sel:[1,0] op_sel_hi:[0,0]
	v_pk_fma_f32 v[10:11], v[20:21], v[12:13], v[4:5] neg_lo:[0,0,1] neg_hi:[0,0,1]
	v_pk_fma_f32 v[4:5], v[20:21], v[12:13], v[4:5] op_sel_hi:[1,0,1]
	v_pk_add_f32 v[2:3], v[2:3], v[14:15]
	v_mov_b32_e32 v11, v5
	s_waitcnt vmcnt(1) lgkmcnt(0)
	v_pk_mul_f32 v[4:5], v[22:23], v[6:7] op_sel:[1,1] op_sel_hi:[0,1]
	v_pk_add_f32 v[2:3], v[2:3], v[10:11]
	v_pk_fma_f32 v[10:11], v[22:23], v[6:7], v[4:5] neg_lo:[0,0,1] neg_hi:[0,0,1]
	v_pk_fma_f32 v[4:5], v[22:23], v[6:7], v[4:5] op_sel_hi:[1,0,1]
	s_nop 0
	v_mov_b32_e32 v4, v9
	v_mov_b32_e32 v11, v5
	v_pk_mul_f32 v[4:5], v[24:25], v[4:5] op_sel:[1,0] op_sel_hi:[0,0]
	v_pk_fma_f32 v[6:7], v[24:25], v[8:9], v[4:5] neg_lo:[0,0,1] neg_hi:[0,0,1]
	v_pk_fma_f32 v[4:5], v[24:25], v[8:9], v[4:5] op_sel_hi:[1,0,1]
	v_pk_add_f32 v[2:3], v[2:3], v[10:11]
	v_mov_b32_e32 v7, v5
	v_pk_add_f32 v[2:3], v[2:3], v[6:7]
	s_waitcnt vmcnt(0)
	v_pk_add_f32 v[2:3], v[84:85], v[2:3] neg_lo:[0,1] neg_hi:[0,1]
	scratch_store_dwordx2 off, v[2:3], off offset:304
	s_and_saveexec_b64 s[0:1], vcc
	s_cbranch_execz .LBB126_317
; %bb.316:
	scratch_load_dwordx2 v[2:3], off, off offset:296
	v_mov_b32_e32 v4, 0
	v_mov_b32_e32 v5, v4
	scratch_store_dwordx2 off, v[4:5], off offset:296
	s_waitcnt vmcnt(1)
	ds_write_b64 v1, v[2:3]
.LBB126_317:
	s_or_b64 exec, exec, s[0:1]
	s_waitcnt lgkmcnt(0)
	; wave barrier
	scratch_load_dwordx4 v[10:13], off, off offset:304
	scratch_load_dwordx4 v[26:29], off, off offset:320
	;; [unrolled: 1-line block ×12, first 2 shown]
	scratch_load_dwordx2 v[50:51], off, off offset:496
	scratch_load_dwordx2 v[56:57], off, off offset:296
	v_mov_b32_e32 v58, 0
	ds_read_b128 v[52:55], v58 offset:816
	ds_read_b128 v[60:63], v58 offset:832
	;; [unrolled: 1-line block ×10, first 2 shown]
	v_cmp_lt_u32_e32 vcc, 36, v0
	s_waitcnt vmcnt(13) lgkmcnt(9)
	v_mul_f32_e32 v59, v52, v11
	v_mul_f32_e32 v96, v54, v13
	v_fmac_f32_e32 v59, v53, v10
	s_waitcnt vmcnt(10) lgkmcnt(6)
	v_mul_f32_e32 v103, v68, v7
	v_mul_f32_e32 v7, v69, v7
	;; [unrolled: 1-line block ×3, first 2 shown]
	v_fmac_f32_e32 v96, v55, v12
	v_fmac_f32_e32 v103, v69, v6
	v_fma_f32 v6, v68, v6, -v7
	v_add_f32_e32 v7, 0, v59
	v_mul_f32_e32 v100, v62, v29
	v_fmac_f32_e32 v98, v61, v26
	v_add_f32_e32 v7, v7, v96
	v_mul_f32_e32 v101, v64, v39
	v_fmac_f32_e32 v100, v63, v28
	;; [unrolled: 3-line block ×3, first 2 shown]
	v_add_f32_e32 v7, v7, v100
	v_fmac_f32_e32 v102, v67, v40
	v_add_f32_e32 v7, v7, v101
	v_mul_f32_e32 v104, v70, v9
	v_add_f32_e32 v7, v7, v102
	s_waitcnt vmcnt(9) lgkmcnt(5)
	v_mul_f32_e32 v105, v72, v15
	v_fmac_f32_e32 v104, v71, v8
	v_add_f32_e32 v7, v7, v103
	v_mul_f32_e32 v106, v74, v17
	v_mul_f32_e32 v11, v53, v11
	v_fmac_f32_e32 v105, v73, v14
	v_add_f32_e32 v7, v7, v104
	s_waitcnt vmcnt(8) lgkmcnt(4)
	v_mul_f32_e32 v107, v76, v23
	v_mul_f32_e32 v13, v55, v13
	v_fmac_f32_e32 v106, v75, v16
	v_fma_f32 v10, v52, v10, -v11
	v_add_f32_e32 v7, v7, v105
	v_mul_f32_e32 v108, v78, v25
	v_mul_f32_e32 v27, v61, v27
	v_fmac_f32_e32 v107, v77, v22
	v_fma_f32 v11, v54, v12, -v13
	v_add_f32_e32 v10, 0, v10
	v_add_f32_e32 v7, v7, v106
	s_waitcnt vmcnt(7) lgkmcnt(3)
	v_mul_f32_e32 v109, v80, v31
	v_mul_f32_e32 v29, v63, v29
	v_fmac_f32_e32 v108, v79, v24
	v_fma_f32 v12, v60, v26, -v27
	v_add_f32_e32 v10, v10, v11
	v_add_f32_e32 v7, v7, v107
	v_mul_f32_e32 v110, v82, v33
	v_mul_f32_e32 v39, v65, v39
	v_fmac_f32_e32 v109, v81, v30
	v_fma_f32 v13, v62, v28, -v29
	v_add_f32_e32 v10, v10, v12
	v_add_f32_e32 v7, v7, v108
	s_waitcnt vmcnt(6) lgkmcnt(2)
	v_mul_f32_e32 v111, v84, v43
	v_mul_f32_e32 v41, v67, v41
	v_fmac_f32_e32 v110, v83, v32
	v_fma_f32 v26, v64, v38, -v39
	v_add_f32_e32 v10, v10, v13
	v_add_f32_e32 v7, v7, v109
	v_fmac_f32_e32 v111, v85, v42
	v_fma_f32 v27, v66, v40, -v41
	v_add_f32_e32 v10, v10, v26
	v_add_f32_e32 v7, v7, v110
	;; [unrolled: 1-line block ×4, first 2 shown]
	v_mul_f32_e32 v7, v71, v9
	v_add_f32_e32 v6, v10, v6
	v_fma_f32 v7, v70, v8, -v7
	v_add_f32_e32 v6, v6, v7
	v_mul_f32_e32 v7, v73, v15
	v_fma_f32 v7, v72, v14, -v7
	v_add_f32_e32 v6, v6, v7
	v_mul_f32_e32 v7, v75, v17
	;; [unrolled: 3-line block ×7, first 2 shown]
	v_fma_f32 v7, v84, v42, -v7
	v_mul_f32_e32 v97, v86, v45
	v_add_f32_e32 v26, v6, v7
	v_mul_f32_e32 v6, v87, v45
	s_waitcnt vmcnt(5)
	v_mov_b32_e32 v22, v49
	s_waitcnt lgkmcnt(1)
	v_mul_f32_e32 v99, v88, v47
	v_fmac_f32_e32 v97, v87, v44
	v_fma_f32 v96, v86, v44, -v6
	v_mul_f32_e32 v6, v89, v47
	v_pk_mul_f32 v[22:23], v[90:91], v[22:23] op_sel:[1,0] op_sel_hi:[0,0]
	v_fmac_f32_e32 v99, v89, v46
	v_fma_f32 v98, v88, v46, -v6
	v_pk_add_f32 v[16:17], v[26:27], v[96:97]
	v_pk_fma_f32 v[24:25], v[90:91], v[48:49], v[22:23] neg_lo:[0,0,1] neg_hi:[0,0,1]
	v_pk_fma_f32 v[22:23], v[90:91], v[48:49], v[22:23] op_sel_hi:[1,0,1]
	v_pk_add_f32 v[16:17], v[16:17], v[98:99]
	v_mov_b32_e32 v25, v23
	s_waitcnt vmcnt(4) lgkmcnt(0)
	v_pk_mul_f32 v[22:23], v[92:93], v[34:35] op_sel:[1,1] op_sel_hi:[0,1]
	v_pk_add_f32 v[16:17], v[16:17], v[24:25]
	v_pk_fma_f32 v[24:25], v[92:93], v[34:35], v[22:23] neg_lo:[0,0,1] neg_hi:[0,0,1]
	v_pk_fma_f32 v[22:23], v[92:93], v[34:35], v[22:23] op_sel_hi:[1,0,1]
	ds_read_b128 v[6:9], v58 offset:976
	ds_read_b128 v[10:13], v58 offset:992
	ds_read_b64 v[14:15], v58 offset:1008
	v_mov_b32_e32 v22, v37
	v_mov_b32_e32 v25, v23
	v_pk_mul_f32 v[22:23], v[94:95], v[22:23] op_sel:[1,0] op_sel_hi:[0,0]
	v_pk_add_f32 v[16:17], v[16:17], v[24:25]
	v_pk_fma_f32 v[24:25], v[94:95], v[36:37], v[22:23] neg_lo:[0,0,1] neg_hi:[0,0,1]
	v_pk_fma_f32 v[22:23], v[94:95], v[36:37], v[22:23] op_sel_hi:[1,0,1]
	s_nop 0
	v_mov_b32_e32 v25, v23
	s_waitcnt vmcnt(3) lgkmcnt(2)
	v_pk_mul_f32 v[22:23], v[6:7], v[18:19] op_sel:[1,1] op_sel_hi:[0,1]
	v_pk_add_f32 v[16:17], v[16:17], v[24:25]
	v_pk_fma_f32 v[24:25], v[6:7], v[18:19], v[22:23] neg_lo:[0,0,1] neg_hi:[0,0,1]
	v_pk_fma_f32 v[6:7], v[6:7], v[18:19], v[22:23] op_sel_hi:[1,0,1]
	s_nop 0
	v_mov_b32_e32 v25, v7
	v_pk_add_f32 v[6:7], v[16:17], v[24:25]
	v_mov_b32_e32 v16, v21
	v_pk_mul_f32 v[16:17], v[8:9], v[16:17] op_sel:[1,0] op_sel_hi:[0,0]
	v_pk_fma_f32 v[18:19], v[8:9], v[20:21], v[16:17] neg_lo:[0,0,1] neg_hi:[0,0,1]
	v_pk_fma_f32 v[8:9], v[8:9], v[20:21], v[16:17] op_sel_hi:[1,0,1]
	s_nop 0
	v_mov_b32_e32 v19, v9
	s_waitcnt vmcnt(2) lgkmcnt(1)
	v_pk_mul_f32 v[8:9], v[10:11], v[2:3] op_sel:[1,1] op_sel_hi:[0,1]
	v_pk_fma_f32 v[16:17], v[10:11], v[2:3], v[8:9] neg_lo:[0,0,1] neg_hi:[0,0,1]
	v_pk_fma_f32 v[2:3], v[10:11], v[2:3], v[8:9] op_sel_hi:[1,0,1]
	v_pk_add_f32 v[6:7], v[6:7], v[18:19]
	v_mov_b32_e32 v17, v3
	v_pk_add_f32 v[2:3], v[6:7], v[16:17]
	v_mov_b32_e32 v6, v5
	v_pk_mul_f32 v[6:7], v[12:13], v[6:7] op_sel:[1,0] op_sel_hi:[0,0]
	v_pk_fma_f32 v[8:9], v[12:13], v[4:5], v[6:7] neg_lo:[0,0,1] neg_hi:[0,0,1]
	v_pk_fma_f32 v[4:5], v[12:13], v[4:5], v[6:7] op_sel_hi:[1,0,1]
	s_nop 0
	v_mov_b32_e32 v9, v5
	s_waitcnt vmcnt(1) lgkmcnt(0)
	v_pk_mul_f32 v[4:5], v[14:15], v[50:51] op_sel:[1,1] op_sel_hi:[0,1]
	v_pk_fma_f32 v[6:7], v[14:15], v[50:51], v[4:5] neg_lo:[0,0,1] neg_hi:[0,0,1]
	v_pk_fma_f32 v[4:5], v[14:15], v[50:51], v[4:5] op_sel_hi:[1,0,1]
	v_pk_add_f32 v[2:3], v[2:3], v[8:9]
	v_mov_b32_e32 v7, v5
	v_pk_add_f32 v[2:3], v[2:3], v[6:7]
	s_waitcnt vmcnt(0)
	v_pk_add_f32 v[2:3], v[56:57], v[2:3] neg_lo:[0,1] neg_hi:[0,1]
	scratch_store_dwordx2 off, v[2:3], off offset:296
	s_and_saveexec_b64 s[0:1], vcc
	s_cbranch_execz .LBB126_319
; %bb.318:
	scratch_load_dwordx2 v[2:3], off, off offset:288
	v_mov_b32_e32 v59, v58
	scratch_store_dwordx2 off, v[58:59], off offset:288
	s_waitcnt vmcnt(1)
	ds_write_b64 v1, v[2:3]
.LBB126_319:
	s_or_b64 exec, exec, s[0:1]
	s_waitcnt lgkmcnt(0)
	; wave barrier
	scratch_load_dwordx4 v[2:5], off, off offset:296
	scratch_load_dwordx4 v[18:21], off, off offset:312
	;; [unrolled: 1-line block ×9, first 2 shown]
	ds_read2_b64 v[60:63], v58 offset0:101 offset1:102
	ds_read2_b64 v[64:67], v58 offset0:103 offset1:104
	;; [unrolled: 1-line block ×8, first 2 shown]
	scratch_load_dwordx4 v[50:53], off, off offset:440
	scratch_load_dwordx4 v[34:37], off, off offset:456
	;; [unrolled: 1-line block ×4, first 2 shown]
	ds_read2_b64 v[88:91], v58 offset0:117 offset1:118
	ds_read2_b64 v[92:95], v58 offset0:119 offset1:120
	scratch_load_dwordx2 v[96:97], off, off offset:288
	v_cmp_lt_u32_e32 vcc, 35, v0
	s_waitcnt vmcnt(13) lgkmcnt(9)
	v_mul_f32_e32 v59, v60, v3
	v_mul_f32_e32 v98, v62, v5
	;; [unrolled: 1-line block ×3, first 2 shown]
	s_waitcnt vmcnt(10) lgkmcnt(6)
	v_mul_f32_e32 v105, v72, v7
	v_mul_f32_e32 v7, v73, v7
	v_fmac_f32_e32 v59, v61, v2
	v_mul_f32_e32 v100, v64, v19
	v_mul_f32_e32 v5, v63, v5
	v_fmac_f32_e32 v98, v63, v4
	v_fmac_f32_e32 v105, v73, v6
	v_fma_f32 v2, v60, v2, -v3
	v_fma_f32 v6, v72, v6, -v7
	v_add_f32_e32 v7, 0, v59
	v_mul_f32_e32 v102, v66, v21
	v_fmac_f32_e32 v100, v65, v18
	v_fma_f32 v3, v62, v4, -v5
	v_add_f32_e32 v2, 0, v2
	v_add_f32_e32 v7, v7, v98
	v_mul_f32_e32 v103, v68, v39
	v_fmac_f32_e32 v102, v67, v20
	v_add_f32_e32 v2, v2, v3
	v_add_f32_e32 v3, v7, v100
	v_mul_f32_e32 v104, v70, v41
	v_fmac_f32_e32 v103, v69, v38
	v_add_f32_e32 v3, v3, v102
	v_fmac_f32_e32 v104, v71, v40
	v_add_f32_e32 v3, v3, v103
	v_mul_f32_e32 v106, v74, v9
	v_add_f32_e32 v3, v3, v104
	s_waitcnt vmcnt(9) lgkmcnt(5)
	v_mul_f32_e32 v107, v76, v15
	v_fmac_f32_e32 v106, v75, v8
	v_add_f32_e32 v3, v3, v105
	v_mul_f32_e32 v108, v78, v17
	v_fmac_f32_e32 v107, v77, v14
	v_add_f32_e32 v3, v3, v106
	s_waitcnt vmcnt(8) lgkmcnt(4)
	v_mul_f32_e32 v109, v80, v23
	v_fmac_f32_e32 v108, v79, v16
	v_add_f32_e32 v3, v3, v107
	v_mul_f32_e32 v110, v82, v25
	v_fmac_f32_e32 v109, v81, v22
	v_add_f32_e32 v3, v3, v108
	s_waitcnt vmcnt(7) lgkmcnt(3)
	v_mul_f32_e32 v111, v84, v31
	v_mul_f32_e32 v19, v65, v19
	v_fmac_f32_e32 v110, v83, v24
	v_add_f32_e32 v3, v3, v109
	v_mul_f32_e32 v112, v86, v33
	v_mul_f32_e32 v21, v67, v21
	v_fmac_f32_e32 v111, v85, v30
	v_fma_f32 v4, v64, v18, -v19
	v_add_f32_e32 v3, v3, v110
	s_waitcnt vmcnt(6) lgkmcnt(2)
	v_mul_f32_e32 v113, v54, v43
	v_mul_f32_e32 v39, v69, v39
	v_fmac_f32_e32 v112, v87, v32
	v_fma_f32 v5, v66, v20, -v21
	v_add_f32_e32 v2, v2, v4
	v_add_f32_e32 v3, v3, v111
	v_mul_f32_e32 v114, v56, v45
	v_mul_f32_e32 v41, v71, v41
	v_fmac_f32_e32 v113, v55, v42
	v_fma_f32 v18, v68, v38, -v39
	v_add_f32_e32 v2, v2, v5
	v_add_f32_e32 v3, v3, v112
	v_fmac_f32_e32 v114, v57, v44
	v_fma_f32 v19, v70, v40, -v41
	v_add_f32_e32 v2, v2, v18
	v_add_f32_e32 v3, v3, v113
	v_add_f32_e32 v2, v2, v19
	v_add_f32_e32 v19, v3, v114
	v_mul_f32_e32 v3, v75, v9
	v_add_f32_e32 v2, v2, v6
	v_fma_f32 v3, v74, v8, -v3
	v_add_f32_e32 v2, v2, v3
	v_mul_f32_e32 v3, v77, v15
	v_fma_f32 v3, v76, v14, -v3
	v_add_f32_e32 v2, v2, v3
	v_mul_f32_e32 v3, v79, v17
	;; [unrolled: 3-line block ×8, first 2 shown]
	v_fma_f32 v3, v56, v44, -v3
	s_waitcnt vmcnt(5) lgkmcnt(1)
	v_mul_f32_e32 v99, v88, v47
	v_add_f32_e32 v18, v2, v3
	v_mul_f32_e32 v2, v89, v47
	s_waitcnt vmcnt(4) lgkmcnt(0)
	v_pk_mul_f32 v[20:21], v[92:93], v[50:51] op_sel:[1,1] op_sel_hi:[0,1]
	v_mul_f32_e32 v101, v90, v49
	v_fmac_f32_e32 v99, v89, v46
	v_fma_f32 v98, v88, v46, -v2
	v_mul_f32_e32 v2, v91, v49
	v_pk_fma_f32 v[22:23], v[92:93], v[50:51], v[20:21] neg_lo:[0,0,1] neg_hi:[0,0,1]
	v_pk_fma_f32 v[20:21], v[92:93], v[50:51], v[20:21] op_sel_hi:[1,0,1]
	v_fmac_f32_e32 v101, v91, v48
	v_fma_f32 v100, v90, v48, -v2
	ds_read2_b64 v[2:5], v58 offset0:121 offset1:122
	ds_read2_b64 v[6:9], v58 offset0:123 offset1:124
	;; [unrolled: 1-line block ×3, first 2 shown]
	v_pk_add_f32 v[18:19], v[18:19], v[98:99]
	v_mov_b32_e32 v20, v53
	v_pk_add_f32 v[18:19], v[18:19], v[100:101]
	v_mov_b32_e32 v23, v21
	v_pk_mul_f32 v[20:21], v[94:95], v[20:21] op_sel:[1,0] op_sel_hi:[0,0]
	v_pk_add_f32 v[18:19], v[18:19], v[22:23]
	v_pk_fma_f32 v[22:23], v[94:95], v[52:53], v[20:21] neg_lo:[0,0,1] neg_hi:[0,0,1]
	v_pk_fma_f32 v[20:21], v[94:95], v[52:53], v[20:21] op_sel_hi:[1,0,1]
	s_nop 0
	v_mov_b32_e32 v23, v21
	s_waitcnt vmcnt(3) lgkmcnt(2)
	v_pk_mul_f32 v[20:21], v[2:3], v[34:35] op_sel:[1,1] op_sel_hi:[0,1]
	v_pk_add_f32 v[18:19], v[18:19], v[22:23]
	v_pk_fma_f32 v[22:23], v[2:3], v[34:35], v[20:21] neg_lo:[0,0,1] neg_hi:[0,0,1]
	v_pk_fma_f32 v[2:3], v[2:3], v[34:35], v[20:21] op_sel_hi:[1,0,1]
	s_nop 0
	v_mov_b32_e32 v23, v3
	v_pk_add_f32 v[2:3], v[18:19], v[22:23]
	v_mov_b32_e32 v18, v37
	v_pk_mul_f32 v[18:19], v[4:5], v[18:19] op_sel:[1,0] op_sel_hi:[0,0]
	v_pk_fma_f32 v[20:21], v[4:5], v[36:37], v[18:19] neg_lo:[0,0,1] neg_hi:[0,0,1]
	v_pk_fma_f32 v[4:5], v[4:5], v[36:37], v[18:19] op_sel_hi:[1,0,1]
	s_nop 0
	v_mov_b32_e32 v21, v5
	s_waitcnt vmcnt(2) lgkmcnt(1)
	v_pk_mul_f32 v[4:5], v[6:7], v[26:27] op_sel:[1,1] op_sel_hi:[0,1]
	v_pk_fma_f32 v[18:19], v[6:7], v[26:27], v[4:5] neg_lo:[0,0,1] neg_hi:[0,0,1]
	v_pk_fma_f32 v[4:5], v[6:7], v[26:27], v[4:5] op_sel_hi:[1,0,1]
	v_pk_add_f32 v[2:3], v[2:3], v[20:21]
	v_mov_b32_e32 v4, v29
	v_mov_b32_e32 v19, v5
	v_pk_mul_f32 v[4:5], v[8:9], v[4:5] op_sel:[1,0] op_sel_hi:[0,0]
	v_pk_fma_f32 v[6:7], v[8:9], v[28:29], v[4:5] neg_lo:[0,0,1] neg_hi:[0,0,1]
	v_pk_fma_f32 v[4:5], v[8:9], v[28:29], v[4:5] op_sel_hi:[1,0,1]
	v_pk_add_f32 v[2:3], v[2:3], v[18:19]
	v_mov_b32_e32 v7, v5
	s_waitcnt vmcnt(1) lgkmcnt(0)
	v_pk_mul_f32 v[4:5], v[14:15], v[10:11] op_sel:[1,1] op_sel_hi:[0,1]
	v_pk_add_f32 v[2:3], v[2:3], v[6:7]
	v_pk_fma_f32 v[6:7], v[14:15], v[10:11], v[4:5] neg_lo:[0,0,1] neg_hi:[0,0,1]
	v_pk_fma_f32 v[4:5], v[14:15], v[10:11], v[4:5] op_sel_hi:[1,0,1]
	s_nop 0
	v_mov_b32_e32 v4, v13
	v_mov_b32_e32 v7, v5
	v_pk_mul_f32 v[4:5], v[16:17], v[4:5] op_sel:[1,0] op_sel_hi:[0,0]
	v_pk_add_f32 v[2:3], v[2:3], v[6:7]
	v_pk_fma_f32 v[6:7], v[16:17], v[12:13], v[4:5] neg_lo:[0,0,1] neg_hi:[0,0,1]
	v_pk_fma_f32 v[4:5], v[16:17], v[12:13], v[4:5] op_sel_hi:[1,0,1]
	s_nop 0
	v_mov_b32_e32 v7, v5
	v_pk_add_f32 v[2:3], v[2:3], v[6:7]
	s_waitcnt vmcnt(0)
	v_pk_add_f32 v[2:3], v[96:97], v[2:3] neg_lo:[0,1] neg_hi:[0,1]
	scratch_store_dwordx2 off, v[2:3], off offset:288
	s_and_saveexec_b64 s[0:1], vcc
	s_cbranch_execz .LBB126_321
; %bb.320:
	scratch_load_dwordx2 v[2:3], off, off offset:280
	v_mov_b32_e32 v4, 0
	v_mov_b32_e32 v5, v4
	scratch_store_dwordx2 off, v[4:5], off offset:280
	s_waitcnt vmcnt(1)
	ds_write_b64 v1, v[2:3]
.LBB126_321:
	s_or_b64 exec, exec, s[0:1]
	s_waitcnt lgkmcnt(0)
	; wave barrier
	scratch_load_dwordx4 v[18:21], off, off offset:288
	scratch_load_dwordx4 v[30:33], off, off offset:304
	;; [unrolled: 1-line block ×13, first 2 shown]
	scratch_load_dwordx2 v[54:55], off, off offset:496
	scratch_load_dwordx2 v[80:81], off, off offset:280
	v_mov_b32_e32 v82, 0
	ds_read_b128 v[56:59], v82 offset:800
	ds_read_b128 v[60:63], v82 offset:816
	;; [unrolled: 1-line block ×10, first 2 shown]
	v_cmp_lt_u32_e32 vcc, 34, v0
	s_waitcnt vmcnt(14) lgkmcnt(9)
	v_mul_f32_e32 v83, v56, v19
	v_mul_f32_e32 v100, v58, v21
	s_waitcnt vmcnt(12) lgkmcnt(7)
	v_mul_f32_e32 v105, v64, v3
	v_mul_f32_e32 v3, v65, v3
	v_fmac_f32_e32 v83, v57, v18
	v_mul_f32_e32 v102, v60, v31
	v_fmac_f32_e32 v100, v59, v20
	v_fmac_f32_e32 v105, v65, v2
	v_fma_f32 v2, v64, v2, -v3
	v_add_f32_e32 v3, 0, v83
	v_mul_f32_e32 v104, v62, v33
	v_fmac_f32_e32 v102, v61, v30
	v_add_f32_e32 v3, v3, v100
	v_fmac_f32_e32 v104, v63, v32
	v_add_f32_e32 v3, v3, v102
	v_mul_f32_e32 v106, v66, v5
	v_add_f32_e32 v3, v3, v104
	s_waitcnt vmcnt(11) lgkmcnt(6)
	v_mul_f32_e32 v107, v68, v7
	v_fmac_f32_e32 v106, v67, v4
	v_add_f32_e32 v3, v3, v105
	v_mul_f32_e32 v108, v70, v9
	v_fmac_f32_e32 v107, v69, v6
	v_add_f32_e32 v3, v3, v106
	s_waitcnt vmcnt(10) lgkmcnt(5)
	v_mul_f32_e32 v109, v72, v15
	v_fmac_f32_e32 v108, v71, v8
	v_add_f32_e32 v3, v3, v107
	v_mul_f32_e32 v110, v74, v17
	v_fmac_f32_e32 v109, v73, v14
	;; [unrolled: 7-line block ×3, first 2 shown]
	v_add_f32_e32 v3, v3, v110
	s_waitcnt vmcnt(8) lgkmcnt(3)
	v_mul_f32_e32 v113, v84, v35
	v_mul_f32_e32 v19, v57, v19
	v_fmac_f32_e32 v112, v79, v24
	v_add_f32_e32 v3, v3, v111
	v_mul_f32_e32 v114, v86, v37
	v_mul_f32_e32 v21, v59, v21
	v_fmac_f32_e32 v113, v85, v34
	v_fma_f32 v18, v56, v18, -v19
	v_add_f32_e32 v3, v3, v112
	s_waitcnt vmcnt(7) lgkmcnt(2)
	v_mul_f32_e32 v115, v88, v39
	v_mul_f32_e32 v31, v61, v31
	v_fmac_f32_e32 v114, v87, v36
	v_fma_f32 v19, v58, v20, -v21
	v_add_f32_e32 v18, 0, v18
	v_add_f32_e32 v3, v3, v113
	v_mul_f32_e32 v116, v90, v41
	v_mul_f32_e32 v33, v63, v33
	v_fmac_f32_e32 v115, v89, v38
	v_fma_f32 v20, v60, v30, -v31
	v_add_f32_e32 v18, v18, v19
	v_add_f32_e32 v3, v3, v114
	s_waitcnt vmcnt(6) lgkmcnt(1)
	v_mul_f32_e32 v117, v92, v51
	v_fmac_f32_e32 v116, v91, v40
	v_fma_f32 v21, v62, v32, -v33
	v_add_f32_e32 v18, v18, v20
	v_add_f32_e32 v3, v3, v115
	v_mul_f32_e32 v5, v67, v5
	v_fmac_f32_e32 v117, v93, v50
	v_add_f32_e32 v18, v18, v21
	v_add_f32_e32 v3, v3, v116
	;; [unrolled: 1-line block ×4, first 2 shown]
	v_fma_f32 v3, v66, v4, -v5
	v_add_f32_e32 v2, v2, v3
	v_mul_f32_e32 v3, v69, v7
	v_fma_f32 v3, v68, v6, -v3
	v_add_f32_e32 v2, v2, v3
	v_mul_f32_e32 v3, v71, v9
	;; [unrolled: 3-line block ×12, first 2 shown]
	v_mul_f32_e32 v101, v94, v53
	v_fma_f32 v100, v94, v52, -v2
	s_waitcnt vmcnt(5) lgkmcnt(0)
	v_mul_f32_e32 v2, v97, v47
	v_mov_b32_e32 v22, v49
	v_mul_f32_e32 v103, v96, v47
	v_fmac_f32_e32 v101, v95, v52
	v_fma_f32 v102, v96, v46, -v2
	ds_read_b128 v[2:5], v82 offset:960
	ds_read_b128 v[6:9], v82 offset:976
	;; [unrolled: 1-line block ×3, first 2 shown]
	ds_read_b64 v[20:21], v82 offset:1008
	v_pk_mul_f32 v[22:23], v[98:99], v[22:23] op_sel:[1,0] op_sel_hi:[0,0]
	v_fmac_f32_e32 v103, v97, v46
	v_pk_add_f32 v[18:19], v[18:19], v[100:101]
	v_pk_fma_f32 v[24:25], v[98:99], v[48:49], v[22:23] neg_lo:[0,0,1] neg_hi:[0,0,1]
	v_pk_fma_f32 v[22:23], v[98:99], v[48:49], v[22:23] op_sel_hi:[1,0,1]
	v_pk_add_f32 v[18:19], v[18:19], v[102:103]
	v_mov_b32_e32 v25, v23
	s_waitcnt vmcnt(4) lgkmcnt(3)
	v_pk_mul_f32 v[22:23], v[2:3], v[42:43] op_sel:[1,1] op_sel_hi:[0,1]
	v_pk_add_f32 v[18:19], v[18:19], v[24:25]
	v_pk_fma_f32 v[24:25], v[2:3], v[42:43], v[22:23] neg_lo:[0,0,1] neg_hi:[0,0,1]
	v_pk_fma_f32 v[2:3], v[2:3], v[42:43], v[22:23] op_sel_hi:[1,0,1]
	s_nop 0
	v_mov_b32_e32 v25, v3
	v_pk_add_f32 v[2:3], v[18:19], v[24:25]
	v_mov_b32_e32 v18, v45
	v_pk_mul_f32 v[18:19], v[4:5], v[18:19] op_sel:[1,0] op_sel_hi:[0,0]
	v_pk_fma_f32 v[22:23], v[4:5], v[44:45], v[18:19] neg_lo:[0,0,1] neg_hi:[0,0,1]
	v_pk_fma_f32 v[4:5], v[4:5], v[44:45], v[18:19] op_sel_hi:[1,0,1]
	s_nop 0
	v_mov_b32_e32 v23, v5
	s_waitcnt vmcnt(3) lgkmcnt(2)
	v_pk_mul_f32 v[4:5], v[6:7], v[26:27] op_sel:[1,1] op_sel_hi:[0,1]
	v_pk_fma_f32 v[18:19], v[6:7], v[26:27], v[4:5] neg_lo:[0,0,1] neg_hi:[0,0,1]
	v_pk_fma_f32 v[4:5], v[6:7], v[26:27], v[4:5] op_sel_hi:[1,0,1]
	v_pk_add_f32 v[2:3], v[2:3], v[22:23]
	v_mov_b32_e32 v4, v29
	v_mov_b32_e32 v19, v5
	v_pk_mul_f32 v[4:5], v[8:9], v[4:5] op_sel:[1,0] op_sel_hi:[0,0]
	v_pk_fma_f32 v[6:7], v[8:9], v[28:29], v[4:5] neg_lo:[0,0,1] neg_hi:[0,0,1]
	v_pk_fma_f32 v[4:5], v[8:9], v[28:29], v[4:5] op_sel_hi:[1,0,1]
	v_pk_add_f32 v[2:3], v[2:3], v[18:19]
	v_mov_b32_e32 v7, v5
	s_waitcnt vmcnt(2) lgkmcnt(1)
	v_pk_mul_f32 v[4:5], v[14:15], v[10:11] op_sel:[1,1] op_sel_hi:[0,1]
	v_pk_add_f32 v[2:3], v[2:3], v[6:7]
	v_pk_fma_f32 v[6:7], v[14:15], v[10:11], v[4:5] neg_lo:[0,0,1] neg_hi:[0,0,1]
	v_pk_fma_f32 v[4:5], v[14:15], v[10:11], v[4:5] op_sel_hi:[1,0,1]
	s_nop 0
	v_mov_b32_e32 v4, v13
	v_mov_b32_e32 v7, v5
	v_pk_mul_f32 v[4:5], v[16:17], v[4:5] op_sel:[1,0] op_sel_hi:[0,0]
	v_pk_add_f32 v[2:3], v[2:3], v[6:7]
	v_pk_fma_f32 v[6:7], v[16:17], v[12:13], v[4:5] neg_lo:[0,0,1] neg_hi:[0,0,1]
	v_pk_fma_f32 v[4:5], v[16:17], v[12:13], v[4:5] op_sel_hi:[1,0,1]
	s_nop 0
	v_mov_b32_e32 v7, v5
	s_waitcnt vmcnt(1) lgkmcnt(0)
	v_pk_mul_f32 v[4:5], v[20:21], v[54:55] op_sel:[1,1] op_sel_hi:[0,1]
	v_pk_add_f32 v[2:3], v[2:3], v[6:7]
	v_pk_fma_f32 v[6:7], v[20:21], v[54:55], v[4:5] neg_lo:[0,0,1] neg_hi:[0,0,1]
	v_pk_fma_f32 v[4:5], v[20:21], v[54:55], v[4:5] op_sel_hi:[1,0,1]
	s_nop 0
	v_mov_b32_e32 v7, v5
	v_pk_add_f32 v[2:3], v[2:3], v[6:7]
	s_waitcnt vmcnt(0)
	v_pk_add_f32 v[2:3], v[80:81], v[2:3] neg_lo:[0,1] neg_hi:[0,1]
	scratch_store_dwordx2 off, v[2:3], off offset:280
	s_and_saveexec_b64 s[0:1], vcc
	s_cbranch_execz .LBB126_323
; %bb.322:
	scratch_load_dwordx2 v[2:3], off, off offset:272
	v_mov_b32_e32 v83, v82
	scratch_store_dwordx2 off, v[82:83], off offset:272
	s_waitcnt vmcnt(1)
	ds_write_b64 v1, v[2:3]
.LBB126_323:
	s_or_b64 exec, exec, s[0:1]
	s_waitcnt lgkmcnt(0)
	; wave barrier
	scratch_load_dwordx4 v[10:13], off, off offset:280
	scratch_load_dwordx4 v[26:29], off, off offset:296
	;; [unrolled: 1-line block ×10, first 2 shown]
	ds_read2_b64 v[84:87], v82 offset0:99 offset1:100
	ds_read2_b64 v[88:91], v82 offset0:101 offset1:102
	;; [unrolled: 1-line block ×10, first 2 shown]
	scratch_load_dwordx4 v[54:57], off, off offset:440
	scratch_load_dwordx4 v[46:49], off, off offset:456
	;; [unrolled: 1-line block ×4, first 2 shown]
	scratch_load_dwordx2 v[100:101], off, off offset:272
	v_cmp_lt_u32_e32 vcc, 33, v0
	s_waitcnt vmcnt(14) lgkmcnt(9)
	v_mul_f32_e32 v83, v84, v11
	v_mul_f32_e32 v102, v86, v13
	s_waitcnt vmcnt(12) lgkmcnt(7)
	v_mul_f32_e32 v107, v92, v3
	v_mul_f32_e32 v3, v93, v3
	v_fmac_f32_e32 v83, v85, v10
	v_mul_f32_e32 v104, v88, v27
	v_fmac_f32_e32 v102, v87, v12
	v_fmac_f32_e32 v107, v93, v2
	v_fma_f32 v2, v92, v2, -v3
	v_add_f32_e32 v3, 0, v83
	v_mul_f32_e32 v106, v90, v29
	v_fmac_f32_e32 v104, v89, v26
	v_add_f32_e32 v3, v3, v102
	v_fmac_f32_e32 v106, v91, v28
	v_add_f32_e32 v3, v3, v104
	v_mul_f32_e32 v108, v94, v5
	v_add_f32_e32 v3, v3, v106
	s_waitcnt vmcnt(11) lgkmcnt(6)
	v_mul_f32_e32 v109, v96, v7
	v_fmac_f32_e32 v108, v95, v4
	v_add_f32_e32 v3, v3, v107
	v_mul_f32_e32 v110, v98, v9
	v_fmac_f32_e32 v109, v97, v6
	v_add_f32_e32 v3, v3, v108
	s_waitcnt vmcnt(10) lgkmcnt(5)
	v_mul_f32_e32 v111, v78, v15
	v_fmac_f32_e32 v110, v99, v8
	v_add_f32_e32 v3, v3, v109
	v_mul_f32_e32 v112, v80, v17
	v_fmac_f32_e32 v111, v79, v14
	;; [unrolled: 7-line block ×4, first 2 shown]
	v_add_f32_e32 v3, v3, v114
	s_waitcnt vmcnt(7) lgkmcnt(2)
	v_mul_f32_e32 v117, v66, v39
	v_mul_f32_e32 v11, v85, v11
	v_fmac_f32_e32 v116, v73, v32
	v_add_f32_e32 v3, v3, v115
	v_mul_f32_e32 v118, v68, v41
	v_mul_f32_e32 v13, v87, v13
	v_fmac_f32_e32 v117, v67, v38
	v_fma_f32 v10, v84, v10, -v11
	v_add_f32_e32 v3, v3, v116
	s_waitcnt vmcnt(6) lgkmcnt(1)
	v_mul_f32_e32 v119, v62, v43
	v_mul_f32_e32 v27, v89, v27
	v_fmac_f32_e32 v118, v69, v40
	v_fma_f32 v11, v86, v12, -v13
	v_add_f32_e32 v10, 0, v10
	v_add_f32_e32 v3, v3, v117
	v_mul_f32_e32 v120, v64, v45
	v_mul_f32_e32 v29, v91, v29
	v_fmac_f32_e32 v119, v63, v42
	v_fma_f32 v12, v88, v26, -v27
	v_add_f32_e32 v10, v10, v11
	v_add_f32_e32 v3, v3, v118
	v_fmac_f32_e32 v120, v65, v44
	v_fma_f32 v13, v90, v28, -v29
	v_add_f32_e32 v10, v10, v12
	v_add_f32_e32 v3, v3, v119
	v_add_f32_e32 v10, v10, v13
	v_add_f32_e32 v27, v3, v120
	v_mul_f32_e32 v3, v95, v5
	v_add_f32_e32 v2, v10, v2
	v_fma_f32 v3, v94, v4, -v3
	v_add_f32_e32 v2, v2, v3
	v_mul_f32_e32 v3, v97, v7
	v_fma_f32 v3, v96, v6, -v3
	v_add_f32_e32 v2, v2, v3
	v_mul_f32_e32 v3, v99, v9
	;; [unrolled: 3-line block ×12, first 2 shown]
	v_fma_f32 v3, v64, v44, -v3
	v_add_f32_e32 v26, v2, v3
	s_waitcnt vmcnt(5) lgkmcnt(0)
	v_mul_f32_e32 v2, v59, v51
	v_fma_f32 v102, v58, v50, -v2
	v_mul_f32_e32 v2, v61, v53
	v_fma_f32 v104, v60, v52, -v2
	ds_read2_b64 v[2:5], v82 offset0:119 offset1:120
	ds_read2_b64 v[6:9], v82 offset0:121 offset1:122
	;; [unrolled: 1-line block ×4, first 2 shown]
	v_mul_f32_e32 v103, v58, v51
	v_mul_f32_e32 v105, v60, v53
	v_fmac_f32_e32 v103, v59, v50
	s_waitcnt vmcnt(4) lgkmcnt(3)
	v_pk_mul_f32 v[24:25], v[2:3], v[54:55] op_sel:[1,1] op_sel_hi:[0,1]
	v_fmac_f32_e32 v105, v61, v52
	v_pk_add_f32 v[22:23], v[26:27], v[102:103]
	v_pk_fma_f32 v[26:27], v[2:3], v[54:55], v[24:25] neg_lo:[0,0,1] neg_hi:[0,0,1]
	v_pk_fma_f32 v[2:3], v[2:3], v[54:55], v[24:25] op_sel_hi:[1,0,1]
	v_pk_add_f32 v[22:23], v[22:23], v[104:105]
	v_mov_b32_e32 v27, v3
	v_pk_add_f32 v[2:3], v[22:23], v[26:27]
	v_mov_b32_e32 v22, v57
	v_pk_mul_f32 v[22:23], v[4:5], v[22:23] op_sel:[1,0] op_sel_hi:[0,0]
	v_pk_fma_f32 v[24:25], v[4:5], v[56:57], v[22:23] neg_lo:[0,0,1] neg_hi:[0,0,1]
	v_pk_fma_f32 v[4:5], v[4:5], v[56:57], v[22:23] op_sel_hi:[1,0,1]
	s_nop 0
	v_mov_b32_e32 v25, v5
	s_waitcnt vmcnt(3) lgkmcnt(2)
	v_pk_mul_f32 v[4:5], v[6:7], v[46:47] op_sel:[1,1] op_sel_hi:[0,1]
	v_pk_fma_f32 v[22:23], v[6:7], v[46:47], v[4:5] neg_lo:[0,0,1] neg_hi:[0,0,1]
	v_pk_fma_f32 v[4:5], v[6:7], v[46:47], v[4:5] op_sel_hi:[1,0,1]
	v_pk_add_f32 v[2:3], v[2:3], v[24:25]
	v_mov_b32_e32 v4, v49
	v_mov_b32_e32 v23, v5
	v_pk_mul_f32 v[4:5], v[8:9], v[4:5] op_sel:[1,0] op_sel_hi:[0,0]
	v_pk_fma_f32 v[6:7], v[8:9], v[48:49], v[4:5] neg_lo:[0,0,1] neg_hi:[0,0,1]
	v_pk_fma_f32 v[4:5], v[8:9], v[48:49], v[4:5] op_sel_hi:[1,0,1]
	v_pk_add_f32 v[2:3], v[2:3], v[22:23]
	v_mov_b32_e32 v7, v5
	s_waitcnt vmcnt(2) lgkmcnt(1)
	v_pk_mul_f32 v[4:5], v[10:11], v[34:35] op_sel:[1,1] op_sel_hi:[0,1]
	v_pk_add_f32 v[2:3], v[2:3], v[6:7]
	v_pk_fma_f32 v[6:7], v[10:11], v[34:35], v[4:5] neg_lo:[0,0,1] neg_hi:[0,0,1]
	v_pk_fma_f32 v[4:5], v[10:11], v[34:35], v[4:5] op_sel_hi:[1,0,1]
	s_nop 0
	v_mov_b32_e32 v4, v37
	v_mov_b32_e32 v7, v5
	v_pk_mul_f32 v[4:5], v[12:13], v[4:5] op_sel:[1,0] op_sel_hi:[0,0]
	v_pk_add_f32 v[2:3], v[2:3], v[6:7]
	v_pk_fma_f32 v[6:7], v[12:13], v[36:37], v[4:5] neg_lo:[0,0,1] neg_hi:[0,0,1]
	v_pk_fma_f32 v[4:5], v[12:13], v[36:37], v[4:5] op_sel_hi:[1,0,1]
	s_nop 0
	v_mov_b32_e32 v7, v5
	s_waitcnt vmcnt(1) lgkmcnt(0)
	v_pk_mul_f32 v[4:5], v[14:15], v[18:19] op_sel:[1,1] op_sel_hi:[0,1]
	v_pk_add_f32 v[2:3], v[2:3], v[6:7]
	v_pk_fma_f32 v[6:7], v[14:15], v[18:19], v[4:5] neg_lo:[0,0,1] neg_hi:[0,0,1]
	v_pk_fma_f32 v[4:5], v[14:15], v[18:19], v[4:5] op_sel_hi:[1,0,1]
	s_nop 0
	v_mov_b32_e32 v4, v21
	v_mov_b32_e32 v7, v5
	v_pk_mul_f32 v[4:5], v[16:17], v[4:5] op_sel:[1,0] op_sel_hi:[0,0]
	v_pk_add_f32 v[2:3], v[2:3], v[6:7]
	v_pk_fma_f32 v[6:7], v[16:17], v[20:21], v[4:5] neg_lo:[0,0,1] neg_hi:[0,0,1]
	v_pk_fma_f32 v[4:5], v[16:17], v[20:21], v[4:5] op_sel_hi:[1,0,1]
	s_nop 0
	v_mov_b32_e32 v7, v5
	v_pk_add_f32 v[2:3], v[2:3], v[6:7]
	s_waitcnt vmcnt(0)
	v_pk_add_f32 v[2:3], v[100:101], v[2:3] neg_lo:[0,1] neg_hi:[0,1]
	scratch_store_dwordx2 off, v[2:3], off offset:272
	s_and_saveexec_b64 s[0:1], vcc
	s_cbranch_execz .LBB126_325
; %bb.324:
	scratch_load_dwordx2 v[2:3], off, off offset:264
	v_mov_b32_e32 v4, 0
	v_mov_b32_e32 v5, v4
	scratch_store_dwordx2 off, v[4:5], off offset:264
	s_waitcnt vmcnt(1)
	ds_write_b64 v1, v[2:3]
.LBB126_325:
	s_or_b64 exec, exec, s[0:1]
	s_waitcnt lgkmcnt(0)
	; wave barrier
	scratch_load_dwordx4 v[72:75], off, off offset:272
	scratch_load_dwordx4 v[76:79], off, off offset:288
	;; [unrolled: 1-line block ×14, first 2 shown]
	scratch_load_dwordx2 v[62:63], off, off offset:496
	v_mov_b32_e32 v70, 0
	ds_read_b128 v[92:95], v70 offset:784
	ds_read_b128 v[96:99], v70 offset:800
	;; [unrolled: 1-line block ×11, first 2 shown]
	v_cmp_lt_u32_e32 vcc, 32, v0
	s_waitcnt vmcnt(14) lgkmcnt(10)
	v_mul_f32_e32 v64, v92, v73
	v_mul_f32_e32 v66, v94, v75
	v_fmac_f32_e32 v64, v93, v72
	s_waitcnt vmcnt(13) lgkmcnt(9)
	v_mul_f32_e32 v68, v96, v77
	v_fmac_f32_e32 v66, v95, v74
	s_waitcnt vmcnt(9) lgkmcnt(5)
	v_mul_f32_e32 v117, v58, v23
	v_mul_f32_e32 v23, v59, v23
	v_fmac_f32_e32 v117, v59, v22
	v_fma_f32 v58, v58, v22, -v23
	scratch_load_dwordx2 v[22:23], off, off offset:264
	v_add_f32_e32 v64, 0, v64
	v_mul_f32_e32 v69, v98, v79
	v_fmac_f32_e32 v68, v97, v76
	v_add_f32_e32 v64, v64, v66
	v_mul_f32_e32 v71, v100, v81
	v_fmac_f32_e32 v69, v99, v78
	;; [unrolled: 3-line block ×7, first 2 shown]
	v_add_f32_e32 v64, v64, v114
	v_fmac_f32_e32 v116, v111, v90
	v_add_f32_e32 v64, v64, v115
	v_mul_f32_e32 v118, v60, v25
	v_add_f32_e32 v64, v64, v116
	s_waitcnt vmcnt(9) lgkmcnt(4)
	v_mul_f32_e32 v119, v54, v27
	v_fmac_f32_e32 v118, v61, v24
	v_add_f32_e32 v64, v64, v117
	v_mul_f32_e32 v120, v56, v29
	v_fmac_f32_e32 v119, v55, v26
	v_add_f32_e32 v64, v64, v118
	s_waitcnt vmcnt(8) lgkmcnt(3)
	v_mul_f32_e32 v121, v50, v31
	v_fmac_f32_e32 v120, v57, v28
	v_add_f32_e32 v64, v64, v119
	v_mul_f32_e32 v122, v52, v33
	v_mul_f32_e32 v73, v93, v73
	v_fmac_f32_e32 v121, v51, v30
	v_add_f32_e32 v64, v64, v120
	s_waitcnt vmcnt(7) lgkmcnt(2)
	v_mul_f32_e32 v123, v46, v35
	v_mul_f32_e32 v75, v95, v75
	v_fmac_f32_e32 v122, v53, v32
	v_fma_f32 v72, v92, v72, -v73
	v_add_f32_e32 v64, v64, v121
	v_mul_f32_e32 v124, v48, v37
	v_mul_f32_e32 v77, v97, v77
	v_fmac_f32_e32 v123, v47, v34
	v_fma_f32 v73, v94, v74, -v75
	v_add_f32_e32 v72, 0, v72
	v_add_f32_e32 v64, v64, v122
	s_waitcnt vmcnt(6) lgkmcnt(1)
	v_mul_f32_e32 v125, v42, v39
	v_mul_f32_e32 v79, v99, v79
	v_fmac_f32_e32 v124, v49, v36
	v_fma_f32 v74, v96, v76, -v77
	v_add_f32_e32 v66, v72, v73
	v_add_f32_e32 v64, v64, v123
	v_fmac_f32_e32 v125, v43, v38
	v_fma_f32 v75, v98, v78, -v79
	v_add_f32_e32 v66, v66, v74
	v_add_f32_e32 v64, v64, v124
	;; [unrolled: 1-line block ×4, first 2 shown]
	v_mul_f32_e32 v66, v101, v81
	v_fma_f32 v66, v100, v80, -v66
	v_add_f32_e32 v64, v64, v66
	v_mul_f32_e32 v66, v103, v83
	v_fma_f32 v66, v102, v82, -v66
	v_add_f32_e32 v64, v64, v66
	;; [unrolled: 3-line block ×6, first 2 shown]
	v_mul_f32_e32 v25, v61, v25
	v_add_f32_e32 v58, v64, v58
	v_fma_f32 v24, v60, v24, -v25
	v_mul_f32_e32 v25, v55, v27
	v_add_f32_e32 v24, v58, v24
	v_fma_f32 v25, v54, v26, -v25
	v_add_f32_e32 v24, v24, v25
	v_mul_f32_e32 v25, v57, v29
	v_fma_f32 v25, v56, v28, -v25
	v_add_f32_e32 v24, v24, v25
	v_mul_f32_e32 v25, v51, v31
	;; [unrolled: 3-line block ×6, first 2 shown]
	v_fma_f32 v25, v42, v38, -v25
	v_mul_f32_e32 v67, v44, v41
	v_add_f32_e32 v68, v24, v25
	v_mul_f32_e32 v24, v45, v41
	s_waitcnt vmcnt(5)
	v_mov_b32_e32 v36, v13
	s_waitcnt lgkmcnt(0)
	v_mul_f32_e32 v65, v18, v11
	v_fmac_f32_e32 v67, v45, v40
	v_fma_f32 v66, v44, v40, -v24
	v_mul_f32_e32 v11, v19, v11
	v_pk_mul_f32 v[36:37], v[20:21], v[36:37] op_sel:[1,0] op_sel_hi:[0,0]
	v_fmac_f32_e32 v65, v19, v10
	v_fma_f32 v64, v18, v10, -v11
	ds_read_b128 v[24:27], v70 offset:960
	ds_read_b128 v[28:31], v70 offset:976
	;; [unrolled: 1-line block ×3, first 2 shown]
	ds_read_b64 v[10:11], v70 offset:1008
	v_pk_add_f32 v[18:19], v[68:69], v[66:67]
	v_pk_fma_f32 v[38:39], v[20:21], v[12:13], v[36:37] neg_lo:[0,0,1] neg_hi:[0,0,1]
	v_pk_fma_f32 v[12:13], v[20:21], v[12:13], v[36:37] op_sel_hi:[1,0,1]
	v_pk_add_f32 v[18:19], v[18:19], v[64:65]
	v_mov_b32_e32 v39, v13
	v_pk_add_f32 v[12:13], v[18:19], v[38:39]
	s_waitcnt vmcnt(4) lgkmcnt(3)
	v_pk_mul_f32 v[18:19], v[24:25], v[14:15] op_sel:[1,1] op_sel_hi:[0,1]
	v_pk_fma_f32 v[20:21], v[24:25], v[14:15], v[18:19] neg_lo:[0,0,1] neg_hi:[0,0,1]
	v_pk_fma_f32 v[14:15], v[24:25], v[14:15], v[18:19] op_sel_hi:[1,0,1]
	s_nop 0
	v_mov_b32_e32 v14, v17
	v_mov_b32_e32 v21, v15
	v_pk_mul_f32 v[14:15], v[26:27], v[14:15] op_sel:[1,0] op_sel_hi:[0,0]
	v_pk_fma_f32 v[18:19], v[26:27], v[16:17], v[14:15] neg_lo:[0,0,1] neg_hi:[0,0,1]
	v_pk_fma_f32 v[14:15], v[26:27], v[16:17], v[14:15] op_sel_hi:[1,0,1]
	v_pk_add_f32 v[12:13], v[12:13], v[20:21]
	v_mov_b32_e32 v19, v15
	s_waitcnt vmcnt(3) lgkmcnt(2)
	v_pk_mul_f32 v[14:15], v[28:29], v[6:7] op_sel:[1,1] op_sel_hi:[0,1]
	v_pk_fma_f32 v[16:17], v[28:29], v[6:7], v[14:15] neg_lo:[0,0,1] neg_hi:[0,0,1]
	v_pk_fma_f32 v[6:7], v[28:29], v[6:7], v[14:15] op_sel_hi:[1,0,1]
	v_pk_add_f32 v[12:13], v[12:13], v[18:19]
	v_mov_b32_e32 v17, v7
	v_pk_add_f32 v[6:7], v[12:13], v[16:17]
	v_mov_b32_e32 v12, v9
	v_pk_mul_f32 v[12:13], v[30:31], v[12:13] op_sel:[1,0] op_sel_hi:[0,0]
	v_pk_fma_f32 v[14:15], v[30:31], v[8:9], v[12:13] neg_lo:[0,0,1] neg_hi:[0,0,1]
	v_pk_fma_f32 v[8:9], v[30:31], v[8:9], v[12:13] op_sel_hi:[1,0,1]
	s_nop 0
	v_mov_b32_e32 v15, v9
	s_waitcnt vmcnt(2) lgkmcnt(1)
	v_pk_mul_f32 v[8:9], v[32:33], v[2:3] op_sel:[1,1] op_sel_hi:[0,1]
	v_pk_fma_f32 v[12:13], v[32:33], v[2:3], v[8:9] neg_lo:[0,0,1] neg_hi:[0,0,1]
	v_pk_fma_f32 v[2:3], v[32:33], v[2:3], v[8:9] op_sel_hi:[1,0,1]
	v_pk_add_f32 v[6:7], v[6:7], v[14:15]
	v_mov_b32_e32 v13, v3
	v_pk_add_f32 v[2:3], v[6:7], v[12:13]
	v_mov_b32_e32 v6, v5
	v_pk_mul_f32 v[6:7], v[34:35], v[6:7] op_sel:[1,0] op_sel_hi:[0,0]
	v_pk_fma_f32 v[8:9], v[34:35], v[4:5], v[6:7] neg_lo:[0,0,1] neg_hi:[0,0,1]
	v_pk_fma_f32 v[4:5], v[34:35], v[4:5], v[6:7] op_sel_hi:[1,0,1]
	s_nop 0
	v_mov_b32_e32 v9, v5
	s_waitcnt vmcnt(1) lgkmcnt(0)
	v_pk_mul_f32 v[4:5], v[10:11], v[62:63] op_sel:[1,1] op_sel_hi:[0,1]
	v_pk_fma_f32 v[6:7], v[10:11], v[62:63], v[4:5] neg_lo:[0,0,1] neg_hi:[0,0,1]
	v_pk_fma_f32 v[4:5], v[10:11], v[62:63], v[4:5] op_sel_hi:[1,0,1]
	v_pk_add_f32 v[2:3], v[2:3], v[8:9]
	v_mov_b32_e32 v7, v5
	v_pk_add_f32 v[2:3], v[2:3], v[6:7]
	s_waitcnt vmcnt(0)
	v_pk_add_f32 v[2:3], v[22:23], v[2:3] neg_lo:[0,1] neg_hi:[0,1]
	scratch_store_dwordx2 off, v[2:3], off offset:264
	s_and_saveexec_b64 s[0:1], vcc
	s_cbranch_execz .LBB126_327
; %bb.326:
	scratch_load_dwordx2 v[2:3], off, off offset:256
	v_mov_b32_e32 v71, v70
	scratch_store_dwordx2 off, v[70:71], off offset:256
	s_waitcnt vmcnt(1)
	ds_write_b64 v1, v[2:3]
.LBB126_327:
	s_or_b64 exec, exec, s[0:1]
	s_waitcnt lgkmcnt(0)
	; wave barrier
	scratch_load_dwordx4 v[62:65], off, off offset:264
	scratch_load_dwordx4 v[58:61], off, off offset:280
	;; [unrolled: 1-line block ×11, first 2 shown]
	ds_read2_b64 v[88:91], v70 offset0:97 offset1:98
	ds_read2_b64 v[92:95], v70 offset0:99 offset1:100
	;; [unrolled: 1-line block ×11, first 2 shown]
	scratch_load_dwordx4 v[14:17], off, off offset:440
	scratch_load_dwordx4 v[10:13], off, off offset:456
	;; [unrolled: 1-line block ×4, first 2 shown]
	v_cmp_lt_u32_e32 vcc, 31, v0
	s_waitcnt vmcnt(14) lgkmcnt(10)
	v_mul_f32_e32 v71, v88, v63
	v_mul_f32_e32 v63, v89, v63
	;; [unrolled: 1-line block ×4, first 2 shown]
	v_fmac_f32_e32 v71, v89, v62
	v_fma_f32 v62, v88, v62, -v63
	s_waitcnt vmcnt(13) lgkmcnt(9)
	v_mul_f32_e32 v74, v92, v59
	v_mul_f32_e32 v59, v93, v59
	v_fma_f32 v63, v90, v64, -v65
	v_add_f32_e32 v62, 0, v62
	v_mul_f32_e32 v112, v94, v61
	v_mul_f32_e32 v61, v95, v61
	v_fmac_f32_e32 v74, v93, v58
	v_fma_f32 v58, v92, v58, -v59
	v_add_f32_e32 v62, v62, v63
	v_fmac_f32_e32 v112, v95, v60
	v_add_f32_e32 v58, v62, v58
	v_fma_f32 v60, v94, v60, -v61
	v_add_f32_e32 v58, v58, v60
	s_waitcnt vmcnt(12) lgkmcnt(8)
	v_mul_f32_e32 v60, v97, v67
	v_fma_f32 v60, v96, v66, -v60
	v_add_f32_e32 v58, v58, v60
	v_mul_f32_e32 v60, v99, v69
	v_fma_f32 v60, v98, v68, -v60
	v_add_f32_e32 v58, v58, v60
	s_waitcnt vmcnt(11) lgkmcnt(7)
	v_mul_f32_e32 v60, v101, v77
	v_fma_f32 v60, v100, v76, -v60
	v_add_f32_e32 v58, v58, v60
	v_mul_f32_e32 v60, v103, v79
	;; [unrolled: 7-line block ×4, first 2 shown]
	v_fma_f32 v62, v110, v86, -v60
	scratch_load_dwordx2 v[60:61], off, off offset:256
	s_waitcnt vmcnt(9) lgkmcnt(4)
	v_mul_f32_e32 v121, v54, v19
	v_fmac_f32_e32 v72, v91, v64
	v_add_f32_e32 v59, 0, v71
	v_mul_f32_e32 v19, v55, v19
	v_fmac_f32_e32 v121, v55, v18
	v_add_f32_e32 v59, v59, v72
	v_add_f32_e32 v58, v58, v62
	v_fma_f32 v18, v54, v18, -v19
	v_mul_f32_e32 v19, v57, v21
	v_mul_f32_e32 v113, v96, v67
	v_add_f32_e32 v59, v59, v74
	v_add_f32_e32 v18, v58, v18
	v_fma_f32 v19, v56, v20, -v19
	v_mul_f32_e32 v114, v98, v69
	v_fmac_f32_e32 v113, v97, v66
	v_add_f32_e32 v59, v59, v112
	v_add_f32_e32 v18, v18, v19
	s_waitcnt vmcnt(8) lgkmcnt(3)
	v_mul_f32_e32 v19, v51, v23
	v_mul_f32_e32 v115, v100, v77
	v_fmac_f32_e32 v114, v99, v68
	v_add_f32_e32 v59, v59, v113
	v_fma_f32 v19, v50, v22, -v19
	v_mul_f32_e32 v116, v102, v79
	v_fmac_f32_e32 v115, v101, v76
	v_add_f32_e32 v59, v59, v114
	v_add_f32_e32 v18, v18, v19
	v_mul_f32_e32 v19, v53, v25
	v_mul_f32_e32 v117, v104, v81
	v_fmac_f32_e32 v116, v103, v78
	v_add_f32_e32 v59, v59, v115
	v_fma_f32 v19, v52, v24, -v19
	v_mul_f32_e32 v118, v106, v83
	v_fmac_f32_e32 v117, v105, v80
	v_add_f32_e32 v59, v59, v116
	v_add_f32_e32 v18, v18, v19
	s_waitcnt vmcnt(7) lgkmcnt(2)
	v_mul_f32_e32 v19, v47, v27
	v_mul_f32_e32 v119, v108, v85
	v_fmac_f32_e32 v118, v107, v82
	v_add_f32_e32 v59, v59, v117
	v_fma_f32 v19, v46, v26, -v19
	v_mul_f32_e32 v120, v110, v87
	v_fmac_f32_e32 v119, v109, v84
	v_add_f32_e32 v59, v59, v118
	v_add_f32_e32 v18, v18, v19
	v_mul_f32_e32 v19, v49, v29
	v_fmac_f32_e32 v120, v111, v86
	v_add_f32_e32 v59, v59, v119
	v_fma_f32 v19, v48, v28, -v19
	v_mul_f32_e32 v122, v56, v21
	v_add_f32_e32 v59, v59, v120
	v_add_f32_e32 v18, v18, v19
	s_waitcnt vmcnt(6) lgkmcnt(1)
	v_mul_f32_e32 v19, v43, v31
	v_mul_f32_e32 v123, v50, v23
	v_fmac_f32_e32 v122, v57, v20
	v_add_f32_e32 v59, v59, v121
	v_fma_f32 v19, v42, v30, -v19
	v_mul_f32_e32 v124, v52, v25
	v_fmac_f32_e32 v123, v51, v22
	v_add_f32_e32 v59, v59, v122
	v_add_f32_e32 v18, v18, v19
	v_mul_f32_e32 v19, v45, v33
	v_mul_f32_e32 v125, v46, v27
	v_fmac_f32_e32 v124, v53, v24
	v_add_f32_e32 v59, v59, v123
	v_fma_f32 v19, v44, v32, -v19
	v_mul_f32_e32 v126, v48, v29
	v_fmac_f32_e32 v125, v47, v26
	v_add_f32_e32 v59, v59, v124
	v_add_f32_e32 v58, v18, v19
	s_waitcnt vmcnt(5) lgkmcnt(0)
	v_mul_f32_e32 v18, v39, v35
	v_mul_f32_e32 v127, v42, v31
	;; [unrolled: 1-line block ×3, first 2 shown]
	v_fmac_f32_e32 v126, v49, v28
	v_add_f32_e32 v59, v59, v125
	v_fma_f32 v74, v38, v34, -v18
	v_mul_f32_e32 v18, v41, v37
	v_fmac_f32_e32 v127, v43, v30
	v_fmac_f32_e32 v128, v45, v32
	v_add_f32_e32 v59, v59, v126
	v_fma_f32 v72, v40, v36, -v18
	ds_read2_b64 v[18:21], v70 offset0:119 offset1:120
	ds_read2_b64 v[22:25], v70 offset0:121 offset1:122
	;; [unrolled: 1-line block ×4, first 2 shown]
	v_mul_f32_e32 v75, v38, v35
	v_mul_f32_e32 v73, v40, v37
	v_add_f32_e32 v59, v59, v127
	v_fmac_f32_e32 v75, v39, v34
	v_fmac_f32_e32 v73, v41, v36
	v_add_f32_e32 v59, v59, v128
	s_waitcnt vmcnt(4) lgkmcnt(3)
	v_pk_mul_f32 v[36:37], v[18:19], v[14:15] op_sel:[1,1] op_sel_hi:[0,1]
	v_pk_add_f32 v[34:35], v[58:59], v[74:75]
	v_pk_fma_f32 v[38:39], v[18:19], v[14:15], v[36:37] neg_lo:[0,0,1] neg_hi:[0,0,1]
	v_pk_fma_f32 v[14:15], v[18:19], v[14:15], v[36:37] op_sel_hi:[1,0,1]
	v_mov_b32_e32 v18, v17
	v_pk_add_f32 v[34:35], v[34:35], v[72:73]
	v_mov_b32_e32 v39, v15
	v_pk_mul_f32 v[18:19], v[20:21], v[18:19] op_sel:[1,0] op_sel_hi:[0,0]
	v_pk_add_f32 v[14:15], v[34:35], v[38:39]
	v_pk_fma_f32 v[34:35], v[20:21], v[16:17], v[18:19] neg_lo:[0,0,1] neg_hi:[0,0,1]
	v_pk_fma_f32 v[16:17], v[20:21], v[16:17], v[18:19] op_sel_hi:[1,0,1]
	s_nop 0
	v_mov_b32_e32 v35, v17
	s_waitcnt vmcnt(3) lgkmcnt(2)
	v_pk_mul_f32 v[16:17], v[22:23], v[10:11] op_sel:[1,1] op_sel_hi:[0,1]
	v_pk_fma_f32 v[18:19], v[22:23], v[10:11], v[16:17] neg_lo:[0,0,1] neg_hi:[0,0,1]
	v_pk_fma_f32 v[10:11], v[22:23], v[10:11], v[16:17] op_sel_hi:[1,0,1]
	v_pk_add_f32 v[14:15], v[14:15], v[34:35]
	v_mov_b32_e32 v19, v11
	v_pk_add_f32 v[10:11], v[14:15], v[18:19]
	v_mov_b32_e32 v14, v13
	v_pk_mul_f32 v[14:15], v[24:25], v[14:15] op_sel:[1,0] op_sel_hi:[0,0]
	v_pk_fma_f32 v[16:17], v[24:25], v[12:13], v[14:15] neg_lo:[0,0,1] neg_hi:[0,0,1]
	v_pk_fma_f32 v[12:13], v[24:25], v[12:13], v[14:15] op_sel_hi:[1,0,1]
	s_nop 0
	v_mov_b32_e32 v17, v13
	s_waitcnt vmcnt(2) lgkmcnt(1)
	v_pk_mul_f32 v[12:13], v[26:27], v[6:7] op_sel:[1,1] op_sel_hi:[0,1]
	v_pk_fma_f32 v[14:15], v[26:27], v[6:7], v[12:13] neg_lo:[0,0,1] neg_hi:[0,0,1]
	v_pk_fma_f32 v[6:7], v[26:27], v[6:7], v[12:13] op_sel_hi:[1,0,1]
	v_pk_add_f32 v[10:11], v[10:11], v[16:17]
	v_mov_b32_e32 v15, v7
	v_pk_add_f32 v[6:7], v[10:11], v[14:15]
	v_mov_b32_e32 v10, v9
	v_pk_mul_f32 v[10:11], v[28:29], v[10:11] op_sel:[1,0] op_sel_hi:[0,0]
	;; [unrolled: 13-line block ×3, first 2 shown]
	v_pk_fma_f32 v[8:9], v[32:33], v[4:5], v[6:7] neg_lo:[0,0,1] neg_hi:[0,0,1]
	v_pk_fma_f32 v[4:5], v[32:33], v[4:5], v[6:7] op_sel_hi:[1,0,1]
	s_nop 0
	v_mov_b32_e32 v9, v5
	v_pk_add_f32 v[2:3], v[2:3], v[8:9]
	s_waitcnt vmcnt(0)
	v_pk_add_f32 v[2:3], v[60:61], v[2:3] neg_lo:[0,1] neg_hi:[0,1]
	scratch_store_dwordx2 off, v[2:3], off offset:256
	s_and_saveexec_b64 s[0:1], vcc
	s_cbranch_execz .LBB126_329
; %bb.328:
	scratch_load_dwordx2 v[2:3], off, off offset:248
	v_mov_b32_e32 v4, 0
	v_mov_b32_e32 v5, v4
	scratch_store_dwordx2 off, v[4:5], off offset:248
	s_waitcnt vmcnt(1)
	ds_write_b64 v1, v[2:3]
.LBB126_329:
	s_or_b64 exec, exec, s[0:1]
	v_mov_b32_e32 v62, 0
	s_waitcnt lgkmcnt(0)
	; wave barrier
	ds_read_b128 v[14:17], v62 offset:768
	ds_read_b128 v[10:13], v62 offset:784
	;; [unrolled: 1-line block ×4, first 2 shown]
	scratch_load_dwordx4 v[18:21], off, off offset:256
	scratch_load_dwordx4 v[38:41], off, off offset:320
	;; [unrolled: 1-line block ×6, first 2 shown]
	v_cmp_lt_u32_e32 vcc, 30, v0
	scratch_load_dwordx4 v[46:49], off, off offset:336
	scratch_load_dwordx4 v[54:57], off, off offset:352
	;; [unrolled: 1-line block ×3, first 2 shown]
	s_waitcnt vmcnt(8) lgkmcnt(3)
	v_mul_f32_e32 v22, v14, v19
	v_fmac_f32_e32 v22, v15, v18
	v_mul_f32_e32 v23, v16, v21
	v_add_f32_e32 v22, 0, v22
	v_fmac_f32_e32 v23, v17, v20
	v_add_f32_e32 v26, v22, v23
	scratch_load_dwordx4 v[22:25], off, off offset:272
	v_mul_f32_e32 v15, v15, v19
	v_fma_f32 v14, v14, v18, -v15
	v_mul_f32_e32 v15, v17, v21
	v_add_f32_e32 v14, 0, v14
	v_fma_f32 v15, v16, v20, -v15
	v_add_f32_e32 v14, v14, v15
	s_waitcnt vmcnt(4)
	v_mov_b32_e32 v18, v99
	s_waitcnt vmcnt(0) lgkmcnt(2)
	v_mul_f32_e32 v27, v10, v23
	v_fmac_f32_e32 v27, v11, v22
	v_add_f32_e32 v26, v26, v27
	v_mul_f32_e32 v27, v12, v25
	v_fmac_f32_e32 v27, v13, v24
	v_add_f32_e32 v30, v26, v27
	scratch_load_dwordx4 v[26:29], off, off offset:288
	v_mul_f32_e32 v11, v11, v23
	v_fma_f32 v10, v10, v22, -v11
	v_mul_f32_e32 v11, v13, v25
	v_add_f32_e32 v10, v14, v10
	v_fma_f32 v11, v12, v24, -v11
	v_add_f32_e32 v10, v10, v11
	s_waitcnt vmcnt(0) lgkmcnt(1)
	v_mul_f32_e32 v31, v6, v27
	v_fmac_f32_e32 v31, v7, v26
	v_add_f32_e32 v30, v30, v31
	v_mul_f32_e32 v31, v8, v29
	v_fmac_f32_e32 v31, v9, v28
	v_add_f32_e32 v34, v30, v31
	scratch_load_dwordx4 v[30:33], off, off offset:304
	v_mul_f32_e32 v7, v7, v27
	v_fma_f32 v6, v6, v26, -v7
	v_mul_f32_e32 v7, v9, v29
	v_add_f32_e32 v6, v10, v6
	v_fma_f32 v7, v8, v28, -v7
	v_add_f32_e32 v6, v6, v7
	s_waitcnt vmcnt(0) lgkmcnt(0)
	v_mul_f32_e32 v35, v2, v31
	v_fmac_f32_e32 v35, v3, v30
	v_add_f32_e32 v34, v34, v35
	v_mul_f32_e32 v35, v4, v33
	v_fmac_f32_e32 v35, v5, v32
	v_add_f32_e32 v42, v34, v35
	ds_read_b128 v[34:37], v62 offset:832
	v_mul_f32_e32 v3, v3, v31
	v_fma_f32 v2, v2, v30, -v3
	v_mul_f32_e32 v3, v5, v33
	v_add_f32_e32 v2, v6, v2
	s_waitcnt lgkmcnt(0)
	v_mul_f32_e32 v43, v34, v39
	v_fmac_f32_e32 v43, v35, v38
	v_add_f32_e32 v42, v42, v43
	v_mul_f32_e32 v43, v36, v41
	v_fmac_f32_e32 v43, v37, v40
	v_add_f32_e32 v50, v42, v43
	ds_read_b128 v[42:45], v62 offset:848
	v_fma_f32 v3, v4, v32, -v3
	v_add_f32_e32 v2, v2, v3
	v_mul_f32_e32 v3, v35, v39
	v_fma_f32 v3, v34, v38, -v3
	s_waitcnt lgkmcnt(0)
	v_mul_f32_e32 v51, v42, v47
	v_fmac_f32_e32 v51, v43, v46
	v_add_f32_e32 v50, v50, v51
	v_mul_f32_e32 v51, v44, v49
	v_fmac_f32_e32 v51, v45, v48
	v_add_f32_e32 v58, v50, v51
	ds_read_b128 v[50:53], v62 offset:864
	v_add_f32_e32 v2, v2, v3
	v_mul_f32_e32 v3, v37, v41
	v_fma_f32 v3, v36, v40, -v3
	v_add_f32_e32 v2, v2, v3
	s_waitcnt lgkmcnt(0)
	v_mul_f32_e32 v59, v50, v55
	v_fmac_f32_e32 v59, v51, v54
	v_add_f32_e32 v58, v58, v59
	v_mul_f32_e32 v59, v52, v57
	v_fmac_f32_e32 v59, v53, v56
	v_add_f32_e32 v63, v58, v59
	ds_read_b128 v[58:61], v62 offset:880
	v_mul_f32_e32 v3, v43, v47
	v_fma_f32 v3, v42, v46, -v3
	v_add_f32_e32 v2, v2, v3
	v_mul_f32_e32 v3, v45, v49
	s_waitcnt lgkmcnt(0)
	v_mul_f32_e32 v68, v58, v65
	v_fmac_f32_e32 v68, v59, v64
	v_add_f32_e32 v63, v63, v68
	v_mul_f32_e32 v68, v60, v67
	v_fmac_f32_e32 v68, v61, v66
	v_add_f32_e32 v63, v63, v68
	ds_read_b128 v[68:71], v62 offset:896
	v_fma_f32 v3, v44, v48, -v3
	v_add_f32_e32 v2, v2, v3
	v_mul_f32_e32 v3, v51, v55
	v_fma_f32 v3, v50, v54, -v3
	s_waitcnt lgkmcnt(0)
	v_mul_f32_e32 v76, v68, v73
	v_fmac_f32_e32 v76, v69, v72
	v_add_f32_e32 v63, v63, v76
	v_mul_f32_e32 v76, v70, v75
	v_fmac_f32_e32 v76, v71, v74
	v_add_f32_e32 v63, v63, v76
	ds_read_b128 v[76:79], v62 offset:912
	v_add_f32_e32 v2, v2, v3
	v_mul_f32_e32 v3, v53, v57
	v_fma_f32 v3, v52, v56, -v3
	v_add_f32_e32 v2, v2, v3
	s_waitcnt lgkmcnt(0)
	v_mul_f32_e32 v84, v76, v81
	v_fmac_f32_e32 v84, v77, v80
	v_add_f32_e32 v63, v63, v84
	v_mul_f32_e32 v84, v78, v83
	v_fmac_f32_e32 v84, v79, v82
	v_add_f32_e32 v63, v63, v84
	ds_read_b128 v[84:87], v62 offset:928
	v_mul_f32_e32 v3, v59, v65
	v_fma_f32 v3, v58, v64, -v3
	v_add_f32_e32 v2, v2, v3
	v_mul_f32_e32 v3, v61, v67
	s_waitcnt lgkmcnt(0)
	v_mul_f32_e32 v92, v84, v89
	v_fmac_f32_e32 v92, v85, v88
	v_add_f32_e32 v113, v63, v92
	ds_read_b128 v[92:95], v62 offset:944
	scratch_load_dwordx4 v[100:103], off, off offset:448
	scratch_load_dwordx4 v[104:107], off, off offset:464
	;; [unrolled: 1-line block ×3, first 2 shown]
	scratch_load_dwordx2 v[118:119], off, off offset:496
	v_fma_f32 v3, v60, v66, -v3
	v_add_f32_e32 v2, v2, v3
	v_mul_f32_e32 v3, v69, v73
	v_fma_f32 v3, v68, v72, -v3
	v_add_f32_e32 v2, v2, v3
	v_mul_f32_e32 v3, v71, v75
	v_fma_f32 v3, v70, v74, -v3
	v_add_f32_e32 v2, v2, v3
	v_mul_f32_e32 v3, v77, v81
	v_fma_f32 v3, v76, v80, -v3
	v_add_f32_e32 v2, v2, v3
	v_mul_f32_e32 v3, v79, v83
	v_fma_f32 v3, v78, v82, -v3
	v_add_f32_e32 v2, v2, v3
	v_mul_f32_e32 v3, v85, v89
	v_fma_f32 v3, v84, v88, -v3
	v_add_f32_e32 v112, v2, v3
	v_mul_f32_e32 v2, v87, v91
	v_mul_f32_e32 v115, v86, v91
	v_fma_f32 v114, v86, v90, -v2
	s_waitcnt lgkmcnt(0)
	v_mul_f32_e32 v2, v93, v97
	v_fmac_f32_e32 v115, v87, v90
	v_mul_f32_e32 v117, v92, v97
	v_fma_f32 v116, v92, v96, -v2
	ds_read_b128 v[2:5], v62 offset:960
	ds_read_b128 v[6:9], v62 offset:976
	;; [unrolled: 1-line block ×3, first 2 shown]
	ds_read_b64 v[14:15], v62 offset:1008
	v_pk_mul_f32 v[18:19], v[94:95], v[18:19] op_sel:[1,0] op_sel_hi:[0,0]
	v_fmac_f32_e32 v117, v93, v96
	v_pk_add_f32 v[16:17], v[112:113], v[114:115]
	v_pk_fma_f32 v[20:21], v[94:95], v[98:99], v[18:19] neg_lo:[0,0,1] neg_hi:[0,0,1]
	v_pk_fma_f32 v[18:19], v[94:95], v[98:99], v[18:19] op_sel_hi:[1,0,1]
	v_pk_add_f32 v[16:17], v[16:17], v[116:117]
	v_mov_b32_e32 v21, v19
	v_pk_add_f32 v[16:17], v[16:17], v[20:21]
	s_waitcnt vmcnt(3) lgkmcnt(3)
	v_pk_mul_f32 v[18:19], v[2:3], v[100:101] op_sel:[1,1] op_sel_hi:[0,1]
	v_pk_fma_f32 v[20:21], v[2:3], v[100:101], v[18:19] neg_lo:[0,0,1] neg_hi:[0,0,1]
	v_pk_fma_f32 v[2:3], v[2:3], v[100:101], v[18:19] op_sel_hi:[1,0,1]
	s_nop 0
	v_mov_b32_e32 v21, v3
	v_pk_add_f32 v[2:3], v[16:17], v[20:21]
	v_mov_b32_e32 v16, v103
	v_pk_mul_f32 v[16:17], v[4:5], v[16:17] op_sel:[1,0] op_sel_hi:[0,0]
	v_pk_fma_f32 v[18:19], v[4:5], v[102:103], v[16:17] neg_lo:[0,0,1] neg_hi:[0,0,1]
	v_pk_fma_f32 v[4:5], v[4:5], v[102:103], v[16:17] op_sel_hi:[1,0,1]
	s_nop 0
	v_mov_b32_e32 v19, v5
	s_waitcnt vmcnt(2) lgkmcnt(2)
	v_pk_mul_f32 v[4:5], v[6:7], v[104:105] op_sel:[1,1] op_sel_hi:[0,1]
	v_pk_fma_f32 v[16:17], v[6:7], v[104:105], v[4:5] neg_lo:[0,0,1] neg_hi:[0,0,1]
	v_pk_fma_f32 v[4:5], v[6:7], v[104:105], v[4:5] op_sel_hi:[1,0,1]
	v_pk_add_f32 v[2:3], v[2:3], v[18:19]
	v_mov_b32_e32 v4, v107
	v_mov_b32_e32 v17, v5
	v_pk_mul_f32 v[4:5], v[8:9], v[4:5] op_sel:[1,0] op_sel_hi:[0,0]
	v_pk_fma_f32 v[6:7], v[8:9], v[106:107], v[4:5] neg_lo:[0,0,1] neg_hi:[0,0,1]
	v_pk_fma_f32 v[4:5], v[8:9], v[106:107], v[4:5] op_sel_hi:[1,0,1]
	v_pk_add_f32 v[2:3], v[2:3], v[16:17]
	v_mov_b32_e32 v7, v5
	s_waitcnt vmcnt(1) lgkmcnt(1)
	v_pk_mul_f32 v[4:5], v[10:11], v[108:109] op_sel:[1,1] op_sel_hi:[0,1]
	v_pk_add_f32 v[2:3], v[2:3], v[6:7]
	v_pk_fma_f32 v[6:7], v[10:11], v[108:109], v[4:5] neg_lo:[0,0,1] neg_hi:[0,0,1]
	v_pk_fma_f32 v[4:5], v[10:11], v[108:109], v[4:5] op_sel_hi:[1,0,1]
	s_nop 0
	v_mov_b32_e32 v4, v111
	v_mov_b32_e32 v7, v5
	v_pk_mul_f32 v[4:5], v[12:13], v[4:5] op_sel:[1,0] op_sel_hi:[0,0]
	v_pk_add_f32 v[2:3], v[2:3], v[6:7]
	v_pk_fma_f32 v[6:7], v[12:13], v[110:111], v[4:5] neg_lo:[0,0,1] neg_hi:[0,0,1]
	v_pk_fma_f32 v[4:5], v[12:13], v[110:111], v[4:5] op_sel_hi:[1,0,1]
	s_nop 0
	v_mov_b32_e32 v7, v5
	s_waitcnt vmcnt(0) lgkmcnt(0)
	v_pk_mul_f32 v[4:5], v[14:15], v[118:119] op_sel:[1,1] op_sel_hi:[0,1]
	v_pk_add_f32 v[2:3], v[2:3], v[6:7]
	v_pk_fma_f32 v[6:7], v[14:15], v[118:119], v[4:5] neg_lo:[0,0,1] neg_hi:[0,0,1]
	v_pk_fma_f32 v[4:5], v[14:15], v[118:119], v[4:5] op_sel_hi:[1,0,1]
	s_nop 0
	v_mov_b32_e32 v7, v5
	scratch_load_dwordx2 v[4:5], off, off offset:248
	v_pk_add_f32 v[2:3], v[2:3], v[6:7]
	s_waitcnt vmcnt(0)
	v_pk_add_f32 v[2:3], v[4:5], v[2:3] neg_lo:[0,1] neg_hi:[0,1]
	scratch_store_dwordx2 off, v[2:3], off offset:248
	s_and_saveexec_b64 s[0:1], vcc
	s_cbranch_execz .LBB126_331
; %bb.330:
	scratch_load_dwordx2 v[2:3], off, off offset:240
	v_mov_b32_e32 v63, v62
	scratch_store_dwordx2 off, v[62:63], off offset:240
	s_waitcnt vmcnt(1)
	ds_write_b64 v1, v[2:3]
.LBB126_331:
	s_or_b64 exec, exec, s[0:1]
	s_waitcnt lgkmcnt(0)
	; wave barrier
	scratch_load_dwordx4 v[6:9], off, off offset:248
	scratch_load_dwordx4 v[14:17], off, off offset:264
	;; [unrolled: 1-line block ×10, first 2 shown]
	ds_read2_b64 v[2:5], v62 offset0:95 offset1:96
	scratch_load_dwordx4 v[88:91], off, off offset:408
	scratch_load_dwordx4 v[96:99], off, off offset:424
	v_cmp_lt_u32_e32 vcc, 29, v0
	s_waitcnt vmcnt(11) lgkmcnt(0)
	v_mul_f32_e32 v10, v2, v7
	v_fmac_f32_e32 v10, v3, v6
	v_mul_f32_e32 v11, v4, v9
	v_add_f32_e32 v10, 0, v10
	v_fmac_f32_e32 v11, v5, v8
	v_add_f32_e32 v18, v10, v11
	ds_read2_b64 v[10:13], v62 offset0:97 offset1:98
	v_mul_f32_e32 v3, v3, v7
	v_fma_f32 v2, v2, v6, -v3
	v_mul_f32_e32 v3, v5, v9
	v_add_f32_e32 v2, 0, v2
	s_waitcnt vmcnt(10) lgkmcnt(0)
	v_mul_f32_e32 v19, v10, v15
	v_fmac_f32_e32 v19, v11, v14
	v_add_f32_e32 v18, v18, v19
	v_mul_f32_e32 v19, v12, v17
	v_fmac_f32_e32 v19, v13, v16
	v_add_f32_e32 v26, v18, v19
	ds_read2_b64 v[18:21], v62 offset0:99 offset1:100
	v_fma_f32 v3, v4, v8, -v3
	v_add_f32_e32 v2, v2, v3
	v_mul_f32_e32 v3, v11, v15
	v_fma_f32 v3, v10, v14, -v3
	s_waitcnt vmcnt(9) lgkmcnt(0)
	v_mul_f32_e32 v27, v18, v23
	v_fmac_f32_e32 v27, v19, v22
	v_add_f32_e32 v26, v26, v27
	v_mul_f32_e32 v27, v20, v25
	v_fmac_f32_e32 v27, v21, v24
	v_add_f32_e32 v34, v26, v27
	ds_read2_b64 v[26:29], v62 offset0:101 offset1:102
	v_add_f32_e32 v2, v2, v3
	v_mul_f32_e32 v3, v13, v17
	v_fma_f32 v3, v12, v16, -v3
	v_add_f32_e32 v2, v2, v3
	s_waitcnt vmcnt(8) lgkmcnt(0)
	v_mul_f32_e32 v35, v26, v31
	v_fmac_f32_e32 v35, v27, v30
	v_add_f32_e32 v34, v34, v35
	v_mul_f32_e32 v35, v28, v33
	v_fmac_f32_e32 v35, v29, v32
	v_add_f32_e32 v42, v34, v35
	ds_read2_b64 v[34:37], v62 offset0:103 offset1:104
	v_mul_f32_e32 v3, v19, v23
	v_fma_f32 v3, v18, v22, -v3
	v_add_f32_e32 v2, v2, v3
	v_mul_f32_e32 v3, v21, v25
	s_waitcnt vmcnt(7) lgkmcnt(0)
	v_mul_f32_e32 v43, v34, v39
	v_fmac_f32_e32 v43, v35, v38
	v_add_f32_e32 v42, v42, v43
	v_mul_f32_e32 v43, v36, v41
	v_fmac_f32_e32 v43, v37, v40
	v_add_f32_e32 v50, v42, v43
	ds_read2_b64 v[42:45], v62 offset0:105 offset1:106
	v_fma_f32 v3, v20, v24, -v3
	v_add_f32_e32 v2, v2, v3
	v_mul_f32_e32 v3, v27, v31
	v_fma_f32 v3, v26, v30, -v3
	s_waitcnt vmcnt(6) lgkmcnt(0)
	v_mul_f32_e32 v51, v42, v47
	v_fmac_f32_e32 v51, v43, v46
	v_add_f32_e32 v50, v50, v51
	v_mul_f32_e32 v51, v44, v49
	v_fmac_f32_e32 v51, v45, v48
	v_add_f32_e32 v58, v50, v51
	ds_read2_b64 v[50:53], v62 offset0:107 offset1:108
	v_add_f32_e32 v2, v2, v3
	v_mul_f32_e32 v3, v29, v33
	v_fma_f32 v3, v28, v32, -v3
	v_add_f32_e32 v2, v2, v3
	s_waitcnt vmcnt(5) lgkmcnt(0)
	v_mul_f32_e32 v59, v50, v55
	v_fmac_f32_e32 v59, v51, v54
	v_add_f32_e32 v58, v58, v59
	v_mul_f32_e32 v59, v52, v57
	v_fmac_f32_e32 v59, v53, v56
	v_add_f32_e32 v63, v58, v59
	ds_read2_b64 v[58:61], v62 offset0:109 offset1:110
	v_mul_f32_e32 v3, v35, v39
	v_fma_f32 v3, v34, v38, -v3
	v_add_f32_e32 v2, v2, v3
	v_mul_f32_e32 v3, v37, v41
	;; [unrolled: 36-line block ×3, first 2 shown]
	s_waitcnt vmcnt(1) lgkmcnt(0)
	v_mul_f32_e32 v92, v84, v89
	v_fmac_f32_e32 v92, v85, v88
	v_add_f32_e32 v63, v63, v92
	v_mul_f32_e32 v92, v86, v91
	v_fmac_f32_e32 v92, v87, v90
	v_add_f32_e32 v117, v63, v92
	ds_read2_b64 v[92:95], v62 offset0:117 offset1:118
	scratch_load_dwordx4 v[100:103], off, off offset:440
	scratch_load_dwordx4 v[104:107], off, off offset:456
	;; [unrolled: 1-line block ×4, first 2 shown]
	v_fma_f32 v3, v52, v56, -v3
	v_add_f32_e32 v2, v2, v3
	v_mul_f32_e32 v3, v59, v65
	v_fma_f32 v3, v58, v64, -v3
	v_add_f32_e32 v2, v2, v3
	v_mul_f32_e32 v3, v61, v67
	;; [unrolled: 3-line block ×8, first 2 shown]
	v_fma_f32 v3, v86, v90, -v3
	v_add_f32_e32 v116, v2, v3
	s_waitcnt vmcnt(4) lgkmcnt(0)
	v_mul_f32_e32 v2, v93, v97
	v_fma_f32 v118, v92, v96, -v2
	v_mul_f32_e32 v2, v95, v99
	v_fma_f32 v120, v94, v98, -v2
	ds_read2_b64 v[2:5], v62 offset0:119 offset1:120
	ds_read2_b64 v[6:9], v62 offset0:121 offset1:122
	ds_read2_b64 v[10:13], v62 offset0:123 offset1:124
	ds_read2_b64 v[14:17], v62 offset0:125 offset1:126
	v_mul_f32_e32 v119, v92, v97
	v_fmac_f32_e32 v119, v93, v96
	v_mul_f32_e32 v121, v94, v99
	v_fmac_f32_e32 v121, v95, v98
	v_pk_add_f32 v[18:19], v[116:117], v[118:119]
	s_waitcnt vmcnt(3) lgkmcnt(3)
	v_pk_mul_f32 v[20:21], v[2:3], v[100:101] op_sel:[1,1] op_sel_hi:[0,1]
	v_pk_fma_f32 v[22:23], v[2:3], v[100:101], v[20:21] neg_lo:[0,0,1] neg_hi:[0,0,1]
	v_pk_fma_f32 v[2:3], v[2:3], v[100:101], v[20:21] op_sel_hi:[1,0,1]
	v_pk_add_f32 v[18:19], v[18:19], v[120:121]
	v_mov_b32_e32 v23, v3
	v_pk_add_f32 v[2:3], v[18:19], v[22:23]
	v_mov_b32_e32 v18, v103
	v_pk_mul_f32 v[18:19], v[4:5], v[18:19] op_sel:[1,0] op_sel_hi:[0,0]
	v_pk_fma_f32 v[20:21], v[4:5], v[102:103], v[18:19] neg_lo:[0,0,1] neg_hi:[0,0,1]
	v_pk_fma_f32 v[4:5], v[4:5], v[102:103], v[18:19] op_sel_hi:[1,0,1]
	s_nop 0
	v_mov_b32_e32 v21, v5
	s_waitcnt vmcnt(2) lgkmcnt(2)
	v_pk_mul_f32 v[4:5], v[6:7], v[104:105] op_sel:[1,1] op_sel_hi:[0,1]
	v_pk_fma_f32 v[18:19], v[6:7], v[104:105], v[4:5] neg_lo:[0,0,1] neg_hi:[0,0,1]
	v_pk_fma_f32 v[4:5], v[6:7], v[104:105], v[4:5] op_sel_hi:[1,0,1]
	v_pk_add_f32 v[2:3], v[2:3], v[20:21]
	v_mov_b32_e32 v4, v107
	v_mov_b32_e32 v19, v5
	v_pk_mul_f32 v[4:5], v[8:9], v[4:5] op_sel:[1,0] op_sel_hi:[0,0]
	v_pk_fma_f32 v[6:7], v[8:9], v[106:107], v[4:5] neg_lo:[0,0,1] neg_hi:[0,0,1]
	v_pk_fma_f32 v[4:5], v[8:9], v[106:107], v[4:5] op_sel_hi:[1,0,1]
	v_pk_add_f32 v[2:3], v[2:3], v[18:19]
	v_mov_b32_e32 v7, v5
	s_waitcnt vmcnt(1) lgkmcnt(1)
	v_pk_mul_f32 v[4:5], v[10:11], v[108:109] op_sel:[1,1] op_sel_hi:[0,1]
	v_pk_add_f32 v[2:3], v[2:3], v[6:7]
	v_pk_fma_f32 v[6:7], v[10:11], v[108:109], v[4:5] neg_lo:[0,0,1] neg_hi:[0,0,1]
	v_pk_fma_f32 v[4:5], v[10:11], v[108:109], v[4:5] op_sel_hi:[1,0,1]
	s_nop 0
	v_mov_b32_e32 v4, v111
	v_mov_b32_e32 v7, v5
	v_pk_mul_f32 v[4:5], v[12:13], v[4:5] op_sel:[1,0] op_sel_hi:[0,0]
	v_pk_add_f32 v[2:3], v[2:3], v[6:7]
	v_pk_fma_f32 v[6:7], v[12:13], v[110:111], v[4:5] neg_lo:[0,0,1] neg_hi:[0,0,1]
	v_pk_fma_f32 v[4:5], v[12:13], v[110:111], v[4:5] op_sel_hi:[1,0,1]
	s_nop 0
	v_mov_b32_e32 v7, v5
	s_waitcnt vmcnt(0) lgkmcnt(0)
	v_pk_mul_f32 v[4:5], v[14:15], v[112:113] op_sel:[1,1] op_sel_hi:[0,1]
	v_pk_add_f32 v[2:3], v[2:3], v[6:7]
	v_pk_fma_f32 v[6:7], v[14:15], v[112:113], v[4:5] neg_lo:[0,0,1] neg_hi:[0,0,1]
	v_pk_fma_f32 v[4:5], v[14:15], v[112:113], v[4:5] op_sel_hi:[1,0,1]
	s_nop 0
	v_mov_b32_e32 v4, v115
	v_mov_b32_e32 v7, v5
	v_pk_mul_f32 v[4:5], v[16:17], v[4:5] op_sel:[1,0] op_sel_hi:[0,0]
	v_pk_add_f32 v[2:3], v[2:3], v[6:7]
	v_pk_fma_f32 v[6:7], v[16:17], v[114:115], v[4:5] neg_lo:[0,0,1] neg_hi:[0,0,1]
	v_pk_fma_f32 v[4:5], v[16:17], v[114:115], v[4:5] op_sel_hi:[1,0,1]
	s_nop 0
	v_mov_b32_e32 v7, v5
	scratch_load_dwordx2 v[4:5], off, off offset:240
	v_pk_add_f32 v[2:3], v[2:3], v[6:7]
	s_waitcnt vmcnt(0)
	v_pk_add_f32 v[2:3], v[4:5], v[2:3] neg_lo:[0,1] neg_hi:[0,1]
	scratch_store_dwordx2 off, v[2:3], off offset:240
	s_and_saveexec_b64 s[0:1], vcc
	s_cbranch_execz .LBB126_333
; %bb.332:
	scratch_load_dwordx2 v[2:3], off, off offset:232
	v_mov_b32_e32 v4, 0
	v_mov_b32_e32 v5, v4
	scratch_store_dwordx2 off, v[4:5], off offset:232
	s_waitcnt vmcnt(1)
	ds_write_b64 v1, v[2:3]
.LBB126_333:
	s_or_b64 exec, exec, s[0:1]
	v_mov_b32_e32 v70, 0
	s_waitcnt lgkmcnt(0)
	; wave barrier
	ds_read_b128 v[14:17], v70 offset:752
	ds_read_b128 v[10:13], v70 offset:768
	;; [unrolled: 1-line block ×4, first 2 shown]
	scratch_load_dwordx4 v[18:21], off, off offset:240
	scratch_load_dwordx4 v[38:41], off, off offset:304
	;; [unrolled: 1-line block ×7, first 2 shown]
	v_cmp_lt_u32_e32 vcc, 28, v0
	scratch_load_dwordx4 v[46:49], off, off offset:320
	scratch_load_dwordx4 v[54:57], off, off offset:336
	;; [unrolled: 1-line block ×3, first 2 shown]
	s_waitcnt vmcnt(9) lgkmcnt(3)
	v_mul_f32_e32 v22, v14, v19
	v_fmac_f32_e32 v22, v15, v18
	v_mul_f32_e32 v23, v16, v21
	v_add_f32_e32 v22, 0, v22
	v_fmac_f32_e32 v23, v17, v20
	v_add_f32_e32 v26, v22, v23
	scratch_load_dwordx4 v[22:25], off, off offset:256
	v_mul_f32_e32 v15, v15, v19
	v_fma_f32 v14, v14, v18, -v15
	v_mul_f32_e32 v15, v17, v21
	v_add_f32_e32 v14, 0, v14
	v_fma_f32 v15, v16, v20, -v15
	v_add_f32_e32 v14, v14, v15
	s_waitcnt vmcnt(4)
	v_mov_b32_e32 v18, v107
	s_waitcnt vmcnt(0) lgkmcnt(2)
	v_mul_f32_e32 v27, v10, v23
	v_fmac_f32_e32 v27, v11, v22
	v_add_f32_e32 v26, v26, v27
	v_mul_f32_e32 v27, v12, v25
	v_fmac_f32_e32 v27, v13, v24
	v_add_f32_e32 v30, v26, v27
	scratch_load_dwordx4 v[26:29], off, off offset:272
	v_mul_f32_e32 v11, v11, v23
	v_fma_f32 v10, v10, v22, -v11
	v_mul_f32_e32 v11, v13, v25
	v_add_f32_e32 v10, v14, v10
	v_fma_f32 v11, v12, v24, -v11
	v_add_f32_e32 v10, v10, v11
	s_waitcnt vmcnt(0) lgkmcnt(1)
	v_mul_f32_e32 v31, v6, v27
	v_fmac_f32_e32 v31, v7, v26
	v_add_f32_e32 v30, v30, v31
	v_mul_f32_e32 v31, v8, v29
	v_fmac_f32_e32 v31, v9, v28
	v_add_f32_e32 v34, v30, v31
	scratch_load_dwordx4 v[30:33], off, off offset:288
	v_mul_f32_e32 v7, v7, v27
	v_fma_f32 v6, v6, v26, -v7
	v_mul_f32_e32 v7, v9, v29
	v_add_f32_e32 v6, v10, v6
	v_fma_f32 v7, v8, v28, -v7
	v_add_f32_e32 v6, v6, v7
	s_waitcnt vmcnt(0) lgkmcnt(0)
	v_mul_f32_e32 v35, v2, v31
	v_fmac_f32_e32 v35, v3, v30
	v_add_f32_e32 v34, v34, v35
	v_mul_f32_e32 v35, v4, v33
	v_fmac_f32_e32 v35, v5, v32
	v_add_f32_e32 v42, v34, v35
	ds_read_b128 v[34:37], v70 offset:816
	v_mul_f32_e32 v3, v3, v31
	v_fma_f32 v2, v2, v30, -v3
	v_mul_f32_e32 v3, v5, v33
	v_add_f32_e32 v2, v6, v2
	s_waitcnt lgkmcnt(0)
	v_mul_f32_e32 v43, v34, v39
	v_fmac_f32_e32 v43, v35, v38
	v_add_f32_e32 v42, v42, v43
	v_mul_f32_e32 v43, v36, v41
	v_fmac_f32_e32 v43, v37, v40
	v_add_f32_e32 v50, v42, v43
	ds_read_b128 v[42:45], v70 offset:832
	v_fma_f32 v3, v4, v32, -v3
	v_add_f32_e32 v2, v2, v3
	v_mul_f32_e32 v3, v35, v39
	v_fma_f32 v3, v34, v38, -v3
	s_waitcnt lgkmcnt(0)
	v_mul_f32_e32 v51, v42, v47
	v_fmac_f32_e32 v51, v43, v46
	v_add_f32_e32 v50, v50, v51
	v_mul_f32_e32 v51, v44, v49
	v_fmac_f32_e32 v51, v45, v48
	v_add_f32_e32 v58, v50, v51
	ds_read_b128 v[50:53], v70 offset:848
	v_add_f32_e32 v2, v2, v3
	v_mul_f32_e32 v3, v37, v41
	v_fma_f32 v3, v36, v40, -v3
	v_add_f32_e32 v2, v2, v3
	s_waitcnt lgkmcnt(0)
	v_mul_f32_e32 v59, v50, v55
	v_fmac_f32_e32 v59, v51, v54
	v_add_f32_e32 v58, v58, v59
	v_mul_f32_e32 v59, v52, v57
	v_fmac_f32_e32 v59, v53, v56
	v_add_f32_e32 v66, v58, v59
	ds_read_b128 v[58:61], v70 offset:864
	v_mul_f32_e32 v3, v43, v47
	v_fma_f32 v3, v42, v46, -v3
	v_add_f32_e32 v2, v2, v3
	v_mul_f32_e32 v3, v45, v49
	s_waitcnt lgkmcnt(0)
	v_mul_f32_e32 v67, v58, v63
	v_fmac_f32_e32 v67, v59, v62
	v_add_f32_e32 v66, v66, v67
	v_mul_f32_e32 v67, v60, v65
	v_fmac_f32_e32 v67, v61, v64
	v_add_f32_e32 v71, v66, v67
	ds_read_b128 v[66:69], v70 offset:880
	v_fma_f32 v3, v44, v48, -v3
	v_add_f32_e32 v2, v2, v3
	v_mul_f32_e32 v3, v51, v55
	v_fma_f32 v3, v50, v54, -v3
	s_waitcnt lgkmcnt(0)
	v_mul_f32_e32 v76, v66, v73
	v_fmac_f32_e32 v76, v67, v72
	v_add_f32_e32 v71, v71, v76
	v_mul_f32_e32 v76, v68, v75
	v_fmac_f32_e32 v76, v69, v74
	v_add_f32_e32 v71, v71, v76
	ds_read_b128 v[76:79], v70 offset:896
	v_add_f32_e32 v2, v2, v3
	v_mul_f32_e32 v3, v53, v57
	v_fma_f32 v3, v52, v56, -v3
	v_add_f32_e32 v2, v2, v3
	s_waitcnt lgkmcnt(0)
	v_mul_f32_e32 v84, v76, v81
	v_fmac_f32_e32 v84, v77, v80
	v_add_f32_e32 v71, v71, v84
	v_mul_f32_e32 v84, v78, v83
	v_fmac_f32_e32 v84, v79, v82
	v_add_f32_e32 v71, v71, v84
	ds_read_b128 v[84:87], v70 offset:912
	v_mul_f32_e32 v3, v59, v63
	v_fma_f32 v3, v58, v62, -v3
	v_add_f32_e32 v2, v2, v3
	v_mul_f32_e32 v3, v61, v65
	s_waitcnt lgkmcnt(0)
	v_mul_f32_e32 v92, v84, v89
	v_fmac_f32_e32 v92, v85, v88
	v_add_f32_e32 v71, v71, v92
	v_mul_f32_e32 v92, v86, v91
	v_fmac_f32_e32 v92, v87, v90
	v_add_f32_e32 v71, v71, v92
	ds_read_b128 v[92:95], v70 offset:928
	v_fma_f32 v3, v60, v64, -v3
	v_add_f32_e32 v2, v2, v3
	v_mul_f32_e32 v3, v67, v73
	v_fma_f32 v3, v66, v72, -v3
	s_waitcnt lgkmcnt(0)
	v_mul_f32_e32 v100, v92, v97
	v_fmac_f32_e32 v100, v93, v96
	v_add_f32_e32 v121, v71, v100
	ds_read_b128 v[100:103], v70 offset:944
	scratch_load_dwordx4 v[108:111], off, off offset:448
	scratch_load_dwordx4 v[112:115], off, off offset:464
	;; [unrolled: 1-line block ×3, first 2 shown]
	scratch_load_dwordx2 v[126:127], off, off offset:496
	v_add_f32_e32 v2, v2, v3
	v_mul_f32_e32 v3, v69, v75
	v_fma_f32 v3, v68, v74, -v3
	v_add_f32_e32 v2, v2, v3
	v_mul_f32_e32 v3, v77, v81
	v_fma_f32 v3, v76, v80, -v3
	;; [unrolled: 3-line block ×6, first 2 shown]
	v_add_f32_e32 v120, v2, v3
	v_mul_f32_e32 v2, v95, v99
	v_mul_f32_e32 v123, v94, v99
	v_fma_f32 v122, v94, v98, -v2
	s_waitcnt lgkmcnt(0)
	v_mul_f32_e32 v2, v101, v105
	v_fmac_f32_e32 v123, v95, v98
	v_mul_f32_e32 v125, v100, v105
	v_fma_f32 v124, v100, v104, -v2
	ds_read_b128 v[2:5], v70 offset:960
	ds_read_b128 v[6:9], v70 offset:976
	;; [unrolled: 1-line block ×3, first 2 shown]
	ds_read_b64 v[14:15], v70 offset:1008
	v_pk_mul_f32 v[18:19], v[102:103], v[18:19] op_sel:[1,0] op_sel_hi:[0,0]
	v_fmac_f32_e32 v125, v101, v104
	v_pk_add_f32 v[16:17], v[120:121], v[122:123]
	v_pk_fma_f32 v[20:21], v[102:103], v[106:107], v[18:19] neg_lo:[0,0,1] neg_hi:[0,0,1]
	v_pk_fma_f32 v[18:19], v[102:103], v[106:107], v[18:19] op_sel_hi:[1,0,1]
	v_pk_add_f32 v[16:17], v[16:17], v[124:125]
	v_mov_b32_e32 v21, v19
	v_pk_add_f32 v[16:17], v[16:17], v[20:21]
	s_waitcnt vmcnt(3) lgkmcnt(3)
	v_pk_mul_f32 v[18:19], v[2:3], v[108:109] op_sel:[1,1] op_sel_hi:[0,1]
	v_pk_fma_f32 v[20:21], v[2:3], v[108:109], v[18:19] neg_lo:[0,0,1] neg_hi:[0,0,1]
	v_pk_fma_f32 v[2:3], v[2:3], v[108:109], v[18:19] op_sel_hi:[1,0,1]
	s_nop 0
	v_mov_b32_e32 v21, v3
	v_pk_add_f32 v[2:3], v[16:17], v[20:21]
	v_mov_b32_e32 v16, v111
	v_pk_mul_f32 v[16:17], v[4:5], v[16:17] op_sel:[1,0] op_sel_hi:[0,0]
	v_pk_fma_f32 v[18:19], v[4:5], v[110:111], v[16:17] neg_lo:[0,0,1] neg_hi:[0,0,1]
	v_pk_fma_f32 v[4:5], v[4:5], v[110:111], v[16:17] op_sel_hi:[1,0,1]
	s_nop 0
	v_mov_b32_e32 v19, v5
	s_waitcnt vmcnt(2) lgkmcnt(2)
	v_pk_mul_f32 v[4:5], v[6:7], v[112:113] op_sel:[1,1] op_sel_hi:[0,1]
	v_pk_fma_f32 v[16:17], v[6:7], v[112:113], v[4:5] neg_lo:[0,0,1] neg_hi:[0,0,1]
	v_pk_fma_f32 v[4:5], v[6:7], v[112:113], v[4:5] op_sel_hi:[1,0,1]
	v_pk_add_f32 v[2:3], v[2:3], v[18:19]
	v_mov_b32_e32 v4, v115
	v_mov_b32_e32 v17, v5
	v_pk_mul_f32 v[4:5], v[8:9], v[4:5] op_sel:[1,0] op_sel_hi:[0,0]
	v_pk_fma_f32 v[6:7], v[8:9], v[114:115], v[4:5] neg_lo:[0,0,1] neg_hi:[0,0,1]
	v_pk_fma_f32 v[4:5], v[8:9], v[114:115], v[4:5] op_sel_hi:[1,0,1]
	v_pk_add_f32 v[2:3], v[2:3], v[16:17]
	v_mov_b32_e32 v7, v5
	s_waitcnt vmcnt(1) lgkmcnt(1)
	v_pk_mul_f32 v[4:5], v[10:11], v[116:117] op_sel:[1,1] op_sel_hi:[0,1]
	v_pk_add_f32 v[2:3], v[2:3], v[6:7]
	v_pk_fma_f32 v[6:7], v[10:11], v[116:117], v[4:5] neg_lo:[0,0,1] neg_hi:[0,0,1]
	v_pk_fma_f32 v[4:5], v[10:11], v[116:117], v[4:5] op_sel_hi:[1,0,1]
	s_nop 0
	v_mov_b32_e32 v4, v119
	v_mov_b32_e32 v7, v5
	v_pk_mul_f32 v[4:5], v[12:13], v[4:5] op_sel:[1,0] op_sel_hi:[0,0]
	v_pk_add_f32 v[2:3], v[2:3], v[6:7]
	v_pk_fma_f32 v[6:7], v[12:13], v[118:119], v[4:5] neg_lo:[0,0,1] neg_hi:[0,0,1]
	v_pk_fma_f32 v[4:5], v[12:13], v[118:119], v[4:5] op_sel_hi:[1,0,1]
	s_nop 0
	v_mov_b32_e32 v7, v5
	s_waitcnt vmcnt(0) lgkmcnt(0)
	v_pk_mul_f32 v[4:5], v[14:15], v[126:127] op_sel:[1,1] op_sel_hi:[0,1]
	v_pk_add_f32 v[2:3], v[2:3], v[6:7]
	v_pk_fma_f32 v[6:7], v[14:15], v[126:127], v[4:5] neg_lo:[0,0,1] neg_hi:[0,0,1]
	v_pk_fma_f32 v[4:5], v[14:15], v[126:127], v[4:5] op_sel_hi:[1,0,1]
	s_nop 0
	v_mov_b32_e32 v7, v5
	scratch_load_dwordx2 v[4:5], off, off offset:232
	v_pk_add_f32 v[2:3], v[2:3], v[6:7]
	s_waitcnt vmcnt(0)
	v_pk_add_f32 v[2:3], v[4:5], v[2:3] neg_lo:[0,1] neg_hi:[0,1]
	scratch_store_dwordx2 off, v[2:3], off offset:232
	s_and_saveexec_b64 s[0:1], vcc
	s_cbranch_execz .LBB126_335
; %bb.334:
	scratch_load_dwordx2 v[2:3], off, off offset:224
	v_mov_b32_e32 v71, v70
	scratch_store_dwordx2 off, v[70:71], off offset:224
	s_waitcnt vmcnt(1)
	ds_write_b64 v1, v[2:3]
.LBB126_335:
	s_or_b64 exec, exec, s[0:1]
	s_waitcnt lgkmcnt(0)
	; wave barrier
	scratch_load_dwordx4 v[6:9], off, off offset:232
	scratch_load_dwordx4 v[14:17], off, off offset:248
	;; [unrolled: 1-line block ×12, first 2 shown]
	ds_read2_b64 v[2:5], v70 offset0:93 offset1:94
	ds_read2_b64 v[38:41], v70 offset0:101 offset1:102
	ds_read2_b64 v[90:93], v70 offset0:109 offset1:110
	ds_read2_b64 v[98:101], v70 offset0:111 offset1:112
	ds_read2_b64 v[106:109], v70 offset0:113 offset1:114
	ds_read2_b64 v[114:117], v70 offset0:115 offset1:116
	scratch_load_dwordx4 v[126:129], off, off offset:424
	ds_read2_b64 v[122:125], v70 offset0:117 offset1:118
	v_cmp_lt_u32_e32 vcc, 27, v0
	ds_read2_b64 v[54:57], v70 offset0:103 offset1:104
	ds_read2_b64 v[66:69], v70 offset0:105 offset1:106
	;; [unrolled: 1-line block ×3, first 2 shown]
	s_waitcnt vmcnt(12) lgkmcnt(9)
	v_mul_f32_e32 v10, v2, v7
	v_fmac_f32_e32 v10, v3, v6
	v_mul_f32_e32 v11, v4, v9
	v_add_f32_e32 v10, 0, v10
	v_fmac_f32_e32 v11, v5, v8
	v_add_f32_e32 v18, v10, v11
	ds_read2_b64 v[10:13], v70 offset0:95 offset1:96
	v_mul_f32_e32 v3, v3, v7
	v_fma_f32 v2, v2, v6, -v3
	v_mul_f32_e32 v3, v5, v9
	v_add_f32_e32 v2, 0, v2
	s_waitcnt vmcnt(11) lgkmcnt(0)
	v_mul_f32_e32 v19, v10, v15
	v_fmac_f32_e32 v19, v11, v14
	v_add_f32_e32 v18, v18, v19
	v_mul_f32_e32 v19, v12, v17
	v_fmac_f32_e32 v19, v13, v16
	v_add_f32_e32 v26, v18, v19
	ds_read2_b64 v[18:21], v70 offset0:97 offset1:98
	v_fma_f32 v3, v4, v8, -v3
	v_add_f32_e32 v2, v2, v3
	v_mul_f32_e32 v3, v11, v15
	v_fma_f32 v3, v10, v14, -v3
	s_waitcnt vmcnt(10) lgkmcnt(0)
	v_mul_f32_e32 v27, v18, v23
	v_fmac_f32_e32 v27, v19, v22
	v_add_f32_e32 v26, v26, v27
	v_mul_f32_e32 v27, v20, v25
	v_fmac_f32_e32 v27, v21, v24
	v_add_f32_e32 v30, v26, v27
	ds_read2_b64 v[26:29], v70 offset0:99 offset1:100
	v_add_f32_e32 v2, v2, v3
	v_mul_f32_e32 v3, v13, v17
	v_fma_f32 v3, v12, v16, -v3
	v_add_f32_e32 v2, v2, v3
	s_waitcnt vmcnt(9) lgkmcnt(0)
	v_mul_f32_e32 v31, v26, v35
	v_fmac_f32_e32 v31, v27, v34
	v_add_f32_e32 v30, v30, v31
	v_mul_f32_e32 v31, v28, v37
	v_fmac_f32_e32 v31, v29, v36
	v_add_f32_e32 v30, v30, v31
	s_waitcnt vmcnt(8)
	v_mul_f32_e32 v31, v38, v51
	v_fmac_f32_e32 v31, v39, v50
	v_add_f32_e32 v30, v30, v31
	v_mul_f32_e32 v31, v40, v53
	v_fmac_f32_e32 v31, v41, v52
	v_add_f32_e32 v30, v30, v31
	s_waitcnt vmcnt(7)
	;; [unrolled: 7-line block ×8, first 2 shown]
	v_mul_f32_e32 v31, v114, v119
	v_fmac_f32_e32 v31, v115, v118
	v_add_f32_e32 v30, v30, v31
	v_mul_f32_e32 v31, v116, v121
	v_fmac_f32_e32 v31, v117, v120
	v_add_f32_e32 v73, v30, v31
	scratch_load_dwordx4 v[58:61], off, off offset:440
	scratch_load_dwordx4 v[46:49], off, off offset:456
	;; [unrolled: 1-line block ×4, first 2 shown]
	v_mul_f32_e32 v3, v19, v23
	v_fma_f32 v3, v18, v22, -v3
	v_add_f32_e32 v2, v2, v3
	v_mul_f32_e32 v3, v21, v25
	v_fma_f32 v3, v20, v24, -v3
	v_add_f32_e32 v2, v2, v3
	;; [unrolled: 3-line block ×20, first 2 shown]
	s_waitcnt vmcnt(4)
	v_mul_f32_e32 v2, v123, v127
	v_fma_f32 v74, v122, v126, -v2
	v_mul_f32_e32 v2, v125, v129
	v_fma_f32 v76, v124, v128, -v2
	ds_read2_b64 v[2:5], v70 offset0:119 offset1:120
	ds_read2_b64 v[6:9], v70 offset0:121 offset1:122
	;; [unrolled: 1-line block ×4, first 2 shown]
	v_mul_f32_e32 v75, v122, v127
	v_fmac_f32_e32 v75, v123, v126
	v_mul_f32_e32 v77, v124, v129
	v_fmac_f32_e32 v77, v125, v128
	v_pk_add_f32 v[18:19], v[72:73], v[74:75]
	s_waitcnt vmcnt(3) lgkmcnt(3)
	v_pk_mul_f32 v[20:21], v[2:3], v[58:59] op_sel:[1,1] op_sel_hi:[0,1]
	v_pk_fma_f32 v[22:23], v[2:3], v[58:59], v[20:21] neg_lo:[0,0,1] neg_hi:[0,0,1]
	v_pk_fma_f32 v[2:3], v[2:3], v[58:59], v[20:21] op_sel_hi:[1,0,1]
	v_pk_add_f32 v[18:19], v[18:19], v[76:77]
	v_mov_b32_e32 v23, v3
	v_pk_add_f32 v[2:3], v[18:19], v[22:23]
	v_mov_b32_e32 v18, v61
	v_pk_mul_f32 v[18:19], v[4:5], v[18:19] op_sel:[1,0] op_sel_hi:[0,0]
	v_pk_fma_f32 v[20:21], v[4:5], v[60:61], v[18:19] neg_lo:[0,0,1] neg_hi:[0,0,1]
	v_pk_fma_f32 v[4:5], v[4:5], v[60:61], v[18:19] op_sel_hi:[1,0,1]
	s_nop 0
	v_mov_b32_e32 v21, v5
	s_waitcnt vmcnt(2) lgkmcnt(2)
	v_pk_mul_f32 v[4:5], v[6:7], v[46:47] op_sel:[1,1] op_sel_hi:[0,1]
	v_pk_fma_f32 v[18:19], v[6:7], v[46:47], v[4:5] neg_lo:[0,0,1] neg_hi:[0,0,1]
	v_pk_fma_f32 v[4:5], v[6:7], v[46:47], v[4:5] op_sel_hi:[1,0,1]
	v_pk_add_f32 v[2:3], v[2:3], v[20:21]
	v_mov_b32_e32 v4, v49
	v_mov_b32_e32 v19, v5
	v_pk_mul_f32 v[4:5], v[8:9], v[4:5] op_sel:[1,0] op_sel_hi:[0,0]
	v_pk_fma_f32 v[6:7], v[8:9], v[48:49], v[4:5] neg_lo:[0,0,1] neg_hi:[0,0,1]
	v_pk_fma_f32 v[4:5], v[8:9], v[48:49], v[4:5] op_sel_hi:[1,0,1]
	v_pk_add_f32 v[2:3], v[2:3], v[18:19]
	v_mov_b32_e32 v7, v5
	s_waitcnt vmcnt(1) lgkmcnt(1)
	v_pk_mul_f32 v[4:5], v[10:11], v[42:43] op_sel:[1,1] op_sel_hi:[0,1]
	v_pk_add_f32 v[2:3], v[2:3], v[6:7]
	v_pk_fma_f32 v[6:7], v[10:11], v[42:43], v[4:5] neg_lo:[0,0,1] neg_hi:[0,0,1]
	v_pk_fma_f32 v[4:5], v[10:11], v[42:43], v[4:5] op_sel_hi:[1,0,1]
	s_nop 0
	v_mov_b32_e32 v4, v45
	v_mov_b32_e32 v7, v5
	v_pk_mul_f32 v[4:5], v[12:13], v[4:5] op_sel:[1,0] op_sel_hi:[0,0]
	v_pk_add_f32 v[2:3], v[2:3], v[6:7]
	v_pk_fma_f32 v[6:7], v[12:13], v[44:45], v[4:5] neg_lo:[0,0,1] neg_hi:[0,0,1]
	v_pk_fma_f32 v[4:5], v[12:13], v[44:45], v[4:5] op_sel_hi:[1,0,1]
	s_nop 0
	v_mov_b32_e32 v7, v5
	s_waitcnt vmcnt(0) lgkmcnt(0)
	v_pk_mul_f32 v[4:5], v[14:15], v[30:31] op_sel:[1,1] op_sel_hi:[0,1]
	v_pk_add_f32 v[2:3], v[2:3], v[6:7]
	v_pk_fma_f32 v[6:7], v[14:15], v[30:31], v[4:5] neg_lo:[0,0,1] neg_hi:[0,0,1]
	v_pk_fma_f32 v[4:5], v[14:15], v[30:31], v[4:5] op_sel_hi:[1,0,1]
	s_nop 0
	v_mov_b32_e32 v4, v33
	v_mov_b32_e32 v7, v5
	v_pk_mul_f32 v[4:5], v[16:17], v[4:5] op_sel:[1,0] op_sel_hi:[0,0]
	v_pk_add_f32 v[2:3], v[2:3], v[6:7]
	v_pk_fma_f32 v[6:7], v[16:17], v[32:33], v[4:5] neg_lo:[0,0,1] neg_hi:[0,0,1]
	v_pk_fma_f32 v[4:5], v[16:17], v[32:33], v[4:5] op_sel_hi:[1,0,1]
	s_nop 0
	v_mov_b32_e32 v7, v5
	scratch_load_dwordx2 v[4:5], off, off offset:224
	v_pk_add_f32 v[2:3], v[2:3], v[6:7]
	s_waitcnt vmcnt(0)
	v_pk_add_f32 v[2:3], v[4:5], v[2:3] neg_lo:[0,1] neg_hi:[0,1]
	scratch_store_dwordx2 off, v[2:3], off offset:224
	s_and_saveexec_b64 s[0:1], vcc
	s_cbranch_execz .LBB126_337
; %bb.336:
	scratch_load_dwordx2 v[2:3], off, off offset:216
	v_mov_b32_e32 v4, 0
	v_mov_b32_e32 v5, v4
	scratch_store_dwordx2 off, v[4:5], off offset:216
	s_waitcnt vmcnt(1)
	ds_write_b64 v1, v[2:3]
.LBB126_337:
	s_or_b64 exec, exec, s[0:1]
	v_mov_b32_e32 v70, 0
	s_waitcnt lgkmcnt(0)
	; wave barrier
	ds_read_b128 v[14:17], v70 offset:736
	ds_read_b128 v[10:13], v70 offset:752
	;; [unrolled: 1-line block ×4, first 2 shown]
	scratch_load_dwordx4 v[18:21], off, off offset:224
	scratch_load_dwordx4 v[38:41], off, off offset:288
	scratch_load_dwordx4 v[72:75], off, off offset:352
	scratch_load_dwordx4 v[80:83], off, off offset:368
	scratch_load_dwordx4 v[88:91], off, off offset:384
	scratch_load_dwordx4 v[96:99], off, off offset:400
	scratch_load_dwordx4 v[104:107], off, off offset:416
	scratch_load_dwordx4 v[112:115], off, off offset:432
	v_cmp_lt_u32_e32 vcc, 26, v0
	scratch_load_dwordx4 v[46:49], off, off offset:304
	scratch_load_dwordx4 v[54:57], off, off offset:320
	scratch_load_dwordx4 v[62:65], off, off offset:336
	s_waitcnt vmcnt(10) lgkmcnt(3)
	v_mul_f32_e32 v22, v14, v19
	v_fmac_f32_e32 v22, v15, v18
	v_mul_f32_e32 v23, v16, v21
	v_add_f32_e32 v22, 0, v22
	v_fmac_f32_e32 v23, v17, v20
	v_add_f32_e32 v26, v22, v23
	scratch_load_dwordx4 v[22:25], off, off offset:240
	v_mul_f32_e32 v15, v15, v19
	v_fma_f32 v14, v14, v18, -v15
	v_mul_f32_e32 v15, v17, v21
	v_add_f32_e32 v14, 0, v14
	v_fma_f32 v15, v16, v20, -v15
	v_add_f32_e32 v14, v14, v15
	s_waitcnt vmcnt(4)
	v_mov_b32_e32 v18, v115
	s_waitcnt vmcnt(0) lgkmcnt(2)
	v_mul_f32_e32 v27, v10, v23
	v_fmac_f32_e32 v27, v11, v22
	v_add_f32_e32 v26, v26, v27
	v_mul_f32_e32 v27, v12, v25
	v_fmac_f32_e32 v27, v13, v24
	v_add_f32_e32 v30, v26, v27
	scratch_load_dwordx4 v[26:29], off, off offset:256
	v_mul_f32_e32 v11, v11, v23
	v_fma_f32 v10, v10, v22, -v11
	v_mul_f32_e32 v11, v13, v25
	v_add_f32_e32 v10, v14, v10
	v_fma_f32 v11, v12, v24, -v11
	v_add_f32_e32 v10, v10, v11
	s_waitcnt vmcnt(0) lgkmcnt(1)
	v_mul_f32_e32 v31, v6, v27
	v_fmac_f32_e32 v31, v7, v26
	v_add_f32_e32 v30, v30, v31
	v_mul_f32_e32 v31, v8, v29
	v_fmac_f32_e32 v31, v9, v28
	v_add_f32_e32 v34, v30, v31
	scratch_load_dwordx4 v[30:33], off, off offset:272
	v_mul_f32_e32 v7, v7, v27
	v_fma_f32 v6, v6, v26, -v7
	v_mul_f32_e32 v7, v9, v29
	v_add_f32_e32 v6, v10, v6
	v_fma_f32 v7, v8, v28, -v7
	v_add_f32_e32 v6, v6, v7
	s_waitcnt vmcnt(0) lgkmcnt(0)
	v_mul_f32_e32 v35, v2, v31
	v_fmac_f32_e32 v35, v3, v30
	v_add_f32_e32 v34, v34, v35
	v_mul_f32_e32 v35, v4, v33
	v_fmac_f32_e32 v35, v5, v32
	v_add_f32_e32 v42, v34, v35
	ds_read_b128 v[34:37], v70 offset:800
	v_mul_f32_e32 v3, v3, v31
	v_fma_f32 v2, v2, v30, -v3
	v_mul_f32_e32 v3, v5, v33
	v_add_f32_e32 v2, v6, v2
	s_waitcnt lgkmcnt(0)
	v_mul_f32_e32 v43, v34, v39
	v_fmac_f32_e32 v43, v35, v38
	v_add_f32_e32 v42, v42, v43
	v_mul_f32_e32 v43, v36, v41
	v_fmac_f32_e32 v43, v37, v40
	v_add_f32_e32 v50, v42, v43
	ds_read_b128 v[42:45], v70 offset:816
	v_fma_f32 v3, v4, v32, -v3
	v_add_f32_e32 v2, v2, v3
	v_mul_f32_e32 v3, v35, v39
	v_fma_f32 v3, v34, v38, -v3
	s_waitcnt lgkmcnt(0)
	v_mul_f32_e32 v51, v42, v47
	v_fmac_f32_e32 v51, v43, v46
	v_add_f32_e32 v50, v50, v51
	v_mul_f32_e32 v51, v44, v49
	v_fmac_f32_e32 v51, v45, v48
	v_add_f32_e32 v58, v50, v51
	ds_read_b128 v[50:53], v70 offset:832
	v_add_f32_e32 v2, v2, v3
	v_mul_f32_e32 v3, v37, v41
	v_fma_f32 v3, v36, v40, -v3
	v_add_f32_e32 v2, v2, v3
	s_waitcnt lgkmcnt(0)
	v_mul_f32_e32 v59, v50, v55
	v_fmac_f32_e32 v59, v51, v54
	v_add_f32_e32 v58, v58, v59
	v_mul_f32_e32 v59, v52, v57
	v_fmac_f32_e32 v59, v53, v56
	v_add_f32_e32 v66, v58, v59
	ds_read_b128 v[58:61], v70 offset:848
	v_mul_f32_e32 v3, v43, v47
	v_fma_f32 v3, v42, v46, -v3
	v_add_f32_e32 v2, v2, v3
	v_mul_f32_e32 v3, v45, v49
	s_waitcnt lgkmcnt(0)
	v_mul_f32_e32 v67, v58, v63
	v_fmac_f32_e32 v67, v59, v62
	v_add_f32_e32 v66, v66, v67
	v_mul_f32_e32 v67, v60, v65
	v_fmac_f32_e32 v67, v61, v64
	v_add_f32_e32 v71, v66, v67
	ds_read_b128 v[66:69], v70 offset:864
	v_fma_f32 v3, v44, v48, -v3
	v_add_f32_e32 v2, v2, v3
	v_mul_f32_e32 v3, v51, v55
	v_fma_f32 v3, v50, v54, -v3
	s_waitcnt lgkmcnt(0)
	v_mul_f32_e32 v76, v66, v73
	v_fmac_f32_e32 v76, v67, v72
	v_add_f32_e32 v71, v71, v76
	v_mul_f32_e32 v76, v68, v75
	v_fmac_f32_e32 v76, v69, v74
	v_add_f32_e32 v71, v71, v76
	ds_read_b128 v[76:79], v70 offset:880
	v_add_f32_e32 v2, v2, v3
	v_mul_f32_e32 v3, v53, v57
	v_fma_f32 v3, v52, v56, -v3
	v_add_f32_e32 v2, v2, v3
	s_waitcnt lgkmcnt(0)
	v_mul_f32_e32 v84, v76, v81
	v_fmac_f32_e32 v84, v77, v80
	v_add_f32_e32 v71, v71, v84
	v_mul_f32_e32 v84, v78, v83
	v_fmac_f32_e32 v84, v79, v82
	v_add_f32_e32 v71, v71, v84
	ds_read_b128 v[84:87], v70 offset:896
	v_mul_f32_e32 v3, v59, v63
	v_fma_f32 v3, v58, v62, -v3
	v_add_f32_e32 v2, v2, v3
	v_mul_f32_e32 v3, v61, v65
	s_waitcnt lgkmcnt(0)
	v_mul_f32_e32 v92, v84, v89
	v_fmac_f32_e32 v92, v85, v88
	v_add_f32_e32 v71, v71, v92
	v_mul_f32_e32 v92, v86, v91
	v_fmac_f32_e32 v92, v87, v90
	v_add_f32_e32 v71, v71, v92
	ds_read_b128 v[92:95], v70 offset:912
	v_fma_f32 v3, v60, v64, -v3
	v_add_f32_e32 v2, v2, v3
	v_mul_f32_e32 v3, v67, v73
	v_fma_f32 v3, v66, v72, -v3
	s_waitcnt lgkmcnt(0)
	v_mul_f32_e32 v100, v92, v97
	v_fmac_f32_e32 v100, v93, v96
	v_add_f32_e32 v71, v71, v100
	v_mul_f32_e32 v100, v94, v99
	v_fmac_f32_e32 v100, v95, v98
	v_add_f32_e32 v71, v71, v100
	ds_read_b128 v[100:103], v70 offset:928
	v_add_f32_e32 v2, v2, v3
	v_mul_f32_e32 v3, v69, v75
	v_fma_f32 v3, v68, v74, -v3
	v_add_f32_e32 v2, v2, v3
	s_waitcnt lgkmcnt(0)
	v_mul_f32_e32 v108, v100, v105
	v_fmac_f32_e32 v108, v101, v104
	v_add_f32_e32 v129, v71, v108
	ds_read_b128 v[108:111], v70 offset:944
	scratch_load_dwordx4 v[116:119], off, off offset:448
	scratch_load_dwordx4 v[120:123], off, off offset:464
	;; [unrolled: 1-line block ×3, first 2 shown]
	scratch_load_dwordx2 v[134:135], off, off offset:496
	v_mul_f32_e32 v3, v77, v81
	v_fma_f32 v3, v76, v80, -v3
	v_add_f32_e32 v2, v2, v3
	v_mul_f32_e32 v3, v79, v83
	v_fma_f32 v3, v78, v82, -v3
	v_add_f32_e32 v2, v2, v3
	;; [unrolled: 3-line block ×7, first 2 shown]
	v_mul_f32_e32 v2, v103, v107
	v_mul_f32_e32 v131, v102, v107
	v_fma_f32 v130, v102, v106, -v2
	s_waitcnt lgkmcnt(0)
	v_mul_f32_e32 v2, v109, v113
	v_fmac_f32_e32 v131, v103, v106
	v_mul_f32_e32 v133, v108, v113
	v_fma_f32 v132, v108, v112, -v2
	ds_read_b128 v[2:5], v70 offset:960
	ds_read_b128 v[6:9], v70 offset:976
	ds_read_b128 v[10:13], v70 offset:992
	ds_read_b64 v[14:15], v70 offset:1008
	v_pk_mul_f32 v[18:19], v[110:111], v[18:19] op_sel:[1,0] op_sel_hi:[0,0]
	v_fmac_f32_e32 v133, v109, v112
	v_pk_add_f32 v[16:17], v[128:129], v[130:131]
	v_pk_fma_f32 v[20:21], v[110:111], v[114:115], v[18:19] neg_lo:[0,0,1] neg_hi:[0,0,1]
	v_pk_fma_f32 v[18:19], v[110:111], v[114:115], v[18:19] op_sel_hi:[1,0,1]
	v_pk_add_f32 v[16:17], v[16:17], v[132:133]
	v_mov_b32_e32 v21, v19
	v_pk_add_f32 v[16:17], v[16:17], v[20:21]
	s_waitcnt vmcnt(3) lgkmcnt(3)
	v_pk_mul_f32 v[18:19], v[2:3], v[116:117] op_sel:[1,1] op_sel_hi:[0,1]
	v_pk_fma_f32 v[20:21], v[2:3], v[116:117], v[18:19] neg_lo:[0,0,1] neg_hi:[0,0,1]
	v_pk_fma_f32 v[2:3], v[2:3], v[116:117], v[18:19] op_sel_hi:[1,0,1]
	s_nop 0
	v_mov_b32_e32 v21, v3
	v_pk_add_f32 v[2:3], v[16:17], v[20:21]
	v_mov_b32_e32 v16, v119
	v_pk_mul_f32 v[16:17], v[4:5], v[16:17] op_sel:[1,0] op_sel_hi:[0,0]
	v_pk_fma_f32 v[18:19], v[4:5], v[118:119], v[16:17] neg_lo:[0,0,1] neg_hi:[0,0,1]
	v_pk_fma_f32 v[4:5], v[4:5], v[118:119], v[16:17] op_sel_hi:[1,0,1]
	s_nop 0
	v_mov_b32_e32 v19, v5
	s_waitcnt vmcnt(2) lgkmcnt(2)
	v_pk_mul_f32 v[4:5], v[6:7], v[120:121] op_sel:[1,1] op_sel_hi:[0,1]
	v_pk_fma_f32 v[16:17], v[6:7], v[120:121], v[4:5] neg_lo:[0,0,1] neg_hi:[0,0,1]
	v_pk_fma_f32 v[4:5], v[6:7], v[120:121], v[4:5] op_sel_hi:[1,0,1]
	v_pk_add_f32 v[2:3], v[2:3], v[18:19]
	v_mov_b32_e32 v4, v123
	v_mov_b32_e32 v17, v5
	v_pk_mul_f32 v[4:5], v[8:9], v[4:5] op_sel:[1,0] op_sel_hi:[0,0]
	v_pk_fma_f32 v[6:7], v[8:9], v[122:123], v[4:5] neg_lo:[0,0,1] neg_hi:[0,0,1]
	v_pk_fma_f32 v[4:5], v[8:9], v[122:123], v[4:5] op_sel_hi:[1,0,1]
	v_pk_add_f32 v[2:3], v[2:3], v[16:17]
	v_mov_b32_e32 v7, v5
	s_waitcnt vmcnt(1) lgkmcnt(1)
	v_pk_mul_f32 v[4:5], v[10:11], v[124:125] op_sel:[1,1] op_sel_hi:[0,1]
	v_pk_add_f32 v[2:3], v[2:3], v[6:7]
	v_pk_fma_f32 v[6:7], v[10:11], v[124:125], v[4:5] neg_lo:[0,0,1] neg_hi:[0,0,1]
	v_pk_fma_f32 v[4:5], v[10:11], v[124:125], v[4:5] op_sel_hi:[1,0,1]
	s_nop 0
	v_mov_b32_e32 v4, v127
	v_mov_b32_e32 v7, v5
	v_pk_mul_f32 v[4:5], v[12:13], v[4:5] op_sel:[1,0] op_sel_hi:[0,0]
	v_pk_add_f32 v[2:3], v[2:3], v[6:7]
	v_pk_fma_f32 v[6:7], v[12:13], v[126:127], v[4:5] neg_lo:[0,0,1] neg_hi:[0,0,1]
	v_pk_fma_f32 v[4:5], v[12:13], v[126:127], v[4:5] op_sel_hi:[1,0,1]
	s_nop 0
	v_mov_b32_e32 v7, v5
	s_waitcnt vmcnt(0) lgkmcnt(0)
	v_pk_mul_f32 v[4:5], v[14:15], v[134:135] op_sel:[1,1] op_sel_hi:[0,1]
	v_pk_add_f32 v[2:3], v[2:3], v[6:7]
	v_pk_fma_f32 v[6:7], v[14:15], v[134:135], v[4:5] neg_lo:[0,0,1] neg_hi:[0,0,1]
	v_pk_fma_f32 v[4:5], v[14:15], v[134:135], v[4:5] op_sel_hi:[1,0,1]
	s_nop 0
	v_mov_b32_e32 v7, v5
	scratch_load_dwordx2 v[4:5], off, off offset:216
	v_pk_add_f32 v[2:3], v[2:3], v[6:7]
	s_waitcnt vmcnt(0)
	v_pk_add_f32 v[2:3], v[4:5], v[2:3] neg_lo:[0,1] neg_hi:[0,1]
	scratch_store_dwordx2 off, v[2:3], off offset:216
	s_and_saveexec_b64 s[0:1], vcc
	s_cbranch_execz .LBB126_339
; %bb.338:
	scratch_load_dwordx2 v[2:3], off, off offset:208
	v_mov_b32_e32 v71, v70
	scratch_store_dwordx2 off, v[70:71], off offset:208
	s_waitcnt vmcnt(1)
	ds_write_b64 v1, v[2:3]
.LBB126_339:
	s_or_b64 exec, exec, s[0:1]
	s_waitcnt lgkmcnt(0)
	; wave barrier
	scratch_load_dwordx4 v[6:9], off, off offset:216
	scratch_load_dwordx4 v[14:17], off, off offset:232
	;; [unrolled: 1-line block ×10, first 2 shown]
	ds_read2_b64 v[2:5], v70 offset0:91 offset1:92
	scratch_load_dwordx4 v[88:91], off, off offset:376
	scratch_load_dwordx4 v[96:99], off, off offset:392
	;; [unrolled: 1-line block ×4, first 2 shown]
	v_cmp_lt_u32_e32 vcc, 25, v0
	s_waitcnt vmcnt(13) lgkmcnt(0)
	v_mul_f32_e32 v10, v2, v7
	v_fmac_f32_e32 v10, v3, v6
	v_mul_f32_e32 v11, v4, v9
	v_add_f32_e32 v10, 0, v10
	v_fmac_f32_e32 v11, v5, v8
	v_add_f32_e32 v18, v10, v11
	ds_read2_b64 v[10:13], v70 offset0:93 offset1:94
	v_mul_f32_e32 v3, v3, v7
	v_fma_f32 v2, v2, v6, -v3
	v_mul_f32_e32 v3, v5, v9
	v_add_f32_e32 v2, 0, v2
	s_waitcnt vmcnt(12) lgkmcnt(0)
	v_mul_f32_e32 v19, v10, v15
	v_fmac_f32_e32 v19, v11, v14
	v_add_f32_e32 v18, v18, v19
	v_mul_f32_e32 v19, v12, v17
	v_fmac_f32_e32 v19, v13, v16
	v_add_f32_e32 v26, v18, v19
	ds_read2_b64 v[18:21], v70 offset0:95 offset1:96
	v_fma_f32 v3, v4, v8, -v3
	v_add_f32_e32 v2, v2, v3
	v_mul_f32_e32 v3, v11, v15
	v_fma_f32 v3, v10, v14, -v3
	s_waitcnt vmcnt(11) lgkmcnt(0)
	v_mul_f32_e32 v27, v18, v23
	v_fmac_f32_e32 v27, v19, v22
	v_add_f32_e32 v26, v26, v27
	v_mul_f32_e32 v27, v20, v25
	v_fmac_f32_e32 v27, v21, v24
	v_add_f32_e32 v34, v26, v27
	ds_read2_b64 v[26:29], v70 offset0:97 offset1:98
	v_add_f32_e32 v2, v2, v3
	v_mul_f32_e32 v3, v13, v17
	v_fma_f32 v3, v12, v16, -v3
	v_add_f32_e32 v2, v2, v3
	s_waitcnt vmcnt(10) lgkmcnt(0)
	v_mul_f32_e32 v35, v26, v31
	v_fmac_f32_e32 v35, v27, v30
	v_add_f32_e32 v34, v34, v35
	v_mul_f32_e32 v35, v28, v33
	v_fmac_f32_e32 v35, v29, v32
	v_add_f32_e32 v42, v34, v35
	ds_read2_b64 v[34:37], v70 offset0:99 offset1:100
	v_mul_f32_e32 v3, v19, v23
	v_fma_f32 v3, v18, v22, -v3
	v_add_f32_e32 v2, v2, v3
	v_mul_f32_e32 v3, v21, v25
	s_waitcnt vmcnt(9) lgkmcnt(0)
	v_mul_f32_e32 v43, v34, v39
	v_fmac_f32_e32 v43, v35, v38
	v_add_f32_e32 v42, v42, v43
	v_mul_f32_e32 v43, v36, v41
	v_fmac_f32_e32 v43, v37, v40
	v_add_f32_e32 v50, v42, v43
	ds_read2_b64 v[42:45], v70 offset0:101 offset1:102
	v_fma_f32 v3, v20, v24, -v3
	v_add_f32_e32 v2, v2, v3
	v_mul_f32_e32 v3, v27, v31
	v_fma_f32 v3, v26, v30, -v3
	s_waitcnt vmcnt(8) lgkmcnt(0)
	v_mul_f32_e32 v51, v42, v47
	v_fmac_f32_e32 v51, v43, v46
	v_add_f32_e32 v50, v50, v51
	v_mul_f32_e32 v51, v44, v49
	v_fmac_f32_e32 v51, v45, v48
	v_add_f32_e32 v58, v50, v51
	ds_read2_b64 v[50:53], v70 offset0:103 offset1:104
	v_add_f32_e32 v2, v2, v3
	v_mul_f32_e32 v3, v29, v33
	v_fma_f32 v3, v28, v32, -v3
	v_add_f32_e32 v2, v2, v3
	s_waitcnt vmcnt(7) lgkmcnt(0)
	v_mul_f32_e32 v59, v50, v55
	v_fmac_f32_e32 v59, v51, v54
	v_add_f32_e32 v58, v58, v59
	v_mul_f32_e32 v59, v52, v57
	v_fmac_f32_e32 v59, v53, v56
	v_add_f32_e32 v66, v58, v59
	ds_read2_b64 v[58:61], v70 offset0:105 offset1:106
	v_mul_f32_e32 v3, v35, v39
	v_fma_f32 v3, v34, v38, -v3
	v_add_f32_e32 v2, v2, v3
	v_mul_f32_e32 v3, v37, v41
	;; [unrolled: 36-line block ×3, first 2 shown]
	s_waitcnt vmcnt(3) lgkmcnt(0)
	v_mul_f32_e32 v92, v84, v89
	v_fmac_f32_e32 v92, v85, v88
	v_add_f32_e32 v71, v71, v92
	v_mul_f32_e32 v92, v86, v91
	v_fmac_f32_e32 v92, v87, v90
	v_add_f32_e32 v71, v71, v92
	ds_read2_b64 v[92:95], v70 offset0:113 offset1:114
	v_fma_f32 v3, v52, v56, -v3
	v_add_f32_e32 v2, v2, v3
	v_mul_f32_e32 v3, v59, v63
	v_fma_f32 v3, v58, v62, -v3
	s_waitcnt vmcnt(2) lgkmcnt(0)
	v_mul_f32_e32 v100, v92, v97
	v_fmac_f32_e32 v100, v93, v96
	v_add_f32_e32 v71, v71, v100
	v_mul_f32_e32 v100, v94, v99
	v_fmac_f32_e32 v100, v95, v98
	v_add_f32_e32 v71, v71, v100
	ds_read2_b64 v[100:103], v70 offset0:115 offset1:116
	v_add_f32_e32 v2, v2, v3
	v_mul_f32_e32 v3, v61, v65
	v_fma_f32 v3, v60, v64, -v3
	v_add_f32_e32 v2, v2, v3
	s_waitcnt vmcnt(1) lgkmcnt(0)
	v_mul_f32_e32 v108, v100, v105
	v_fmac_f32_e32 v108, v101, v104
	v_add_f32_e32 v71, v71, v108
	v_mul_f32_e32 v108, v102, v107
	v_fmac_f32_e32 v108, v103, v106
	v_add_f32_e32 v133, v71, v108
	ds_read2_b64 v[108:111], v70 offset0:117 offset1:118
	scratch_load_dwordx4 v[116:119], off, off offset:440
	scratch_load_dwordx4 v[120:123], off, off offset:456
	;; [unrolled: 1-line block ×4, first 2 shown]
	v_mul_f32_e32 v3, v67, v73
	v_fma_f32 v3, v66, v72, -v3
	v_add_f32_e32 v2, v2, v3
	v_mul_f32_e32 v3, v69, v75
	v_fma_f32 v3, v68, v74, -v3
	v_add_f32_e32 v2, v2, v3
	;; [unrolled: 3-line block ×10, first 2 shown]
	s_waitcnt vmcnt(4) lgkmcnt(0)
	v_mul_f32_e32 v2, v109, v113
	v_fma_f32 v134, v108, v112, -v2
	v_mul_f32_e32 v2, v111, v115
	v_fma_f32 v136, v110, v114, -v2
	ds_read2_b64 v[2:5], v70 offset0:119 offset1:120
	ds_read2_b64 v[6:9], v70 offset0:121 offset1:122
	;; [unrolled: 1-line block ×4, first 2 shown]
	v_mul_f32_e32 v135, v108, v113
	v_fmac_f32_e32 v135, v109, v112
	v_mul_f32_e32 v137, v110, v115
	v_fmac_f32_e32 v137, v111, v114
	v_pk_add_f32 v[18:19], v[132:133], v[134:135]
	s_waitcnt vmcnt(3) lgkmcnt(3)
	v_pk_mul_f32 v[20:21], v[2:3], v[116:117] op_sel:[1,1] op_sel_hi:[0,1]
	v_pk_fma_f32 v[22:23], v[2:3], v[116:117], v[20:21] neg_lo:[0,0,1] neg_hi:[0,0,1]
	v_pk_fma_f32 v[2:3], v[2:3], v[116:117], v[20:21] op_sel_hi:[1,0,1]
	v_pk_add_f32 v[18:19], v[18:19], v[136:137]
	v_mov_b32_e32 v23, v3
	v_pk_add_f32 v[2:3], v[18:19], v[22:23]
	v_mov_b32_e32 v18, v119
	v_pk_mul_f32 v[18:19], v[4:5], v[18:19] op_sel:[1,0] op_sel_hi:[0,0]
	v_pk_fma_f32 v[20:21], v[4:5], v[118:119], v[18:19] neg_lo:[0,0,1] neg_hi:[0,0,1]
	v_pk_fma_f32 v[4:5], v[4:5], v[118:119], v[18:19] op_sel_hi:[1,0,1]
	s_nop 0
	v_mov_b32_e32 v21, v5
	s_waitcnt vmcnt(2) lgkmcnt(2)
	v_pk_mul_f32 v[4:5], v[6:7], v[120:121] op_sel:[1,1] op_sel_hi:[0,1]
	v_pk_fma_f32 v[18:19], v[6:7], v[120:121], v[4:5] neg_lo:[0,0,1] neg_hi:[0,0,1]
	v_pk_fma_f32 v[4:5], v[6:7], v[120:121], v[4:5] op_sel_hi:[1,0,1]
	v_pk_add_f32 v[2:3], v[2:3], v[20:21]
	v_mov_b32_e32 v4, v123
	v_mov_b32_e32 v19, v5
	v_pk_mul_f32 v[4:5], v[8:9], v[4:5] op_sel:[1,0] op_sel_hi:[0,0]
	v_pk_fma_f32 v[6:7], v[8:9], v[122:123], v[4:5] neg_lo:[0,0,1] neg_hi:[0,0,1]
	v_pk_fma_f32 v[4:5], v[8:9], v[122:123], v[4:5] op_sel_hi:[1,0,1]
	v_pk_add_f32 v[2:3], v[2:3], v[18:19]
	v_mov_b32_e32 v7, v5
	s_waitcnt vmcnt(1) lgkmcnt(1)
	v_pk_mul_f32 v[4:5], v[10:11], v[124:125] op_sel:[1,1] op_sel_hi:[0,1]
	v_pk_add_f32 v[2:3], v[2:3], v[6:7]
	v_pk_fma_f32 v[6:7], v[10:11], v[124:125], v[4:5] neg_lo:[0,0,1] neg_hi:[0,0,1]
	v_pk_fma_f32 v[4:5], v[10:11], v[124:125], v[4:5] op_sel_hi:[1,0,1]
	s_nop 0
	v_mov_b32_e32 v4, v127
	v_mov_b32_e32 v7, v5
	v_pk_mul_f32 v[4:5], v[12:13], v[4:5] op_sel:[1,0] op_sel_hi:[0,0]
	v_pk_add_f32 v[2:3], v[2:3], v[6:7]
	v_pk_fma_f32 v[6:7], v[12:13], v[126:127], v[4:5] neg_lo:[0,0,1] neg_hi:[0,0,1]
	v_pk_fma_f32 v[4:5], v[12:13], v[126:127], v[4:5] op_sel_hi:[1,0,1]
	s_nop 0
	v_mov_b32_e32 v7, v5
	s_waitcnt vmcnt(0) lgkmcnt(0)
	v_pk_mul_f32 v[4:5], v[14:15], v[128:129] op_sel:[1,1] op_sel_hi:[0,1]
	v_pk_add_f32 v[2:3], v[2:3], v[6:7]
	v_pk_fma_f32 v[6:7], v[14:15], v[128:129], v[4:5] neg_lo:[0,0,1] neg_hi:[0,0,1]
	v_pk_fma_f32 v[4:5], v[14:15], v[128:129], v[4:5] op_sel_hi:[1,0,1]
	s_nop 0
	v_mov_b32_e32 v4, v131
	v_mov_b32_e32 v7, v5
	v_pk_mul_f32 v[4:5], v[16:17], v[4:5] op_sel:[1,0] op_sel_hi:[0,0]
	v_pk_add_f32 v[2:3], v[2:3], v[6:7]
	v_pk_fma_f32 v[6:7], v[16:17], v[130:131], v[4:5] neg_lo:[0,0,1] neg_hi:[0,0,1]
	v_pk_fma_f32 v[4:5], v[16:17], v[130:131], v[4:5] op_sel_hi:[1,0,1]
	s_nop 0
	v_mov_b32_e32 v7, v5
	scratch_load_dwordx2 v[4:5], off, off offset:208
	v_pk_add_f32 v[2:3], v[2:3], v[6:7]
	s_waitcnt vmcnt(0)
	v_pk_add_f32 v[2:3], v[4:5], v[2:3] neg_lo:[0,1] neg_hi:[0,1]
	scratch_store_dwordx2 off, v[2:3], off offset:208
	s_and_saveexec_b64 s[0:1], vcc
	s_cbranch_execz .LBB126_341
; %bb.340:
	scratch_load_dwordx2 v[2:3], off, off offset:200
	v_mov_b32_e32 v4, 0
	v_mov_b32_e32 v5, v4
	scratch_store_dwordx2 off, v[4:5], off offset:200
	s_waitcnt vmcnt(1)
	ds_write_b64 v1, v[2:3]
.LBB126_341:
	s_or_b64 exec, exec, s[0:1]
	v_mov_b32_e32 v86, 0
	s_waitcnt lgkmcnt(0)
	; wave barrier
	ds_read_b128 v[14:17], v86 offset:720
	ds_read_b128 v[10:13], v86 offset:736
	;; [unrolled: 1-line block ×4, first 2 shown]
	scratch_load_dwordx4 v[18:21], off, off offset:208
	scratch_load_dwordx4 v[38:41], off, off offset:272
	;; [unrolled: 1-line block ×9, first 2 shown]
	v_cmp_lt_u32_e32 vcc, 24, v0
	scratch_load_dwordx4 v[46:49], off, off offset:288
	scratch_load_dwordx4 v[54:57], off, off offset:304
	;; [unrolled: 1-line block ×3, first 2 shown]
	s_waitcnt vmcnt(11) lgkmcnt(3)
	v_mul_f32_e32 v22, v14, v19
	v_fmac_f32_e32 v22, v15, v18
	v_mul_f32_e32 v23, v16, v21
	v_add_f32_e32 v22, 0, v22
	v_fmac_f32_e32 v23, v17, v20
	v_add_f32_e32 v26, v22, v23
	scratch_load_dwordx4 v[22:25], off, off offset:224
	v_mul_f32_e32 v15, v15, v19
	v_fma_f32 v14, v14, v18, -v15
	v_mul_f32_e32 v15, v17, v21
	v_add_f32_e32 v14, 0, v14
	v_fma_f32 v15, v16, v20, -v15
	v_add_f32_e32 v14, v14, v15
	s_waitcnt vmcnt(4)
	v_mov_b32_e32 v18, v123
	s_waitcnt vmcnt(0) lgkmcnt(2)
	v_mul_f32_e32 v27, v10, v23
	v_fmac_f32_e32 v27, v11, v22
	v_add_f32_e32 v26, v26, v27
	v_mul_f32_e32 v27, v12, v25
	v_fmac_f32_e32 v27, v13, v24
	v_add_f32_e32 v30, v26, v27
	scratch_load_dwordx4 v[26:29], off, off offset:240
	v_mul_f32_e32 v11, v11, v23
	v_fma_f32 v10, v10, v22, -v11
	v_mul_f32_e32 v11, v13, v25
	v_add_f32_e32 v10, v14, v10
	v_fma_f32 v11, v12, v24, -v11
	v_add_f32_e32 v10, v10, v11
	s_waitcnt vmcnt(0) lgkmcnt(1)
	v_mul_f32_e32 v31, v6, v27
	v_fmac_f32_e32 v31, v7, v26
	v_add_f32_e32 v30, v30, v31
	v_mul_f32_e32 v31, v8, v29
	v_fmac_f32_e32 v31, v9, v28
	v_add_f32_e32 v34, v30, v31
	scratch_load_dwordx4 v[30:33], off, off offset:256
	v_mul_f32_e32 v7, v7, v27
	v_fma_f32 v6, v6, v26, -v7
	v_mul_f32_e32 v7, v9, v29
	v_add_f32_e32 v6, v10, v6
	v_fma_f32 v7, v8, v28, -v7
	v_add_f32_e32 v6, v6, v7
	s_waitcnt vmcnt(0) lgkmcnt(0)
	v_mul_f32_e32 v35, v2, v31
	v_fmac_f32_e32 v35, v3, v30
	v_add_f32_e32 v34, v34, v35
	v_mul_f32_e32 v35, v4, v33
	v_fmac_f32_e32 v35, v5, v32
	v_add_f32_e32 v42, v34, v35
	ds_read_b128 v[34:37], v86 offset:784
	v_mul_f32_e32 v3, v3, v31
	v_fma_f32 v2, v2, v30, -v3
	v_mul_f32_e32 v3, v5, v33
	v_add_f32_e32 v2, v6, v2
	s_waitcnt lgkmcnt(0)
	v_mul_f32_e32 v43, v34, v39
	v_fmac_f32_e32 v43, v35, v38
	v_add_f32_e32 v42, v42, v43
	v_mul_f32_e32 v43, v36, v41
	v_fmac_f32_e32 v43, v37, v40
	v_add_f32_e32 v50, v42, v43
	ds_read_b128 v[42:45], v86 offset:800
	v_fma_f32 v3, v4, v32, -v3
	v_add_f32_e32 v2, v2, v3
	v_mul_f32_e32 v3, v35, v39
	v_fma_f32 v3, v34, v38, -v3
	s_waitcnt lgkmcnt(0)
	v_mul_f32_e32 v51, v42, v47
	v_fmac_f32_e32 v51, v43, v46
	v_add_f32_e32 v50, v50, v51
	v_mul_f32_e32 v51, v44, v49
	v_fmac_f32_e32 v51, v45, v48
	v_add_f32_e32 v58, v50, v51
	ds_read_b128 v[50:53], v86 offset:816
	v_add_f32_e32 v2, v2, v3
	v_mul_f32_e32 v3, v37, v41
	v_fma_f32 v3, v36, v40, -v3
	v_add_f32_e32 v2, v2, v3
	s_waitcnt lgkmcnt(0)
	v_mul_f32_e32 v59, v50, v55
	v_fmac_f32_e32 v59, v51, v54
	v_add_f32_e32 v58, v58, v59
	v_mul_f32_e32 v59, v52, v57
	v_fmac_f32_e32 v59, v53, v56
	v_add_f32_e32 v66, v58, v59
	ds_read_b128 v[58:61], v86 offset:832
	v_mul_f32_e32 v3, v43, v47
	v_fma_f32 v3, v42, v46, -v3
	v_add_f32_e32 v2, v2, v3
	v_mul_f32_e32 v3, v45, v49
	s_waitcnt lgkmcnt(0)
	v_mul_f32_e32 v67, v58, v63
	v_fmac_f32_e32 v67, v59, v62
	v_add_f32_e32 v66, v66, v67
	v_mul_f32_e32 v67, v60, v65
	v_fmac_f32_e32 v67, v61, v64
	v_add_f32_e32 v74, v66, v67
	ds_read_b128 v[66:69], v86 offset:848
	v_fma_f32 v3, v44, v48, -v3
	v_add_f32_e32 v2, v2, v3
	v_mul_f32_e32 v3, v51, v55
	v_fma_f32 v3, v50, v54, -v3
	s_waitcnt lgkmcnt(0)
	v_mul_f32_e32 v75, v66, v71
	v_fmac_f32_e32 v75, v67, v70
	v_add_f32_e32 v74, v74, v75
	v_mul_f32_e32 v75, v68, v73
	v_fmac_f32_e32 v75, v69, v72
	v_add_f32_e32 v82, v74, v75
	ds_read_b128 v[74:77], v86 offset:864
	v_add_f32_e32 v2, v2, v3
	v_mul_f32_e32 v3, v53, v57
	v_fma_f32 v3, v52, v56, -v3
	v_add_f32_e32 v2, v2, v3
	s_waitcnt lgkmcnt(0)
	v_mul_f32_e32 v83, v74, v79
	v_fmac_f32_e32 v83, v75, v78
	v_add_f32_e32 v82, v82, v83
	v_mul_f32_e32 v83, v76, v81
	v_fmac_f32_e32 v83, v77, v80
	v_add_f32_e32 v87, v82, v83
	ds_read_b128 v[82:85], v86 offset:880
	v_mul_f32_e32 v3, v59, v63
	v_fma_f32 v3, v58, v62, -v3
	v_add_f32_e32 v2, v2, v3
	v_mul_f32_e32 v3, v61, v65
	;; [unrolled: 36-line block ×3, first 2 shown]
	s_waitcnt lgkmcnt(0)
	v_mul_f32_e32 v116, v108, v113
	v_fmac_f32_e32 v116, v109, v112
	v_add_f32_e32 v137, v87, v116
	ds_read_b128 v[116:119], v86 offset:944
	scratch_load_dwordx4 v[124:127], off, off offset:448
	scratch_load_dwordx4 v[128:131], off, off offset:464
	scratch_load_dwordx4 v[132:135], off, off offset:480
	scratch_load_dwordx2 v[142:143], off, off offset:496
	v_fma_f32 v3, v76, v80, -v3
	v_add_f32_e32 v2, v2, v3
	v_mul_f32_e32 v3, v83, v89
	v_fma_f32 v3, v82, v88, -v3
	v_add_f32_e32 v2, v2, v3
	v_mul_f32_e32 v3, v85, v91
	;; [unrolled: 3-line block ×8, first 2 shown]
	v_mul_f32_e32 v139, v110, v115
	v_fma_f32 v138, v110, v114, -v2
	s_waitcnt lgkmcnt(0)
	v_mul_f32_e32 v2, v117, v121
	v_fmac_f32_e32 v139, v111, v114
	v_mul_f32_e32 v141, v116, v121
	v_fma_f32 v140, v116, v120, -v2
	ds_read_b128 v[2:5], v86 offset:960
	ds_read_b128 v[6:9], v86 offset:976
	;; [unrolled: 1-line block ×3, first 2 shown]
	ds_read_b64 v[14:15], v86 offset:1008
	v_pk_mul_f32 v[18:19], v[118:119], v[18:19] op_sel:[1,0] op_sel_hi:[0,0]
	v_fmac_f32_e32 v141, v117, v120
	v_pk_add_f32 v[16:17], v[136:137], v[138:139]
	v_pk_fma_f32 v[20:21], v[118:119], v[122:123], v[18:19] neg_lo:[0,0,1] neg_hi:[0,0,1]
	v_pk_fma_f32 v[18:19], v[118:119], v[122:123], v[18:19] op_sel_hi:[1,0,1]
	v_pk_add_f32 v[16:17], v[16:17], v[140:141]
	v_mov_b32_e32 v21, v19
	v_pk_add_f32 v[16:17], v[16:17], v[20:21]
	s_waitcnt vmcnt(3) lgkmcnt(3)
	v_pk_mul_f32 v[18:19], v[2:3], v[124:125] op_sel:[1,1] op_sel_hi:[0,1]
	v_pk_fma_f32 v[20:21], v[2:3], v[124:125], v[18:19] neg_lo:[0,0,1] neg_hi:[0,0,1]
	v_pk_fma_f32 v[2:3], v[2:3], v[124:125], v[18:19] op_sel_hi:[1,0,1]
	s_nop 0
	v_mov_b32_e32 v21, v3
	v_pk_add_f32 v[2:3], v[16:17], v[20:21]
	v_mov_b32_e32 v16, v127
	v_pk_mul_f32 v[16:17], v[4:5], v[16:17] op_sel:[1,0] op_sel_hi:[0,0]
	v_pk_fma_f32 v[18:19], v[4:5], v[126:127], v[16:17] neg_lo:[0,0,1] neg_hi:[0,0,1]
	v_pk_fma_f32 v[4:5], v[4:5], v[126:127], v[16:17] op_sel_hi:[1,0,1]
	s_nop 0
	v_mov_b32_e32 v19, v5
	s_waitcnt vmcnt(2) lgkmcnt(2)
	v_pk_mul_f32 v[4:5], v[6:7], v[128:129] op_sel:[1,1] op_sel_hi:[0,1]
	v_pk_fma_f32 v[16:17], v[6:7], v[128:129], v[4:5] neg_lo:[0,0,1] neg_hi:[0,0,1]
	v_pk_fma_f32 v[4:5], v[6:7], v[128:129], v[4:5] op_sel_hi:[1,0,1]
	v_pk_add_f32 v[2:3], v[2:3], v[18:19]
	v_mov_b32_e32 v4, v131
	v_mov_b32_e32 v17, v5
	v_pk_mul_f32 v[4:5], v[8:9], v[4:5] op_sel:[1,0] op_sel_hi:[0,0]
	v_pk_fma_f32 v[6:7], v[8:9], v[130:131], v[4:5] neg_lo:[0,0,1] neg_hi:[0,0,1]
	v_pk_fma_f32 v[4:5], v[8:9], v[130:131], v[4:5] op_sel_hi:[1,0,1]
	v_pk_add_f32 v[2:3], v[2:3], v[16:17]
	v_mov_b32_e32 v7, v5
	s_waitcnt vmcnt(1) lgkmcnt(1)
	v_pk_mul_f32 v[4:5], v[10:11], v[132:133] op_sel:[1,1] op_sel_hi:[0,1]
	v_pk_add_f32 v[2:3], v[2:3], v[6:7]
	v_pk_fma_f32 v[6:7], v[10:11], v[132:133], v[4:5] neg_lo:[0,0,1] neg_hi:[0,0,1]
	v_pk_fma_f32 v[4:5], v[10:11], v[132:133], v[4:5] op_sel_hi:[1,0,1]
	s_nop 0
	v_mov_b32_e32 v4, v135
	v_mov_b32_e32 v7, v5
	v_pk_mul_f32 v[4:5], v[12:13], v[4:5] op_sel:[1,0] op_sel_hi:[0,0]
	v_pk_add_f32 v[2:3], v[2:3], v[6:7]
	v_pk_fma_f32 v[6:7], v[12:13], v[134:135], v[4:5] neg_lo:[0,0,1] neg_hi:[0,0,1]
	v_pk_fma_f32 v[4:5], v[12:13], v[134:135], v[4:5] op_sel_hi:[1,0,1]
	s_nop 0
	v_mov_b32_e32 v7, v5
	s_waitcnt vmcnt(0) lgkmcnt(0)
	v_pk_mul_f32 v[4:5], v[14:15], v[142:143] op_sel:[1,1] op_sel_hi:[0,1]
	v_pk_add_f32 v[2:3], v[2:3], v[6:7]
	v_pk_fma_f32 v[6:7], v[14:15], v[142:143], v[4:5] neg_lo:[0,0,1] neg_hi:[0,0,1]
	v_pk_fma_f32 v[4:5], v[14:15], v[142:143], v[4:5] op_sel_hi:[1,0,1]
	s_nop 0
	v_mov_b32_e32 v7, v5
	scratch_load_dwordx2 v[4:5], off, off offset:200
	v_pk_add_f32 v[2:3], v[2:3], v[6:7]
	s_waitcnt vmcnt(0)
	v_pk_add_f32 v[2:3], v[4:5], v[2:3] neg_lo:[0,1] neg_hi:[0,1]
	scratch_store_dwordx2 off, v[2:3], off offset:200
	s_and_saveexec_b64 s[0:1], vcc
	s_cbranch_execz .LBB126_343
; %bb.342:
	scratch_load_dwordx2 v[2:3], off, off offset:192
	v_mov_b32_e32 v87, v86
	scratch_store_dwordx2 off, v[86:87], off offset:192
	s_waitcnt vmcnt(1)
	ds_write_b64 v1, v[2:3]
.LBB126_343:
	s_or_b64 exec, exec, s[0:1]
	s_waitcnt lgkmcnt(0)
	; wave barrier
	scratch_load_dwordx4 v[6:9], off, off offset:200
	scratch_load_dwordx4 v[14:17], off, off offset:216
	;; [unrolled: 1-line block ×10, first 2 shown]
	ds_read2_b64 v[2:5], v86 offset0:89 offset1:90
	scratch_load_dwordx4 v[88:91], off, off offset:360
	scratch_load_dwordx4 v[96:99], off, off offset:376
	;; [unrolled: 1-line block ×5, first 2 shown]
	v_cmp_lt_u32_e32 vcc, 23, v0
	s_waitcnt vmcnt(14) lgkmcnt(0)
	v_mul_f32_e32 v10, v2, v7
	v_fmac_f32_e32 v10, v3, v6
	v_mul_f32_e32 v11, v4, v9
	v_add_f32_e32 v10, 0, v10
	v_fmac_f32_e32 v11, v5, v8
	v_add_f32_e32 v18, v10, v11
	ds_read2_b64 v[10:13], v86 offset0:91 offset1:92
	v_mul_f32_e32 v3, v3, v7
	v_fma_f32 v2, v2, v6, -v3
	v_mul_f32_e32 v3, v5, v9
	v_add_f32_e32 v2, 0, v2
	s_waitcnt vmcnt(13) lgkmcnt(0)
	v_mul_f32_e32 v19, v10, v15
	v_fmac_f32_e32 v19, v11, v14
	v_add_f32_e32 v18, v18, v19
	v_mul_f32_e32 v19, v12, v17
	v_fmac_f32_e32 v19, v13, v16
	v_add_f32_e32 v26, v18, v19
	ds_read2_b64 v[18:21], v86 offset0:93 offset1:94
	v_fma_f32 v3, v4, v8, -v3
	v_add_f32_e32 v2, v2, v3
	v_mul_f32_e32 v3, v11, v15
	v_fma_f32 v3, v10, v14, -v3
	s_waitcnt vmcnt(12) lgkmcnt(0)
	v_mul_f32_e32 v27, v18, v23
	v_fmac_f32_e32 v27, v19, v22
	v_add_f32_e32 v26, v26, v27
	v_mul_f32_e32 v27, v20, v25
	v_fmac_f32_e32 v27, v21, v24
	v_add_f32_e32 v34, v26, v27
	ds_read2_b64 v[26:29], v86 offset0:95 offset1:96
	v_add_f32_e32 v2, v2, v3
	v_mul_f32_e32 v3, v13, v17
	v_fma_f32 v3, v12, v16, -v3
	v_add_f32_e32 v2, v2, v3
	s_waitcnt vmcnt(11) lgkmcnt(0)
	v_mul_f32_e32 v35, v26, v31
	v_fmac_f32_e32 v35, v27, v30
	v_add_f32_e32 v34, v34, v35
	v_mul_f32_e32 v35, v28, v33
	v_fmac_f32_e32 v35, v29, v32
	v_add_f32_e32 v42, v34, v35
	ds_read2_b64 v[34:37], v86 offset0:97 offset1:98
	v_mul_f32_e32 v3, v19, v23
	v_fma_f32 v3, v18, v22, -v3
	v_add_f32_e32 v2, v2, v3
	v_mul_f32_e32 v3, v21, v25
	s_waitcnt vmcnt(10) lgkmcnt(0)
	v_mul_f32_e32 v43, v34, v39
	v_fmac_f32_e32 v43, v35, v38
	v_add_f32_e32 v42, v42, v43
	v_mul_f32_e32 v43, v36, v41
	v_fmac_f32_e32 v43, v37, v40
	v_add_f32_e32 v50, v42, v43
	ds_read2_b64 v[42:45], v86 offset0:99 offset1:100
	v_fma_f32 v3, v20, v24, -v3
	v_add_f32_e32 v2, v2, v3
	v_mul_f32_e32 v3, v27, v31
	v_fma_f32 v3, v26, v30, -v3
	s_waitcnt vmcnt(9) lgkmcnt(0)
	v_mul_f32_e32 v51, v42, v47
	v_fmac_f32_e32 v51, v43, v46
	v_add_f32_e32 v50, v50, v51
	v_mul_f32_e32 v51, v44, v49
	v_fmac_f32_e32 v51, v45, v48
	v_add_f32_e32 v58, v50, v51
	ds_read2_b64 v[50:53], v86 offset0:101 offset1:102
	v_add_f32_e32 v2, v2, v3
	v_mul_f32_e32 v3, v29, v33
	v_fma_f32 v3, v28, v32, -v3
	v_add_f32_e32 v2, v2, v3
	s_waitcnt vmcnt(8) lgkmcnt(0)
	v_mul_f32_e32 v59, v50, v55
	v_fmac_f32_e32 v59, v51, v54
	v_add_f32_e32 v58, v58, v59
	v_mul_f32_e32 v59, v52, v57
	v_fmac_f32_e32 v59, v53, v56
	v_add_f32_e32 v66, v58, v59
	ds_read2_b64 v[58:61], v86 offset0:103 offset1:104
	v_mul_f32_e32 v3, v35, v39
	v_fma_f32 v3, v34, v38, -v3
	v_add_f32_e32 v2, v2, v3
	v_mul_f32_e32 v3, v37, v41
	;; [unrolled: 36-line block ×4, first 2 shown]
	s_waitcnt vmcnt(1) lgkmcnt(0)
	v_mul_f32_e32 v116, v108, v113
	v_fmac_f32_e32 v116, v109, v112
	v_add_f32_e32 v87, v87, v116
	v_mul_f32_e32 v116, v110, v115
	v_fmac_f32_e32 v116, v111, v114
	v_add_f32_e32 v141, v87, v116
	ds_read2_b64 v[116:119], v86 offset0:117 offset1:118
	scratch_load_dwordx4 v[124:127], off, off offset:440
	scratch_load_dwordx4 v[128:131], off, off offset:456
	;; [unrolled: 1-line block ×4, first 2 shown]
	v_fma_f32 v3, v68, v72, -v3
	v_add_f32_e32 v2, v2, v3
	v_mul_f32_e32 v3, v75, v79
	v_fma_f32 v3, v74, v78, -v3
	v_add_f32_e32 v2, v2, v3
	v_mul_f32_e32 v3, v77, v81
	;; [unrolled: 3-line block ×10, first 2 shown]
	v_fma_f32 v3, v110, v114, -v3
	v_add_f32_e32 v140, v2, v3
	s_waitcnt vmcnt(4) lgkmcnt(0)
	v_mul_f32_e32 v2, v117, v121
	v_fma_f32 v142, v116, v120, -v2
	v_mul_f32_e32 v2, v119, v123
	v_fma_f32 v144, v118, v122, -v2
	ds_read2_b64 v[2:5], v86 offset0:119 offset1:120
	ds_read2_b64 v[6:9], v86 offset0:121 offset1:122
	;; [unrolled: 1-line block ×4, first 2 shown]
	v_mul_f32_e32 v143, v116, v121
	v_fmac_f32_e32 v143, v117, v120
	v_mul_f32_e32 v145, v118, v123
	v_fmac_f32_e32 v145, v119, v122
	v_pk_add_f32 v[18:19], v[140:141], v[142:143]
	s_waitcnt vmcnt(3) lgkmcnt(3)
	v_pk_mul_f32 v[20:21], v[2:3], v[124:125] op_sel:[1,1] op_sel_hi:[0,1]
	v_pk_fma_f32 v[22:23], v[2:3], v[124:125], v[20:21] neg_lo:[0,0,1] neg_hi:[0,0,1]
	v_pk_fma_f32 v[2:3], v[2:3], v[124:125], v[20:21] op_sel_hi:[1,0,1]
	v_pk_add_f32 v[18:19], v[18:19], v[144:145]
	v_mov_b32_e32 v23, v3
	v_pk_add_f32 v[2:3], v[18:19], v[22:23]
	v_mov_b32_e32 v18, v127
	v_pk_mul_f32 v[18:19], v[4:5], v[18:19] op_sel:[1,0] op_sel_hi:[0,0]
	v_pk_fma_f32 v[20:21], v[4:5], v[126:127], v[18:19] neg_lo:[0,0,1] neg_hi:[0,0,1]
	v_pk_fma_f32 v[4:5], v[4:5], v[126:127], v[18:19] op_sel_hi:[1,0,1]
	s_nop 0
	v_mov_b32_e32 v21, v5
	s_waitcnt vmcnt(2) lgkmcnt(2)
	v_pk_mul_f32 v[4:5], v[6:7], v[128:129] op_sel:[1,1] op_sel_hi:[0,1]
	v_pk_fma_f32 v[18:19], v[6:7], v[128:129], v[4:5] neg_lo:[0,0,1] neg_hi:[0,0,1]
	v_pk_fma_f32 v[4:5], v[6:7], v[128:129], v[4:5] op_sel_hi:[1,0,1]
	v_pk_add_f32 v[2:3], v[2:3], v[20:21]
	v_mov_b32_e32 v4, v131
	v_mov_b32_e32 v19, v5
	v_pk_mul_f32 v[4:5], v[8:9], v[4:5] op_sel:[1,0] op_sel_hi:[0,0]
	v_pk_fma_f32 v[6:7], v[8:9], v[130:131], v[4:5] neg_lo:[0,0,1] neg_hi:[0,0,1]
	v_pk_fma_f32 v[4:5], v[8:9], v[130:131], v[4:5] op_sel_hi:[1,0,1]
	v_pk_add_f32 v[2:3], v[2:3], v[18:19]
	v_mov_b32_e32 v7, v5
	s_waitcnt vmcnt(1) lgkmcnt(1)
	v_pk_mul_f32 v[4:5], v[10:11], v[132:133] op_sel:[1,1] op_sel_hi:[0,1]
	v_pk_add_f32 v[2:3], v[2:3], v[6:7]
	v_pk_fma_f32 v[6:7], v[10:11], v[132:133], v[4:5] neg_lo:[0,0,1] neg_hi:[0,0,1]
	v_pk_fma_f32 v[4:5], v[10:11], v[132:133], v[4:5] op_sel_hi:[1,0,1]
	s_nop 0
	v_mov_b32_e32 v4, v135
	v_mov_b32_e32 v7, v5
	v_pk_mul_f32 v[4:5], v[12:13], v[4:5] op_sel:[1,0] op_sel_hi:[0,0]
	v_pk_add_f32 v[2:3], v[2:3], v[6:7]
	v_pk_fma_f32 v[6:7], v[12:13], v[134:135], v[4:5] neg_lo:[0,0,1] neg_hi:[0,0,1]
	v_pk_fma_f32 v[4:5], v[12:13], v[134:135], v[4:5] op_sel_hi:[1,0,1]
	s_nop 0
	v_mov_b32_e32 v7, v5
	s_waitcnt vmcnt(0) lgkmcnt(0)
	v_pk_mul_f32 v[4:5], v[14:15], v[136:137] op_sel:[1,1] op_sel_hi:[0,1]
	v_pk_add_f32 v[2:3], v[2:3], v[6:7]
	v_pk_fma_f32 v[6:7], v[14:15], v[136:137], v[4:5] neg_lo:[0,0,1] neg_hi:[0,0,1]
	v_pk_fma_f32 v[4:5], v[14:15], v[136:137], v[4:5] op_sel_hi:[1,0,1]
	s_nop 0
	v_mov_b32_e32 v4, v139
	v_mov_b32_e32 v7, v5
	v_pk_mul_f32 v[4:5], v[16:17], v[4:5] op_sel:[1,0] op_sel_hi:[0,0]
	v_pk_add_f32 v[2:3], v[2:3], v[6:7]
	v_pk_fma_f32 v[6:7], v[16:17], v[138:139], v[4:5] neg_lo:[0,0,1] neg_hi:[0,0,1]
	v_pk_fma_f32 v[4:5], v[16:17], v[138:139], v[4:5] op_sel_hi:[1,0,1]
	s_nop 0
	v_mov_b32_e32 v7, v5
	scratch_load_dwordx2 v[4:5], off, off offset:192
	v_pk_add_f32 v[2:3], v[2:3], v[6:7]
	s_waitcnt vmcnt(0)
	v_pk_add_f32 v[2:3], v[4:5], v[2:3] neg_lo:[0,1] neg_hi:[0,1]
	scratch_store_dwordx2 off, v[2:3], off offset:192
	s_and_saveexec_b64 s[0:1], vcc
	s_cbranch_execz .LBB126_345
; %bb.344:
	scratch_load_dwordx2 v[2:3], off, off offset:184
	v_mov_b32_e32 v4, 0
	v_mov_b32_e32 v5, v4
	scratch_store_dwordx2 off, v[4:5], off offset:184
	s_waitcnt vmcnt(1)
	ds_write_b64 v1, v[2:3]
.LBB126_345:
	s_or_b64 exec, exec, s[0:1]
	v_mov_b32_e32 v94, 0
	s_waitcnt lgkmcnt(0)
	; wave barrier
	ds_read_b128 v[14:17], v94 offset:704
	ds_read_b128 v[10:13], v94 offset:720
	;; [unrolled: 1-line block ×4, first 2 shown]
	scratch_load_dwordx4 v[18:21], off, off offset:192
	scratch_load_dwordx4 v[38:41], off, off offset:256
	;; [unrolled: 1-line block ×10, first 2 shown]
	v_cmp_lt_u32_e32 vcc, 22, v0
	scratch_load_dwordx4 v[46:49], off, off offset:272
	scratch_load_dwordx4 v[54:57], off, off offset:288
	;; [unrolled: 1-line block ×3, first 2 shown]
	s_waitcnt vmcnt(12) lgkmcnt(3)
	v_mul_f32_e32 v22, v14, v19
	v_fmac_f32_e32 v22, v15, v18
	v_mul_f32_e32 v23, v16, v21
	v_add_f32_e32 v22, 0, v22
	v_fmac_f32_e32 v23, v17, v20
	v_add_f32_e32 v26, v22, v23
	scratch_load_dwordx4 v[22:25], off, off offset:208
	v_mul_f32_e32 v15, v15, v19
	v_fma_f32 v14, v14, v18, -v15
	v_mul_f32_e32 v15, v17, v21
	v_add_f32_e32 v14, 0, v14
	v_fma_f32 v15, v16, v20, -v15
	v_add_f32_e32 v14, v14, v15
	s_waitcnt vmcnt(4)
	v_mov_b32_e32 v18, v131
	s_waitcnt vmcnt(0) lgkmcnt(2)
	v_mul_f32_e32 v27, v10, v23
	v_fmac_f32_e32 v27, v11, v22
	v_add_f32_e32 v26, v26, v27
	v_mul_f32_e32 v27, v12, v25
	v_fmac_f32_e32 v27, v13, v24
	v_add_f32_e32 v30, v26, v27
	scratch_load_dwordx4 v[26:29], off, off offset:224
	v_mul_f32_e32 v11, v11, v23
	v_fma_f32 v10, v10, v22, -v11
	v_mul_f32_e32 v11, v13, v25
	v_add_f32_e32 v10, v14, v10
	v_fma_f32 v11, v12, v24, -v11
	v_add_f32_e32 v10, v10, v11
	s_waitcnt vmcnt(0) lgkmcnt(1)
	v_mul_f32_e32 v31, v6, v27
	v_fmac_f32_e32 v31, v7, v26
	v_add_f32_e32 v30, v30, v31
	v_mul_f32_e32 v31, v8, v29
	v_fmac_f32_e32 v31, v9, v28
	v_add_f32_e32 v34, v30, v31
	scratch_load_dwordx4 v[30:33], off, off offset:240
	v_mul_f32_e32 v7, v7, v27
	v_fma_f32 v6, v6, v26, -v7
	v_mul_f32_e32 v7, v9, v29
	v_add_f32_e32 v6, v10, v6
	v_fma_f32 v7, v8, v28, -v7
	v_add_f32_e32 v6, v6, v7
	s_waitcnt vmcnt(0) lgkmcnt(0)
	v_mul_f32_e32 v35, v2, v31
	v_fmac_f32_e32 v35, v3, v30
	v_add_f32_e32 v34, v34, v35
	v_mul_f32_e32 v35, v4, v33
	v_fmac_f32_e32 v35, v5, v32
	v_add_f32_e32 v42, v34, v35
	ds_read_b128 v[34:37], v94 offset:768
	v_mul_f32_e32 v3, v3, v31
	v_fma_f32 v2, v2, v30, -v3
	v_mul_f32_e32 v3, v5, v33
	v_add_f32_e32 v2, v6, v2
	s_waitcnt lgkmcnt(0)
	v_mul_f32_e32 v43, v34, v39
	v_fmac_f32_e32 v43, v35, v38
	v_add_f32_e32 v42, v42, v43
	v_mul_f32_e32 v43, v36, v41
	v_fmac_f32_e32 v43, v37, v40
	v_add_f32_e32 v50, v42, v43
	ds_read_b128 v[42:45], v94 offset:784
	v_fma_f32 v3, v4, v32, -v3
	v_add_f32_e32 v2, v2, v3
	v_mul_f32_e32 v3, v35, v39
	v_fma_f32 v3, v34, v38, -v3
	s_waitcnt lgkmcnt(0)
	v_mul_f32_e32 v51, v42, v47
	v_fmac_f32_e32 v51, v43, v46
	v_add_f32_e32 v50, v50, v51
	v_mul_f32_e32 v51, v44, v49
	v_fmac_f32_e32 v51, v45, v48
	v_add_f32_e32 v58, v50, v51
	ds_read_b128 v[50:53], v94 offset:800
	v_add_f32_e32 v2, v2, v3
	v_mul_f32_e32 v3, v37, v41
	v_fma_f32 v3, v36, v40, -v3
	v_add_f32_e32 v2, v2, v3
	s_waitcnt lgkmcnt(0)
	v_mul_f32_e32 v59, v50, v55
	v_fmac_f32_e32 v59, v51, v54
	v_add_f32_e32 v58, v58, v59
	v_mul_f32_e32 v59, v52, v57
	v_fmac_f32_e32 v59, v53, v56
	v_add_f32_e32 v66, v58, v59
	ds_read_b128 v[58:61], v94 offset:816
	v_mul_f32_e32 v3, v43, v47
	v_fma_f32 v3, v42, v46, -v3
	v_add_f32_e32 v2, v2, v3
	v_mul_f32_e32 v3, v45, v49
	s_waitcnt lgkmcnt(0)
	v_mul_f32_e32 v67, v58, v63
	v_fmac_f32_e32 v67, v59, v62
	v_add_f32_e32 v66, v66, v67
	v_mul_f32_e32 v67, v60, v65
	v_fmac_f32_e32 v67, v61, v64
	v_add_f32_e32 v74, v66, v67
	ds_read_b128 v[66:69], v94 offset:832
	v_fma_f32 v3, v44, v48, -v3
	v_add_f32_e32 v2, v2, v3
	v_mul_f32_e32 v3, v51, v55
	v_fma_f32 v3, v50, v54, -v3
	s_waitcnt lgkmcnt(0)
	v_mul_f32_e32 v75, v66, v71
	v_fmac_f32_e32 v75, v67, v70
	v_add_f32_e32 v74, v74, v75
	v_mul_f32_e32 v75, v68, v73
	v_fmac_f32_e32 v75, v69, v72
	v_add_f32_e32 v82, v74, v75
	ds_read_b128 v[74:77], v94 offset:848
	v_add_f32_e32 v2, v2, v3
	v_mul_f32_e32 v3, v53, v57
	v_fma_f32 v3, v52, v56, -v3
	v_add_f32_e32 v2, v2, v3
	s_waitcnt lgkmcnt(0)
	v_mul_f32_e32 v83, v74, v79
	v_fmac_f32_e32 v83, v75, v78
	v_add_f32_e32 v82, v82, v83
	v_mul_f32_e32 v83, v76, v81
	v_fmac_f32_e32 v83, v77, v80
	v_add_f32_e32 v90, v82, v83
	ds_read_b128 v[82:85], v94 offset:864
	v_mul_f32_e32 v3, v59, v63
	v_fma_f32 v3, v58, v62, -v3
	v_add_f32_e32 v2, v2, v3
	v_mul_f32_e32 v3, v61, v65
	;; [unrolled: 36-line block ×3, first 2 shown]
	s_waitcnt lgkmcnt(0)
	v_mul_f32_e32 v116, v108, v113
	v_fmac_f32_e32 v116, v109, v112
	v_add_f32_e32 v95, v95, v116
	v_mul_f32_e32 v116, v110, v115
	v_fmac_f32_e32 v116, v111, v114
	v_add_f32_e32 v95, v95, v116
	ds_read_b128 v[116:119], v94 offset:928
	v_fma_f32 v3, v76, v80, -v3
	v_add_f32_e32 v2, v2, v3
	v_mul_f32_e32 v3, v83, v87
	v_fma_f32 v3, v82, v86, -v3
	s_waitcnt lgkmcnt(0)
	v_mul_f32_e32 v124, v116, v121
	v_fmac_f32_e32 v124, v117, v120
	v_add_f32_e32 v145, v95, v124
	ds_read_b128 v[124:127], v94 offset:944
	scratch_load_dwordx4 v[132:135], off, off offset:448
	scratch_load_dwordx4 v[136:139], off, off offset:464
	;; [unrolled: 1-line block ×3, first 2 shown]
	scratch_load_dwordx2 v[152:153], off, off offset:496
	v_add_f32_e32 v2, v2, v3
	v_mul_f32_e32 v3, v85, v89
	v_fma_f32 v3, v84, v88, -v3
	v_add_f32_e32 v2, v2, v3
	v_mul_f32_e32 v3, v91, v97
	v_fma_f32 v3, v90, v96, -v3
	;; [unrolled: 3-line block ×8, first 2 shown]
	v_add_f32_e32 v144, v2, v3
	v_mul_f32_e32 v2, v119, v123
	v_mul_f32_e32 v147, v118, v123
	v_fma_f32 v146, v118, v122, -v2
	s_waitcnt lgkmcnt(0)
	v_mul_f32_e32 v2, v125, v129
	v_fmac_f32_e32 v147, v119, v122
	v_mul_f32_e32 v149, v124, v129
	v_fma_f32 v148, v124, v128, -v2
	ds_read_b128 v[2:5], v94 offset:960
	ds_read_b128 v[6:9], v94 offset:976
	;; [unrolled: 1-line block ×3, first 2 shown]
	ds_read_b64 v[14:15], v94 offset:1008
	v_pk_mul_f32 v[18:19], v[126:127], v[18:19] op_sel:[1,0] op_sel_hi:[0,0]
	v_fmac_f32_e32 v149, v125, v128
	v_pk_add_f32 v[16:17], v[144:145], v[146:147]
	v_pk_fma_f32 v[20:21], v[126:127], v[130:131], v[18:19] neg_lo:[0,0,1] neg_hi:[0,0,1]
	v_pk_fma_f32 v[18:19], v[126:127], v[130:131], v[18:19] op_sel_hi:[1,0,1]
	v_pk_add_f32 v[16:17], v[16:17], v[148:149]
	v_mov_b32_e32 v21, v19
	v_pk_add_f32 v[16:17], v[16:17], v[20:21]
	s_waitcnt vmcnt(3) lgkmcnt(3)
	v_pk_mul_f32 v[18:19], v[2:3], v[132:133] op_sel:[1,1] op_sel_hi:[0,1]
	v_pk_fma_f32 v[20:21], v[2:3], v[132:133], v[18:19] neg_lo:[0,0,1] neg_hi:[0,0,1]
	v_pk_fma_f32 v[2:3], v[2:3], v[132:133], v[18:19] op_sel_hi:[1,0,1]
	s_nop 0
	v_mov_b32_e32 v21, v3
	v_pk_add_f32 v[2:3], v[16:17], v[20:21]
	v_mov_b32_e32 v16, v135
	v_pk_mul_f32 v[16:17], v[4:5], v[16:17] op_sel:[1,0] op_sel_hi:[0,0]
	v_pk_fma_f32 v[18:19], v[4:5], v[134:135], v[16:17] neg_lo:[0,0,1] neg_hi:[0,0,1]
	v_pk_fma_f32 v[4:5], v[4:5], v[134:135], v[16:17] op_sel_hi:[1,0,1]
	s_nop 0
	v_mov_b32_e32 v19, v5
	s_waitcnt vmcnt(2) lgkmcnt(2)
	v_pk_mul_f32 v[4:5], v[6:7], v[136:137] op_sel:[1,1] op_sel_hi:[0,1]
	v_pk_fma_f32 v[16:17], v[6:7], v[136:137], v[4:5] neg_lo:[0,0,1] neg_hi:[0,0,1]
	v_pk_fma_f32 v[4:5], v[6:7], v[136:137], v[4:5] op_sel_hi:[1,0,1]
	v_pk_add_f32 v[2:3], v[2:3], v[18:19]
	v_mov_b32_e32 v4, v139
	v_mov_b32_e32 v17, v5
	v_pk_mul_f32 v[4:5], v[8:9], v[4:5] op_sel:[1,0] op_sel_hi:[0,0]
	v_pk_fma_f32 v[6:7], v[8:9], v[138:139], v[4:5] neg_lo:[0,0,1] neg_hi:[0,0,1]
	v_pk_fma_f32 v[4:5], v[8:9], v[138:139], v[4:5] op_sel_hi:[1,0,1]
	v_pk_add_f32 v[2:3], v[2:3], v[16:17]
	v_mov_b32_e32 v7, v5
	s_waitcnt vmcnt(1) lgkmcnt(1)
	v_pk_mul_f32 v[4:5], v[10:11], v[140:141] op_sel:[1,1] op_sel_hi:[0,1]
	v_pk_add_f32 v[2:3], v[2:3], v[6:7]
	v_pk_fma_f32 v[6:7], v[10:11], v[140:141], v[4:5] neg_lo:[0,0,1] neg_hi:[0,0,1]
	v_pk_fma_f32 v[4:5], v[10:11], v[140:141], v[4:5] op_sel_hi:[1,0,1]
	s_nop 0
	v_mov_b32_e32 v4, v143
	v_mov_b32_e32 v7, v5
	v_pk_mul_f32 v[4:5], v[12:13], v[4:5] op_sel:[1,0] op_sel_hi:[0,0]
	v_pk_add_f32 v[2:3], v[2:3], v[6:7]
	v_pk_fma_f32 v[6:7], v[12:13], v[142:143], v[4:5] neg_lo:[0,0,1] neg_hi:[0,0,1]
	v_pk_fma_f32 v[4:5], v[12:13], v[142:143], v[4:5] op_sel_hi:[1,0,1]
	s_nop 0
	v_mov_b32_e32 v7, v5
	s_waitcnt vmcnt(0) lgkmcnt(0)
	v_pk_mul_f32 v[4:5], v[14:15], v[152:153] op_sel:[1,1] op_sel_hi:[0,1]
	v_pk_add_f32 v[2:3], v[2:3], v[6:7]
	v_pk_fma_f32 v[6:7], v[14:15], v[152:153], v[4:5] neg_lo:[0,0,1] neg_hi:[0,0,1]
	v_pk_fma_f32 v[4:5], v[14:15], v[152:153], v[4:5] op_sel_hi:[1,0,1]
	s_nop 0
	v_mov_b32_e32 v7, v5
	scratch_load_dwordx2 v[4:5], off, off offset:184
	v_pk_add_f32 v[2:3], v[2:3], v[6:7]
	s_waitcnt vmcnt(0)
	v_pk_add_f32 v[2:3], v[4:5], v[2:3] neg_lo:[0,1] neg_hi:[0,1]
	scratch_store_dwordx2 off, v[2:3], off offset:184
	s_and_saveexec_b64 s[0:1], vcc
	s_cbranch_execz .LBB126_347
; %bb.346:
	scratch_load_dwordx2 v[2:3], off, off offset:176
	v_mov_b32_e32 v95, v94
	scratch_store_dwordx2 off, v[94:95], off offset:176
	s_waitcnt vmcnt(1)
	ds_write_b64 v1, v[2:3]
.LBB126_347:
	s_or_b64 exec, exec, s[0:1]
	s_waitcnt lgkmcnt(0)
	; wave barrier
	scratch_load_dwordx4 v[6:9], off, off offset:184
	scratch_load_dwordx4 v[14:17], off, off offset:200
	;; [unrolled: 1-line block ×10, first 2 shown]
	ds_read2_b64 v[2:5], v94 offset0:87 offset1:88
	scratch_load_dwordx4 v[86:89], off, off offset:344
	scratch_load_dwordx4 v[96:99], off, off offset:360
	;; [unrolled: 1-line block ×6, first 2 shown]
	v_cmp_lt_u32_e32 vcc, 21, v0
	s_waitcnt vmcnt(15) lgkmcnt(0)
	v_mul_f32_e32 v10, v2, v7
	v_fmac_f32_e32 v10, v3, v6
	v_mul_f32_e32 v11, v4, v9
	v_add_f32_e32 v10, 0, v10
	v_fmac_f32_e32 v11, v5, v8
	v_add_f32_e32 v18, v10, v11
	ds_read2_b64 v[10:13], v94 offset0:89 offset1:90
	v_mul_f32_e32 v3, v3, v7
	v_fma_f32 v2, v2, v6, -v3
	v_mul_f32_e32 v3, v5, v9
	v_add_f32_e32 v2, 0, v2
	s_waitcnt vmcnt(14) lgkmcnt(0)
	v_mul_f32_e32 v19, v10, v15
	v_fmac_f32_e32 v19, v11, v14
	v_add_f32_e32 v18, v18, v19
	v_mul_f32_e32 v19, v12, v17
	v_fmac_f32_e32 v19, v13, v16
	v_add_f32_e32 v26, v18, v19
	ds_read2_b64 v[18:21], v94 offset0:91 offset1:92
	v_fma_f32 v3, v4, v8, -v3
	v_add_f32_e32 v2, v2, v3
	v_mul_f32_e32 v3, v11, v15
	v_fma_f32 v3, v10, v14, -v3
	s_waitcnt vmcnt(13) lgkmcnt(0)
	v_mul_f32_e32 v27, v18, v23
	v_fmac_f32_e32 v27, v19, v22
	v_add_f32_e32 v26, v26, v27
	v_mul_f32_e32 v27, v20, v25
	v_fmac_f32_e32 v27, v21, v24
	v_add_f32_e32 v34, v26, v27
	ds_read2_b64 v[26:29], v94 offset0:93 offset1:94
	v_add_f32_e32 v2, v2, v3
	v_mul_f32_e32 v3, v13, v17
	v_fma_f32 v3, v12, v16, -v3
	v_add_f32_e32 v2, v2, v3
	s_waitcnt vmcnt(12) lgkmcnt(0)
	v_mul_f32_e32 v35, v26, v31
	v_fmac_f32_e32 v35, v27, v30
	v_add_f32_e32 v34, v34, v35
	v_mul_f32_e32 v35, v28, v33
	v_fmac_f32_e32 v35, v29, v32
	v_add_f32_e32 v42, v34, v35
	ds_read2_b64 v[34:37], v94 offset0:95 offset1:96
	v_mul_f32_e32 v3, v19, v23
	v_fma_f32 v3, v18, v22, -v3
	v_add_f32_e32 v2, v2, v3
	v_mul_f32_e32 v3, v21, v25
	s_waitcnt vmcnt(11) lgkmcnt(0)
	v_mul_f32_e32 v43, v34, v39
	v_fmac_f32_e32 v43, v35, v38
	v_add_f32_e32 v42, v42, v43
	v_mul_f32_e32 v43, v36, v41
	v_fmac_f32_e32 v43, v37, v40
	v_add_f32_e32 v50, v42, v43
	ds_read2_b64 v[42:45], v94 offset0:97 offset1:98
	v_fma_f32 v3, v20, v24, -v3
	v_add_f32_e32 v2, v2, v3
	v_mul_f32_e32 v3, v27, v31
	v_fma_f32 v3, v26, v30, -v3
	s_waitcnt vmcnt(10) lgkmcnt(0)
	v_mul_f32_e32 v51, v42, v47
	v_fmac_f32_e32 v51, v43, v46
	v_add_f32_e32 v50, v50, v51
	v_mul_f32_e32 v51, v44, v49
	v_fmac_f32_e32 v51, v45, v48
	v_add_f32_e32 v58, v50, v51
	ds_read2_b64 v[50:53], v94 offset0:99 offset1:100
	v_add_f32_e32 v2, v2, v3
	v_mul_f32_e32 v3, v29, v33
	v_fma_f32 v3, v28, v32, -v3
	v_add_f32_e32 v2, v2, v3
	s_waitcnt vmcnt(9) lgkmcnt(0)
	v_mul_f32_e32 v59, v50, v55
	v_fmac_f32_e32 v59, v51, v54
	v_add_f32_e32 v58, v58, v59
	v_mul_f32_e32 v59, v52, v57
	v_fmac_f32_e32 v59, v53, v56
	v_add_f32_e32 v66, v58, v59
	ds_read2_b64 v[58:61], v94 offset0:101 offset1:102
	v_mul_f32_e32 v3, v35, v39
	v_fma_f32 v3, v34, v38, -v3
	v_add_f32_e32 v2, v2, v3
	v_mul_f32_e32 v3, v37, v41
	;; [unrolled: 36-line block ×4, first 2 shown]
	s_waitcnt vmcnt(2) lgkmcnt(0)
	v_mul_f32_e32 v116, v108, v113
	v_fmac_f32_e32 v116, v109, v112
	v_add_f32_e32 v95, v95, v116
	v_mul_f32_e32 v116, v110, v115
	v_fmac_f32_e32 v116, v111, v114
	v_add_f32_e32 v95, v95, v116
	ds_read2_b64 v[116:119], v94 offset0:115 offset1:116
	v_fma_f32 v3, v68, v72, -v3
	v_add_f32_e32 v2, v2, v3
	v_mul_f32_e32 v3, v75, v79
	v_fma_f32 v3, v74, v78, -v3
	s_waitcnt vmcnt(1) lgkmcnt(0)
	v_mul_f32_e32 v124, v116, v121
	v_fmac_f32_e32 v124, v117, v120
	v_add_f32_e32 v95, v95, v124
	v_mul_f32_e32 v124, v118, v123
	v_fmac_f32_e32 v124, v119, v122
	v_add_f32_e32 v149, v95, v124
	ds_read2_b64 v[124:127], v94 offset0:117 offset1:118
	scratch_load_dwordx4 v[132:135], off, off offset:440
	scratch_load_dwordx4 v[136:139], off, off offset:456
	;; [unrolled: 1-line block ×4, first 2 shown]
	v_add_f32_e32 v2, v2, v3
	v_mul_f32_e32 v3, v77, v81
	v_fma_f32 v3, v76, v80, -v3
	v_add_f32_e32 v2, v2, v3
	v_mul_f32_e32 v3, v83, v87
	v_fma_f32 v3, v82, v86, -v3
	;; [unrolled: 3-line block ×11, first 2 shown]
	v_add_f32_e32 v148, v2, v3
	s_waitcnt vmcnt(4) lgkmcnt(0)
	v_mul_f32_e32 v2, v125, v129
	v_fma_f32 v152, v124, v128, -v2
	v_mul_f32_e32 v2, v127, v131
	v_fma_f32 v154, v126, v130, -v2
	ds_read2_b64 v[2:5], v94 offset0:119 offset1:120
	ds_read2_b64 v[6:9], v94 offset0:121 offset1:122
	;; [unrolled: 1-line block ×4, first 2 shown]
	v_mul_f32_e32 v153, v124, v129
	v_fmac_f32_e32 v153, v125, v128
	v_mul_f32_e32 v155, v126, v131
	v_fmac_f32_e32 v155, v127, v130
	v_pk_add_f32 v[18:19], v[148:149], v[152:153]
	s_waitcnt vmcnt(3) lgkmcnt(3)
	v_pk_mul_f32 v[20:21], v[2:3], v[132:133] op_sel:[1,1] op_sel_hi:[0,1]
	v_pk_fma_f32 v[22:23], v[2:3], v[132:133], v[20:21] neg_lo:[0,0,1] neg_hi:[0,0,1]
	v_pk_fma_f32 v[2:3], v[2:3], v[132:133], v[20:21] op_sel_hi:[1,0,1]
	v_pk_add_f32 v[18:19], v[18:19], v[154:155]
	v_mov_b32_e32 v23, v3
	v_pk_add_f32 v[2:3], v[18:19], v[22:23]
	v_mov_b32_e32 v18, v135
	v_pk_mul_f32 v[18:19], v[4:5], v[18:19] op_sel:[1,0] op_sel_hi:[0,0]
	v_pk_fma_f32 v[20:21], v[4:5], v[134:135], v[18:19] neg_lo:[0,0,1] neg_hi:[0,0,1]
	v_pk_fma_f32 v[4:5], v[4:5], v[134:135], v[18:19] op_sel_hi:[1,0,1]
	s_nop 0
	v_mov_b32_e32 v21, v5
	s_waitcnt vmcnt(2) lgkmcnt(2)
	v_pk_mul_f32 v[4:5], v[6:7], v[136:137] op_sel:[1,1] op_sel_hi:[0,1]
	v_pk_fma_f32 v[18:19], v[6:7], v[136:137], v[4:5] neg_lo:[0,0,1] neg_hi:[0,0,1]
	v_pk_fma_f32 v[4:5], v[6:7], v[136:137], v[4:5] op_sel_hi:[1,0,1]
	v_pk_add_f32 v[2:3], v[2:3], v[20:21]
	v_mov_b32_e32 v4, v139
	v_mov_b32_e32 v19, v5
	v_pk_mul_f32 v[4:5], v[8:9], v[4:5] op_sel:[1,0] op_sel_hi:[0,0]
	v_pk_fma_f32 v[6:7], v[8:9], v[138:139], v[4:5] neg_lo:[0,0,1] neg_hi:[0,0,1]
	v_pk_fma_f32 v[4:5], v[8:9], v[138:139], v[4:5] op_sel_hi:[1,0,1]
	v_pk_add_f32 v[2:3], v[2:3], v[18:19]
	v_mov_b32_e32 v7, v5
	s_waitcnt vmcnt(1) lgkmcnt(1)
	v_pk_mul_f32 v[4:5], v[10:11], v[140:141] op_sel:[1,1] op_sel_hi:[0,1]
	v_pk_add_f32 v[2:3], v[2:3], v[6:7]
	v_pk_fma_f32 v[6:7], v[10:11], v[140:141], v[4:5] neg_lo:[0,0,1] neg_hi:[0,0,1]
	v_pk_fma_f32 v[4:5], v[10:11], v[140:141], v[4:5] op_sel_hi:[1,0,1]
	s_nop 0
	v_mov_b32_e32 v4, v143
	v_mov_b32_e32 v7, v5
	v_pk_mul_f32 v[4:5], v[12:13], v[4:5] op_sel:[1,0] op_sel_hi:[0,0]
	v_pk_add_f32 v[2:3], v[2:3], v[6:7]
	v_pk_fma_f32 v[6:7], v[12:13], v[142:143], v[4:5] neg_lo:[0,0,1] neg_hi:[0,0,1]
	v_pk_fma_f32 v[4:5], v[12:13], v[142:143], v[4:5] op_sel_hi:[1,0,1]
	s_nop 0
	v_mov_b32_e32 v7, v5
	s_waitcnt vmcnt(0) lgkmcnt(0)
	v_pk_mul_f32 v[4:5], v[14:15], v[144:145] op_sel:[1,1] op_sel_hi:[0,1]
	v_pk_add_f32 v[2:3], v[2:3], v[6:7]
	v_pk_fma_f32 v[6:7], v[14:15], v[144:145], v[4:5] neg_lo:[0,0,1] neg_hi:[0,0,1]
	v_pk_fma_f32 v[4:5], v[14:15], v[144:145], v[4:5] op_sel_hi:[1,0,1]
	s_nop 0
	v_mov_b32_e32 v4, v147
	v_mov_b32_e32 v7, v5
	v_pk_mul_f32 v[4:5], v[16:17], v[4:5] op_sel:[1,0] op_sel_hi:[0,0]
	v_pk_add_f32 v[2:3], v[2:3], v[6:7]
	v_pk_fma_f32 v[6:7], v[16:17], v[146:147], v[4:5] neg_lo:[0,0,1] neg_hi:[0,0,1]
	v_pk_fma_f32 v[4:5], v[16:17], v[146:147], v[4:5] op_sel_hi:[1,0,1]
	s_nop 0
	v_mov_b32_e32 v7, v5
	scratch_load_dwordx2 v[4:5], off, off offset:176
	v_pk_add_f32 v[2:3], v[2:3], v[6:7]
	s_waitcnt vmcnt(0)
	v_pk_add_f32 v[2:3], v[4:5], v[2:3] neg_lo:[0,1] neg_hi:[0,1]
	scratch_store_dwordx2 off, v[2:3], off offset:176
	s_and_saveexec_b64 s[0:1], vcc
	s_cbranch_execz .LBB126_349
; %bb.348:
	scratch_load_dwordx2 v[2:3], off, off offset:168
	v_mov_b32_e32 v4, 0
	v_mov_b32_e32 v5, v4
	scratch_store_dwordx2 off, v[4:5], off offset:168
	s_waitcnt vmcnt(1)
	ds_write_b64 v1, v[2:3]
.LBB126_349:
	s_or_b64 exec, exec, s[0:1]
	v_mov_b32_e32 v102, 0
	s_waitcnt lgkmcnt(0)
	; wave barrier
	ds_read_b128 v[14:17], v102 offset:688
	ds_read_b128 v[10:13], v102 offset:704
	ds_read_b128 v[6:9], v102 offset:720
	ds_read_b128 v[2:5], v102 offset:736
	scratch_load_dwordx4 v[18:21], off, off offset:176
	scratch_load_dwordx4 v[38:41], off, off offset:240
	;; [unrolled: 1-line block ×11, first 2 shown]
	v_cmp_lt_u32_e32 vcc, 20, v0
	scratch_load_dwordx4 v[46:49], off, off offset:256
	scratch_load_dwordx4 v[54:57], off, off offset:272
	;; [unrolled: 1-line block ×3, first 2 shown]
	s_waitcnt vmcnt(13) lgkmcnt(3)
	v_mul_f32_e32 v22, v14, v19
	v_fmac_f32_e32 v22, v15, v18
	v_mul_f32_e32 v23, v16, v21
	v_add_f32_e32 v22, 0, v22
	v_fmac_f32_e32 v23, v17, v20
	v_add_f32_e32 v26, v22, v23
	scratch_load_dwordx4 v[22:25], off, off offset:192
	v_mul_f32_e32 v15, v15, v19
	v_fma_f32 v14, v14, v18, -v15
	v_mul_f32_e32 v15, v17, v21
	v_add_f32_e32 v14, 0, v14
	v_fma_f32 v15, v16, v20, -v15
	v_add_f32_e32 v14, v14, v15
	s_waitcnt vmcnt(4)
	v_mov_b32_e32 v18, v139
	s_waitcnt vmcnt(0) lgkmcnt(2)
	v_mul_f32_e32 v27, v10, v23
	v_fmac_f32_e32 v27, v11, v22
	v_add_f32_e32 v26, v26, v27
	v_mul_f32_e32 v27, v12, v25
	v_fmac_f32_e32 v27, v13, v24
	v_add_f32_e32 v30, v26, v27
	scratch_load_dwordx4 v[26:29], off, off offset:208
	v_mul_f32_e32 v11, v11, v23
	v_fma_f32 v10, v10, v22, -v11
	v_mul_f32_e32 v11, v13, v25
	v_add_f32_e32 v10, v14, v10
	v_fma_f32 v11, v12, v24, -v11
	v_add_f32_e32 v10, v10, v11
	s_waitcnt vmcnt(0) lgkmcnt(1)
	v_mul_f32_e32 v31, v6, v27
	v_fmac_f32_e32 v31, v7, v26
	v_add_f32_e32 v30, v30, v31
	v_mul_f32_e32 v31, v8, v29
	v_fmac_f32_e32 v31, v9, v28
	v_add_f32_e32 v34, v30, v31
	scratch_load_dwordx4 v[30:33], off, off offset:224
	v_mul_f32_e32 v7, v7, v27
	v_fma_f32 v6, v6, v26, -v7
	v_mul_f32_e32 v7, v9, v29
	v_add_f32_e32 v6, v10, v6
	v_fma_f32 v7, v8, v28, -v7
	v_add_f32_e32 v6, v6, v7
	s_waitcnt vmcnt(0) lgkmcnt(0)
	v_mul_f32_e32 v35, v2, v31
	v_fmac_f32_e32 v35, v3, v30
	v_add_f32_e32 v34, v34, v35
	v_mul_f32_e32 v35, v4, v33
	v_fmac_f32_e32 v35, v5, v32
	v_add_f32_e32 v42, v34, v35
	ds_read_b128 v[34:37], v102 offset:752
	v_mul_f32_e32 v3, v3, v31
	v_fma_f32 v2, v2, v30, -v3
	v_mul_f32_e32 v3, v5, v33
	v_add_f32_e32 v2, v6, v2
	s_waitcnt lgkmcnt(0)
	v_mul_f32_e32 v43, v34, v39
	v_fmac_f32_e32 v43, v35, v38
	v_add_f32_e32 v42, v42, v43
	v_mul_f32_e32 v43, v36, v41
	v_fmac_f32_e32 v43, v37, v40
	v_add_f32_e32 v50, v42, v43
	ds_read_b128 v[42:45], v102 offset:768
	v_fma_f32 v3, v4, v32, -v3
	v_add_f32_e32 v2, v2, v3
	v_mul_f32_e32 v3, v35, v39
	v_fma_f32 v3, v34, v38, -v3
	s_waitcnt lgkmcnt(0)
	v_mul_f32_e32 v51, v42, v47
	v_fmac_f32_e32 v51, v43, v46
	v_add_f32_e32 v50, v50, v51
	v_mul_f32_e32 v51, v44, v49
	v_fmac_f32_e32 v51, v45, v48
	v_add_f32_e32 v58, v50, v51
	ds_read_b128 v[50:53], v102 offset:784
	v_add_f32_e32 v2, v2, v3
	v_mul_f32_e32 v3, v37, v41
	v_fma_f32 v3, v36, v40, -v3
	v_add_f32_e32 v2, v2, v3
	s_waitcnt lgkmcnt(0)
	v_mul_f32_e32 v59, v50, v55
	v_fmac_f32_e32 v59, v51, v54
	v_add_f32_e32 v58, v58, v59
	v_mul_f32_e32 v59, v52, v57
	v_fmac_f32_e32 v59, v53, v56
	v_add_f32_e32 v66, v58, v59
	ds_read_b128 v[58:61], v102 offset:800
	v_mul_f32_e32 v3, v43, v47
	v_fma_f32 v3, v42, v46, -v3
	v_add_f32_e32 v2, v2, v3
	v_mul_f32_e32 v3, v45, v49
	s_waitcnt lgkmcnt(0)
	v_mul_f32_e32 v67, v58, v63
	v_fmac_f32_e32 v67, v59, v62
	v_add_f32_e32 v66, v66, v67
	v_mul_f32_e32 v67, v60, v65
	v_fmac_f32_e32 v67, v61, v64
	v_add_f32_e32 v74, v66, v67
	ds_read_b128 v[66:69], v102 offset:816
	v_fma_f32 v3, v44, v48, -v3
	v_add_f32_e32 v2, v2, v3
	v_mul_f32_e32 v3, v51, v55
	v_fma_f32 v3, v50, v54, -v3
	s_waitcnt lgkmcnt(0)
	v_mul_f32_e32 v75, v66, v71
	v_fmac_f32_e32 v75, v67, v70
	v_add_f32_e32 v74, v74, v75
	v_mul_f32_e32 v75, v68, v73
	v_fmac_f32_e32 v75, v69, v72
	v_add_f32_e32 v82, v74, v75
	ds_read_b128 v[74:77], v102 offset:832
	v_add_f32_e32 v2, v2, v3
	v_mul_f32_e32 v3, v53, v57
	v_fma_f32 v3, v52, v56, -v3
	v_add_f32_e32 v2, v2, v3
	s_waitcnt lgkmcnt(0)
	v_mul_f32_e32 v83, v74, v79
	v_fmac_f32_e32 v83, v75, v78
	v_add_f32_e32 v82, v82, v83
	v_mul_f32_e32 v83, v76, v81
	v_fmac_f32_e32 v83, v77, v80
	v_add_f32_e32 v90, v82, v83
	ds_read_b128 v[82:85], v102 offset:848
	v_mul_f32_e32 v3, v59, v63
	v_fma_f32 v3, v58, v62, -v3
	v_add_f32_e32 v2, v2, v3
	v_mul_f32_e32 v3, v61, v65
	;; [unrolled: 36-line block ×3, first 2 shown]
	s_waitcnt lgkmcnt(0)
	v_mul_f32_e32 v116, v108, v113
	v_fmac_f32_e32 v116, v109, v112
	v_add_f32_e32 v103, v103, v116
	v_mul_f32_e32 v116, v110, v115
	v_fmac_f32_e32 v116, v111, v114
	v_add_f32_e32 v103, v103, v116
	ds_read_b128 v[116:119], v102 offset:912
	v_fma_f32 v3, v76, v80, -v3
	v_add_f32_e32 v2, v2, v3
	v_mul_f32_e32 v3, v83, v87
	v_fma_f32 v3, v82, v86, -v3
	s_waitcnt lgkmcnt(0)
	v_mul_f32_e32 v124, v116, v121
	v_fmac_f32_e32 v124, v117, v120
	v_add_f32_e32 v103, v103, v124
	v_mul_f32_e32 v124, v118, v123
	v_fmac_f32_e32 v124, v119, v122
	v_add_f32_e32 v103, v103, v124
	ds_read_b128 v[124:127], v102 offset:928
	v_add_f32_e32 v2, v2, v3
	v_mul_f32_e32 v3, v85, v89
	v_fma_f32 v3, v84, v88, -v3
	v_add_f32_e32 v2, v2, v3
	s_waitcnt lgkmcnt(0)
	v_mul_f32_e32 v132, v124, v129
	v_fmac_f32_e32 v132, v125, v128
	v_add_f32_e32 v149, v103, v132
	ds_read_b128 v[132:135], v102 offset:944
	scratch_load_dwordx4 v[140:143], off, off offset:448
	scratch_load_dwordx4 v[144:147], off, off offset:464
	;; [unrolled: 1-line block ×3, first 2 shown]
	scratch_load_dwordx2 v[176:177], off, off offset:496
	v_mul_f32_e32 v3, v91, v95
	v_fma_f32 v3, v90, v94, -v3
	v_add_f32_e32 v2, v2, v3
	v_mul_f32_e32 v3, v93, v97
	v_fma_f32 v3, v92, v96, -v3
	v_add_f32_e32 v2, v2, v3
	;; [unrolled: 3-line block ×9, first 2 shown]
	v_mul_f32_e32 v2, v127, v131
	v_mul_f32_e32 v153, v126, v131
	v_fma_f32 v152, v126, v130, -v2
	s_waitcnt lgkmcnt(0)
	v_mul_f32_e32 v2, v133, v137
	v_fmac_f32_e32 v153, v127, v130
	v_mul_f32_e32 v155, v132, v137
	v_fma_f32 v154, v132, v136, -v2
	ds_read_b128 v[2:5], v102 offset:960
	ds_read_b128 v[6:9], v102 offset:976
	;; [unrolled: 1-line block ×3, first 2 shown]
	ds_read_b64 v[14:15], v102 offset:1008
	v_pk_mul_f32 v[18:19], v[134:135], v[18:19] op_sel:[1,0] op_sel_hi:[0,0]
	v_fmac_f32_e32 v155, v133, v136
	v_pk_add_f32 v[16:17], v[148:149], v[152:153]
	v_pk_fma_f32 v[20:21], v[134:135], v[138:139], v[18:19] neg_lo:[0,0,1] neg_hi:[0,0,1]
	v_pk_fma_f32 v[18:19], v[134:135], v[138:139], v[18:19] op_sel_hi:[1,0,1]
	v_pk_add_f32 v[16:17], v[16:17], v[154:155]
	v_mov_b32_e32 v21, v19
	v_pk_add_f32 v[16:17], v[16:17], v[20:21]
	s_waitcnt vmcnt(3) lgkmcnt(3)
	v_pk_mul_f32 v[18:19], v[2:3], v[140:141] op_sel:[1,1] op_sel_hi:[0,1]
	v_pk_fma_f32 v[20:21], v[2:3], v[140:141], v[18:19] neg_lo:[0,0,1] neg_hi:[0,0,1]
	v_pk_fma_f32 v[2:3], v[2:3], v[140:141], v[18:19] op_sel_hi:[1,0,1]
	s_nop 0
	v_mov_b32_e32 v21, v3
	v_pk_add_f32 v[2:3], v[16:17], v[20:21]
	v_mov_b32_e32 v16, v143
	v_pk_mul_f32 v[16:17], v[4:5], v[16:17] op_sel:[1,0] op_sel_hi:[0,0]
	v_pk_fma_f32 v[18:19], v[4:5], v[142:143], v[16:17] neg_lo:[0,0,1] neg_hi:[0,0,1]
	v_pk_fma_f32 v[4:5], v[4:5], v[142:143], v[16:17] op_sel_hi:[1,0,1]
	s_nop 0
	v_mov_b32_e32 v19, v5
	s_waitcnt vmcnt(2) lgkmcnt(2)
	v_pk_mul_f32 v[4:5], v[6:7], v[144:145] op_sel:[1,1] op_sel_hi:[0,1]
	v_pk_fma_f32 v[16:17], v[6:7], v[144:145], v[4:5] neg_lo:[0,0,1] neg_hi:[0,0,1]
	v_pk_fma_f32 v[4:5], v[6:7], v[144:145], v[4:5] op_sel_hi:[1,0,1]
	v_pk_add_f32 v[2:3], v[2:3], v[18:19]
	v_mov_b32_e32 v4, v147
	v_mov_b32_e32 v17, v5
	v_pk_mul_f32 v[4:5], v[8:9], v[4:5] op_sel:[1,0] op_sel_hi:[0,0]
	v_pk_fma_f32 v[6:7], v[8:9], v[146:147], v[4:5] neg_lo:[0,0,1] neg_hi:[0,0,1]
	v_pk_fma_f32 v[4:5], v[8:9], v[146:147], v[4:5] op_sel_hi:[1,0,1]
	v_pk_add_f32 v[2:3], v[2:3], v[16:17]
	v_mov_b32_e32 v7, v5
	s_waitcnt vmcnt(1) lgkmcnt(1)
	v_pk_mul_f32 v[4:5], v[10:11], v[172:173] op_sel:[1,1] op_sel_hi:[0,1]
	v_pk_add_f32 v[2:3], v[2:3], v[6:7]
	v_pk_fma_f32 v[6:7], v[10:11], v[172:173], v[4:5] neg_lo:[0,0,1] neg_hi:[0,0,1]
	v_pk_fma_f32 v[4:5], v[10:11], v[172:173], v[4:5] op_sel_hi:[1,0,1]
	s_nop 0
	v_mov_b32_e32 v4, v175
	v_mov_b32_e32 v7, v5
	v_pk_mul_f32 v[4:5], v[12:13], v[4:5] op_sel:[1,0] op_sel_hi:[0,0]
	v_pk_add_f32 v[2:3], v[2:3], v[6:7]
	v_pk_fma_f32 v[6:7], v[12:13], v[174:175], v[4:5] neg_lo:[0,0,1] neg_hi:[0,0,1]
	v_pk_fma_f32 v[4:5], v[12:13], v[174:175], v[4:5] op_sel_hi:[1,0,1]
	s_nop 0
	v_mov_b32_e32 v7, v5
	s_waitcnt vmcnt(0) lgkmcnt(0)
	v_pk_mul_f32 v[4:5], v[14:15], v[176:177] op_sel:[1,1] op_sel_hi:[0,1]
	v_pk_add_f32 v[2:3], v[2:3], v[6:7]
	v_pk_fma_f32 v[6:7], v[14:15], v[176:177], v[4:5] neg_lo:[0,0,1] neg_hi:[0,0,1]
	v_pk_fma_f32 v[4:5], v[14:15], v[176:177], v[4:5] op_sel_hi:[1,0,1]
	s_nop 0
	v_mov_b32_e32 v7, v5
	scratch_load_dwordx2 v[4:5], off, off offset:168
	v_pk_add_f32 v[2:3], v[2:3], v[6:7]
	s_waitcnt vmcnt(0)
	v_pk_add_f32 v[2:3], v[4:5], v[2:3] neg_lo:[0,1] neg_hi:[0,1]
	scratch_store_dwordx2 off, v[2:3], off offset:168
	s_and_saveexec_b64 s[0:1], vcc
	s_cbranch_execz .LBB126_351
; %bb.350:
	scratch_load_dwordx2 v[2:3], off, off offset:160
	v_mov_b32_e32 v103, v102
	scratch_store_dwordx2 off, v[102:103], off offset:160
	s_waitcnt vmcnt(1)
	ds_write_b64 v1, v[2:3]
.LBB126_351:
	s_or_b64 exec, exec, s[0:1]
	s_waitcnt lgkmcnt(0)
	; wave barrier
	scratch_load_dwordx4 v[6:9], off, off offset:168
	scratch_load_dwordx4 v[14:17], off, off offset:184
	;; [unrolled: 1-line block ×10, first 2 shown]
	ds_read2_b64 v[2:5], v102 offset0:85 offset1:86
	scratch_load_dwordx4 v[86:89], off, off offset:328
	scratch_load_dwordx4 v[94:97], off, off offset:344
	;; [unrolled: 1-line block ×7, first 2 shown]
	v_cmp_lt_u32_e32 vcc, 19, v0
	s_waitcnt vmcnt(16) lgkmcnt(0)
	v_mul_f32_e32 v10, v2, v7
	v_fmac_f32_e32 v10, v3, v6
	v_mul_f32_e32 v11, v4, v9
	v_add_f32_e32 v10, 0, v10
	v_fmac_f32_e32 v11, v5, v8
	v_add_f32_e32 v18, v10, v11
	ds_read2_b64 v[10:13], v102 offset0:87 offset1:88
	v_mul_f32_e32 v3, v3, v7
	v_fma_f32 v2, v2, v6, -v3
	v_mul_f32_e32 v3, v5, v9
	v_add_f32_e32 v2, 0, v2
	s_waitcnt vmcnt(15) lgkmcnt(0)
	v_mul_f32_e32 v19, v10, v15
	v_fmac_f32_e32 v19, v11, v14
	v_add_f32_e32 v18, v18, v19
	v_mul_f32_e32 v19, v12, v17
	v_fmac_f32_e32 v19, v13, v16
	v_add_f32_e32 v26, v18, v19
	ds_read2_b64 v[18:21], v102 offset0:89 offset1:90
	v_fma_f32 v3, v4, v8, -v3
	v_add_f32_e32 v2, v2, v3
	v_mul_f32_e32 v3, v11, v15
	v_fma_f32 v3, v10, v14, -v3
	s_waitcnt vmcnt(14) lgkmcnt(0)
	v_mul_f32_e32 v27, v18, v23
	v_fmac_f32_e32 v27, v19, v22
	v_add_f32_e32 v26, v26, v27
	v_mul_f32_e32 v27, v20, v25
	v_fmac_f32_e32 v27, v21, v24
	v_add_f32_e32 v34, v26, v27
	ds_read2_b64 v[26:29], v102 offset0:91 offset1:92
	v_add_f32_e32 v2, v2, v3
	v_mul_f32_e32 v3, v13, v17
	v_fma_f32 v3, v12, v16, -v3
	v_add_f32_e32 v2, v2, v3
	s_waitcnt vmcnt(13) lgkmcnt(0)
	v_mul_f32_e32 v35, v26, v31
	v_fmac_f32_e32 v35, v27, v30
	v_add_f32_e32 v34, v34, v35
	v_mul_f32_e32 v35, v28, v33
	v_fmac_f32_e32 v35, v29, v32
	v_add_f32_e32 v42, v34, v35
	ds_read2_b64 v[34:37], v102 offset0:93 offset1:94
	v_mul_f32_e32 v3, v19, v23
	v_fma_f32 v3, v18, v22, -v3
	v_add_f32_e32 v2, v2, v3
	v_mul_f32_e32 v3, v21, v25
	s_waitcnt vmcnt(12) lgkmcnt(0)
	v_mul_f32_e32 v43, v34, v39
	v_fmac_f32_e32 v43, v35, v38
	v_add_f32_e32 v42, v42, v43
	v_mul_f32_e32 v43, v36, v41
	v_fmac_f32_e32 v43, v37, v40
	v_add_f32_e32 v50, v42, v43
	ds_read2_b64 v[42:45], v102 offset0:95 offset1:96
	v_fma_f32 v3, v20, v24, -v3
	v_add_f32_e32 v2, v2, v3
	v_mul_f32_e32 v3, v27, v31
	v_fma_f32 v3, v26, v30, -v3
	s_waitcnt vmcnt(11) lgkmcnt(0)
	v_mul_f32_e32 v51, v42, v47
	v_fmac_f32_e32 v51, v43, v46
	v_add_f32_e32 v50, v50, v51
	v_mul_f32_e32 v51, v44, v49
	v_fmac_f32_e32 v51, v45, v48
	v_add_f32_e32 v58, v50, v51
	ds_read2_b64 v[50:53], v102 offset0:97 offset1:98
	v_add_f32_e32 v2, v2, v3
	v_mul_f32_e32 v3, v29, v33
	v_fma_f32 v3, v28, v32, -v3
	v_add_f32_e32 v2, v2, v3
	s_waitcnt vmcnt(10) lgkmcnt(0)
	v_mul_f32_e32 v59, v50, v55
	v_fmac_f32_e32 v59, v51, v54
	v_add_f32_e32 v58, v58, v59
	v_mul_f32_e32 v59, v52, v57
	v_fmac_f32_e32 v59, v53, v56
	v_add_f32_e32 v66, v58, v59
	ds_read2_b64 v[58:61], v102 offset0:99 offset1:100
	v_mul_f32_e32 v3, v35, v39
	v_fma_f32 v3, v34, v38, -v3
	v_add_f32_e32 v2, v2, v3
	v_mul_f32_e32 v3, v37, v41
	s_waitcnt vmcnt(9) lgkmcnt(0)
	v_mul_f32_e32 v67, v58, v63
	v_fmac_f32_e32 v67, v59, v62
	v_add_f32_e32 v66, v66, v67
	v_mul_f32_e32 v67, v60, v65
	v_fmac_f32_e32 v67, v61, v64
	v_add_f32_e32 v74, v66, v67
	ds_read2_b64 v[66:69], v102 offset0:101 offset1:102
	v_fma_f32 v3, v36, v40, -v3
	v_add_f32_e32 v2, v2, v3
	v_mul_f32_e32 v3, v43, v47
	v_fma_f32 v3, v42, v46, -v3
	s_waitcnt vmcnt(8) lgkmcnt(0)
	v_mul_f32_e32 v75, v66, v71
	v_fmac_f32_e32 v75, v67, v70
	v_add_f32_e32 v74, v74, v75
	v_mul_f32_e32 v75, v68, v73
	v_fmac_f32_e32 v75, v69, v72
	v_add_f32_e32 v82, v74, v75
	ds_read2_b64 v[74:77], v102 offset0:103 offset1:104
	v_add_f32_e32 v2, v2, v3
	v_mul_f32_e32 v3, v45, v49
	v_fma_f32 v3, v44, v48, -v3
	v_add_f32_e32 v2, v2, v3
	s_waitcnt vmcnt(7) lgkmcnt(0)
	v_mul_f32_e32 v83, v74, v79
	v_fmac_f32_e32 v83, v75, v78
	v_add_f32_e32 v82, v82, v83
	v_mul_f32_e32 v83, v76, v81
	v_fmac_f32_e32 v83, v77, v80
	v_add_f32_e32 v90, v82, v83
	ds_read2_b64 v[82:85], v102 offset0:105 offset1:106
	v_mul_f32_e32 v3, v51, v55
	v_fma_f32 v3, v50, v54, -v3
	v_add_f32_e32 v2, v2, v3
	v_mul_f32_e32 v3, v53, v57
	s_waitcnt vmcnt(6) lgkmcnt(0)
	v_mul_f32_e32 v91, v82, v87
	v_fmac_f32_e32 v91, v83, v86
	v_add_f32_e32 v90, v90, v91
	v_mul_f32_e32 v91, v84, v89
	v_fmac_f32_e32 v91, v85, v88
	v_add_f32_e32 v98, v90, v91
	ds_read2_b64 v[90:93], v102 offset0:107 offset1:108
	v_fma_f32 v3, v52, v56, -v3
	v_add_f32_e32 v2, v2, v3
	v_mul_f32_e32 v3, v59, v63
	v_fma_f32 v3, v58, v62, -v3
	s_waitcnt vmcnt(5) lgkmcnt(0)
	v_mul_f32_e32 v99, v90, v95
	v_fmac_f32_e32 v99, v91, v94
	v_add_f32_e32 v98, v98, v99
	v_mul_f32_e32 v99, v92, v97
	v_fmac_f32_e32 v99, v93, v96
	v_add_f32_e32 v103, v98, v99
	ds_read2_b64 v[98:101], v102 offset0:109 offset1:110
	v_add_f32_e32 v2, v2, v3
	v_mul_f32_e32 v3, v61, v65
	v_fma_f32 v3, v60, v64, -v3
	v_add_f32_e32 v2, v2, v3
	s_waitcnt vmcnt(4) lgkmcnt(0)
	v_mul_f32_e32 v108, v98, v105
	v_fmac_f32_e32 v108, v99, v104
	v_add_f32_e32 v103, v103, v108
	v_mul_f32_e32 v108, v100, v107
	v_fmac_f32_e32 v108, v101, v106
	v_add_f32_e32 v103, v103, v108
	ds_read2_b64 v[108:111], v102 offset0:111 offset1:112
	v_mul_f32_e32 v3, v67, v71
	v_fma_f32 v3, v66, v70, -v3
	v_add_f32_e32 v2, v2, v3
	v_mul_f32_e32 v3, v69, v73
	s_waitcnt vmcnt(3) lgkmcnt(0)
	v_mul_f32_e32 v116, v108, v113
	v_fmac_f32_e32 v116, v109, v112
	v_add_f32_e32 v103, v103, v116
	v_mul_f32_e32 v116, v110, v115
	v_fmac_f32_e32 v116, v111, v114
	v_add_f32_e32 v103, v103, v116
	ds_read2_b64 v[116:119], v102 offset0:113 offset1:114
	v_fma_f32 v3, v68, v72, -v3
	v_add_f32_e32 v2, v2, v3
	v_mul_f32_e32 v3, v75, v79
	v_fma_f32 v3, v74, v78, -v3
	s_waitcnt vmcnt(2) lgkmcnt(0)
	v_mul_f32_e32 v124, v116, v121
	v_fmac_f32_e32 v124, v117, v120
	v_add_f32_e32 v103, v103, v124
	v_mul_f32_e32 v124, v118, v123
	v_fmac_f32_e32 v124, v119, v122
	v_add_f32_e32 v103, v103, v124
	ds_read2_b64 v[124:127], v102 offset0:115 offset1:116
	v_add_f32_e32 v2, v2, v3
	v_mul_f32_e32 v3, v77, v81
	v_fma_f32 v3, v76, v80, -v3
	v_add_f32_e32 v2, v2, v3
	s_waitcnt vmcnt(1) lgkmcnt(0)
	v_mul_f32_e32 v132, v124, v129
	v_fmac_f32_e32 v132, v125, v128
	v_add_f32_e32 v103, v103, v132
	v_mul_f32_e32 v132, v126, v131
	v_fmac_f32_e32 v132, v127, v130
	v_add_f32_e32 v149, v103, v132
	ds_read2_b64 v[132:135], v102 offset0:117 offset1:118
	scratch_load_dwordx4 v[140:143], off, off offset:440
	scratch_load_dwordx4 v[144:147], off, off offset:456
	;; [unrolled: 1-line block ×4, first 2 shown]
	v_mul_f32_e32 v3, v83, v87
	v_fma_f32 v3, v82, v86, -v3
	v_add_f32_e32 v2, v2, v3
	v_mul_f32_e32 v3, v85, v89
	v_fma_f32 v3, v84, v88, -v3
	v_add_f32_e32 v2, v2, v3
	;; [unrolled: 3-line block ×12, first 2 shown]
	s_waitcnt vmcnt(4) lgkmcnt(0)
	v_mul_f32_e32 v2, v133, v137
	v_fma_f32 v152, v132, v136, -v2
	v_mul_f32_e32 v2, v135, v139
	v_fma_f32 v154, v134, v138, -v2
	ds_read2_b64 v[2:5], v102 offset0:119 offset1:120
	ds_read2_b64 v[6:9], v102 offset0:121 offset1:122
	;; [unrolled: 1-line block ×4, first 2 shown]
	v_mul_f32_e32 v153, v132, v137
	v_fmac_f32_e32 v153, v133, v136
	v_mul_f32_e32 v155, v134, v139
	v_fmac_f32_e32 v155, v135, v138
	v_pk_add_f32 v[18:19], v[148:149], v[152:153]
	s_waitcnt vmcnt(3) lgkmcnt(3)
	v_pk_mul_f32 v[20:21], v[2:3], v[140:141] op_sel:[1,1] op_sel_hi:[0,1]
	v_pk_fma_f32 v[22:23], v[2:3], v[140:141], v[20:21] neg_lo:[0,0,1] neg_hi:[0,0,1]
	v_pk_fma_f32 v[2:3], v[2:3], v[140:141], v[20:21] op_sel_hi:[1,0,1]
	v_pk_add_f32 v[18:19], v[18:19], v[154:155]
	v_mov_b32_e32 v23, v3
	v_pk_add_f32 v[2:3], v[18:19], v[22:23]
	v_mov_b32_e32 v18, v143
	v_pk_mul_f32 v[18:19], v[4:5], v[18:19] op_sel:[1,0] op_sel_hi:[0,0]
	v_pk_fma_f32 v[20:21], v[4:5], v[142:143], v[18:19] neg_lo:[0,0,1] neg_hi:[0,0,1]
	v_pk_fma_f32 v[4:5], v[4:5], v[142:143], v[18:19] op_sel_hi:[1,0,1]
	s_nop 0
	v_mov_b32_e32 v21, v5
	s_waitcnt vmcnt(2) lgkmcnt(2)
	v_pk_mul_f32 v[4:5], v[6:7], v[144:145] op_sel:[1,1] op_sel_hi:[0,1]
	v_pk_fma_f32 v[18:19], v[6:7], v[144:145], v[4:5] neg_lo:[0,0,1] neg_hi:[0,0,1]
	v_pk_fma_f32 v[4:5], v[6:7], v[144:145], v[4:5] op_sel_hi:[1,0,1]
	v_pk_add_f32 v[2:3], v[2:3], v[20:21]
	v_mov_b32_e32 v4, v147
	v_mov_b32_e32 v19, v5
	v_pk_mul_f32 v[4:5], v[8:9], v[4:5] op_sel:[1,0] op_sel_hi:[0,0]
	v_pk_fma_f32 v[6:7], v[8:9], v[146:147], v[4:5] neg_lo:[0,0,1] neg_hi:[0,0,1]
	v_pk_fma_f32 v[4:5], v[8:9], v[146:147], v[4:5] op_sel_hi:[1,0,1]
	v_pk_add_f32 v[2:3], v[2:3], v[18:19]
	v_mov_b32_e32 v7, v5
	s_waitcnt vmcnt(1) lgkmcnt(1)
	v_pk_mul_f32 v[4:5], v[10:11], v[172:173] op_sel:[1,1] op_sel_hi:[0,1]
	v_pk_add_f32 v[2:3], v[2:3], v[6:7]
	v_pk_fma_f32 v[6:7], v[10:11], v[172:173], v[4:5] neg_lo:[0,0,1] neg_hi:[0,0,1]
	v_pk_fma_f32 v[4:5], v[10:11], v[172:173], v[4:5] op_sel_hi:[1,0,1]
	s_nop 0
	v_mov_b32_e32 v4, v175
	v_mov_b32_e32 v7, v5
	v_pk_mul_f32 v[4:5], v[12:13], v[4:5] op_sel:[1,0] op_sel_hi:[0,0]
	v_pk_add_f32 v[2:3], v[2:3], v[6:7]
	v_pk_fma_f32 v[6:7], v[12:13], v[174:175], v[4:5] neg_lo:[0,0,1] neg_hi:[0,0,1]
	v_pk_fma_f32 v[4:5], v[12:13], v[174:175], v[4:5] op_sel_hi:[1,0,1]
	s_nop 0
	v_mov_b32_e32 v7, v5
	s_waitcnt vmcnt(0) lgkmcnt(0)
	v_pk_mul_f32 v[4:5], v[14:15], v[176:177] op_sel:[1,1] op_sel_hi:[0,1]
	v_pk_add_f32 v[2:3], v[2:3], v[6:7]
	v_pk_fma_f32 v[6:7], v[14:15], v[176:177], v[4:5] neg_lo:[0,0,1] neg_hi:[0,0,1]
	v_pk_fma_f32 v[4:5], v[14:15], v[176:177], v[4:5] op_sel_hi:[1,0,1]
	s_nop 0
	v_mov_b32_e32 v4, v179
	v_mov_b32_e32 v7, v5
	v_pk_mul_f32 v[4:5], v[16:17], v[4:5] op_sel:[1,0] op_sel_hi:[0,0]
	v_pk_add_f32 v[2:3], v[2:3], v[6:7]
	v_pk_fma_f32 v[6:7], v[16:17], v[178:179], v[4:5] neg_lo:[0,0,1] neg_hi:[0,0,1]
	v_pk_fma_f32 v[4:5], v[16:17], v[178:179], v[4:5] op_sel_hi:[1,0,1]
	s_nop 0
	v_mov_b32_e32 v7, v5
	scratch_load_dwordx2 v[4:5], off, off offset:160
	v_pk_add_f32 v[2:3], v[2:3], v[6:7]
	s_waitcnt vmcnt(0)
	v_pk_add_f32 v[2:3], v[4:5], v[2:3] neg_lo:[0,1] neg_hi:[0,1]
	scratch_store_dwordx2 off, v[2:3], off offset:160
	s_and_saveexec_b64 s[0:1], vcc
	s_cbranch_execz .LBB126_353
; %bb.352:
	scratch_load_dwordx2 v[2:3], off, off offset:152
	v_mov_b32_e32 v4, 0
	v_mov_b32_e32 v5, v4
	scratch_store_dwordx2 off, v[4:5], off offset:152
	s_waitcnt vmcnt(1)
	ds_write_b64 v1, v[2:3]
.LBB126_353:
	s_or_b64 exec, exec, s[0:1]
	v_mov_b32_e32 v102, 0
	s_waitcnt lgkmcnt(0)
	; wave barrier
	ds_read_b128 v[14:17], v102 offset:672
	ds_read_b128 v[10:13], v102 offset:688
	;; [unrolled: 1-line block ×4, first 2 shown]
	scratch_load_dwordx4 v[18:21], off, off offset:160
	scratch_load_dwordx4 v[38:41], off, off offset:224
	scratch_load_dwordx4 v[70:73], off, off offset:288
	scratch_load_dwordx4 v[78:81], off, off offset:304
	scratch_load_dwordx4 v[86:89], off, off offset:320
	scratch_load_dwordx4 v[94:97], off, off offset:336
	scratch_load_dwordx4 v[104:107], off, off offset:352
	scratch_load_dwordx4 v[112:115], off, off offset:368
	scratch_load_dwordx4 v[120:123], off, off offset:384
	scratch_load_dwordx4 v[128:131], off, off offset:400
	scratch_load_dwordx4 v[136:139], off, off offset:416
	scratch_load_dwordx4 v[144:147], off, off offset:432
	v_cmp_lt_u32_e32 vcc, 18, v0
	scratch_load_dwordx4 v[46:49], off, off offset:240
	scratch_load_dwordx4 v[54:57], off, off offset:256
	;; [unrolled: 1-line block ×3, first 2 shown]
	s_waitcnt vmcnt(14) lgkmcnt(3)
	v_mul_f32_e32 v22, v14, v19
	v_fmac_f32_e32 v22, v15, v18
	v_mul_f32_e32 v23, v16, v21
	v_add_f32_e32 v22, 0, v22
	v_fmac_f32_e32 v23, v17, v20
	v_add_f32_e32 v26, v22, v23
	scratch_load_dwordx4 v[22:25], off, off offset:176
	v_mul_f32_e32 v15, v15, v19
	v_fma_f32 v14, v14, v18, -v15
	v_mul_f32_e32 v15, v17, v21
	v_add_f32_e32 v14, 0, v14
	v_fma_f32 v15, v16, v20, -v15
	v_add_f32_e32 v14, v14, v15
	s_waitcnt vmcnt(4)
	v_mov_b32_e32 v18, v147
	s_waitcnt vmcnt(0) lgkmcnt(2)
	v_mul_f32_e32 v27, v10, v23
	v_fmac_f32_e32 v27, v11, v22
	v_add_f32_e32 v26, v26, v27
	v_mul_f32_e32 v27, v12, v25
	v_fmac_f32_e32 v27, v13, v24
	v_add_f32_e32 v30, v26, v27
	scratch_load_dwordx4 v[26:29], off, off offset:192
	v_mul_f32_e32 v11, v11, v23
	v_fma_f32 v10, v10, v22, -v11
	v_mul_f32_e32 v11, v13, v25
	v_add_f32_e32 v10, v14, v10
	v_fma_f32 v11, v12, v24, -v11
	v_add_f32_e32 v10, v10, v11
	s_waitcnt vmcnt(0) lgkmcnt(1)
	v_mul_f32_e32 v31, v6, v27
	v_fmac_f32_e32 v31, v7, v26
	v_add_f32_e32 v30, v30, v31
	v_mul_f32_e32 v31, v8, v29
	v_fmac_f32_e32 v31, v9, v28
	v_add_f32_e32 v34, v30, v31
	scratch_load_dwordx4 v[30:33], off, off offset:208
	v_mul_f32_e32 v7, v7, v27
	v_fma_f32 v6, v6, v26, -v7
	v_mul_f32_e32 v7, v9, v29
	v_add_f32_e32 v6, v10, v6
	v_fma_f32 v7, v8, v28, -v7
	v_add_f32_e32 v6, v6, v7
	s_waitcnt vmcnt(0) lgkmcnt(0)
	v_mul_f32_e32 v35, v2, v31
	v_fmac_f32_e32 v35, v3, v30
	v_add_f32_e32 v34, v34, v35
	v_mul_f32_e32 v35, v4, v33
	v_fmac_f32_e32 v35, v5, v32
	v_add_f32_e32 v42, v34, v35
	ds_read_b128 v[34:37], v102 offset:736
	v_mul_f32_e32 v3, v3, v31
	v_fma_f32 v2, v2, v30, -v3
	v_mul_f32_e32 v3, v5, v33
	v_add_f32_e32 v2, v6, v2
	s_waitcnt lgkmcnt(0)
	v_mul_f32_e32 v43, v34, v39
	v_fmac_f32_e32 v43, v35, v38
	v_add_f32_e32 v42, v42, v43
	v_mul_f32_e32 v43, v36, v41
	v_fmac_f32_e32 v43, v37, v40
	v_add_f32_e32 v50, v42, v43
	ds_read_b128 v[42:45], v102 offset:752
	v_fma_f32 v3, v4, v32, -v3
	v_add_f32_e32 v2, v2, v3
	v_mul_f32_e32 v3, v35, v39
	v_fma_f32 v3, v34, v38, -v3
	s_waitcnt lgkmcnt(0)
	v_mul_f32_e32 v51, v42, v47
	v_fmac_f32_e32 v51, v43, v46
	v_add_f32_e32 v50, v50, v51
	v_mul_f32_e32 v51, v44, v49
	v_fmac_f32_e32 v51, v45, v48
	v_add_f32_e32 v58, v50, v51
	ds_read_b128 v[50:53], v102 offset:768
	v_add_f32_e32 v2, v2, v3
	v_mul_f32_e32 v3, v37, v41
	v_fma_f32 v3, v36, v40, -v3
	v_add_f32_e32 v2, v2, v3
	s_waitcnt lgkmcnt(0)
	v_mul_f32_e32 v59, v50, v55
	v_fmac_f32_e32 v59, v51, v54
	v_add_f32_e32 v58, v58, v59
	v_mul_f32_e32 v59, v52, v57
	v_fmac_f32_e32 v59, v53, v56
	v_add_f32_e32 v66, v58, v59
	ds_read_b128 v[58:61], v102 offset:784
	v_mul_f32_e32 v3, v43, v47
	v_fma_f32 v3, v42, v46, -v3
	v_add_f32_e32 v2, v2, v3
	v_mul_f32_e32 v3, v45, v49
	s_waitcnt lgkmcnt(0)
	v_mul_f32_e32 v67, v58, v63
	v_fmac_f32_e32 v67, v59, v62
	v_add_f32_e32 v66, v66, v67
	v_mul_f32_e32 v67, v60, v65
	v_fmac_f32_e32 v67, v61, v64
	v_add_f32_e32 v74, v66, v67
	ds_read_b128 v[66:69], v102 offset:800
	v_fma_f32 v3, v44, v48, -v3
	v_add_f32_e32 v2, v2, v3
	v_mul_f32_e32 v3, v51, v55
	v_fma_f32 v3, v50, v54, -v3
	s_waitcnt lgkmcnt(0)
	v_mul_f32_e32 v75, v66, v71
	v_fmac_f32_e32 v75, v67, v70
	v_add_f32_e32 v74, v74, v75
	v_mul_f32_e32 v75, v68, v73
	v_fmac_f32_e32 v75, v69, v72
	v_add_f32_e32 v82, v74, v75
	ds_read_b128 v[74:77], v102 offset:816
	v_add_f32_e32 v2, v2, v3
	v_mul_f32_e32 v3, v53, v57
	v_fma_f32 v3, v52, v56, -v3
	v_add_f32_e32 v2, v2, v3
	s_waitcnt lgkmcnt(0)
	v_mul_f32_e32 v83, v74, v79
	v_fmac_f32_e32 v83, v75, v78
	v_add_f32_e32 v82, v82, v83
	v_mul_f32_e32 v83, v76, v81
	v_fmac_f32_e32 v83, v77, v80
	v_add_f32_e32 v90, v82, v83
	ds_read_b128 v[82:85], v102 offset:832
	v_mul_f32_e32 v3, v59, v63
	v_fma_f32 v3, v58, v62, -v3
	v_add_f32_e32 v2, v2, v3
	v_mul_f32_e32 v3, v61, v65
	;; [unrolled: 36-line block ×4, first 2 shown]
	s_waitcnt lgkmcnt(0)
	v_mul_f32_e32 v140, v132, v137
	v_fmac_f32_e32 v140, v133, v136
	v_add_f32_e32 v149, v103, v140
	ds_read_b128 v[140:143], v102 offset:944
	scratch_load_dwordx4 v[172:175], off, off offset:448
	scratch_load_dwordx4 v[176:179], off, off offset:464
	;; [unrolled: 1-line block ×3, first 2 shown]
	scratch_load_dwordx2 v[184:185], off, off offset:496
	v_fma_f32 v3, v92, v96, -v3
	v_add_f32_e32 v2, v2, v3
	v_mul_f32_e32 v3, v99, v105
	v_fma_f32 v3, v98, v104, -v3
	v_add_f32_e32 v2, v2, v3
	v_mul_f32_e32 v3, v101, v107
	;; [unrolled: 3-line block ×10, first 2 shown]
	v_mul_f32_e32 v153, v134, v139
	v_fma_f32 v152, v134, v138, -v2
	s_waitcnt lgkmcnt(0)
	v_mul_f32_e32 v2, v141, v145
	v_fmac_f32_e32 v153, v135, v138
	v_mul_f32_e32 v155, v140, v145
	v_fma_f32 v154, v140, v144, -v2
	ds_read_b128 v[2:5], v102 offset:960
	ds_read_b128 v[6:9], v102 offset:976
	;; [unrolled: 1-line block ×3, first 2 shown]
	ds_read_b64 v[14:15], v102 offset:1008
	v_pk_mul_f32 v[18:19], v[142:143], v[18:19] op_sel:[1,0] op_sel_hi:[0,0]
	v_fmac_f32_e32 v155, v141, v144
	v_pk_add_f32 v[16:17], v[148:149], v[152:153]
	v_pk_fma_f32 v[20:21], v[142:143], v[146:147], v[18:19] neg_lo:[0,0,1] neg_hi:[0,0,1]
	v_pk_fma_f32 v[18:19], v[142:143], v[146:147], v[18:19] op_sel_hi:[1,0,1]
	v_pk_add_f32 v[16:17], v[16:17], v[154:155]
	v_mov_b32_e32 v21, v19
	v_pk_add_f32 v[16:17], v[16:17], v[20:21]
	s_waitcnt vmcnt(3) lgkmcnt(3)
	v_pk_mul_f32 v[18:19], v[2:3], v[172:173] op_sel:[1,1] op_sel_hi:[0,1]
	v_pk_fma_f32 v[20:21], v[2:3], v[172:173], v[18:19] neg_lo:[0,0,1] neg_hi:[0,0,1]
	v_pk_fma_f32 v[2:3], v[2:3], v[172:173], v[18:19] op_sel_hi:[1,0,1]
	s_nop 0
	v_mov_b32_e32 v21, v3
	v_pk_add_f32 v[2:3], v[16:17], v[20:21]
	v_mov_b32_e32 v16, v175
	v_pk_mul_f32 v[16:17], v[4:5], v[16:17] op_sel:[1,0] op_sel_hi:[0,0]
	v_pk_fma_f32 v[18:19], v[4:5], v[174:175], v[16:17] neg_lo:[0,0,1] neg_hi:[0,0,1]
	v_pk_fma_f32 v[4:5], v[4:5], v[174:175], v[16:17] op_sel_hi:[1,0,1]
	s_nop 0
	v_mov_b32_e32 v19, v5
	s_waitcnt vmcnt(2) lgkmcnt(2)
	v_pk_mul_f32 v[4:5], v[6:7], v[176:177] op_sel:[1,1] op_sel_hi:[0,1]
	v_pk_fma_f32 v[16:17], v[6:7], v[176:177], v[4:5] neg_lo:[0,0,1] neg_hi:[0,0,1]
	v_pk_fma_f32 v[4:5], v[6:7], v[176:177], v[4:5] op_sel_hi:[1,0,1]
	v_pk_add_f32 v[2:3], v[2:3], v[18:19]
	v_mov_b32_e32 v4, v179
	v_mov_b32_e32 v17, v5
	v_pk_mul_f32 v[4:5], v[8:9], v[4:5] op_sel:[1,0] op_sel_hi:[0,0]
	v_pk_fma_f32 v[6:7], v[8:9], v[178:179], v[4:5] neg_lo:[0,0,1] neg_hi:[0,0,1]
	v_pk_fma_f32 v[4:5], v[8:9], v[178:179], v[4:5] op_sel_hi:[1,0,1]
	v_pk_add_f32 v[2:3], v[2:3], v[16:17]
	v_mov_b32_e32 v7, v5
	s_waitcnt vmcnt(1) lgkmcnt(1)
	v_pk_mul_f32 v[4:5], v[10:11], v[180:181] op_sel:[1,1] op_sel_hi:[0,1]
	v_pk_add_f32 v[2:3], v[2:3], v[6:7]
	v_pk_fma_f32 v[6:7], v[10:11], v[180:181], v[4:5] neg_lo:[0,0,1] neg_hi:[0,0,1]
	v_pk_fma_f32 v[4:5], v[10:11], v[180:181], v[4:5] op_sel_hi:[1,0,1]
	s_nop 0
	v_mov_b32_e32 v4, v183
	v_mov_b32_e32 v7, v5
	v_pk_mul_f32 v[4:5], v[12:13], v[4:5] op_sel:[1,0] op_sel_hi:[0,0]
	v_pk_add_f32 v[2:3], v[2:3], v[6:7]
	v_pk_fma_f32 v[6:7], v[12:13], v[182:183], v[4:5] neg_lo:[0,0,1] neg_hi:[0,0,1]
	v_pk_fma_f32 v[4:5], v[12:13], v[182:183], v[4:5] op_sel_hi:[1,0,1]
	s_nop 0
	v_mov_b32_e32 v7, v5
	s_waitcnt vmcnt(0) lgkmcnt(0)
	v_pk_mul_f32 v[4:5], v[14:15], v[184:185] op_sel:[1,1] op_sel_hi:[0,1]
	v_pk_add_f32 v[2:3], v[2:3], v[6:7]
	v_pk_fma_f32 v[6:7], v[14:15], v[184:185], v[4:5] neg_lo:[0,0,1] neg_hi:[0,0,1]
	v_pk_fma_f32 v[4:5], v[14:15], v[184:185], v[4:5] op_sel_hi:[1,0,1]
	s_nop 0
	v_mov_b32_e32 v7, v5
	scratch_load_dwordx2 v[4:5], off, off offset:152
	v_pk_add_f32 v[2:3], v[2:3], v[6:7]
	s_waitcnt vmcnt(0)
	v_pk_add_f32 v[2:3], v[4:5], v[2:3] neg_lo:[0,1] neg_hi:[0,1]
	scratch_store_dwordx2 off, v[2:3], off offset:152
	s_and_saveexec_b64 s[0:1], vcc
	s_cbranch_execz .LBB126_355
; %bb.354:
	scratch_load_dwordx2 v[2:3], off, off offset:144
	v_mov_b32_e32 v103, v102
	scratch_store_dwordx2 off, v[102:103], off offset:144
	s_waitcnt vmcnt(1)
	ds_write_b64 v1, v[2:3]
.LBB126_355:
	s_or_b64 exec, exec, s[0:1]
	s_waitcnt lgkmcnt(0)
	; wave barrier
	scratch_load_dwordx4 v[6:9], off, off offset:152
	scratch_load_dwordx4 v[14:17], off, off offset:168
	;; [unrolled: 1-line block ×10, first 2 shown]
	ds_read2_b64 v[2:5], v102 offset0:83 offset1:84
	scratch_load_dwordx4 v[86:89], off, off offset:312
	scratch_load_dwordx4 v[94:97], off, off offset:328
	;; [unrolled: 1-line block ×8, first 2 shown]
	v_cmp_lt_u32_e32 vcc, 17, v0
	s_waitcnt vmcnt(17) lgkmcnt(0)
	v_mul_f32_e32 v10, v2, v7
	v_fmac_f32_e32 v10, v3, v6
	v_mul_f32_e32 v11, v4, v9
	v_add_f32_e32 v10, 0, v10
	v_fmac_f32_e32 v11, v5, v8
	v_add_f32_e32 v18, v10, v11
	ds_read2_b64 v[10:13], v102 offset0:85 offset1:86
	v_mul_f32_e32 v3, v3, v7
	v_fma_f32 v2, v2, v6, -v3
	v_mul_f32_e32 v3, v5, v9
	v_add_f32_e32 v2, 0, v2
	s_waitcnt vmcnt(16) lgkmcnt(0)
	v_mul_f32_e32 v19, v10, v15
	v_fmac_f32_e32 v19, v11, v14
	v_add_f32_e32 v18, v18, v19
	v_mul_f32_e32 v19, v12, v17
	v_fmac_f32_e32 v19, v13, v16
	v_add_f32_e32 v26, v18, v19
	ds_read2_b64 v[18:21], v102 offset0:87 offset1:88
	v_fma_f32 v3, v4, v8, -v3
	v_add_f32_e32 v2, v2, v3
	v_mul_f32_e32 v3, v11, v15
	v_fma_f32 v3, v10, v14, -v3
	s_waitcnt vmcnt(15) lgkmcnt(0)
	v_mul_f32_e32 v27, v18, v23
	v_fmac_f32_e32 v27, v19, v22
	v_add_f32_e32 v26, v26, v27
	v_mul_f32_e32 v27, v20, v25
	v_fmac_f32_e32 v27, v21, v24
	v_add_f32_e32 v34, v26, v27
	ds_read2_b64 v[26:29], v102 offset0:89 offset1:90
	v_add_f32_e32 v2, v2, v3
	v_mul_f32_e32 v3, v13, v17
	v_fma_f32 v3, v12, v16, -v3
	v_add_f32_e32 v2, v2, v3
	s_waitcnt vmcnt(14) lgkmcnt(0)
	v_mul_f32_e32 v35, v26, v31
	v_fmac_f32_e32 v35, v27, v30
	v_add_f32_e32 v34, v34, v35
	v_mul_f32_e32 v35, v28, v33
	v_fmac_f32_e32 v35, v29, v32
	v_add_f32_e32 v42, v34, v35
	ds_read2_b64 v[34:37], v102 offset0:91 offset1:92
	v_mul_f32_e32 v3, v19, v23
	v_fma_f32 v3, v18, v22, -v3
	v_add_f32_e32 v2, v2, v3
	v_mul_f32_e32 v3, v21, v25
	s_waitcnt vmcnt(13) lgkmcnt(0)
	v_mul_f32_e32 v43, v34, v39
	v_fmac_f32_e32 v43, v35, v38
	v_add_f32_e32 v42, v42, v43
	v_mul_f32_e32 v43, v36, v41
	v_fmac_f32_e32 v43, v37, v40
	v_add_f32_e32 v50, v42, v43
	ds_read2_b64 v[42:45], v102 offset0:93 offset1:94
	v_fma_f32 v3, v20, v24, -v3
	v_add_f32_e32 v2, v2, v3
	v_mul_f32_e32 v3, v27, v31
	v_fma_f32 v3, v26, v30, -v3
	s_waitcnt vmcnt(12) lgkmcnt(0)
	v_mul_f32_e32 v51, v42, v47
	v_fmac_f32_e32 v51, v43, v46
	v_add_f32_e32 v50, v50, v51
	v_mul_f32_e32 v51, v44, v49
	v_fmac_f32_e32 v51, v45, v48
	v_add_f32_e32 v58, v50, v51
	ds_read2_b64 v[50:53], v102 offset0:95 offset1:96
	v_add_f32_e32 v2, v2, v3
	v_mul_f32_e32 v3, v29, v33
	v_fma_f32 v3, v28, v32, -v3
	v_add_f32_e32 v2, v2, v3
	s_waitcnt vmcnt(11) lgkmcnt(0)
	v_mul_f32_e32 v59, v50, v55
	v_fmac_f32_e32 v59, v51, v54
	v_add_f32_e32 v58, v58, v59
	v_mul_f32_e32 v59, v52, v57
	v_fmac_f32_e32 v59, v53, v56
	v_add_f32_e32 v66, v58, v59
	ds_read2_b64 v[58:61], v102 offset0:97 offset1:98
	v_mul_f32_e32 v3, v35, v39
	v_fma_f32 v3, v34, v38, -v3
	v_add_f32_e32 v2, v2, v3
	v_mul_f32_e32 v3, v37, v41
	;; [unrolled: 36-line block ×5, first 2 shown]
	s_waitcnt vmcnt(1) lgkmcnt(0)
	v_mul_f32_e32 v140, v132, v137
	v_fmac_f32_e32 v140, v133, v136
	v_add_f32_e32 v103, v103, v140
	v_mul_f32_e32 v140, v134, v139
	v_fmac_f32_e32 v140, v135, v138
	v_add_f32_e32 v149, v103, v140
	ds_read2_b64 v[140:143], v102 offset0:117 offset1:118
	scratch_load_dwordx4 v[172:175], off, off offset:440
	scratch_load_dwordx4 v[176:179], off, off offset:456
	;; [unrolled: 1-line block ×4, first 2 shown]
	v_fma_f32 v3, v84, v88, -v3
	v_add_f32_e32 v2, v2, v3
	v_mul_f32_e32 v3, v91, v95
	v_fma_f32 v3, v90, v94, -v3
	v_add_f32_e32 v2, v2, v3
	v_mul_f32_e32 v3, v93, v97
	;; [unrolled: 3-line block ×12, first 2 shown]
	v_fma_f32 v3, v134, v138, -v3
	v_add_f32_e32 v148, v2, v3
	s_waitcnt vmcnt(4) lgkmcnt(0)
	v_mul_f32_e32 v2, v141, v145
	v_fma_f32 v152, v140, v144, -v2
	v_mul_f32_e32 v2, v143, v147
	v_fma_f32 v154, v142, v146, -v2
	ds_read2_b64 v[2:5], v102 offset0:119 offset1:120
	ds_read2_b64 v[6:9], v102 offset0:121 offset1:122
	;; [unrolled: 1-line block ×4, first 2 shown]
	v_mul_f32_e32 v153, v140, v145
	v_fmac_f32_e32 v153, v141, v144
	v_mul_f32_e32 v155, v142, v147
	v_fmac_f32_e32 v155, v143, v146
	v_pk_add_f32 v[18:19], v[148:149], v[152:153]
	s_waitcnt vmcnt(3) lgkmcnt(3)
	v_pk_mul_f32 v[20:21], v[2:3], v[172:173] op_sel:[1,1] op_sel_hi:[0,1]
	v_pk_fma_f32 v[22:23], v[2:3], v[172:173], v[20:21] neg_lo:[0,0,1] neg_hi:[0,0,1]
	v_pk_fma_f32 v[2:3], v[2:3], v[172:173], v[20:21] op_sel_hi:[1,0,1]
	v_pk_add_f32 v[18:19], v[18:19], v[154:155]
	v_mov_b32_e32 v23, v3
	v_pk_add_f32 v[2:3], v[18:19], v[22:23]
	v_mov_b32_e32 v18, v175
	v_pk_mul_f32 v[18:19], v[4:5], v[18:19] op_sel:[1,0] op_sel_hi:[0,0]
	v_pk_fma_f32 v[20:21], v[4:5], v[174:175], v[18:19] neg_lo:[0,0,1] neg_hi:[0,0,1]
	v_pk_fma_f32 v[4:5], v[4:5], v[174:175], v[18:19] op_sel_hi:[1,0,1]
	s_nop 0
	v_mov_b32_e32 v21, v5
	s_waitcnt vmcnt(2) lgkmcnt(2)
	v_pk_mul_f32 v[4:5], v[6:7], v[176:177] op_sel:[1,1] op_sel_hi:[0,1]
	v_pk_fma_f32 v[18:19], v[6:7], v[176:177], v[4:5] neg_lo:[0,0,1] neg_hi:[0,0,1]
	v_pk_fma_f32 v[4:5], v[6:7], v[176:177], v[4:5] op_sel_hi:[1,0,1]
	v_pk_add_f32 v[2:3], v[2:3], v[20:21]
	v_mov_b32_e32 v4, v179
	v_mov_b32_e32 v19, v5
	v_pk_mul_f32 v[4:5], v[8:9], v[4:5] op_sel:[1,0] op_sel_hi:[0,0]
	v_pk_fma_f32 v[6:7], v[8:9], v[178:179], v[4:5] neg_lo:[0,0,1] neg_hi:[0,0,1]
	v_pk_fma_f32 v[4:5], v[8:9], v[178:179], v[4:5] op_sel_hi:[1,0,1]
	v_pk_add_f32 v[2:3], v[2:3], v[18:19]
	v_mov_b32_e32 v7, v5
	s_waitcnt vmcnt(1) lgkmcnt(1)
	v_pk_mul_f32 v[4:5], v[10:11], v[180:181] op_sel:[1,1] op_sel_hi:[0,1]
	v_pk_add_f32 v[2:3], v[2:3], v[6:7]
	v_pk_fma_f32 v[6:7], v[10:11], v[180:181], v[4:5] neg_lo:[0,0,1] neg_hi:[0,0,1]
	v_pk_fma_f32 v[4:5], v[10:11], v[180:181], v[4:5] op_sel_hi:[1,0,1]
	s_nop 0
	v_mov_b32_e32 v4, v183
	v_mov_b32_e32 v7, v5
	v_pk_mul_f32 v[4:5], v[12:13], v[4:5] op_sel:[1,0] op_sel_hi:[0,0]
	v_pk_add_f32 v[2:3], v[2:3], v[6:7]
	v_pk_fma_f32 v[6:7], v[12:13], v[182:183], v[4:5] neg_lo:[0,0,1] neg_hi:[0,0,1]
	v_pk_fma_f32 v[4:5], v[12:13], v[182:183], v[4:5] op_sel_hi:[1,0,1]
	s_nop 0
	v_mov_b32_e32 v7, v5
	s_waitcnt vmcnt(0) lgkmcnt(0)
	v_pk_mul_f32 v[4:5], v[14:15], v[184:185] op_sel:[1,1] op_sel_hi:[0,1]
	v_pk_add_f32 v[2:3], v[2:3], v[6:7]
	v_pk_fma_f32 v[6:7], v[14:15], v[184:185], v[4:5] neg_lo:[0,0,1] neg_hi:[0,0,1]
	v_pk_fma_f32 v[4:5], v[14:15], v[184:185], v[4:5] op_sel_hi:[1,0,1]
	s_nop 0
	v_mov_b32_e32 v4, v187
	v_mov_b32_e32 v7, v5
	v_pk_mul_f32 v[4:5], v[16:17], v[4:5] op_sel:[1,0] op_sel_hi:[0,0]
	v_pk_add_f32 v[2:3], v[2:3], v[6:7]
	v_pk_fma_f32 v[6:7], v[16:17], v[186:187], v[4:5] neg_lo:[0,0,1] neg_hi:[0,0,1]
	v_pk_fma_f32 v[4:5], v[16:17], v[186:187], v[4:5] op_sel_hi:[1,0,1]
	s_nop 0
	v_mov_b32_e32 v7, v5
	scratch_load_dwordx2 v[4:5], off, off offset:144
	v_pk_add_f32 v[2:3], v[2:3], v[6:7]
	s_waitcnt vmcnt(0)
	v_pk_add_f32 v[2:3], v[4:5], v[2:3] neg_lo:[0,1] neg_hi:[0,1]
	scratch_store_dwordx2 off, v[2:3], off offset:144
	s_and_saveexec_b64 s[0:1], vcc
	s_cbranch_execz .LBB126_357
; %bb.356:
	scratch_load_dwordx2 v[2:3], off, off offset:136
	v_mov_b32_e32 v4, 0
	v_mov_b32_e32 v5, v4
	scratch_store_dwordx2 off, v[4:5], off offset:136
	s_waitcnt vmcnt(1)
	ds_write_b64 v1, v[2:3]
.LBB126_357:
	s_or_b64 exec, exec, s[0:1]
	v_mov_b32_e32 v110, 0
	s_waitcnt lgkmcnt(0)
	; wave barrier
	ds_read_b128 v[14:17], v110 offset:656
	ds_read_b128 v[10:13], v110 offset:672
	ds_read_b128 v[6:9], v110 offset:688
	ds_read_b128 v[2:5], v110 offset:704
	scratch_load_dwordx4 v[18:21], off, off offset:144
	scratch_load_dwordx4 v[38:41], off, off offset:208
	;; [unrolled: 1-line block ×13, first 2 shown]
	v_cmp_lt_u32_e32 vcc, 16, v0
	scratch_load_dwordx4 v[46:49], off, off offset:224
	scratch_load_dwordx4 v[54:57], off, off offset:240
	;; [unrolled: 1-line block ×3, first 2 shown]
	ds_read_b128 v[172:175], v110 offset:944
	s_waitcnt vmcnt(15) lgkmcnt(4)
	v_mul_f32_e32 v22, v14, v19
	v_fmac_f32_e32 v22, v15, v18
	v_mul_f32_e32 v23, v16, v21
	v_add_f32_e32 v22, 0, v22
	v_fmac_f32_e32 v23, v17, v20
	v_add_f32_e32 v26, v22, v23
	scratch_load_dwordx4 v[22:25], off, off offset:160
	v_mul_f32_e32 v15, v15, v19
	v_fma_f32 v14, v14, v18, -v15
	v_mul_f32_e32 v15, v17, v21
	v_add_f32_e32 v14, 0, v14
	v_fma_f32 v15, v16, v20, -v15
	v_add_f32_e32 v14, v14, v15
	s_waitcnt vmcnt(4)
	v_mov_b32_e32 v18, v179
	s_waitcnt lgkmcnt(0)
	v_mul_f32_e32 v155, v172, v177
	v_pk_mul_f32 v[18:19], v[174:175], v[18:19] op_sel:[1,0] op_sel_hi:[0,0]
	v_fmac_f32_e32 v155, v173, v176
	v_pk_fma_f32 v[20:21], v[174:175], v[178:179], v[18:19] neg_lo:[0,0,1] neg_hi:[0,0,1]
	v_pk_fma_f32 v[18:19], v[174:175], v[178:179], v[18:19] op_sel_hi:[1,0,1]
	s_waitcnt vmcnt(0)
	v_mul_f32_e32 v27, v10, v23
	v_fmac_f32_e32 v27, v11, v22
	v_add_f32_e32 v26, v26, v27
	v_mul_f32_e32 v27, v12, v25
	v_fmac_f32_e32 v27, v13, v24
	v_add_f32_e32 v30, v26, v27
	scratch_load_dwordx4 v[26:29], off, off offset:176
	v_mul_f32_e32 v11, v11, v23
	v_fma_f32 v10, v10, v22, -v11
	v_mul_f32_e32 v11, v13, v25
	v_add_f32_e32 v10, v14, v10
	v_fma_f32 v11, v12, v24, -v11
	v_add_f32_e32 v10, v10, v11
	v_mov_b32_e32 v21, v19
	s_waitcnt vmcnt(0)
	v_mul_f32_e32 v31, v6, v27
	v_fmac_f32_e32 v31, v7, v26
	v_add_f32_e32 v30, v30, v31
	v_mul_f32_e32 v31, v8, v29
	v_fmac_f32_e32 v31, v9, v28
	v_add_f32_e32 v34, v30, v31
	scratch_load_dwordx4 v[30:33], off, off offset:192
	v_mul_f32_e32 v7, v7, v27
	v_fma_f32 v6, v6, v26, -v7
	v_mul_f32_e32 v7, v9, v29
	v_add_f32_e32 v6, v10, v6
	v_fma_f32 v7, v8, v28, -v7
	v_add_f32_e32 v6, v6, v7
	s_waitcnt vmcnt(0)
	v_mul_f32_e32 v35, v2, v31
	v_fmac_f32_e32 v35, v3, v30
	v_add_f32_e32 v34, v34, v35
	v_mul_f32_e32 v35, v4, v33
	v_fmac_f32_e32 v35, v5, v32
	v_add_f32_e32 v42, v34, v35
	ds_read_b128 v[34:37], v110 offset:720
	v_mul_f32_e32 v3, v3, v31
	v_fma_f32 v2, v2, v30, -v3
	v_mul_f32_e32 v3, v5, v33
	v_add_f32_e32 v2, v6, v2
	s_waitcnt lgkmcnt(0)
	v_mul_f32_e32 v43, v34, v39
	v_fmac_f32_e32 v43, v35, v38
	v_add_f32_e32 v42, v42, v43
	v_mul_f32_e32 v43, v36, v41
	v_fmac_f32_e32 v43, v37, v40
	v_add_f32_e32 v50, v42, v43
	ds_read_b128 v[42:45], v110 offset:736
	v_fma_f32 v3, v4, v32, -v3
	v_add_f32_e32 v2, v2, v3
	v_mul_f32_e32 v3, v35, v39
	v_fma_f32 v3, v34, v38, -v3
	s_waitcnt lgkmcnt(0)
	v_mul_f32_e32 v51, v42, v47
	v_fmac_f32_e32 v51, v43, v46
	v_add_f32_e32 v50, v50, v51
	v_mul_f32_e32 v51, v44, v49
	v_fmac_f32_e32 v51, v45, v48
	v_add_f32_e32 v58, v50, v51
	ds_read_b128 v[50:53], v110 offset:752
	v_add_f32_e32 v2, v2, v3
	v_mul_f32_e32 v3, v37, v41
	v_fma_f32 v3, v36, v40, -v3
	v_add_f32_e32 v2, v2, v3
	s_waitcnt lgkmcnt(0)
	v_mul_f32_e32 v59, v50, v55
	v_fmac_f32_e32 v59, v51, v54
	v_add_f32_e32 v58, v58, v59
	v_mul_f32_e32 v59, v52, v57
	v_fmac_f32_e32 v59, v53, v56
	v_add_f32_e32 v66, v58, v59
	ds_read_b128 v[58:61], v110 offset:768
	v_mul_f32_e32 v3, v43, v47
	v_fma_f32 v3, v42, v46, -v3
	v_add_f32_e32 v2, v2, v3
	v_mul_f32_e32 v3, v45, v49
	s_waitcnt lgkmcnt(0)
	v_mul_f32_e32 v67, v58, v63
	v_fmac_f32_e32 v67, v59, v62
	v_add_f32_e32 v66, v66, v67
	v_mul_f32_e32 v67, v60, v65
	v_fmac_f32_e32 v67, v61, v64
	v_add_f32_e32 v74, v66, v67
	ds_read_b128 v[66:69], v110 offset:784
	v_fma_f32 v3, v44, v48, -v3
	v_add_f32_e32 v2, v2, v3
	v_mul_f32_e32 v3, v51, v55
	v_fma_f32 v3, v50, v54, -v3
	s_waitcnt lgkmcnt(0)
	v_mul_f32_e32 v75, v66, v71
	v_fmac_f32_e32 v75, v67, v70
	v_add_f32_e32 v74, v74, v75
	v_mul_f32_e32 v75, v68, v73
	v_fmac_f32_e32 v75, v69, v72
	v_add_f32_e32 v82, v74, v75
	ds_read_b128 v[74:77], v110 offset:800
	v_add_f32_e32 v2, v2, v3
	v_mul_f32_e32 v3, v53, v57
	v_fma_f32 v3, v52, v56, -v3
	v_add_f32_e32 v2, v2, v3
	s_waitcnt lgkmcnt(0)
	v_mul_f32_e32 v83, v74, v79
	v_fmac_f32_e32 v83, v75, v78
	v_add_f32_e32 v82, v82, v83
	v_mul_f32_e32 v83, v76, v81
	v_fmac_f32_e32 v83, v77, v80
	v_add_f32_e32 v90, v82, v83
	ds_read_b128 v[82:85], v110 offset:816
	v_mul_f32_e32 v3, v59, v63
	v_fma_f32 v3, v58, v62, -v3
	v_add_f32_e32 v2, v2, v3
	v_mul_f32_e32 v3, v61, v65
	;; [unrolled: 36-line block ×4, first 2 shown]
	s_waitcnt lgkmcnt(0)
	v_mul_f32_e32 v140, v132, v137
	v_fmac_f32_e32 v140, v133, v136
	v_add_f32_e32 v111, v111, v140
	v_mul_f32_e32 v140, v134, v139
	v_fmac_f32_e32 v140, v135, v138
	v_add_f32_e32 v111, v111, v140
	ds_read_b128 v[140:143], v110 offset:928
	scratch_load_dwordx4 v[180:183], off, off offset:448
	scratch_load_dwordx4 v[184:187], off, off offset:464
	;; [unrolled: 1-line block ×3, first 2 shown]
	scratch_load_dwordx2 v[192:193], off, off offset:496
	v_fma_f32 v3, v92, v96, -v3
	v_add_f32_e32 v2, v2, v3
	v_mul_f32_e32 v3, v99, v103
	v_fma_f32 v3, v98, v102, -v3
	v_add_f32_e32 v2, v2, v3
	v_mul_f32_e32 v3, v101, v105
	;; [unrolled: 3-line block ×10, first 2 shown]
	v_fma_f32 v3, v134, v138, -v3
	s_waitcnt lgkmcnt(0)
	v_mul_f32_e32 v148, v140, v145
	v_add_f32_e32 v2, v2, v3
	v_mul_f32_e32 v3, v141, v145
	v_fmac_f32_e32 v148, v141, v144
	v_fma_f32 v3, v140, v144, -v3
	v_add_f32_e32 v149, v111, v148
	v_add_f32_e32 v148, v2, v3
	v_mul_f32_e32 v2, v143, v147
	v_mul_f32_e32 v153, v142, v147
	v_fma_f32 v152, v142, v146, -v2
	v_mul_f32_e32 v2, v173, v177
	v_fmac_f32_e32 v153, v143, v146
	v_fma_f32 v154, v172, v176, -v2
	ds_read_b128 v[2:5], v110 offset:960
	ds_read_b128 v[6:9], v110 offset:976
	;; [unrolled: 1-line block ×3, first 2 shown]
	ds_read_b64 v[14:15], v110 offset:1008
	v_pk_add_f32 v[16:17], v[148:149], v[152:153]
	s_waitcnt vmcnt(3) lgkmcnt(3)
	v_pk_mul_f32 v[18:19], v[2:3], v[180:181] op_sel:[1,1] op_sel_hi:[0,1]
	v_pk_add_f32 v[16:17], v[16:17], v[154:155]
	s_nop 0
	v_pk_add_f32 v[16:17], v[16:17], v[20:21]
	v_pk_fma_f32 v[20:21], v[2:3], v[180:181], v[18:19] neg_lo:[0,0,1] neg_hi:[0,0,1]
	v_pk_fma_f32 v[2:3], v[2:3], v[180:181], v[18:19] op_sel_hi:[1,0,1]
	s_nop 0
	v_mov_b32_e32 v21, v3
	v_pk_add_f32 v[2:3], v[16:17], v[20:21]
	v_mov_b32_e32 v16, v183
	v_pk_mul_f32 v[16:17], v[4:5], v[16:17] op_sel:[1,0] op_sel_hi:[0,0]
	v_pk_fma_f32 v[18:19], v[4:5], v[182:183], v[16:17] neg_lo:[0,0,1] neg_hi:[0,0,1]
	v_pk_fma_f32 v[4:5], v[4:5], v[182:183], v[16:17] op_sel_hi:[1,0,1]
	s_nop 0
	v_mov_b32_e32 v19, v5
	s_waitcnt vmcnt(2) lgkmcnt(2)
	v_pk_mul_f32 v[4:5], v[6:7], v[184:185] op_sel:[1,1] op_sel_hi:[0,1]
	v_pk_fma_f32 v[16:17], v[6:7], v[184:185], v[4:5] neg_lo:[0,0,1] neg_hi:[0,0,1]
	v_pk_fma_f32 v[4:5], v[6:7], v[184:185], v[4:5] op_sel_hi:[1,0,1]
	v_pk_add_f32 v[2:3], v[2:3], v[18:19]
	v_mov_b32_e32 v4, v187
	v_mov_b32_e32 v17, v5
	v_pk_mul_f32 v[4:5], v[8:9], v[4:5] op_sel:[1,0] op_sel_hi:[0,0]
	v_pk_fma_f32 v[6:7], v[8:9], v[186:187], v[4:5] neg_lo:[0,0,1] neg_hi:[0,0,1]
	v_pk_fma_f32 v[4:5], v[8:9], v[186:187], v[4:5] op_sel_hi:[1,0,1]
	v_pk_add_f32 v[2:3], v[2:3], v[16:17]
	v_mov_b32_e32 v7, v5
	s_waitcnt vmcnt(1) lgkmcnt(1)
	v_pk_mul_f32 v[4:5], v[10:11], v[188:189] op_sel:[1,1] op_sel_hi:[0,1]
	v_pk_add_f32 v[2:3], v[2:3], v[6:7]
	v_pk_fma_f32 v[6:7], v[10:11], v[188:189], v[4:5] neg_lo:[0,0,1] neg_hi:[0,0,1]
	v_pk_fma_f32 v[4:5], v[10:11], v[188:189], v[4:5] op_sel_hi:[1,0,1]
	s_nop 0
	v_mov_b32_e32 v4, v191
	v_mov_b32_e32 v7, v5
	v_pk_mul_f32 v[4:5], v[12:13], v[4:5] op_sel:[1,0] op_sel_hi:[0,0]
	v_pk_add_f32 v[2:3], v[2:3], v[6:7]
	v_pk_fma_f32 v[6:7], v[12:13], v[190:191], v[4:5] neg_lo:[0,0,1] neg_hi:[0,0,1]
	v_pk_fma_f32 v[4:5], v[12:13], v[190:191], v[4:5] op_sel_hi:[1,0,1]
	s_nop 0
	v_mov_b32_e32 v7, v5
	s_waitcnt vmcnt(0) lgkmcnt(0)
	v_pk_mul_f32 v[4:5], v[14:15], v[192:193] op_sel:[1,1] op_sel_hi:[0,1]
	v_pk_add_f32 v[2:3], v[2:3], v[6:7]
	v_pk_fma_f32 v[6:7], v[14:15], v[192:193], v[4:5] neg_lo:[0,0,1] neg_hi:[0,0,1]
	v_pk_fma_f32 v[4:5], v[14:15], v[192:193], v[4:5] op_sel_hi:[1,0,1]
	s_nop 0
	v_mov_b32_e32 v7, v5
	scratch_load_dwordx2 v[4:5], off, off offset:136
	v_pk_add_f32 v[2:3], v[2:3], v[6:7]
	s_waitcnt vmcnt(0)
	v_pk_add_f32 v[2:3], v[4:5], v[2:3] neg_lo:[0,1] neg_hi:[0,1]
	scratch_store_dwordx2 off, v[2:3], off offset:136
	s_and_saveexec_b64 s[0:1], vcc
	s_cbranch_execz .LBB126_359
; %bb.358:
	scratch_load_dwordx2 v[2:3], off, off offset:128
	v_mov_b32_e32 v111, v110
	scratch_store_dwordx2 off, v[110:111], off offset:128
	s_waitcnt vmcnt(1)
	ds_write_b64 v1, v[2:3]
.LBB126_359:
	s_or_b64 exec, exec, s[0:1]
	s_waitcnt lgkmcnt(0)
	; wave barrier
	scratch_load_dwordx4 v[6:9], off, off offset:136
	scratch_load_dwordx4 v[14:17], off, off offset:152
	;; [unrolled: 1-line block ×10, first 2 shown]
	ds_read2_b64 v[2:5], v110 offset0:81 offset1:82
	ds_read2_b64 v[172:175], v110 offset0:117 offset1:118
	scratch_load_dwordx4 v[86:89], off, off offset:296
	scratch_load_dwordx4 v[94:97], off, off offset:312
	;; [unrolled: 1-line block ×9, first 2 shown]
	v_cmp_lt_u32_e32 vcc, 15, v0
	s_waitcnt vmcnt(18) lgkmcnt(1)
	v_mul_f32_e32 v10, v2, v7
	v_fmac_f32_e32 v10, v3, v6
	v_mul_f32_e32 v11, v4, v9
	v_add_f32_e32 v10, 0, v10
	v_fmac_f32_e32 v11, v5, v8
	v_add_f32_e32 v18, v10, v11
	ds_read2_b64 v[10:13], v110 offset0:83 offset1:84
	v_mul_f32_e32 v3, v3, v7
	v_fma_f32 v2, v2, v6, -v3
	v_mul_f32_e32 v3, v5, v9
	v_add_f32_e32 v2, 0, v2
	s_waitcnt vmcnt(17) lgkmcnt(0)
	v_mul_f32_e32 v19, v10, v15
	v_fmac_f32_e32 v19, v11, v14
	v_add_f32_e32 v18, v18, v19
	v_mul_f32_e32 v19, v12, v17
	v_fmac_f32_e32 v19, v13, v16
	v_add_f32_e32 v26, v18, v19
	ds_read2_b64 v[18:21], v110 offset0:85 offset1:86
	v_fma_f32 v3, v4, v8, -v3
	v_add_f32_e32 v2, v2, v3
	v_mul_f32_e32 v3, v11, v15
	v_fma_f32 v3, v10, v14, -v3
	s_waitcnt vmcnt(16) lgkmcnt(0)
	v_mul_f32_e32 v27, v18, v23
	v_fmac_f32_e32 v27, v19, v22
	v_add_f32_e32 v26, v26, v27
	v_mul_f32_e32 v27, v20, v25
	v_fmac_f32_e32 v27, v21, v24
	v_add_f32_e32 v34, v26, v27
	ds_read2_b64 v[26:29], v110 offset0:87 offset1:88
	v_add_f32_e32 v2, v2, v3
	v_mul_f32_e32 v3, v13, v17
	v_fma_f32 v3, v12, v16, -v3
	v_add_f32_e32 v2, v2, v3
	s_waitcnt vmcnt(15) lgkmcnt(0)
	v_mul_f32_e32 v35, v26, v31
	v_fmac_f32_e32 v35, v27, v30
	v_add_f32_e32 v34, v34, v35
	v_mul_f32_e32 v35, v28, v33
	v_fmac_f32_e32 v35, v29, v32
	v_add_f32_e32 v42, v34, v35
	ds_read2_b64 v[34:37], v110 offset0:89 offset1:90
	v_mul_f32_e32 v3, v19, v23
	v_fma_f32 v3, v18, v22, -v3
	v_add_f32_e32 v2, v2, v3
	v_mul_f32_e32 v3, v21, v25
	s_waitcnt vmcnt(14) lgkmcnt(0)
	v_mul_f32_e32 v43, v34, v39
	v_fmac_f32_e32 v43, v35, v38
	v_add_f32_e32 v42, v42, v43
	v_mul_f32_e32 v43, v36, v41
	v_fmac_f32_e32 v43, v37, v40
	v_add_f32_e32 v50, v42, v43
	ds_read2_b64 v[42:45], v110 offset0:91 offset1:92
	v_fma_f32 v3, v20, v24, -v3
	v_add_f32_e32 v2, v2, v3
	v_mul_f32_e32 v3, v27, v31
	v_fma_f32 v3, v26, v30, -v3
	s_waitcnt vmcnt(13) lgkmcnt(0)
	v_mul_f32_e32 v51, v42, v47
	v_fmac_f32_e32 v51, v43, v46
	v_add_f32_e32 v50, v50, v51
	v_mul_f32_e32 v51, v44, v49
	v_fmac_f32_e32 v51, v45, v48
	v_add_f32_e32 v58, v50, v51
	ds_read2_b64 v[50:53], v110 offset0:93 offset1:94
	v_add_f32_e32 v2, v2, v3
	v_mul_f32_e32 v3, v29, v33
	v_fma_f32 v3, v28, v32, -v3
	v_add_f32_e32 v2, v2, v3
	s_waitcnt vmcnt(12) lgkmcnt(0)
	v_mul_f32_e32 v59, v50, v55
	v_fmac_f32_e32 v59, v51, v54
	v_add_f32_e32 v58, v58, v59
	v_mul_f32_e32 v59, v52, v57
	v_fmac_f32_e32 v59, v53, v56
	v_add_f32_e32 v66, v58, v59
	ds_read2_b64 v[58:61], v110 offset0:95 offset1:96
	v_mul_f32_e32 v3, v35, v39
	v_fma_f32 v3, v34, v38, -v3
	v_add_f32_e32 v2, v2, v3
	v_mul_f32_e32 v3, v37, v41
	;; [unrolled: 36-line block ×5, first 2 shown]
	s_waitcnt vmcnt(2) lgkmcnt(0)
	v_mul_f32_e32 v140, v132, v137
	v_fmac_f32_e32 v140, v133, v136
	v_add_f32_e32 v111, v111, v140
	v_mul_f32_e32 v140, v134, v139
	v_fmac_f32_e32 v140, v135, v138
	v_add_f32_e32 v111, v111, v140
	ds_read2_b64 v[140:143], v110 offset0:115 offset1:116
	scratch_load_dwordx4 v[180:183], off, off offset:440
	scratch_load_dwordx4 v[184:187], off, off offset:456
	;; [unrolled: 1-line block ×4, first 2 shown]
	v_fma_f32 v3, v84, v88, -v3
	v_add_f32_e32 v2, v2, v3
	v_mul_f32_e32 v3, v91, v95
	v_fma_f32 v3, v90, v94, -v3
	v_add_f32_e32 v2, v2, v3
	v_mul_f32_e32 v3, v93, v97
	v_fma_f32 v3, v92, v96, -v3
	v_add_f32_e32 v2, v2, v3
	v_mul_f32_e32 v3, v99, v103
	v_fma_f32 v3, v98, v102, -v3
	v_add_f32_e32 v2, v2, v3
	v_mul_f32_e32 v3, v101, v105
	v_fma_f32 v3, v100, v104, -v3
	v_add_f32_e32 v2, v2, v3
	v_mul_f32_e32 v3, v107, v113
	v_fma_f32 v3, v106, v112, -v3
	v_add_f32_e32 v2, v2, v3
	v_mul_f32_e32 v3, v109, v115
	v_fma_f32 v3, v108, v114, -v3
	v_add_f32_e32 v2, v2, v3
	v_mul_f32_e32 v3, v117, v121
	v_fma_f32 v3, v116, v120, -v3
	v_add_f32_e32 v2, v2, v3
	v_mul_f32_e32 v3, v119, v123
	v_fma_f32 v3, v118, v122, -v3
	v_add_f32_e32 v2, v2, v3
	v_mul_f32_e32 v3, v125, v129
	v_fma_f32 v3, v124, v128, -v3
	v_add_f32_e32 v2, v2, v3
	v_mul_f32_e32 v3, v127, v131
	v_fma_f32 v3, v126, v130, -v3
	v_add_f32_e32 v2, v2, v3
	v_mul_f32_e32 v3, v133, v137
	v_fma_f32 v3, v132, v136, -v3
	v_add_f32_e32 v2, v2, v3
	v_mul_f32_e32 v3, v135, v139
	v_fma_f32 v3, v134, v138, -v3
	s_waitcnt vmcnt(5) lgkmcnt(0)
	v_mul_f32_e32 v148, v140, v145
	v_add_f32_e32 v2, v2, v3
	v_mul_f32_e32 v3, v141, v145
	v_fmac_f32_e32 v148, v141, v144
	v_fma_f32 v3, v140, v144, -v3
	v_add_f32_e32 v111, v111, v148
	v_mul_f32_e32 v148, v142, v147
	v_add_f32_e32 v2, v2, v3
	v_mul_f32_e32 v3, v143, v147
	v_fmac_f32_e32 v148, v143, v146
	v_fma_f32 v3, v142, v146, -v3
	v_add_f32_e32 v149, v111, v148
	v_add_f32_e32 v148, v2, v3
	s_waitcnt vmcnt(4)
	v_mul_f32_e32 v2, v173, v177
	v_fma_f32 v152, v172, v176, -v2
	v_mul_f32_e32 v2, v175, v179
	v_fma_f32 v154, v174, v178, -v2
	ds_read2_b64 v[2:5], v110 offset0:119 offset1:120
	ds_read2_b64 v[6:9], v110 offset0:121 offset1:122
	;; [unrolled: 1-line block ×4, first 2 shown]
	v_mul_f32_e32 v153, v172, v177
	v_fmac_f32_e32 v153, v173, v176
	v_mul_f32_e32 v155, v174, v179
	v_fmac_f32_e32 v155, v175, v178
	v_pk_add_f32 v[18:19], v[148:149], v[152:153]
	s_waitcnt vmcnt(3) lgkmcnt(3)
	v_pk_mul_f32 v[20:21], v[2:3], v[180:181] op_sel:[1,1] op_sel_hi:[0,1]
	v_pk_fma_f32 v[22:23], v[2:3], v[180:181], v[20:21] neg_lo:[0,0,1] neg_hi:[0,0,1]
	v_pk_fma_f32 v[2:3], v[2:3], v[180:181], v[20:21] op_sel_hi:[1,0,1]
	v_pk_add_f32 v[18:19], v[18:19], v[154:155]
	v_mov_b32_e32 v23, v3
	v_pk_add_f32 v[2:3], v[18:19], v[22:23]
	v_mov_b32_e32 v18, v183
	v_pk_mul_f32 v[18:19], v[4:5], v[18:19] op_sel:[1,0] op_sel_hi:[0,0]
	v_pk_fma_f32 v[20:21], v[4:5], v[182:183], v[18:19] neg_lo:[0,0,1] neg_hi:[0,0,1]
	v_pk_fma_f32 v[4:5], v[4:5], v[182:183], v[18:19] op_sel_hi:[1,0,1]
	s_nop 0
	v_mov_b32_e32 v21, v5
	s_waitcnt vmcnt(2) lgkmcnt(2)
	v_pk_mul_f32 v[4:5], v[6:7], v[184:185] op_sel:[1,1] op_sel_hi:[0,1]
	v_pk_fma_f32 v[18:19], v[6:7], v[184:185], v[4:5] neg_lo:[0,0,1] neg_hi:[0,0,1]
	v_pk_fma_f32 v[4:5], v[6:7], v[184:185], v[4:5] op_sel_hi:[1,0,1]
	v_pk_add_f32 v[2:3], v[2:3], v[20:21]
	v_mov_b32_e32 v4, v187
	v_mov_b32_e32 v19, v5
	v_pk_mul_f32 v[4:5], v[8:9], v[4:5] op_sel:[1,0] op_sel_hi:[0,0]
	v_pk_fma_f32 v[6:7], v[8:9], v[186:187], v[4:5] neg_lo:[0,0,1] neg_hi:[0,0,1]
	v_pk_fma_f32 v[4:5], v[8:9], v[186:187], v[4:5] op_sel_hi:[1,0,1]
	v_pk_add_f32 v[2:3], v[2:3], v[18:19]
	v_mov_b32_e32 v7, v5
	s_waitcnt vmcnt(1) lgkmcnt(1)
	v_pk_mul_f32 v[4:5], v[10:11], v[188:189] op_sel:[1,1] op_sel_hi:[0,1]
	v_pk_add_f32 v[2:3], v[2:3], v[6:7]
	v_pk_fma_f32 v[6:7], v[10:11], v[188:189], v[4:5] neg_lo:[0,0,1] neg_hi:[0,0,1]
	v_pk_fma_f32 v[4:5], v[10:11], v[188:189], v[4:5] op_sel_hi:[1,0,1]
	s_nop 0
	v_mov_b32_e32 v4, v191
	v_mov_b32_e32 v7, v5
	v_pk_mul_f32 v[4:5], v[12:13], v[4:5] op_sel:[1,0] op_sel_hi:[0,0]
	v_pk_add_f32 v[2:3], v[2:3], v[6:7]
	v_pk_fma_f32 v[6:7], v[12:13], v[190:191], v[4:5] neg_lo:[0,0,1] neg_hi:[0,0,1]
	v_pk_fma_f32 v[4:5], v[12:13], v[190:191], v[4:5] op_sel_hi:[1,0,1]
	s_nop 0
	v_mov_b32_e32 v7, v5
	s_waitcnt vmcnt(0) lgkmcnt(0)
	v_pk_mul_f32 v[4:5], v[14:15], v[192:193] op_sel:[1,1] op_sel_hi:[0,1]
	v_pk_add_f32 v[2:3], v[2:3], v[6:7]
	v_pk_fma_f32 v[6:7], v[14:15], v[192:193], v[4:5] neg_lo:[0,0,1] neg_hi:[0,0,1]
	v_pk_fma_f32 v[4:5], v[14:15], v[192:193], v[4:5] op_sel_hi:[1,0,1]
	s_nop 0
	v_mov_b32_e32 v4, v195
	v_mov_b32_e32 v7, v5
	v_pk_mul_f32 v[4:5], v[16:17], v[4:5] op_sel:[1,0] op_sel_hi:[0,0]
	v_pk_add_f32 v[2:3], v[2:3], v[6:7]
	v_pk_fma_f32 v[6:7], v[16:17], v[194:195], v[4:5] neg_lo:[0,0,1] neg_hi:[0,0,1]
	v_pk_fma_f32 v[4:5], v[16:17], v[194:195], v[4:5] op_sel_hi:[1,0,1]
	s_nop 0
	v_mov_b32_e32 v7, v5
	scratch_load_dwordx2 v[4:5], off, off offset:128
	v_pk_add_f32 v[2:3], v[2:3], v[6:7]
	s_waitcnt vmcnt(0)
	v_pk_add_f32 v[2:3], v[4:5], v[2:3] neg_lo:[0,1] neg_hi:[0,1]
	scratch_store_dwordx2 off, v[2:3], off offset:128
	s_and_saveexec_b64 s[0:1], vcc
	s_cbranch_execz .LBB126_361
; %bb.360:
	scratch_load_dwordx2 v[2:3], off, off offset:120
	v_mov_b32_e32 v4, 0
	v_mov_b32_e32 v5, v4
	scratch_store_dwordx2 off, v[4:5], off offset:120
	s_waitcnt vmcnt(1)
	ds_write_b64 v1, v[2:3]
.LBB126_361:
	s_or_b64 exec, exec, s[0:1]
	v_mov_b32_e32 v118, 0
	s_waitcnt lgkmcnt(0)
	; wave barrier
	ds_read_b128 v[14:17], v118 offset:640
	ds_read_b128 v[10:13], v118 offset:656
	;; [unrolled: 1-line block ×4, first 2 shown]
	scratch_load_dwordx4 v[18:21], off, off offset:128
	scratch_load_dwordx4 v[38:41], off, off offset:192
	;; [unrolled: 1-line block ×14, first 2 shown]
	v_cmp_lt_u32_e32 vcc, 14, v0
	scratch_load_dwordx4 v[46:49], off, off offset:208
	scratch_load_dwordx4 v[54:57], off, off offset:224
	;; [unrolled: 1-line block ×3, first 2 shown]
	ds_read_b128 v[172:175], v118 offset:928
	ds_read_b128 v[180:183], v118 offset:944
	s_waitcnt vmcnt(16) lgkmcnt(5)
	v_mul_f32_e32 v22, v14, v19
	v_fmac_f32_e32 v22, v15, v18
	v_mul_f32_e32 v23, v16, v21
	v_add_f32_e32 v22, 0, v22
	v_fmac_f32_e32 v23, v17, v20
	v_add_f32_e32 v26, v22, v23
	scratch_load_dwordx4 v[22:25], off, off offset:144
	v_mul_f32_e32 v15, v15, v19
	v_fma_f32 v14, v14, v18, -v15
	v_mul_f32_e32 v15, v17, v21
	v_add_f32_e32 v14, 0, v14
	v_fma_f32 v15, v16, v20, -v15
	v_add_f32_e32 v14, v14, v15
	s_waitcnt vmcnt(5) lgkmcnt(1)
	v_mul_f32_e32 v153, v174, v179
	s_waitcnt vmcnt(4)
	v_mov_b32_e32 v18, v187
	v_fmac_f32_e32 v153, v175, v178
	s_waitcnt lgkmcnt(0)
	v_mul_f32_e32 v155, v180, v185
	v_pk_mul_f32 v[18:19], v[182:183], v[18:19] op_sel:[1,0] op_sel_hi:[0,0]
	v_fmac_f32_e32 v155, v181, v184
	v_pk_fma_f32 v[20:21], v[182:183], v[186:187], v[18:19] neg_lo:[0,0,1] neg_hi:[0,0,1]
	v_pk_fma_f32 v[18:19], v[182:183], v[186:187], v[18:19] op_sel_hi:[1,0,1]
	s_waitcnt vmcnt(0)
	v_mul_f32_e32 v27, v10, v23
	v_fmac_f32_e32 v27, v11, v22
	v_add_f32_e32 v26, v26, v27
	v_mul_f32_e32 v27, v12, v25
	v_fmac_f32_e32 v27, v13, v24
	v_add_f32_e32 v30, v26, v27
	scratch_load_dwordx4 v[26:29], off, off offset:160
	v_mul_f32_e32 v11, v11, v23
	v_fma_f32 v10, v10, v22, -v11
	v_mul_f32_e32 v11, v13, v25
	v_add_f32_e32 v10, v14, v10
	v_fma_f32 v11, v12, v24, -v11
	v_add_f32_e32 v10, v10, v11
	v_mov_b32_e32 v21, v19
	s_waitcnt vmcnt(0)
	v_mul_f32_e32 v31, v6, v27
	v_fmac_f32_e32 v31, v7, v26
	v_add_f32_e32 v30, v30, v31
	v_mul_f32_e32 v31, v8, v29
	v_fmac_f32_e32 v31, v9, v28
	v_add_f32_e32 v34, v30, v31
	scratch_load_dwordx4 v[30:33], off, off offset:176
	v_mul_f32_e32 v7, v7, v27
	v_fma_f32 v6, v6, v26, -v7
	v_mul_f32_e32 v7, v9, v29
	v_add_f32_e32 v6, v10, v6
	v_fma_f32 v7, v8, v28, -v7
	v_add_f32_e32 v6, v6, v7
	s_waitcnt vmcnt(0)
	v_mul_f32_e32 v35, v2, v31
	v_fmac_f32_e32 v35, v3, v30
	v_add_f32_e32 v34, v34, v35
	v_mul_f32_e32 v35, v4, v33
	v_fmac_f32_e32 v35, v5, v32
	v_add_f32_e32 v42, v34, v35
	ds_read_b128 v[34:37], v118 offset:704
	v_mul_f32_e32 v3, v3, v31
	v_fma_f32 v2, v2, v30, -v3
	v_mul_f32_e32 v3, v5, v33
	v_add_f32_e32 v2, v6, v2
	s_waitcnt lgkmcnt(0)
	v_mul_f32_e32 v43, v34, v39
	v_fmac_f32_e32 v43, v35, v38
	v_add_f32_e32 v42, v42, v43
	v_mul_f32_e32 v43, v36, v41
	v_fmac_f32_e32 v43, v37, v40
	v_add_f32_e32 v50, v42, v43
	ds_read_b128 v[42:45], v118 offset:720
	v_fma_f32 v3, v4, v32, -v3
	v_add_f32_e32 v2, v2, v3
	v_mul_f32_e32 v3, v35, v39
	v_fma_f32 v3, v34, v38, -v3
	s_waitcnt lgkmcnt(0)
	v_mul_f32_e32 v51, v42, v47
	v_fmac_f32_e32 v51, v43, v46
	v_add_f32_e32 v50, v50, v51
	v_mul_f32_e32 v51, v44, v49
	v_fmac_f32_e32 v51, v45, v48
	v_add_f32_e32 v58, v50, v51
	ds_read_b128 v[50:53], v118 offset:736
	v_add_f32_e32 v2, v2, v3
	v_mul_f32_e32 v3, v37, v41
	v_fma_f32 v3, v36, v40, -v3
	v_add_f32_e32 v2, v2, v3
	s_waitcnt lgkmcnt(0)
	v_mul_f32_e32 v59, v50, v55
	v_fmac_f32_e32 v59, v51, v54
	v_add_f32_e32 v58, v58, v59
	v_mul_f32_e32 v59, v52, v57
	v_fmac_f32_e32 v59, v53, v56
	v_add_f32_e32 v66, v58, v59
	ds_read_b128 v[58:61], v118 offset:752
	v_mul_f32_e32 v3, v43, v47
	v_fma_f32 v3, v42, v46, -v3
	v_add_f32_e32 v2, v2, v3
	v_mul_f32_e32 v3, v45, v49
	s_waitcnt lgkmcnt(0)
	v_mul_f32_e32 v67, v58, v63
	v_fmac_f32_e32 v67, v59, v62
	v_add_f32_e32 v66, v66, v67
	v_mul_f32_e32 v67, v60, v65
	v_fmac_f32_e32 v67, v61, v64
	v_add_f32_e32 v74, v66, v67
	ds_read_b128 v[66:69], v118 offset:768
	v_fma_f32 v3, v44, v48, -v3
	v_add_f32_e32 v2, v2, v3
	v_mul_f32_e32 v3, v51, v55
	v_fma_f32 v3, v50, v54, -v3
	s_waitcnt lgkmcnt(0)
	v_mul_f32_e32 v75, v66, v71
	v_fmac_f32_e32 v75, v67, v70
	v_add_f32_e32 v74, v74, v75
	v_mul_f32_e32 v75, v68, v73
	v_fmac_f32_e32 v75, v69, v72
	v_add_f32_e32 v82, v74, v75
	ds_read_b128 v[74:77], v118 offset:784
	v_add_f32_e32 v2, v2, v3
	v_mul_f32_e32 v3, v53, v57
	v_fma_f32 v3, v52, v56, -v3
	v_add_f32_e32 v2, v2, v3
	s_waitcnt lgkmcnt(0)
	v_mul_f32_e32 v83, v74, v79
	v_fmac_f32_e32 v83, v75, v78
	v_add_f32_e32 v82, v82, v83
	v_mul_f32_e32 v83, v76, v81
	v_fmac_f32_e32 v83, v77, v80
	v_add_f32_e32 v90, v82, v83
	ds_read_b128 v[82:85], v118 offset:800
	v_mul_f32_e32 v3, v59, v63
	v_fma_f32 v3, v58, v62, -v3
	v_add_f32_e32 v2, v2, v3
	v_mul_f32_e32 v3, v61, v65
	;; [unrolled: 36-line block ×4, first 2 shown]
	s_waitcnt lgkmcnt(0)
	v_mul_f32_e32 v140, v132, v137
	v_fmac_f32_e32 v140, v133, v136
	v_add_f32_e32 v119, v119, v140
	v_mul_f32_e32 v140, v134, v139
	v_fmac_f32_e32 v140, v135, v138
	v_add_f32_e32 v119, v119, v140
	ds_read_b128 v[140:143], v118 offset:912
	scratch_load_dwordx4 v[188:191], off, off offset:448
	scratch_load_dwordx4 v[192:195], off, off offset:464
	;; [unrolled: 1-line block ×3, first 2 shown]
	scratch_load_dwordx2 v[200:201], off, off offset:496
	v_fma_f32 v3, v92, v96, -v3
	v_add_f32_e32 v2, v2, v3
	v_mul_f32_e32 v3, v99, v103
	v_fma_f32 v3, v98, v102, -v3
	v_add_f32_e32 v2, v2, v3
	v_mul_f32_e32 v3, v101, v105
	;; [unrolled: 3-line block ×10, first 2 shown]
	v_fma_f32 v3, v134, v138, -v3
	s_waitcnt lgkmcnt(0)
	v_mul_f32_e32 v148, v140, v145
	v_add_f32_e32 v2, v2, v3
	v_mul_f32_e32 v3, v141, v145
	v_fmac_f32_e32 v148, v141, v144
	v_fma_f32 v3, v140, v144, -v3
	v_add_f32_e32 v119, v119, v148
	v_mul_f32_e32 v148, v142, v147
	v_add_f32_e32 v2, v2, v3
	v_mul_f32_e32 v3, v143, v147
	v_fmac_f32_e32 v148, v143, v146
	v_fma_f32 v3, v142, v146, -v3
	v_add_f32_e32 v119, v119, v148
	;; [unrolled: 6-line block ×3, first 2 shown]
	v_add_f32_e32 v148, v2, v3
	v_mul_f32_e32 v2, v175, v179
	v_fma_f32 v152, v174, v178, -v2
	v_mul_f32_e32 v2, v181, v185
	v_fma_f32 v154, v180, v184, -v2
	ds_read_b128 v[2:5], v118 offset:960
	ds_read_b128 v[6:9], v118 offset:976
	;; [unrolled: 1-line block ×3, first 2 shown]
	ds_read_b64 v[14:15], v118 offset:1008
	v_pk_add_f32 v[16:17], v[148:149], v[152:153]
	s_waitcnt vmcnt(3) lgkmcnt(3)
	v_pk_mul_f32 v[18:19], v[2:3], v[188:189] op_sel:[1,1] op_sel_hi:[0,1]
	v_pk_add_f32 v[16:17], v[16:17], v[154:155]
	s_nop 0
	v_pk_add_f32 v[16:17], v[16:17], v[20:21]
	v_pk_fma_f32 v[20:21], v[2:3], v[188:189], v[18:19] neg_lo:[0,0,1] neg_hi:[0,0,1]
	v_pk_fma_f32 v[2:3], v[2:3], v[188:189], v[18:19] op_sel_hi:[1,0,1]
	s_nop 0
	v_mov_b32_e32 v21, v3
	v_pk_add_f32 v[2:3], v[16:17], v[20:21]
	v_mov_b32_e32 v16, v191
	v_pk_mul_f32 v[16:17], v[4:5], v[16:17] op_sel:[1,0] op_sel_hi:[0,0]
	v_pk_fma_f32 v[18:19], v[4:5], v[190:191], v[16:17] neg_lo:[0,0,1] neg_hi:[0,0,1]
	v_pk_fma_f32 v[4:5], v[4:5], v[190:191], v[16:17] op_sel_hi:[1,0,1]
	s_nop 0
	v_mov_b32_e32 v19, v5
	s_waitcnt vmcnt(2) lgkmcnt(2)
	v_pk_mul_f32 v[4:5], v[6:7], v[192:193] op_sel:[1,1] op_sel_hi:[0,1]
	v_pk_fma_f32 v[16:17], v[6:7], v[192:193], v[4:5] neg_lo:[0,0,1] neg_hi:[0,0,1]
	v_pk_fma_f32 v[4:5], v[6:7], v[192:193], v[4:5] op_sel_hi:[1,0,1]
	v_pk_add_f32 v[2:3], v[2:3], v[18:19]
	v_mov_b32_e32 v4, v195
	v_mov_b32_e32 v17, v5
	v_pk_mul_f32 v[4:5], v[8:9], v[4:5] op_sel:[1,0] op_sel_hi:[0,0]
	v_pk_fma_f32 v[6:7], v[8:9], v[194:195], v[4:5] neg_lo:[0,0,1] neg_hi:[0,0,1]
	v_pk_fma_f32 v[4:5], v[8:9], v[194:195], v[4:5] op_sel_hi:[1,0,1]
	v_pk_add_f32 v[2:3], v[2:3], v[16:17]
	v_mov_b32_e32 v7, v5
	s_waitcnt vmcnt(1) lgkmcnt(1)
	v_pk_mul_f32 v[4:5], v[10:11], v[196:197] op_sel:[1,1] op_sel_hi:[0,1]
	v_pk_add_f32 v[2:3], v[2:3], v[6:7]
	v_pk_fma_f32 v[6:7], v[10:11], v[196:197], v[4:5] neg_lo:[0,0,1] neg_hi:[0,0,1]
	v_pk_fma_f32 v[4:5], v[10:11], v[196:197], v[4:5] op_sel_hi:[1,0,1]
	s_nop 0
	v_mov_b32_e32 v4, v199
	v_mov_b32_e32 v7, v5
	v_pk_mul_f32 v[4:5], v[12:13], v[4:5] op_sel:[1,0] op_sel_hi:[0,0]
	v_pk_add_f32 v[2:3], v[2:3], v[6:7]
	v_pk_fma_f32 v[6:7], v[12:13], v[198:199], v[4:5] neg_lo:[0,0,1] neg_hi:[0,0,1]
	v_pk_fma_f32 v[4:5], v[12:13], v[198:199], v[4:5] op_sel_hi:[1,0,1]
	s_nop 0
	v_mov_b32_e32 v7, v5
	s_waitcnt vmcnt(0) lgkmcnt(0)
	v_pk_mul_f32 v[4:5], v[14:15], v[200:201] op_sel:[1,1] op_sel_hi:[0,1]
	v_pk_add_f32 v[2:3], v[2:3], v[6:7]
	v_pk_fma_f32 v[6:7], v[14:15], v[200:201], v[4:5] neg_lo:[0,0,1] neg_hi:[0,0,1]
	v_pk_fma_f32 v[4:5], v[14:15], v[200:201], v[4:5] op_sel_hi:[1,0,1]
	s_nop 0
	v_mov_b32_e32 v7, v5
	scratch_load_dwordx2 v[4:5], off, off offset:120
	v_pk_add_f32 v[2:3], v[2:3], v[6:7]
	s_waitcnt vmcnt(0)
	v_pk_add_f32 v[2:3], v[4:5], v[2:3] neg_lo:[0,1] neg_hi:[0,1]
	scratch_store_dwordx2 off, v[2:3], off offset:120
	s_and_saveexec_b64 s[0:1], vcc
	s_cbranch_execz .LBB126_363
; %bb.362:
	scratch_load_dwordx2 v[2:3], off, off offset:112
	v_mov_b32_e32 v119, v118
	scratch_store_dwordx2 off, v[118:119], off offset:112
	s_waitcnt vmcnt(1)
	ds_write_b64 v1, v[2:3]
.LBB126_363:
	s_or_b64 exec, exec, s[0:1]
	s_waitcnt lgkmcnt(0)
	; wave barrier
	scratch_load_dwordx4 v[6:9], off, off offset:120
	scratch_load_dwordx4 v[14:17], off, off offset:136
	;; [unrolled: 1-line block ×10, first 2 shown]
	ds_read2_b64 v[2:5], v118 offset0:79 offset1:80
	ds_read2_b64 v[172:175], v118 offset0:115 offset1:116
	scratch_load_dwordx4 v[86:89], off, off offset:280
	scratch_load_dwordx4 v[94:97], off, off offset:296
	;; [unrolled: 1-line block ×10, first 2 shown]
	v_cmp_lt_u32_e32 vcc, 13, v0
	ds_read2_b64 v[180:183], v118 offset0:117 offset1:118
	s_waitcnt vmcnt(19) lgkmcnt(2)
	v_mul_f32_e32 v10, v2, v7
	v_fmac_f32_e32 v10, v3, v6
	v_mul_f32_e32 v11, v4, v9
	v_add_f32_e32 v10, 0, v10
	v_fmac_f32_e32 v11, v5, v8
	v_add_f32_e32 v18, v10, v11
	ds_read2_b64 v[10:13], v118 offset0:81 offset1:82
	v_mul_f32_e32 v3, v3, v7
	v_fma_f32 v2, v2, v6, -v3
	v_mul_f32_e32 v3, v5, v9
	v_add_f32_e32 v2, 0, v2
	s_waitcnt vmcnt(18) lgkmcnt(0)
	v_mul_f32_e32 v19, v10, v15
	v_fmac_f32_e32 v19, v11, v14
	v_add_f32_e32 v18, v18, v19
	v_mul_f32_e32 v19, v12, v17
	v_fmac_f32_e32 v19, v13, v16
	v_add_f32_e32 v26, v18, v19
	ds_read2_b64 v[18:21], v118 offset0:83 offset1:84
	v_fma_f32 v3, v4, v8, -v3
	v_add_f32_e32 v2, v2, v3
	v_mul_f32_e32 v3, v11, v15
	v_fma_f32 v3, v10, v14, -v3
	s_waitcnt vmcnt(17) lgkmcnt(0)
	v_mul_f32_e32 v27, v18, v23
	v_fmac_f32_e32 v27, v19, v22
	v_add_f32_e32 v26, v26, v27
	v_mul_f32_e32 v27, v20, v25
	v_fmac_f32_e32 v27, v21, v24
	v_add_f32_e32 v34, v26, v27
	ds_read2_b64 v[26:29], v118 offset0:85 offset1:86
	v_add_f32_e32 v2, v2, v3
	v_mul_f32_e32 v3, v13, v17
	v_fma_f32 v3, v12, v16, -v3
	v_add_f32_e32 v2, v2, v3
	s_waitcnt vmcnt(16) lgkmcnt(0)
	v_mul_f32_e32 v35, v26, v31
	v_fmac_f32_e32 v35, v27, v30
	v_add_f32_e32 v34, v34, v35
	v_mul_f32_e32 v35, v28, v33
	v_fmac_f32_e32 v35, v29, v32
	v_add_f32_e32 v42, v34, v35
	ds_read2_b64 v[34:37], v118 offset0:87 offset1:88
	v_mul_f32_e32 v3, v19, v23
	v_fma_f32 v3, v18, v22, -v3
	v_add_f32_e32 v2, v2, v3
	v_mul_f32_e32 v3, v21, v25
	s_waitcnt vmcnt(15) lgkmcnt(0)
	v_mul_f32_e32 v43, v34, v39
	v_fmac_f32_e32 v43, v35, v38
	v_add_f32_e32 v42, v42, v43
	v_mul_f32_e32 v43, v36, v41
	v_fmac_f32_e32 v43, v37, v40
	v_add_f32_e32 v50, v42, v43
	ds_read2_b64 v[42:45], v118 offset0:89 offset1:90
	v_fma_f32 v3, v20, v24, -v3
	v_add_f32_e32 v2, v2, v3
	v_mul_f32_e32 v3, v27, v31
	v_fma_f32 v3, v26, v30, -v3
	s_waitcnt vmcnt(14) lgkmcnt(0)
	v_mul_f32_e32 v51, v42, v47
	v_fmac_f32_e32 v51, v43, v46
	v_add_f32_e32 v50, v50, v51
	v_mul_f32_e32 v51, v44, v49
	v_fmac_f32_e32 v51, v45, v48
	v_add_f32_e32 v58, v50, v51
	ds_read2_b64 v[50:53], v118 offset0:91 offset1:92
	v_add_f32_e32 v2, v2, v3
	v_mul_f32_e32 v3, v29, v33
	v_fma_f32 v3, v28, v32, -v3
	v_add_f32_e32 v2, v2, v3
	s_waitcnt vmcnt(13) lgkmcnt(0)
	v_mul_f32_e32 v59, v50, v55
	v_fmac_f32_e32 v59, v51, v54
	v_add_f32_e32 v58, v58, v59
	v_mul_f32_e32 v59, v52, v57
	v_fmac_f32_e32 v59, v53, v56
	v_add_f32_e32 v66, v58, v59
	ds_read2_b64 v[58:61], v118 offset0:93 offset1:94
	v_mul_f32_e32 v3, v35, v39
	v_fma_f32 v3, v34, v38, -v3
	v_add_f32_e32 v2, v2, v3
	v_mul_f32_e32 v3, v37, v41
	;; [unrolled: 36-line block ×5, first 2 shown]
	s_waitcnt vmcnt(3) lgkmcnt(0)
	v_mul_f32_e32 v140, v132, v137
	v_fmac_f32_e32 v140, v133, v136
	v_add_f32_e32 v119, v119, v140
	v_mul_f32_e32 v140, v134, v139
	v_fmac_f32_e32 v140, v135, v138
	v_add_f32_e32 v119, v119, v140
	ds_read2_b64 v[140:143], v118 offset0:113 offset1:114
	scratch_load_dwordx4 v[188:191], off, off offset:440
	scratch_load_dwordx4 v[192:195], off, off offset:456
	;; [unrolled: 1-line block ×4, first 2 shown]
	v_fma_f32 v3, v84, v88, -v3
	v_add_f32_e32 v2, v2, v3
	v_mul_f32_e32 v3, v91, v95
	v_fma_f32 v3, v90, v94, -v3
	v_add_f32_e32 v2, v2, v3
	v_mul_f32_e32 v3, v93, v97
	;; [unrolled: 3-line block ×12, first 2 shown]
	v_fma_f32 v3, v134, v138, -v3
	s_waitcnt vmcnt(6) lgkmcnt(0)
	v_mul_f32_e32 v148, v140, v145
	v_add_f32_e32 v2, v2, v3
	v_mul_f32_e32 v3, v141, v145
	v_fmac_f32_e32 v148, v141, v144
	v_fma_f32 v3, v140, v144, -v3
	v_add_f32_e32 v119, v119, v148
	v_mul_f32_e32 v148, v142, v147
	v_add_f32_e32 v2, v2, v3
	v_mul_f32_e32 v3, v143, v147
	v_fmac_f32_e32 v148, v143, v146
	v_fma_f32 v3, v142, v146, -v3
	v_add_f32_e32 v119, v119, v148
	s_waitcnt vmcnt(5)
	v_mul_f32_e32 v148, v172, v177
	v_add_f32_e32 v2, v2, v3
	v_mul_f32_e32 v3, v173, v177
	v_fmac_f32_e32 v148, v173, v176
	v_fma_f32 v3, v172, v176, -v3
	v_add_f32_e32 v119, v119, v148
	v_mul_f32_e32 v148, v174, v179
	v_add_f32_e32 v2, v2, v3
	v_mul_f32_e32 v3, v175, v179
	v_fmac_f32_e32 v148, v175, v178
	v_fma_f32 v3, v174, v178, -v3
	v_add_f32_e32 v149, v119, v148
	v_add_f32_e32 v148, v2, v3
	s_waitcnt vmcnt(4)
	v_mul_f32_e32 v2, v181, v185
	v_fma_f32 v152, v180, v184, -v2
	v_mul_f32_e32 v2, v183, v187
	v_fma_f32 v154, v182, v186, -v2
	ds_read2_b64 v[2:5], v118 offset0:119 offset1:120
	ds_read2_b64 v[6:9], v118 offset0:121 offset1:122
	;; [unrolled: 1-line block ×4, first 2 shown]
	v_mul_f32_e32 v153, v180, v185
	v_fmac_f32_e32 v153, v181, v184
	v_mul_f32_e32 v155, v182, v187
	v_fmac_f32_e32 v155, v183, v186
	v_pk_add_f32 v[18:19], v[148:149], v[152:153]
	s_waitcnt vmcnt(3) lgkmcnt(3)
	v_pk_mul_f32 v[20:21], v[2:3], v[188:189] op_sel:[1,1] op_sel_hi:[0,1]
	v_pk_fma_f32 v[22:23], v[2:3], v[188:189], v[20:21] neg_lo:[0,0,1] neg_hi:[0,0,1]
	v_pk_fma_f32 v[2:3], v[2:3], v[188:189], v[20:21] op_sel_hi:[1,0,1]
	v_pk_add_f32 v[18:19], v[18:19], v[154:155]
	v_mov_b32_e32 v23, v3
	v_pk_add_f32 v[2:3], v[18:19], v[22:23]
	v_mov_b32_e32 v18, v191
	v_pk_mul_f32 v[18:19], v[4:5], v[18:19] op_sel:[1,0] op_sel_hi:[0,0]
	v_pk_fma_f32 v[20:21], v[4:5], v[190:191], v[18:19] neg_lo:[0,0,1] neg_hi:[0,0,1]
	v_pk_fma_f32 v[4:5], v[4:5], v[190:191], v[18:19] op_sel_hi:[1,0,1]
	s_nop 0
	v_mov_b32_e32 v21, v5
	s_waitcnt vmcnt(2) lgkmcnt(2)
	v_pk_mul_f32 v[4:5], v[6:7], v[192:193] op_sel:[1,1] op_sel_hi:[0,1]
	v_pk_fma_f32 v[18:19], v[6:7], v[192:193], v[4:5] neg_lo:[0,0,1] neg_hi:[0,0,1]
	v_pk_fma_f32 v[4:5], v[6:7], v[192:193], v[4:5] op_sel_hi:[1,0,1]
	v_pk_add_f32 v[2:3], v[2:3], v[20:21]
	v_mov_b32_e32 v4, v195
	v_mov_b32_e32 v19, v5
	v_pk_mul_f32 v[4:5], v[8:9], v[4:5] op_sel:[1,0] op_sel_hi:[0,0]
	v_pk_fma_f32 v[6:7], v[8:9], v[194:195], v[4:5] neg_lo:[0,0,1] neg_hi:[0,0,1]
	v_pk_fma_f32 v[4:5], v[8:9], v[194:195], v[4:5] op_sel_hi:[1,0,1]
	v_pk_add_f32 v[2:3], v[2:3], v[18:19]
	v_mov_b32_e32 v7, v5
	s_waitcnt vmcnt(1) lgkmcnt(1)
	v_pk_mul_f32 v[4:5], v[10:11], v[196:197] op_sel:[1,1] op_sel_hi:[0,1]
	v_pk_add_f32 v[2:3], v[2:3], v[6:7]
	v_pk_fma_f32 v[6:7], v[10:11], v[196:197], v[4:5] neg_lo:[0,0,1] neg_hi:[0,0,1]
	v_pk_fma_f32 v[4:5], v[10:11], v[196:197], v[4:5] op_sel_hi:[1,0,1]
	s_nop 0
	v_mov_b32_e32 v4, v199
	v_mov_b32_e32 v7, v5
	v_pk_mul_f32 v[4:5], v[12:13], v[4:5] op_sel:[1,0] op_sel_hi:[0,0]
	v_pk_add_f32 v[2:3], v[2:3], v[6:7]
	v_pk_fma_f32 v[6:7], v[12:13], v[198:199], v[4:5] neg_lo:[0,0,1] neg_hi:[0,0,1]
	v_pk_fma_f32 v[4:5], v[12:13], v[198:199], v[4:5] op_sel_hi:[1,0,1]
	s_nop 0
	v_mov_b32_e32 v7, v5
	s_waitcnt vmcnt(0) lgkmcnt(0)
	v_pk_mul_f32 v[4:5], v[14:15], v[200:201] op_sel:[1,1] op_sel_hi:[0,1]
	v_pk_add_f32 v[2:3], v[2:3], v[6:7]
	v_pk_fma_f32 v[6:7], v[14:15], v[200:201], v[4:5] neg_lo:[0,0,1] neg_hi:[0,0,1]
	v_pk_fma_f32 v[4:5], v[14:15], v[200:201], v[4:5] op_sel_hi:[1,0,1]
	s_nop 0
	v_mov_b32_e32 v4, v203
	v_mov_b32_e32 v7, v5
	v_pk_mul_f32 v[4:5], v[16:17], v[4:5] op_sel:[1,0] op_sel_hi:[0,0]
	v_pk_add_f32 v[2:3], v[2:3], v[6:7]
	v_pk_fma_f32 v[6:7], v[16:17], v[202:203], v[4:5] neg_lo:[0,0,1] neg_hi:[0,0,1]
	v_pk_fma_f32 v[4:5], v[16:17], v[202:203], v[4:5] op_sel_hi:[1,0,1]
	s_nop 0
	v_mov_b32_e32 v7, v5
	scratch_load_dwordx2 v[4:5], off, off offset:112
	v_pk_add_f32 v[2:3], v[2:3], v[6:7]
	s_waitcnt vmcnt(0)
	v_pk_add_f32 v[2:3], v[4:5], v[2:3] neg_lo:[0,1] neg_hi:[0,1]
	scratch_store_dwordx2 off, v[2:3], off offset:112
	s_and_saveexec_b64 s[0:1], vcc
	s_cbranch_execz .LBB126_365
; %bb.364:
	scratch_load_dwordx2 v[2:3], off, off offset:104
	v_mov_b32_e32 v4, 0
	v_mov_b32_e32 v5, v4
	scratch_store_dwordx2 off, v[4:5], off offset:104
	s_waitcnt vmcnt(1)
	ds_write_b64 v1, v[2:3]
.LBB126_365:
	s_or_b64 exec, exec, s[0:1]
	v_mov_b32_e32 v134, 0
	s_waitcnt lgkmcnt(0)
	; wave barrier
	ds_read_b128 v[14:17], v134 offset:624
	ds_read_b128 v[10:13], v134 offset:640
	;; [unrolled: 1-line block ×4, first 2 shown]
	scratch_load_dwordx4 v[18:21], off, off offset:112
	scratch_load_dwordx4 v[38:41], off, off offset:176
	;; [unrolled: 1-line block ×15, first 2 shown]
	v_cmp_lt_u32_e32 vcc, 12, v0
	scratch_load_dwordx4 v[46:49], off, off offset:192
	scratch_load_dwordx4 v[54:57], off, off offset:208
	;; [unrolled: 1-line block ×3, first 2 shown]
	ds_read_b128 v[172:175], v134 offset:912
	ds_read_b128 v[180:183], v134 offset:928
	;; [unrolled: 1-line block ×3, first 2 shown]
	s_waitcnt vmcnt(17) lgkmcnt(6)
	v_mul_f32_e32 v22, v14, v19
	v_fmac_f32_e32 v22, v15, v18
	v_mul_f32_e32 v23, v16, v21
	v_add_f32_e32 v22, 0, v22
	v_fmac_f32_e32 v23, v17, v20
	v_add_f32_e32 v26, v22, v23
	scratch_load_dwordx4 v[22:25], off, off offset:128
	v_mul_f32_e32 v15, v15, v19
	v_fma_f32 v14, v14, v18, -v15
	v_mul_f32_e32 v15, v17, v21
	v_add_f32_e32 v14, 0, v14
	v_fma_f32 v15, v16, v20, -v15
	v_add_f32_e32 v14, v14, v15
	s_waitcnt vmcnt(5) lgkmcnt(1)
	v_mul_f32_e32 v153, v182, v187
	s_waitcnt vmcnt(4)
	v_mov_b32_e32 v18, v195
	v_fmac_f32_e32 v153, v183, v186
	s_waitcnt lgkmcnt(0)
	v_mul_f32_e32 v155, v188, v193
	v_pk_mul_f32 v[18:19], v[190:191], v[18:19] op_sel:[1,0] op_sel_hi:[0,0]
	v_fmac_f32_e32 v155, v189, v192
	v_pk_fma_f32 v[20:21], v[190:191], v[194:195], v[18:19] neg_lo:[0,0,1] neg_hi:[0,0,1]
	v_pk_fma_f32 v[18:19], v[190:191], v[194:195], v[18:19] op_sel_hi:[1,0,1]
	s_waitcnt vmcnt(0)
	v_mul_f32_e32 v27, v10, v23
	v_fmac_f32_e32 v27, v11, v22
	v_add_f32_e32 v26, v26, v27
	v_mul_f32_e32 v27, v12, v25
	v_fmac_f32_e32 v27, v13, v24
	v_add_f32_e32 v30, v26, v27
	scratch_load_dwordx4 v[26:29], off, off offset:144
	v_mul_f32_e32 v11, v11, v23
	v_fma_f32 v10, v10, v22, -v11
	v_mul_f32_e32 v11, v13, v25
	v_add_f32_e32 v10, v14, v10
	v_fma_f32 v11, v12, v24, -v11
	v_add_f32_e32 v10, v10, v11
	v_mov_b32_e32 v21, v19
	s_waitcnt vmcnt(0)
	v_mul_f32_e32 v31, v6, v27
	v_fmac_f32_e32 v31, v7, v26
	v_add_f32_e32 v30, v30, v31
	v_mul_f32_e32 v31, v8, v29
	v_fmac_f32_e32 v31, v9, v28
	v_add_f32_e32 v34, v30, v31
	scratch_load_dwordx4 v[30:33], off, off offset:160
	v_mul_f32_e32 v7, v7, v27
	v_fma_f32 v6, v6, v26, -v7
	v_mul_f32_e32 v7, v9, v29
	v_add_f32_e32 v6, v10, v6
	v_fma_f32 v7, v8, v28, -v7
	v_add_f32_e32 v6, v6, v7
	s_waitcnt vmcnt(0)
	v_mul_f32_e32 v35, v2, v31
	v_fmac_f32_e32 v35, v3, v30
	v_add_f32_e32 v34, v34, v35
	v_mul_f32_e32 v35, v4, v33
	v_fmac_f32_e32 v35, v5, v32
	v_add_f32_e32 v42, v34, v35
	ds_read_b128 v[34:37], v134 offset:688
	v_mul_f32_e32 v3, v3, v31
	v_fma_f32 v2, v2, v30, -v3
	v_mul_f32_e32 v3, v5, v33
	v_add_f32_e32 v2, v6, v2
	s_waitcnt lgkmcnt(0)
	v_mul_f32_e32 v43, v34, v39
	v_fmac_f32_e32 v43, v35, v38
	v_add_f32_e32 v42, v42, v43
	v_mul_f32_e32 v43, v36, v41
	v_fmac_f32_e32 v43, v37, v40
	v_add_f32_e32 v50, v42, v43
	ds_read_b128 v[42:45], v134 offset:704
	v_fma_f32 v3, v4, v32, -v3
	v_add_f32_e32 v2, v2, v3
	v_mul_f32_e32 v3, v35, v39
	v_fma_f32 v3, v34, v38, -v3
	s_waitcnt lgkmcnt(0)
	v_mul_f32_e32 v51, v42, v47
	v_fmac_f32_e32 v51, v43, v46
	v_add_f32_e32 v50, v50, v51
	v_mul_f32_e32 v51, v44, v49
	v_fmac_f32_e32 v51, v45, v48
	v_add_f32_e32 v58, v50, v51
	ds_read_b128 v[50:53], v134 offset:720
	v_add_f32_e32 v2, v2, v3
	v_mul_f32_e32 v3, v37, v41
	v_fma_f32 v3, v36, v40, -v3
	v_add_f32_e32 v2, v2, v3
	s_waitcnt lgkmcnt(0)
	v_mul_f32_e32 v59, v50, v55
	v_fmac_f32_e32 v59, v51, v54
	v_add_f32_e32 v58, v58, v59
	v_mul_f32_e32 v59, v52, v57
	v_fmac_f32_e32 v59, v53, v56
	v_add_f32_e32 v66, v58, v59
	ds_read_b128 v[58:61], v134 offset:736
	v_mul_f32_e32 v3, v43, v47
	v_fma_f32 v3, v42, v46, -v3
	v_add_f32_e32 v2, v2, v3
	v_mul_f32_e32 v3, v45, v49
	s_waitcnt lgkmcnt(0)
	v_mul_f32_e32 v67, v58, v63
	v_fmac_f32_e32 v67, v59, v62
	v_add_f32_e32 v66, v66, v67
	v_mul_f32_e32 v67, v60, v65
	v_fmac_f32_e32 v67, v61, v64
	v_add_f32_e32 v74, v66, v67
	ds_read_b128 v[66:69], v134 offset:752
	v_fma_f32 v3, v44, v48, -v3
	v_add_f32_e32 v2, v2, v3
	v_mul_f32_e32 v3, v51, v55
	v_fma_f32 v3, v50, v54, -v3
	s_waitcnt lgkmcnt(0)
	v_mul_f32_e32 v75, v66, v71
	v_fmac_f32_e32 v75, v67, v70
	v_add_f32_e32 v74, v74, v75
	v_mul_f32_e32 v75, v68, v73
	v_fmac_f32_e32 v75, v69, v72
	v_add_f32_e32 v82, v74, v75
	ds_read_b128 v[74:77], v134 offset:768
	v_add_f32_e32 v2, v2, v3
	v_mul_f32_e32 v3, v53, v57
	v_fma_f32 v3, v52, v56, -v3
	v_add_f32_e32 v2, v2, v3
	s_waitcnt lgkmcnt(0)
	v_mul_f32_e32 v83, v74, v79
	v_fmac_f32_e32 v83, v75, v78
	v_add_f32_e32 v82, v82, v83
	v_mul_f32_e32 v83, v76, v81
	v_fmac_f32_e32 v83, v77, v80
	v_add_f32_e32 v90, v82, v83
	ds_read_b128 v[82:85], v134 offset:784
	v_mul_f32_e32 v3, v59, v63
	v_fma_f32 v3, v58, v62, -v3
	v_add_f32_e32 v2, v2, v3
	v_mul_f32_e32 v3, v61, v65
	s_waitcnt lgkmcnt(0)
	v_mul_f32_e32 v91, v82, v87
	v_fmac_f32_e32 v91, v83, v86
	v_add_f32_e32 v90, v90, v91
	v_mul_f32_e32 v91, v84, v89
	v_fmac_f32_e32 v91, v85, v88
	v_add_f32_e32 v98, v90, v91
	ds_read_b128 v[90:93], v134 offset:800
	v_fma_f32 v3, v60, v64, -v3
	v_add_f32_e32 v2, v2, v3
	v_mul_f32_e32 v3, v67, v71
	v_fma_f32 v3, v66, v70, -v3
	s_waitcnt lgkmcnt(0)
	v_mul_f32_e32 v99, v90, v95
	v_fmac_f32_e32 v99, v91, v94
	v_add_f32_e32 v98, v98, v99
	v_mul_f32_e32 v99, v92, v97
	v_fmac_f32_e32 v99, v93, v96
	v_add_f32_e32 v106, v98, v99
	ds_read_b128 v[98:101], v134 offset:816
	v_add_f32_e32 v2, v2, v3
	v_mul_f32_e32 v3, v69, v73
	v_fma_f32 v3, v68, v72, -v3
	v_add_f32_e32 v2, v2, v3
	s_waitcnt lgkmcnt(0)
	v_mul_f32_e32 v107, v98, v103
	v_fmac_f32_e32 v107, v99, v102
	v_add_f32_e32 v106, v106, v107
	v_mul_f32_e32 v107, v100, v105
	v_fmac_f32_e32 v107, v101, v104
	v_add_f32_e32 v114, v106, v107
	ds_read_b128 v[106:109], v134 offset:832
	v_mul_f32_e32 v3, v75, v79
	v_fma_f32 v3, v74, v78, -v3
	v_add_f32_e32 v2, v2, v3
	v_mul_f32_e32 v3, v77, v81
	s_waitcnt lgkmcnt(0)
	v_mul_f32_e32 v115, v106, v111
	v_fmac_f32_e32 v115, v107, v110
	v_add_f32_e32 v114, v114, v115
	v_mul_f32_e32 v115, v108, v113
	v_fmac_f32_e32 v115, v109, v112
	v_add_f32_e32 v122, v114, v115
	ds_read_b128 v[114:117], v134 offset:848
	v_fma_f32 v3, v76, v80, -v3
	v_add_f32_e32 v2, v2, v3
	v_mul_f32_e32 v3, v83, v87
	v_fma_f32 v3, v82, v86, -v3
	s_waitcnt lgkmcnt(0)
	v_mul_f32_e32 v123, v114, v119
	v_fmac_f32_e32 v123, v115, v118
	v_add_f32_e32 v122, v122, v123
	v_mul_f32_e32 v123, v116, v121
	v_fmac_f32_e32 v123, v117, v120
	v_add_f32_e32 v130, v122, v123
	ds_read_b128 v[122:125], v134 offset:864
	v_add_f32_e32 v2, v2, v3
	v_mul_f32_e32 v3, v85, v89
	v_fma_f32 v3, v84, v88, -v3
	v_add_f32_e32 v2, v2, v3
	s_waitcnt lgkmcnt(0)
	v_mul_f32_e32 v131, v122, v127
	v_fmac_f32_e32 v131, v123, v126
	v_add_f32_e32 v130, v130, v131
	v_mul_f32_e32 v131, v124, v129
	v_fmac_f32_e32 v131, v125, v128
	v_add_f32_e32 v135, v130, v131
	ds_read_b128 v[130:133], v134 offset:880
	v_mul_f32_e32 v3, v91, v95
	v_fma_f32 v3, v90, v94, -v3
	v_add_f32_e32 v2, v2, v3
	v_mul_f32_e32 v3, v93, v97
	s_waitcnt lgkmcnt(0)
	v_mul_f32_e32 v140, v130, v137
	v_fmac_f32_e32 v140, v131, v136
	v_add_f32_e32 v135, v135, v140
	v_mul_f32_e32 v140, v132, v139
	v_fmac_f32_e32 v140, v133, v138
	v_add_f32_e32 v135, v135, v140
	ds_read_b128 v[140:143], v134 offset:896
	scratch_load_dwordx4 v[196:199], off, off offset:448
	scratch_load_dwordx4 v[200:203], off, off offset:464
	;; [unrolled: 1-line block ×3, first 2 shown]
	scratch_load_dwordx2 v[208:209], off, off offset:496
	v_fma_f32 v3, v92, v96, -v3
	v_add_f32_e32 v2, v2, v3
	v_mul_f32_e32 v3, v99, v103
	v_fma_f32 v3, v98, v102, -v3
	v_add_f32_e32 v2, v2, v3
	v_mul_f32_e32 v3, v101, v105
	v_fma_f32 v3, v100, v104, -v3
	v_add_f32_e32 v2, v2, v3
	v_mul_f32_e32 v3, v107, v111
	v_fma_f32 v3, v106, v110, -v3
	v_add_f32_e32 v2, v2, v3
	v_mul_f32_e32 v3, v109, v113
	v_fma_f32 v3, v108, v112, -v3
	v_add_f32_e32 v2, v2, v3
	v_mul_f32_e32 v3, v115, v119
	v_fma_f32 v3, v114, v118, -v3
	v_add_f32_e32 v2, v2, v3
	v_mul_f32_e32 v3, v117, v121
	v_fma_f32 v3, v116, v120, -v3
	v_add_f32_e32 v2, v2, v3
	v_mul_f32_e32 v3, v123, v127
	v_fma_f32 v3, v122, v126, -v3
	v_add_f32_e32 v2, v2, v3
	v_mul_f32_e32 v3, v125, v129
	v_fma_f32 v3, v124, v128, -v3
	v_add_f32_e32 v2, v2, v3
	v_mul_f32_e32 v3, v131, v137
	v_fma_f32 v3, v130, v136, -v3
	v_add_f32_e32 v2, v2, v3
	v_mul_f32_e32 v3, v133, v139
	v_fma_f32 v3, v132, v138, -v3
	s_waitcnt lgkmcnt(0)
	v_mul_f32_e32 v148, v140, v145
	v_add_f32_e32 v2, v2, v3
	v_mul_f32_e32 v3, v141, v145
	v_fmac_f32_e32 v148, v141, v144
	v_fma_f32 v3, v140, v144, -v3
	v_add_f32_e32 v135, v135, v148
	v_mul_f32_e32 v148, v142, v147
	v_add_f32_e32 v2, v2, v3
	v_mul_f32_e32 v3, v143, v147
	v_fmac_f32_e32 v148, v143, v146
	v_fma_f32 v3, v142, v146, -v3
	v_add_f32_e32 v135, v135, v148
	;; [unrolled: 6-line block ×5, first 2 shown]
	v_add_f32_e32 v148, v2, v3
	v_mul_f32_e32 v2, v183, v187
	v_fma_f32 v152, v182, v186, -v2
	v_mul_f32_e32 v2, v189, v193
	v_fma_f32 v154, v188, v192, -v2
	ds_read_b128 v[2:5], v134 offset:960
	ds_read_b128 v[6:9], v134 offset:976
	;; [unrolled: 1-line block ×3, first 2 shown]
	ds_read_b64 v[14:15], v134 offset:1008
	v_pk_add_f32 v[16:17], v[148:149], v[152:153]
	s_waitcnt vmcnt(3) lgkmcnt(3)
	v_pk_mul_f32 v[18:19], v[2:3], v[196:197] op_sel:[1,1] op_sel_hi:[0,1]
	v_pk_add_f32 v[16:17], v[16:17], v[154:155]
	s_nop 0
	v_pk_add_f32 v[16:17], v[16:17], v[20:21]
	v_pk_fma_f32 v[20:21], v[2:3], v[196:197], v[18:19] neg_lo:[0,0,1] neg_hi:[0,0,1]
	v_pk_fma_f32 v[2:3], v[2:3], v[196:197], v[18:19] op_sel_hi:[1,0,1]
	s_nop 0
	v_mov_b32_e32 v21, v3
	v_pk_add_f32 v[2:3], v[16:17], v[20:21]
	v_mov_b32_e32 v16, v199
	v_pk_mul_f32 v[16:17], v[4:5], v[16:17] op_sel:[1,0] op_sel_hi:[0,0]
	v_pk_fma_f32 v[18:19], v[4:5], v[198:199], v[16:17] neg_lo:[0,0,1] neg_hi:[0,0,1]
	v_pk_fma_f32 v[4:5], v[4:5], v[198:199], v[16:17] op_sel_hi:[1,0,1]
	s_nop 0
	v_mov_b32_e32 v19, v5
	s_waitcnt vmcnt(2) lgkmcnt(2)
	v_pk_mul_f32 v[4:5], v[6:7], v[200:201] op_sel:[1,1] op_sel_hi:[0,1]
	v_pk_fma_f32 v[16:17], v[6:7], v[200:201], v[4:5] neg_lo:[0,0,1] neg_hi:[0,0,1]
	v_pk_fma_f32 v[4:5], v[6:7], v[200:201], v[4:5] op_sel_hi:[1,0,1]
	v_pk_add_f32 v[2:3], v[2:3], v[18:19]
	v_mov_b32_e32 v4, v203
	v_mov_b32_e32 v17, v5
	v_pk_mul_f32 v[4:5], v[8:9], v[4:5] op_sel:[1,0] op_sel_hi:[0,0]
	v_pk_fma_f32 v[6:7], v[8:9], v[202:203], v[4:5] neg_lo:[0,0,1] neg_hi:[0,0,1]
	v_pk_fma_f32 v[4:5], v[8:9], v[202:203], v[4:5] op_sel_hi:[1,0,1]
	v_pk_add_f32 v[2:3], v[2:3], v[16:17]
	v_mov_b32_e32 v7, v5
	s_waitcnt vmcnt(1) lgkmcnt(1)
	v_pk_mul_f32 v[4:5], v[10:11], v[204:205] op_sel:[1,1] op_sel_hi:[0,1]
	v_pk_add_f32 v[2:3], v[2:3], v[6:7]
	v_pk_fma_f32 v[6:7], v[10:11], v[204:205], v[4:5] neg_lo:[0,0,1] neg_hi:[0,0,1]
	v_pk_fma_f32 v[4:5], v[10:11], v[204:205], v[4:5] op_sel_hi:[1,0,1]
	s_nop 0
	v_mov_b32_e32 v4, v207
	v_mov_b32_e32 v7, v5
	v_pk_mul_f32 v[4:5], v[12:13], v[4:5] op_sel:[1,0] op_sel_hi:[0,0]
	v_pk_add_f32 v[2:3], v[2:3], v[6:7]
	v_pk_fma_f32 v[6:7], v[12:13], v[206:207], v[4:5] neg_lo:[0,0,1] neg_hi:[0,0,1]
	v_pk_fma_f32 v[4:5], v[12:13], v[206:207], v[4:5] op_sel_hi:[1,0,1]
	s_nop 0
	v_mov_b32_e32 v7, v5
	s_waitcnt vmcnt(0) lgkmcnt(0)
	v_pk_mul_f32 v[4:5], v[14:15], v[208:209] op_sel:[1,1] op_sel_hi:[0,1]
	v_pk_add_f32 v[2:3], v[2:3], v[6:7]
	v_pk_fma_f32 v[6:7], v[14:15], v[208:209], v[4:5] neg_lo:[0,0,1] neg_hi:[0,0,1]
	v_pk_fma_f32 v[4:5], v[14:15], v[208:209], v[4:5] op_sel_hi:[1,0,1]
	s_nop 0
	v_mov_b32_e32 v7, v5
	scratch_load_dwordx2 v[4:5], off, off offset:104
	v_pk_add_f32 v[2:3], v[2:3], v[6:7]
	s_waitcnt vmcnt(0)
	v_pk_add_f32 v[2:3], v[4:5], v[2:3] neg_lo:[0,1] neg_hi:[0,1]
	scratch_store_dwordx2 off, v[2:3], off offset:104
	s_and_saveexec_b64 s[0:1], vcc
	s_cbranch_execz .LBB126_367
; %bb.366:
	scratch_load_dwordx2 v[2:3], off, off offset:96
	v_mov_b32_e32 v135, v134
	scratch_store_dwordx2 off, v[134:135], off offset:96
	s_waitcnt vmcnt(1)
	ds_write_b64 v1, v[2:3]
.LBB126_367:
	s_or_b64 exec, exec, s[0:1]
	s_waitcnt lgkmcnt(0)
	; wave barrier
	scratch_load_dwordx4 v[6:9], off, off offset:104
	scratch_load_dwordx4 v[14:17], off, off offset:120
	;; [unrolled: 1-line block ×10, first 2 shown]
	ds_read2_b64 v[2:5], v134 offset0:77 offset1:78
	ds_read2_b64 v[172:175], v134 offset0:113 offset1:114
	scratch_load_dwordx4 v[86:89], off, off offset:264
	scratch_load_dwordx4 v[94:97], off, off offset:280
	scratch_load_dwordx4 v[102:105], off, off offset:296
	scratch_load_dwordx4 v[110:113], off, off offset:312
	scratch_load_dwordx4 v[118:121], off, off offset:328
	scratch_load_dwordx4 v[126:129], off, off offset:344
	scratch_load_dwordx4 v[136:139], off, off offset:360
	scratch_load_dwordx4 v[144:147], off, off offset:376
	scratch_load_dwordx4 v[176:179], off, off offset:392
	scratch_load_dwordx4 v[184:187], off, off offset:408
	scratch_load_dwordx4 v[192:195], off, off offset:424
	v_cmp_lt_u32_e32 vcc, 11, v0
	ds_read2_b64 v[180:183], v134 offset0:115 offset1:116
	ds_read2_b64 v[188:191], v134 offset0:117 offset1:118
	s_waitcnt vmcnt(20) lgkmcnt(3)
	v_mul_f32_e32 v10, v2, v7
	v_fmac_f32_e32 v10, v3, v6
	v_mul_f32_e32 v11, v4, v9
	v_add_f32_e32 v10, 0, v10
	v_fmac_f32_e32 v11, v5, v8
	v_add_f32_e32 v18, v10, v11
	ds_read2_b64 v[10:13], v134 offset0:79 offset1:80
	v_mul_f32_e32 v3, v3, v7
	v_fma_f32 v2, v2, v6, -v3
	v_mul_f32_e32 v3, v5, v9
	v_add_f32_e32 v2, 0, v2
	s_waitcnt vmcnt(19) lgkmcnt(0)
	v_mul_f32_e32 v19, v10, v15
	v_fmac_f32_e32 v19, v11, v14
	v_add_f32_e32 v18, v18, v19
	v_mul_f32_e32 v19, v12, v17
	v_fmac_f32_e32 v19, v13, v16
	v_add_f32_e32 v26, v18, v19
	ds_read2_b64 v[18:21], v134 offset0:81 offset1:82
	v_fma_f32 v3, v4, v8, -v3
	v_add_f32_e32 v2, v2, v3
	v_mul_f32_e32 v3, v11, v15
	v_fma_f32 v3, v10, v14, -v3
	s_waitcnt vmcnt(18) lgkmcnt(0)
	v_mul_f32_e32 v27, v18, v23
	v_fmac_f32_e32 v27, v19, v22
	v_add_f32_e32 v26, v26, v27
	v_mul_f32_e32 v27, v20, v25
	v_fmac_f32_e32 v27, v21, v24
	v_add_f32_e32 v34, v26, v27
	ds_read2_b64 v[26:29], v134 offset0:83 offset1:84
	v_add_f32_e32 v2, v2, v3
	v_mul_f32_e32 v3, v13, v17
	v_fma_f32 v3, v12, v16, -v3
	v_add_f32_e32 v2, v2, v3
	s_waitcnt vmcnt(17) lgkmcnt(0)
	v_mul_f32_e32 v35, v26, v31
	v_fmac_f32_e32 v35, v27, v30
	v_add_f32_e32 v34, v34, v35
	v_mul_f32_e32 v35, v28, v33
	v_fmac_f32_e32 v35, v29, v32
	v_add_f32_e32 v42, v34, v35
	ds_read2_b64 v[34:37], v134 offset0:85 offset1:86
	v_mul_f32_e32 v3, v19, v23
	v_fma_f32 v3, v18, v22, -v3
	v_add_f32_e32 v2, v2, v3
	v_mul_f32_e32 v3, v21, v25
	s_waitcnt vmcnt(16) lgkmcnt(0)
	v_mul_f32_e32 v43, v34, v39
	v_fmac_f32_e32 v43, v35, v38
	v_add_f32_e32 v42, v42, v43
	v_mul_f32_e32 v43, v36, v41
	v_fmac_f32_e32 v43, v37, v40
	v_add_f32_e32 v50, v42, v43
	ds_read2_b64 v[42:45], v134 offset0:87 offset1:88
	v_fma_f32 v3, v20, v24, -v3
	v_add_f32_e32 v2, v2, v3
	v_mul_f32_e32 v3, v27, v31
	v_fma_f32 v3, v26, v30, -v3
	s_waitcnt vmcnt(15) lgkmcnt(0)
	v_mul_f32_e32 v51, v42, v47
	v_fmac_f32_e32 v51, v43, v46
	v_add_f32_e32 v50, v50, v51
	v_mul_f32_e32 v51, v44, v49
	v_fmac_f32_e32 v51, v45, v48
	v_add_f32_e32 v58, v50, v51
	ds_read2_b64 v[50:53], v134 offset0:89 offset1:90
	v_add_f32_e32 v2, v2, v3
	v_mul_f32_e32 v3, v29, v33
	v_fma_f32 v3, v28, v32, -v3
	v_add_f32_e32 v2, v2, v3
	s_waitcnt vmcnt(14) lgkmcnt(0)
	v_mul_f32_e32 v59, v50, v55
	v_fmac_f32_e32 v59, v51, v54
	v_add_f32_e32 v58, v58, v59
	v_mul_f32_e32 v59, v52, v57
	v_fmac_f32_e32 v59, v53, v56
	v_add_f32_e32 v66, v58, v59
	ds_read2_b64 v[58:61], v134 offset0:91 offset1:92
	v_mul_f32_e32 v3, v35, v39
	v_fma_f32 v3, v34, v38, -v3
	v_add_f32_e32 v2, v2, v3
	v_mul_f32_e32 v3, v37, v41
	;; [unrolled: 36-line block ×5, first 2 shown]
	s_waitcnt vmcnt(4) lgkmcnt(0)
	v_mul_f32_e32 v140, v130, v137
	v_fmac_f32_e32 v140, v131, v136
	v_add_f32_e32 v135, v135, v140
	v_mul_f32_e32 v140, v132, v139
	v_fmac_f32_e32 v140, v133, v138
	v_add_f32_e32 v135, v135, v140
	ds_read2_b64 v[140:143], v134 offset0:111 offset1:112
	scratch_load_dwordx4 v[196:199], off, off offset:440
	scratch_load_dwordx4 v[200:203], off, off offset:456
	;; [unrolled: 1-line block ×4, first 2 shown]
	v_fma_f32 v3, v84, v88, -v3
	v_add_f32_e32 v2, v2, v3
	v_mul_f32_e32 v3, v91, v95
	v_fma_f32 v3, v90, v94, -v3
	v_add_f32_e32 v2, v2, v3
	v_mul_f32_e32 v3, v93, v97
	;; [unrolled: 3-line block ×12, first 2 shown]
	v_fma_f32 v3, v132, v138, -v3
	s_waitcnt vmcnt(7) lgkmcnt(0)
	v_mul_f32_e32 v148, v140, v145
	v_add_f32_e32 v2, v2, v3
	v_mul_f32_e32 v3, v141, v145
	v_fmac_f32_e32 v148, v141, v144
	v_fma_f32 v3, v140, v144, -v3
	v_add_f32_e32 v135, v135, v148
	v_mul_f32_e32 v148, v142, v147
	v_add_f32_e32 v2, v2, v3
	v_mul_f32_e32 v3, v143, v147
	v_fmac_f32_e32 v148, v143, v146
	v_fma_f32 v3, v142, v146, -v3
	v_add_f32_e32 v135, v135, v148
	s_waitcnt vmcnt(6)
	v_mul_f32_e32 v148, v172, v177
	v_add_f32_e32 v2, v2, v3
	v_mul_f32_e32 v3, v173, v177
	v_fmac_f32_e32 v148, v173, v176
	v_fma_f32 v3, v172, v176, -v3
	v_add_f32_e32 v135, v135, v148
	v_mul_f32_e32 v148, v174, v179
	v_add_f32_e32 v2, v2, v3
	v_mul_f32_e32 v3, v175, v179
	v_fmac_f32_e32 v148, v175, v178
	v_fma_f32 v3, v174, v178, -v3
	v_add_f32_e32 v135, v135, v148
	s_waitcnt vmcnt(5)
	v_mul_f32_e32 v148, v180, v185
	v_add_f32_e32 v2, v2, v3
	v_mul_f32_e32 v3, v181, v185
	v_fmac_f32_e32 v148, v181, v184
	v_fma_f32 v3, v180, v184, -v3
	v_add_f32_e32 v135, v135, v148
	v_mul_f32_e32 v148, v182, v187
	v_add_f32_e32 v2, v2, v3
	v_mul_f32_e32 v3, v183, v187
	v_fmac_f32_e32 v148, v183, v186
	v_fma_f32 v3, v182, v186, -v3
	v_add_f32_e32 v149, v135, v148
	v_add_f32_e32 v148, v2, v3
	s_waitcnt vmcnt(4)
	v_mul_f32_e32 v2, v189, v193
	v_fma_f32 v152, v188, v192, -v2
	v_mul_f32_e32 v2, v191, v195
	v_fma_f32 v154, v190, v194, -v2
	ds_read2_b64 v[2:5], v134 offset0:119 offset1:120
	ds_read2_b64 v[6:9], v134 offset0:121 offset1:122
	;; [unrolled: 1-line block ×4, first 2 shown]
	v_mul_f32_e32 v153, v188, v193
	v_fmac_f32_e32 v153, v189, v192
	v_mul_f32_e32 v155, v190, v195
	s_waitcnt vmcnt(3) lgkmcnt(3)
	v_pk_mul_f32 v[20:21], v[2:3], v[196:197] op_sel:[1,1] op_sel_hi:[0,1]
	v_fmac_f32_e32 v155, v191, v194
	v_pk_add_f32 v[18:19], v[148:149], v[152:153]
	v_pk_fma_f32 v[22:23], v[2:3], v[196:197], v[20:21] neg_lo:[0,0,1] neg_hi:[0,0,1]
	v_pk_fma_f32 v[2:3], v[2:3], v[196:197], v[20:21] op_sel_hi:[1,0,1]
	v_pk_add_f32 v[18:19], v[18:19], v[154:155]
	v_mov_b32_e32 v23, v3
	v_pk_add_f32 v[2:3], v[18:19], v[22:23]
	v_mov_b32_e32 v18, v199
	v_pk_mul_f32 v[18:19], v[4:5], v[18:19] op_sel:[1,0] op_sel_hi:[0,0]
	v_pk_fma_f32 v[20:21], v[4:5], v[198:199], v[18:19] neg_lo:[0,0,1] neg_hi:[0,0,1]
	v_pk_fma_f32 v[4:5], v[4:5], v[198:199], v[18:19] op_sel_hi:[1,0,1]
	s_nop 0
	v_mov_b32_e32 v21, v5
	s_waitcnt vmcnt(2) lgkmcnt(2)
	v_pk_mul_f32 v[4:5], v[6:7], v[200:201] op_sel:[1,1] op_sel_hi:[0,1]
	v_pk_fma_f32 v[18:19], v[6:7], v[200:201], v[4:5] neg_lo:[0,0,1] neg_hi:[0,0,1]
	v_pk_fma_f32 v[4:5], v[6:7], v[200:201], v[4:5] op_sel_hi:[1,0,1]
	v_pk_add_f32 v[2:3], v[2:3], v[20:21]
	v_mov_b32_e32 v4, v203
	v_mov_b32_e32 v19, v5
	v_pk_mul_f32 v[4:5], v[8:9], v[4:5] op_sel:[1,0] op_sel_hi:[0,0]
	v_pk_fma_f32 v[6:7], v[8:9], v[202:203], v[4:5] neg_lo:[0,0,1] neg_hi:[0,0,1]
	v_pk_fma_f32 v[4:5], v[8:9], v[202:203], v[4:5] op_sel_hi:[1,0,1]
	v_pk_add_f32 v[2:3], v[2:3], v[18:19]
	v_mov_b32_e32 v7, v5
	s_waitcnt vmcnt(1) lgkmcnt(1)
	v_pk_mul_f32 v[4:5], v[10:11], v[204:205] op_sel:[1,1] op_sel_hi:[0,1]
	v_pk_add_f32 v[2:3], v[2:3], v[6:7]
	v_pk_fma_f32 v[6:7], v[10:11], v[204:205], v[4:5] neg_lo:[0,0,1] neg_hi:[0,0,1]
	v_pk_fma_f32 v[4:5], v[10:11], v[204:205], v[4:5] op_sel_hi:[1,0,1]
	s_nop 0
	v_mov_b32_e32 v4, v207
	v_mov_b32_e32 v7, v5
	v_pk_mul_f32 v[4:5], v[12:13], v[4:5] op_sel:[1,0] op_sel_hi:[0,0]
	v_pk_add_f32 v[2:3], v[2:3], v[6:7]
	v_pk_fma_f32 v[6:7], v[12:13], v[206:207], v[4:5] neg_lo:[0,0,1] neg_hi:[0,0,1]
	v_pk_fma_f32 v[4:5], v[12:13], v[206:207], v[4:5] op_sel_hi:[1,0,1]
	s_nop 0
	v_mov_b32_e32 v7, v5
	s_waitcnt vmcnt(0) lgkmcnt(0)
	v_pk_mul_f32 v[4:5], v[14:15], v[208:209] op_sel:[1,1] op_sel_hi:[0,1]
	v_pk_add_f32 v[2:3], v[2:3], v[6:7]
	v_pk_fma_f32 v[6:7], v[14:15], v[208:209], v[4:5] neg_lo:[0,0,1] neg_hi:[0,0,1]
	v_pk_fma_f32 v[4:5], v[14:15], v[208:209], v[4:5] op_sel_hi:[1,0,1]
	s_nop 0
	v_mov_b32_e32 v4, v211
	v_mov_b32_e32 v7, v5
	v_pk_mul_f32 v[4:5], v[16:17], v[4:5] op_sel:[1,0] op_sel_hi:[0,0]
	v_pk_add_f32 v[2:3], v[2:3], v[6:7]
	v_pk_fma_f32 v[6:7], v[16:17], v[210:211], v[4:5] neg_lo:[0,0,1] neg_hi:[0,0,1]
	v_pk_fma_f32 v[4:5], v[16:17], v[210:211], v[4:5] op_sel_hi:[1,0,1]
	s_nop 0
	v_mov_b32_e32 v7, v5
	scratch_load_dwordx2 v[4:5], off, off offset:96
	v_pk_add_f32 v[2:3], v[2:3], v[6:7]
	s_waitcnt vmcnt(0)
	v_pk_add_f32 v[2:3], v[4:5], v[2:3] neg_lo:[0,1] neg_hi:[0,1]
	scratch_store_dwordx2 off, v[2:3], off offset:96
	s_and_saveexec_b64 s[0:1], vcc
	s_cbranch_execz .LBB126_369
; %bb.368:
	scratch_load_dwordx2 v[2:3], off, off offset:88
	v_mov_b32_e32 v4, 0
	v_mov_b32_e32 v5, v4
	scratch_store_dwordx2 off, v[4:5], off offset:88
	s_waitcnt vmcnt(1)
	ds_write_b64 v1, v[2:3]
.LBB126_369:
	s_or_b64 exec, exec, s[0:1]
	v_mov_b32_e32 v142, 0
	s_waitcnt lgkmcnt(0)
	; wave barrier
	ds_read_b128 v[14:17], v142 offset:608
	ds_read_b128 v[10:13], v142 offset:624
	;; [unrolled: 1-line block ×4, first 2 shown]
	scratch_load_dwordx4 v[18:21], off, off offset:96
	scratch_load_dwordx4 v[38:41], off, off offset:160
	scratch_load_dwordx4 v[70:73], off, off offset:224
	scratch_load_dwordx4 v[78:81], off, off offset:240
	scratch_load_dwordx4 v[86:89], off, off offset:256
	scratch_load_dwordx4 v[94:97], off, off offset:272
	scratch_load_dwordx4 v[102:105], off, off offset:288
	scratch_load_dwordx4 v[110:113], off, off offset:304
	scratch_load_dwordx4 v[118:121], off, off offset:320
	scratch_load_dwordx4 v[126:129], off, off offset:336
	scratch_load_dwordx4 v[134:137], off, off offset:352
	scratch_load_dwordx4 v[144:147], off, off offset:368
	scratch_load_dwordx4 v[176:179], off, off offset:384
	scratch_load_dwordx4 v[184:187], off, off offset:400
	scratch_load_dwordx4 v[192:195], off, off offset:416
	scratch_load_dwordx4 v[200:203], off, off offset:432
	v_cmp_lt_u32_e32 vcc, 10, v0
	scratch_load_dwordx4 v[46:49], off, off offset:176
	scratch_load_dwordx4 v[54:57], off, off offset:192
	;; [unrolled: 1-line block ×3, first 2 shown]
	ds_read_b128 v[172:175], v142 offset:896
	ds_read_b128 v[180:183], v142 offset:912
	;; [unrolled: 1-line block ×4, first 2 shown]
	s_waitcnt vmcnt(18) lgkmcnt(7)
	v_mul_f32_e32 v22, v14, v19
	v_fmac_f32_e32 v22, v15, v18
	v_mul_f32_e32 v23, v16, v21
	v_add_f32_e32 v22, 0, v22
	v_fmac_f32_e32 v23, v17, v20
	v_add_f32_e32 v26, v22, v23
	scratch_load_dwordx4 v[22:25], off, off offset:112
	v_mul_f32_e32 v15, v15, v19
	v_fma_f32 v14, v14, v18, -v15
	v_mul_f32_e32 v15, v17, v21
	v_add_f32_e32 v14, 0, v14
	v_fma_f32 v15, v16, v20, -v15
	v_add_f32_e32 v14, v14, v15
	s_waitcnt vmcnt(5) lgkmcnt(1)
	v_mul_f32_e32 v153, v190, v195
	s_waitcnt vmcnt(4)
	v_mov_b32_e32 v18, v203
	v_fmac_f32_e32 v153, v191, v194
	s_waitcnt lgkmcnt(0)
	v_mul_f32_e32 v155, v196, v201
	v_pk_mul_f32 v[18:19], v[198:199], v[18:19] op_sel:[1,0] op_sel_hi:[0,0]
	v_fmac_f32_e32 v155, v197, v200
	v_pk_fma_f32 v[20:21], v[198:199], v[202:203], v[18:19] neg_lo:[0,0,1] neg_hi:[0,0,1]
	v_pk_fma_f32 v[18:19], v[198:199], v[202:203], v[18:19] op_sel_hi:[1,0,1]
	s_waitcnt vmcnt(0)
	v_mul_f32_e32 v27, v10, v23
	v_fmac_f32_e32 v27, v11, v22
	v_add_f32_e32 v26, v26, v27
	v_mul_f32_e32 v27, v12, v25
	v_fmac_f32_e32 v27, v13, v24
	v_add_f32_e32 v30, v26, v27
	scratch_load_dwordx4 v[26:29], off, off offset:128
	v_mul_f32_e32 v11, v11, v23
	v_fma_f32 v10, v10, v22, -v11
	v_mul_f32_e32 v11, v13, v25
	v_add_f32_e32 v10, v14, v10
	v_fma_f32 v11, v12, v24, -v11
	v_add_f32_e32 v10, v10, v11
	v_mov_b32_e32 v21, v19
	s_waitcnt vmcnt(0)
	v_mul_f32_e32 v31, v6, v27
	v_fmac_f32_e32 v31, v7, v26
	v_add_f32_e32 v30, v30, v31
	v_mul_f32_e32 v31, v8, v29
	v_fmac_f32_e32 v31, v9, v28
	v_add_f32_e32 v34, v30, v31
	scratch_load_dwordx4 v[30:33], off, off offset:144
	v_mul_f32_e32 v7, v7, v27
	v_fma_f32 v6, v6, v26, -v7
	v_mul_f32_e32 v7, v9, v29
	v_add_f32_e32 v6, v10, v6
	v_fma_f32 v7, v8, v28, -v7
	v_add_f32_e32 v6, v6, v7
	s_waitcnt vmcnt(0)
	v_mul_f32_e32 v35, v2, v31
	v_fmac_f32_e32 v35, v3, v30
	v_add_f32_e32 v34, v34, v35
	v_mul_f32_e32 v35, v4, v33
	v_fmac_f32_e32 v35, v5, v32
	v_add_f32_e32 v42, v34, v35
	ds_read_b128 v[34:37], v142 offset:672
	v_mul_f32_e32 v3, v3, v31
	v_fma_f32 v2, v2, v30, -v3
	v_mul_f32_e32 v3, v5, v33
	v_add_f32_e32 v2, v6, v2
	s_waitcnt lgkmcnt(0)
	v_mul_f32_e32 v43, v34, v39
	v_fmac_f32_e32 v43, v35, v38
	v_add_f32_e32 v42, v42, v43
	v_mul_f32_e32 v43, v36, v41
	v_fmac_f32_e32 v43, v37, v40
	v_add_f32_e32 v50, v42, v43
	ds_read_b128 v[42:45], v142 offset:688
	v_fma_f32 v3, v4, v32, -v3
	v_add_f32_e32 v2, v2, v3
	v_mul_f32_e32 v3, v35, v39
	v_fma_f32 v3, v34, v38, -v3
	s_waitcnt lgkmcnt(0)
	v_mul_f32_e32 v51, v42, v47
	v_fmac_f32_e32 v51, v43, v46
	v_add_f32_e32 v50, v50, v51
	v_mul_f32_e32 v51, v44, v49
	v_fmac_f32_e32 v51, v45, v48
	v_add_f32_e32 v58, v50, v51
	ds_read_b128 v[50:53], v142 offset:704
	v_add_f32_e32 v2, v2, v3
	v_mul_f32_e32 v3, v37, v41
	v_fma_f32 v3, v36, v40, -v3
	v_add_f32_e32 v2, v2, v3
	s_waitcnt lgkmcnt(0)
	v_mul_f32_e32 v59, v50, v55
	v_fmac_f32_e32 v59, v51, v54
	v_add_f32_e32 v58, v58, v59
	v_mul_f32_e32 v59, v52, v57
	v_fmac_f32_e32 v59, v53, v56
	v_add_f32_e32 v66, v58, v59
	ds_read_b128 v[58:61], v142 offset:720
	v_mul_f32_e32 v3, v43, v47
	v_fma_f32 v3, v42, v46, -v3
	v_add_f32_e32 v2, v2, v3
	v_mul_f32_e32 v3, v45, v49
	s_waitcnt lgkmcnt(0)
	v_mul_f32_e32 v67, v58, v63
	v_fmac_f32_e32 v67, v59, v62
	v_add_f32_e32 v66, v66, v67
	v_mul_f32_e32 v67, v60, v65
	v_fmac_f32_e32 v67, v61, v64
	v_add_f32_e32 v74, v66, v67
	ds_read_b128 v[66:69], v142 offset:736
	v_fma_f32 v3, v44, v48, -v3
	v_add_f32_e32 v2, v2, v3
	v_mul_f32_e32 v3, v51, v55
	v_fma_f32 v3, v50, v54, -v3
	s_waitcnt lgkmcnt(0)
	v_mul_f32_e32 v75, v66, v71
	v_fmac_f32_e32 v75, v67, v70
	v_add_f32_e32 v74, v74, v75
	v_mul_f32_e32 v75, v68, v73
	v_fmac_f32_e32 v75, v69, v72
	v_add_f32_e32 v82, v74, v75
	ds_read_b128 v[74:77], v142 offset:752
	v_add_f32_e32 v2, v2, v3
	v_mul_f32_e32 v3, v53, v57
	v_fma_f32 v3, v52, v56, -v3
	v_add_f32_e32 v2, v2, v3
	s_waitcnt lgkmcnt(0)
	v_mul_f32_e32 v83, v74, v79
	v_fmac_f32_e32 v83, v75, v78
	v_add_f32_e32 v82, v82, v83
	v_mul_f32_e32 v83, v76, v81
	v_fmac_f32_e32 v83, v77, v80
	v_add_f32_e32 v90, v82, v83
	ds_read_b128 v[82:85], v142 offset:768
	v_mul_f32_e32 v3, v59, v63
	v_fma_f32 v3, v58, v62, -v3
	v_add_f32_e32 v2, v2, v3
	v_mul_f32_e32 v3, v61, v65
	;; [unrolled: 36-line block ×4, first 2 shown]
	s_waitcnt lgkmcnt(0)
	v_mul_f32_e32 v139, v130, v135
	v_fmac_f32_e32 v139, v131, v134
	v_add_f32_e32 v138, v138, v139
	v_mul_f32_e32 v139, v132, v137
	v_fmac_f32_e32 v139, v133, v136
	v_add_f32_e32 v143, v138, v139
	ds_read_b128 v[138:141], v142 offset:880
	scratch_load_dwordx4 v[204:207], off, off offset:448
	scratch_load_dwordx4 v[208:211], off, off offset:464
	scratch_load_dwordx4 v[212:215], off, off offset:480
	scratch_load_dwordx2 v[216:217], off, off offset:496
	v_fma_f32 v3, v92, v96, -v3
	v_add_f32_e32 v2, v2, v3
	v_mul_f32_e32 v3, v99, v103
	v_fma_f32 v3, v98, v102, -v3
	v_add_f32_e32 v2, v2, v3
	v_mul_f32_e32 v3, v101, v105
	;; [unrolled: 3-line block ×10, first 2 shown]
	v_fma_f32 v3, v132, v136, -v3
	s_waitcnt lgkmcnt(0)
	v_mul_f32_e32 v148, v138, v145
	v_add_f32_e32 v2, v2, v3
	v_mul_f32_e32 v3, v139, v145
	v_fmac_f32_e32 v148, v139, v144
	v_fma_f32 v3, v138, v144, -v3
	v_add_f32_e32 v143, v143, v148
	v_mul_f32_e32 v148, v140, v147
	v_add_f32_e32 v2, v2, v3
	v_mul_f32_e32 v3, v141, v147
	v_fmac_f32_e32 v148, v141, v146
	v_fma_f32 v3, v140, v146, -v3
	v_add_f32_e32 v143, v143, v148
	;; [unrolled: 6-line block ×7, first 2 shown]
	v_add_f32_e32 v148, v2, v3
	v_mul_f32_e32 v2, v191, v195
	v_fma_f32 v152, v190, v194, -v2
	v_mul_f32_e32 v2, v197, v201
	v_fma_f32 v154, v196, v200, -v2
	ds_read_b128 v[2:5], v142 offset:960
	ds_read_b128 v[6:9], v142 offset:976
	;; [unrolled: 1-line block ×3, first 2 shown]
	ds_read_b64 v[14:15], v142 offset:1008
	v_pk_add_f32 v[16:17], v[148:149], v[152:153]
	s_waitcnt vmcnt(3) lgkmcnt(3)
	v_pk_mul_f32 v[18:19], v[2:3], v[204:205] op_sel:[1,1] op_sel_hi:[0,1]
	v_pk_add_f32 v[16:17], v[16:17], v[154:155]
	s_nop 0
	v_pk_add_f32 v[16:17], v[16:17], v[20:21]
	v_pk_fma_f32 v[20:21], v[2:3], v[204:205], v[18:19] neg_lo:[0,0,1] neg_hi:[0,0,1]
	v_pk_fma_f32 v[2:3], v[2:3], v[204:205], v[18:19] op_sel_hi:[1,0,1]
	s_nop 0
	v_mov_b32_e32 v21, v3
	v_pk_add_f32 v[2:3], v[16:17], v[20:21]
	v_mov_b32_e32 v16, v207
	v_pk_mul_f32 v[16:17], v[4:5], v[16:17] op_sel:[1,0] op_sel_hi:[0,0]
	v_pk_fma_f32 v[18:19], v[4:5], v[206:207], v[16:17] neg_lo:[0,0,1] neg_hi:[0,0,1]
	v_pk_fma_f32 v[4:5], v[4:5], v[206:207], v[16:17] op_sel_hi:[1,0,1]
	s_nop 0
	v_mov_b32_e32 v19, v5
	s_waitcnt vmcnt(2) lgkmcnt(2)
	v_pk_mul_f32 v[4:5], v[6:7], v[208:209] op_sel:[1,1] op_sel_hi:[0,1]
	v_pk_fma_f32 v[16:17], v[6:7], v[208:209], v[4:5] neg_lo:[0,0,1] neg_hi:[0,0,1]
	v_pk_fma_f32 v[4:5], v[6:7], v[208:209], v[4:5] op_sel_hi:[1,0,1]
	v_pk_add_f32 v[2:3], v[2:3], v[18:19]
	v_mov_b32_e32 v4, v211
	v_mov_b32_e32 v17, v5
	v_pk_mul_f32 v[4:5], v[8:9], v[4:5] op_sel:[1,0] op_sel_hi:[0,0]
	v_pk_fma_f32 v[6:7], v[8:9], v[210:211], v[4:5] neg_lo:[0,0,1] neg_hi:[0,0,1]
	v_pk_fma_f32 v[4:5], v[8:9], v[210:211], v[4:5] op_sel_hi:[1,0,1]
	v_pk_add_f32 v[2:3], v[2:3], v[16:17]
	v_mov_b32_e32 v7, v5
	s_waitcnt vmcnt(1) lgkmcnt(1)
	v_pk_mul_f32 v[4:5], v[10:11], v[212:213] op_sel:[1,1] op_sel_hi:[0,1]
	v_pk_add_f32 v[2:3], v[2:3], v[6:7]
	v_pk_fma_f32 v[6:7], v[10:11], v[212:213], v[4:5] neg_lo:[0,0,1] neg_hi:[0,0,1]
	v_pk_fma_f32 v[4:5], v[10:11], v[212:213], v[4:5] op_sel_hi:[1,0,1]
	s_nop 0
	v_mov_b32_e32 v4, v215
	v_mov_b32_e32 v7, v5
	v_pk_mul_f32 v[4:5], v[12:13], v[4:5] op_sel:[1,0] op_sel_hi:[0,0]
	v_pk_add_f32 v[2:3], v[2:3], v[6:7]
	v_pk_fma_f32 v[6:7], v[12:13], v[214:215], v[4:5] neg_lo:[0,0,1] neg_hi:[0,0,1]
	v_pk_fma_f32 v[4:5], v[12:13], v[214:215], v[4:5] op_sel_hi:[1,0,1]
	s_nop 0
	v_mov_b32_e32 v7, v5
	s_waitcnt vmcnt(0) lgkmcnt(0)
	v_pk_mul_f32 v[4:5], v[14:15], v[216:217] op_sel:[1,1] op_sel_hi:[0,1]
	v_pk_add_f32 v[2:3], v[2:3], v[6:7]
	v_pk_fma_f32 v[6:7], v[14:15], v[216:217], v[4:5] neg_lo:[0,0,1] neg_hi:[0,0,1]
	v_pk_fma_f32 v[4:5], v[14:15], v[216:217], v[4:5] op_sel_hi:[1,0,1]
	s_nop 0
	v_mov_b32_e32 v7, v5
	scratch_load_dwordx2 v[4:5], off, off offset:88
	v_pk_add_f32 v[2:3], v[2:3], v[6:7]
	s_waitcnt vmcnt(0)
	v_pk_add_f32 v[2:3], v[4:5], v[2:3] neg_lo:[0,1] neg_hi:[0,1]
	scratch_store_dwordx2 off, v[2:3], off offset:88
	s_and_saveexec_b64 s[0:1], vcc
	s_cbranch_execz .LBB126_371
; %bb.370:
	scratch_load_dwordx2 v[2:3], off, off offset:80
	v_mov_b32_e32 v143, v142
	scratch_store_dwordx2 off, v[142:143], off offset:80
	s_waitcnt vmcnt(1)
	ds_write_b64 v1, v[2:3]
.LBB126_371:
	s_or_b64 exec, exec, s[0:1]
	s_waitcnt lgkmcnt(0)
	; wave barrier
	scratch_load_dwordx4 v[6:9], off, off offset:88
	scratch_load_dwordx4 v[14:17], off, off offset:104
	;; [unrolled: 1-line block ×10, first 2 shown]
	ds_read2_b64 v[2:5], v142 offset0:75 offset1:76
	ds_read2_b64 v[172:175], v142 offset0:111 offset1:112
	scratch_load_dwordx4 v[86:89], off, off offset:248
	scratch_load_dwordx4 v[94:97], off, off offset:264
	;; [unrolled: 1-line block ×12, first 2 shown]
	v_cmp_lt_u32_e32 vcc, 9, v0
	ds_read2_b64 v[180:183], v142 offset0:113 offset1:114
	ds_read2_b64 v[188:191], v142 offset0:115 offset1:116
	;; [unrolled: 1-line block ×3, first 2 shown]
	s_waitcnt vmcnt(21) lgkmcnt(4)
	v_mul_f32_e32 v10, v2, v7
	v_fmac_f32_e32 v10, v3, v6
	v_mul_f32_e32 v11, v4, v9
	v_add_f32_e32 v10, 0, v10
	v_fmac_f32_e32 v11, v5, v8
	v_add_f32_e32 v18, v10, v11
	ds_read2_b64 v[10:13], v142 offset0:77 offset1:78
	v_mul_f32_e32 v3, v3, v7
	v_fma_f32 v2, v2, v6, -v3
	v_mul_f32_e32 v3, v5, v9
	v_add_f32_e32 v2, 0, v2
	s_waitcnt vmcnt(20) lgkmcnt(0)
	v_mul_f32_e32 v19, v10, v15
	v_fmac_f32_e32 v19, v11, v14
	v_add_f32_e32 v18, v18, v19
	v_mul_f32_e32 v19, v12, v17
	v_fmac_f32_e32 v19, v13, v16
	v_add_f32_e32 v26, v18, v19
	ds_read2_b64 v[18:21], v142 offset0:79 offset1:80
	v_fma_f32 v3, v4, v8, -v3
	v_add_f32_e32 v2, v2, v3
	v_mul_f32_e32 v3, v11, v15
	v_fma_f32 v3, v10, v14, -v3
	s_waitcnt vmcnt(19) lgkmcnt(0)
	v_mul_f32_e32 v27, v18, v23
	v_fmac_f32_e32 v27, v19, v22
	v_add_f32_e32 v26, v26, v27
	v_mul_f32_e32 v27, v20, v25
	v_fmac_f32_e32 v27, v21, v24
	v_add_f32_e32 v34, v26, v27
	ds_read2_b64 v[26:29], v142 offset0:81 offset1:82
	v_add_f32_e32 v2, v2, v3
	v_mul_f32_e32 v3, v13, v17
	v_fma_f32 v3, v12, v16, -v3
	v_add_f32_e32 v2, v2, v3
	s_waitcnt vmcnt(18) lgkmcnt(0)
	v_mul_f32_e32 v35, v26, v31
	v_fmac_f32_e32 v35, v27, v30
	v_add_f32_e32 v34, v34, v35
	v_mul_f32_e32 v35, v28, v33
	v_fmac_f32_e32 v35, v29, v32
	v_add_f32_e32 v42, v34, v35
	ds_read2_b64 v[34:37], v142 offset0:83 offset1:84
	v_mul_f32_e32 v3, v19, v23
	v_fma_f32 v3, v18, v22, -v3
	v_add_f32_e32 v2, v2, v3
	v_mul_f32_e32 v3, v21, v25
	s_waitcnt vmcnt(17) lgkmcnt(0)
	v_mul_f32_e32 v43, v34, v39
	v_fmac_f32_e32 v43, v35, v38
	v_add_f32_e32 v42, v42, v43
	v_mul_f32_e32 v43, v36, v41
	v_fmac_f32_e32 v43, v37, v40
	v_add_f32_e32 v50, v42, v43
	ds_read2_b64 v[42:45], v142 offset0:85 offset1:86
	v_fma_f32 v3, v20, v24, -v3
	v_add_f32_e32 v2, v2, v3
	v_mul_f32_e32 v3, v27, v31
	v_fma_f32 v3, v26, v30, -v3
	s_waitcnt vmcnt(16) lgkmcnt(0)
	v_mul_f32_e32 v51, v42, v47
	v_fmac_f32_e32 v51, v43, v46
	v_add_f32_e32 v50, v50, v51
	v_mul_f32_e32 v51, v44, v49
	v_fmac_f32_e32 v51, v45, v48
	v_add_f32_e32 v58, v50, v51
	ds_read2_b64 v[50:53], v142 offset0:87 offset1:88
	v_add_f32_e32 v2, v2, v3
	v_mul_f32_e32 v3, v29, v33
	v_fma_f32 v3, v28, v32, -v3
	v_add_f32_e32 v2, v2, v3
	s_waitcnt vmcnt(15) lgkmcnt(0)
	v_mul_f32_e32 v59, v50, v55
	v_fmac_f32_e32 v59, v51, v54
	v_add_f32_e32 v58, v58, v59
	v_mul_f32_e32 v59, v52, v57
	v_fmac_f32_e32 v59, v53, v56
	v_add_f32_e32 v66, v58, v59
	ds_read2_b64 v[58:61], v142 offset0:89 offset1:90
	v_mul_f32_e32 v3, v35, v39
	v_fma_f32 v3, v34, v38, -v3
	v_add_f32_e32 v2, v2, v3
	v_mul_f32_e32 v3, v37, v41
	;; [unrolled: 36-line block ×5, first 2 shown]
	s_waitcnt vmcnt(5) lgkmcnt(0)
	v_mul_f32_e32 v139, v130, v135
	v_fmac_f32_e32 v139, v131, v134
	v_add_f32_e32 v138, v138, v139
	v_mul_f32_e32 v139, v132, v137
	v_fmac_f32_e32 v139, v133, v136
	v_add_f32_e32 v143, v138, v139
	ds_read2_b64 v[138:141], v142 offset0:109 offset1:110
	scratch_load_dwordx4 v[204:207], off, off offset:440
	scratch_load_dwordx4 v[208:211], off, off offset:456
	scratch_load_dwordx4 v[212:215], off, off offset:472
	scratch_load_dwordx4 v[216:219], off, off offset:488
	v_fma_f32 v3, v84, v88, -v3
	v_add_f32_e32 v2, v2, v3
	v_mul_f32_e32 v3, v91, v95
	v_fma_f32 v3, v90, v94, -v3
	v_add_f32_e32 v2, v2, v3
	v_mul_f32_e32 v3, v93, v97
	;; [unrolled: 3-line block ×12, first 2 shown]
	v_fma_f32 v3, v132, v136, -v3
	s_waitcnt vmcnt(8) lgkmcnt(0)
	v_mul_f32_e32 v148, v138, v145
	v_add_f32_e32 v2, v2, v3
	v_mul_f32_e32 v3, v139, v145
	v_fmac_f32_e32 v148, v139, v144
	v_fma_f32 v3, v138, v144, -v3
	v_add_f32_e32 v143, v143, v148
	v_mul_f32_e32 v148, v140, v147
	v_add_f32_e32 v2, v2, v3
	v_mul_f32_e32 v3, v141, v147
	v_fmac_f32_e32 v148, v141, v146
	v_fma_f32 v3, v140, v146, -v3
	v_add_f32_e32 v143, v143, v148
	s_waitcnt vmcnt(7)
	v_mul_f32_e32 v148, v172, v177
	v_add_f32_e32 v2, v2, v3
	v_mul_f32_e32 v3, v173, v177
	v_fmac_f32_e32 v148, v173, v176
	v_fma_f32 v3, v172, v176, -v3
	v_add_f32_e32 v143, v143, v148
	v_mul_f32_e32 v148, v174, v179
	v_add_f32_e32 v2, v2, v3
	v_mul_f32_e32 v3, v175, v179
	v_fmac_f32_e32 v148, v175, v178
	v_fma_f32 v3, v174, v178, -v3
	v_add_f32_e32 v143, v143, v148
	s_waitcnt vmcnt(6)
	;; [unrolled: 13-line block ×3, first 2 shown]
	v_mul_f32_e32 v148, v188, v193
	v_add_f32_e32 v2, v2, v3
	v_mul_f32_e32 v3, v189, v193
	v_fmac_f32_e32 v148, v189, v192
	v_fma_f32 v3, v188, v192, -v3
	v_add_f32_e32 v143, v143, v148
	v_mul_f32_e32 v148, v190, v195
	v_add_f32_e32 v2, v2, v3
	v_mul_f32_e32 v3, v191, v195
	v_fmac_f32_e32 v148, v191, v194
	v_fma_f32 v3, v190, v194, -v3
	v_add_f32_e32 v149, v143, v148
	v_add_f32_e32 v148, v2, v3
	s_waitcnt vmcnt(4)
	v_mul_f32_e32 v2, v197, v201
	v_fma_f32 v152, v196, v200, -v2
	v_mul_f32_e32 v2, v199, v203
	v_fma_f32 v154, v198, v202, -v2
	ds_read2_b64 v[2:5], v142 offset0:119 offset1:120
	ds_read2_b64 v[6:9], v142 offset0:121 offset1:122
	;; [unrolled: 1-line block ×4, first 2 shown]
	v_mul_f32_e32 v153, v196, v201
	v_fmac_f32_e32 v153, v197, v200
	v_mul_f32_e32 v155, v198, v203
	s_waitcnt vmcnt(3) lgkmcnt(3)
	v_pk_mul_f32 v[20:21], v[2:3], v[204:205] op_sel:[1,1] op_sel_hi:[0,1]
	v_fmac_f32_e32 v155, v199, v202
	v_pk_add_f32 v[18:19], v[148:149], v[152:153]
	v_pk_fma_f32 v[22:23], v[2:3], v[204:205], v[20:21] neg_lo:[0,0,1] neg_hi:[0,0,1]
	v_pk_fma_f32 v[2:3], v[2:3], v[204:205], v[20:21] op_sel_hi:[1,0,1]
	v_pk_add_f32 v[18:19], v[18:19], v[154:155]
	v_mov_b32_e32 v23, v3
	v_pk_add_f32 v[2:3], v[18:19], v[22:23]
	v_mov_b32_e32 v18, v207
	v_pk_mul_f32 v[18:19], v[4:5], v[18:19] op_sel:[1,0] op_sel_hi:[0,0]
	v_pk_fma_f32 v[20:21], v[4:5], v[206:207], v[18:19] neg_lo:[0,0,1] neg_hi:[0,0,1]
	v_pk_fma_f32 v[4:5], v[4:5], v[206:207], v[18:19] op_sel_hi:[1,0,1]
	s_nop 0
	v_mov_b32_e32 v21, v5
	s_waitcnt vmcnt(2) lgkmcnt(2)
	v_pk_mul_f32 v[4:5], v[6:7], v[208:209] op_sel:[1,1] op_sel_hi:[0,1]
	v_pk_fma_f32 v[18:19], v[6:7], v[208:209], v[4:5] neg_lo:[0,0,1] neg_hi:[0,0,1]
	v_pk_fma_f32 v[4:5], v[6:7], v[208:209], v[4:5] op_sel_hi:[1,0,1]
	v_pk_add_f32 v[2:3], v[2:3], v[20:21]
	v_mov_b32_e32 v4, v211
	v_mov_b32_e32 v19, v5
	v_pk_mul_f32 v[4:5], v[8:9], v[4:5] op_sel:[1,0] op_sel_hi:[0,0]
	v_pk_fma_f32 v[6:7], v[8:9], v[210:211], v[4:5] neg_lo:[0,0,1] neg_hi:[0,0,1]
	v_pk_fma_f32 v[4:5], v[8:9], v[210:211], v[4:5] op_sel_hi:[1,0,1]
	v_pk_add_f32 v[2:3], v[2:3], v[18:19]
	v_mov_b32_e32 v7, v5
	s_waitcnt vmcnt(1) lgkmcnt(1)
	v_pk_mul_f32 v[4:5], v[10:11], v[212:213] op_sel:[1,1] op_sel_hi:[0,1]
	v_pk_add_f32 v[2:3], v[2:3], v[6:7]
	v_pk_fma_f32 v[6:7], v[10:11], v[212:213], v[4:5] neg_lo:[0,0,1] neg_hi:[0,0,1]
	v_pk_fma_f32 v[4:5], v[10:11], v[212:213], v[4:5] op_sel_hi:[1,0,1]
	s_nop 0
	v_mov_b32_e32 v4, v215
	v_mov_b32_e32 v7, v5
	v_pk_mul_f32 v[4:5], v[12:13], v[4:5] op_sel:[1,0] op_sel_hi:[0,0]
	v_pk_add_f32 v[2:3], v[2:3], v[6:7]
	v_pk_fma_f32 v[6:7], v[12:13], v[214:215], v[4:5] neg_lo:[0,0,1] neg_hi:[0,0,1]
	v_pk_fma_f32 v[4:5], v[12:13], v[214:215], v[4:5] op_sel_hi:[1,0,1]
	s_nop 0
	v_mov_b32_e32 v7, v5
	s_waitcnt vmcnt(0) lgkmcnt(0)
	v_pk_mul_f32 v[4:5], v[14:15], v[216:217] op_sel:[1,1] op_sel_hi:[0,1]
	v_pk_add_f32 v[2:3], v[2:3], v[6:7]
	v_pk_fma_f32 v[6:7], v[14:15], v[216:217], v[4:5] neg_lo:[0,0,1] neg_hi:[0,0,1]
	v_pk_fma_f32 v[4:5], v[14:15], v[216:217], v[4:5] op_sel_hi:[1,0,1]
	s_nop 0
	v_mov_b32_e32 v4, v219
	v_mov_b32_e32 v7, v5
	v_pk_mul_f32 v[4:5], v[16:17], v[4:5] op_sel:[1,0] op_sel_hi:[0,0]
	v_pk_add_f32 v[2:3], v[2:3], v[6:7]
	v_pk_fma_f32 v[6:7], v[16:17], v[218:219], v[4:5] neg_lo:[0,0,1] neg_hi:[0,0,1]
	v_pk_fma_f32 v[4:5], v[16:17], v[218:219], v[4:5] op_sel_hi:[1,0,1]
	s_nop 0
	v_mov_b32_e32 v7, v5
	scratch_load_dwordx2 v[4:5], off, off offset:80
	v_pk_add_f32 v[2:3], v[2:3], v[6:7]
	s_waitcnt vmcnt(0)
	v_pk_add_f32 v[2:3], v[4:5], v[2:3] neg_lo:[0,1] neg_hi:[0,1]
	scratch_store_dwordx2 off, v[2:3], off offset:80
	s_and_saveexec_b64 s[0:1], vcc
	s_cbranch_execz .LBB126_373
; %bb.372:
	scratch_load_dwordx2 v[2:3], off, off offset:72
	v_mov_b32_e32 v4, 0
	v_mov_b32_e32 v5, v4
	scratch_store_dwordx2 off, v[4:5], off offset:72
	s_waitcnt vmcnt(1)
	ds_write_b64 v1, v[2:3]
.LBB126_373:
	s_or_b64 exec, exec, s[0:1]
	v_mov_b32_e32 v172, 0
	s_waitcnt lgkmcnt(0)
	; wave barrier
	ds_read_b128 v[14:17], v172 offset:592
	ds_read_b128 v[10:13], v172 offset:608
	;; [unrolled: 1-line block ×4, first 2 shown]
	scratch_load_dwordx4 v[18:21], off, off offset:80
	scratch_load_dwordx4 v[38:41], off, off offset:144
	;; [unrolled: 1-line block ×17, first 2 shown]
	v_cmp_lt_u32_e32 vcc, 8, v0
	scratch_load_dwordx4 v[46:49], off, off offset:160
	scratch_load_dwordx4 v[54:57], off, off offset:176
	;; [unrolled: 1-line block ×3, first 2 shown]
	ds_read_b128 v[178:181], v172 offset:896
	ds_read_b128 v[186:189], v172 offset:912
	;; [unrolled: 1-line block ×4, first 2 shown]
	s_waitcnt vmcnt(19) lgkmcnt(7)
	v_mul_f32_e32 v22, v14, v19
	v_fmac_f32_e32 v22, v15, v18
	v_mul_f32_e32 v23, v16, v21
	v_add_f32_e32 v22, 0, v22
	v_fmac_f32_e32 v23, v17, v20
	v_add_f32_e32 v26, v22, v23
	scratch_load_dwordx4 v[22:25], off, off offset:96
	v_mul_f32_e32 v15, v15, v19
	v_fma_f32 v14, v14, v18, -v15
	v_mul_f32_e32 v15, v17, v21
	v_add_f32_e32 v14, 0, v14
	v_fma_f32 v15, v16, v20, -v15
	v_add_f32_e32 v14, v14, v15
	s_waitcnt vmcnt(5) lgkmcnt(1)
	v_mul_f32_e32 v155, v196, v201
	s_waitcnt vmcnt(4)
	v_mov_b32_e32 v18, v209
	v_fmac_f32_e32 v155, v197, v200
	s_waitcnt lgkmcnt(0)
	v_mul_f32_e32 v223, v202, v207
	v_pk_mul_f32 v[18:19], v[204:205], v[18:19] op_sel:[1,0] op_sel_hi:[0,0]
	v_fmac_f32_e32 v223, v203, v206
	v_pk_fma_f32 v[20:21], v[204:205], v[208:209], v[18:19] neg_lo:[0,0,1] neg_hi:[0,0,1]
	v_pk_fma_f32 v[18:19], v[204:205], v[208:209], v[18:19] op_sel_hi:[1,0,1]
	s_waitcnt vmcnt(0)
	v_mul_f32_e32 v27, v10, v23
	v_fmac_f32_e32 v27, v11, v22
	v_add_f32_e32 v26, v26, v27
	v_mul_f32_e32 v27, v12, v25
	v_fmac_f32_e32 v27, v13, v24
	v_add_f32_e32 v30, v26, v27
	scratch_load_dwordx4 v[26:29], off, off offset:112
	v_mul_f32_e32 v11, v11, v23
	v_fma_f32 v10, v10, v22, -v11
	v_mul_f32_e32 v11, v13, v25
	v_add_f32_e32 v10, v14, v10
	v_fma_f32 v11, v12, v24, -v11
	v_add_f32_e32 v10, v10, v11
	v_mov_b32_e32 v21, v19
	s_waitcnt vmcnt(0)
	v_mul_f32_e32 v31, v6, v27
	v_fmac_f32_e32 v31, v7, v26
	v_add_f32_e32 v30, v30, v31
	v_mul_f32_e32 v31, v8, v29
	v_fmac_f32_e32 v31, v9, v28
	v_add_f32_e32 v34, v30, v31
	scratch_load_dwordx4 v[30:33], off, off offset:128
	v_mul_f32_e32 v7, v7, v27
	v_fma_f32 v6, v6, v26, -v7
	v_mul_f32_e32 v7, v9, v29
	v_add_f32_e32 v6, v10, v6
	v_fma_f32 v7, v8, v28, -v7
	v_add_f32_e32 v6, v6, v7
	s_waitcnt vmcnt(0)
	v_mul_f32_e32 v35, v2, v31
	v_fmac_f32_e32 v35, v3, v30
	v_add_f32_e32 v34, v34, v35
	v_mul_f32_e32 v35, v4, v33
	v_fmac_f32_e32 v35, v5, v32
	v_add_f32_e32 v42, v34, v35
	ds_read_b128 v[34:37], v172 offset:656
	v_mul_f32_e32 v3, v3, v31
	v_fma_f32 v2, v2, v30, -v3
	v_mul_f32_e32 v3, v5, v33
	v_add_f32_e32 v2, v6, v2
	s_waitcnt lgkmcnt(0)
	v_mul_f32_e32 v43, v34, v39
	v_fmac_f32_e32 v43, v35, v38
	v_add_f32_e32 v42, v42, v43
	v_mul_f32_e32 v43, v36, v41
	v_fmac_f32_e32 v43, v37, v40
	v_add_f32_e32 v50, v42, v43
	ds_read_b128 v[42:45], v172 offset:672
	v_fma_f32 v3, v4, v32, -v3
	v_add_f32_e32 v2, v2, v3
	v_mul_f32_e32 v3, v35, v39
	v_fma_f32 v3, v34, v38, -v3
	s_waitcnt lgkmcnt(0)
	v_mul_f32_e32 v51, v42, v47
	v_fmac_f32_e32 v51, v43, v46
	v_add_f32_e32 v50, v50, v51
	v_mul_f32_e32 v51, v44, v49
	v_fmac_f32_e32 v51, v45, v48
	v_add_f32_e32 v58, v50, v51
	ds_read_b128 v[50:53], v172 offset:688
	v_add_f32_e32 v2, v2, v3
	v_mul_f32_e32 v3, v37, v41
	v_fma_f32 v3, v36, v40, -v3
	v_add_f32_e32 v2, v2, v3
	s_waitcnt lgkmcnt(0)
	v_mul_f32_e32 v59, v50, v55
	v_fmac_f32_e32 v59, v51, v54
	v_add_f32_e32 v58, v58, v59
	v_mul_f32_e32 v59, v52, v57
	v_fmac_f32_e32 v59, v53, v56
	v_add_f32_e32 v66, v58, v59
	ds_read_b128 v[58:61], v172 offset:704
	v_mul_f32_e32 v3, v43, v47
	v_fma_f32 v3, v42, v46, -v3
	v_add_f32_e32 v2, v2, v3
	v_mul_f32_e32 v3, v45, v49
	s_waitcnt lgkmcnt(0)
	v_mul_f32_e32 v67, v58, v63
	v_fmac_f32_e32 v67, v59, v62
	v_add_f32_e32 v66, v66, v67
	v_mul_f32_e32 v67, v60, v65
	v_fmac_f32_e32 v67, v61, v64
	v_add_f32_e32 v74, v66, v67
	ds_read_b128 v[66:69], v172 offset:720
	v_fma_f32 v3, v44, v48, -v3
	v_add_f32_e32 v2, v2, v3
	v_mul_f32_e32 v3, v51, v55
	v_fma_f32 v3, v50, v54, -v3
	s_waitcnt lgkmcnt(0)
	v_mul_f32_e32 v75, v66, v71
	v_fmac_f32_e32 v75, v67, v70
	v_add_f32_e32 v74, v74, v75
	v_mul_f32_e32 v75, v68, v73
	v_fmac_f32_e32 v75, v69, v72
	v_add_f32_e32 v82, v74, v75
	ds_read_b128 v[74:77], v172 offset:736
	v_add_f32_e32 v2, v2, v3
	v_mul_f32_e32 v3, v53, v57
	v_fma_f32 v3, v52, v56, -v3
	v_add_f32_e32 v2, v2, v3
	s_waitcnt lgkmcnt(0)
	v_mul_f32_e32 v83, v74, v79
	v_fmac_f32_e32 v83, v75, v78
	v_add_f32_e32 v82, v82, v83
	v_mul_f32_e32 v83, v76, v81
	v_fmac_f32_e32 v83, v77, v80
	v_add_f32_e32 v90, v82, v83
	ds_read_b128 v[82:85], v172 offset:752
	v_mul_f32_e32 v3, v59, v63
	v_fma_f32 v3, v58, v62, -v3
	v_add_f32_e32 v2, v2, v3
	v_mul_f32_e32 v3, v61, v65
	;; [unrolled: 36-line block ×4, first 2 shown]
	s_waitcnt lgkmcnt(0)
	v_mul_f32_e32 v139, v130, v135
	v_fmac_f32_e32 v139, v131, v134
	v_add_f32_e32 v138, v138, v139
	v_mul_f32_e32 v139, v132, v137
	v_fmac_f32_e32 v139, v133, v136
	v_add_f32_e32 v146, v138, v139
	ds_read_b128 v[138:141], v172 offset:864
	v_fma_f32 v3, v92, v96, -v3
	v_add_f32_e32 v2, v2, v3
	v_mul_f32_e32 v3, v99, v103
	v_fma_f32 v3, v98, v102, -v3
	s_waitcnt lgkmcnt(0)
	v_mul_f32_e32 v147, v138, v143
	v_fmac_f32_e32 v147, v139, v142
	v_add_f32_e32 v146, v146, v147
	v_mul_f32_e32 v147, v140, v145
	v_fmac_f32_e32 v147, v141, v144
	v_add_f32_e32 v152, v146, v147
	ds_read_b128 v[146:149], v172 offset:880
	scratch_load_dwordx4 v[210:213], off, off offset:448
	scratch_load_dwordx4 v[214:217], off, off offset:464
	;; [unrolled: 1-line block ×3, first 2 shown]
	scratch_load_dwordx2 v[224:225], off, off offset:496
	v_add_f32_e32 v2, v2, v3
	v_mul_f32_e32 v3, v101, v105
	v_fma_f32 v3, v100, v104, -v3
	v_add_f32_e32 v2, v2, v3
	v_mul_f32_e32 v3, v107, v111
	v_fma_f32 v3, v106, v110, -v3
	;; [unrolled: 3-line block ×11, first 2 shown]
	s_waitcnt lgkmcnt(0)
	v_mul_f32_e32 v153, v146, v175
	v_add_f32_e32 v2, v2, v3
	v_mul_f32_e32 v3, v147, v175
	v_fmac_f32_e32 v153, v147, v174
	v_fma_f32 v3, v146, v174, -v3
	v_add_f32_e32 v152, v152, v153
	v_mul_f32_e32 v153, v148, v177
	v_add_f32_e32 v2, v2, v3
	v_mul_f32_e32 v3, v149, v177
	v_fmac_f32_e32 v153, v149, v176
	v_fma_f32 v3, v148, v176, -v3
	v_add_f32_e32 v152, v152, v153
	;; [unrolled: 6-line block ×7, first 2 shown]
	v_add_f32_e32 v152, v2, v3
	v_mul_f32_e32 v2, v197, v201
	v_fma_f32 v154, v196, v200, -v2
	v_mul_f32_e32 v2, v203, v207
	v_fma_f32 v222, v202, v206, -v2
	ds_read_b128 v[2:5], v172 offset:960
	ds_read_b128 v[6:9], v172 offset:976
	;; [unrolled: 1-line block ×3, first 2 shown]
	ds_read_b64 v[14:15], v172 offset:1008
	v_pk_add_f32 v[16:17], v[152:153], v[154:155]
	s_waitcnt vmcnt(3) lgkmcnt(3)
	v_pk_mul_f32 v[18:19], v[2:3], v[210:211] op_sel:[1,1] op_sel_hi:[0,1]
	v_pk_add_f32 v[16:17], v[16:17], v[222:223]
	s_nop 0
	v_pk_add_f32 v[16:17], v[16:17], v[20:21]
	v_pk_fma_f32 v[20:21], v[2:3], v[210:211], v[18:19] neg_lo:[0,0,1] neg_hi:[0,0,1]
	v_pk_fma_f32 v[2:3], v[2:3], v[210:211], v[18:19] op_sel_hi:[1,0,1]
	s_nop 0
	v_mov_b32_e32 v21, v3
	v_pk_add_f32 v[2:3], v[16:17], v[20:21]
	v_mov_b32_e32 v16, v213
	v_pk_mul_f32 v[16:17], v[4:5], v[16:17] op_sel:[1,0] op_sel_hi:[0,0]
	v_pk_fma_f32 v[18:19], v[4:5], v[212:213], v[16:17] neg_lo:[0,0,1] neg_hi:[0,0,1]
	v_pk_fma_f32 v[4:5], v[4:5], v[212:213], v[16:17] op_sel_hi:[1,0,1]
	s_nop 0
	v_mov_b32_e32 v19, v5
	s_waitcnt vmcnt(2) lgkmcnt(2)
	v_pk_mul_f32 v[4:5], v[6:7], v[214:215] op_sel:[1,1] op_sel_hi:[0,1]
	v_pk_fma_f32 v[16:17], v[6:7], v[214:215], v[4:5] neg_lo:[0,0,1] neg_hi:[0,0,1]
	v_pk_fma_f32 v[4:5], v[6:7], v[214:215], v[4:5] op_sel_hi:[1,0,1]
	v_pk_add_f32 v[2:3], v[2:3], v[18:19]
	v_mov_b32_e32 v4, v217
	v_mov_b32_e32 v17, v5
	v_pk_mul_f32 v[4:5], v[8:9], v[4:5] op_sel:[1,0] op_sel_hi:[0,0]
	v_pk_fma_f32 v[6:7], v[8:9], v[216:217], v[4:5] neg_lo:[0,0,1] neg_hi:[0,0,1]
	v_pk_fma_f32 v[4:5], v[8:9], v[216:217], v[4:5] op_sel_hi:[1,0,1]
	v_pk_add_f32 v[2:3], v[2:3], v[16:17]
	v_mov_b32_e32 v7, v5
	s_waitcnt vmcnt(1) lgkmcnt(1)
	v_pk_mul_f32 v[4:5], v[10:11], v[218:219] op_sel:[1,1] op_sel_hi:[0,1]
	v_pk_add_f32 v[2:3], v[2:3], v[6:7]
	v_pk_fma_f32 v[6:7], v[10:11], v[218:219], v[4:5] neg_lo:[0,0,1] neg_hi:[0,0,1]
	v_pk_fma_f32 v[4:5], v[10:11], v[218:219], v[4:5] op_sel_hi:[1,0,1]
	s_nop 0
	v_mov_b32_e32 v4, v221
	v_mov_b32_e32 v7, v5
	v_pk_mul_f32 v[4:5], v[12:13], v[4:5] op_sel:[1,0] op_sel_hi:[0,0]
	v_pk_add_f32 v[2:3], v[2:3], v[6:7]
	v_pk_fma_f32 v[6:7], v[12:13], v[220:221], v[4:5] neg_lo:[0,0,1] neg_hi:[0,0,1]
	v_pk_fma_f32 v[4:5], v[12:13], v[220:221], v[4:5] op_sel_hi:[1,0,1]
	s_nop 0
	v_mov_b32_e32 v7, v5
	s_waitcnt vmcnt(0) lgkmcnt(0)
	v_pk_mul_f32 v[4:5], v[14:15], v[224:225] op_sel:[1,1] op_sel_hi:[0,1]
	v_pk_add_f32 v[2:3], v[2:3], v[6:7]
	v_pk_fma_f32 v[6:7], v[14:15], v[224:225], v[4:5] neg_lo:[0,0,1] neg_hi:[0,0,1]
	v_pk_fma_f32 v[4:5], v[14:15], v[224:225], v[4:5] op_sel_hi:[1,0,1]
	s_nop 0
	v_mov_b32_e32 v7, v5
	scratch_load_dwordx2 v[4:5], off, off offset:72
	v_pk_add_f32 v[2:3], v[2:3], v[6:7]
	s_waitcnt vmcnt(0)
	v_pk_add_f32 v[2:3], v[4:5], v[2:3] neg_lo:[0,1] neg_hi:[0,1]
	scratch_store_dwordx2 off, v[2:3], off offset:72
	s_and_saveexec_b64 s[0:1], vcc
	s_cbranch_execz .LBB126_375
; %bb.374:
	scratch_load_dwordx2 v[2:3], off, off offset:64
	v_mov_b32_e32 v173, v172
	scratch_store_dwordx2 off, v[172:173], off offset:64
	s_waitcnt vmcnt(1)
	ds_write_b64 v1, v[2:3]
.LBB126_375:
	s_or_b64 exec, exec, s[0:1]
	s_waitcnt lgkmcnt(0)
	; wave barrier
	scratch_load_dwordx4 v[6:9], off, off offset:72
	scratch_load_dwordx4 v[14:17], off, off offset:88
	;; [unrolled: 1-line block ×10, first 2 shown]
	ds_read2_b64 v[2:5], v172 offset0:73 offset1:74
	ds_read2_b64 v[178:181], v172 offset0:111 offset1:112
	scratch_load_dwordx4 v[86:89], off, off offset:232
	scratch_load_dwordx4 v[94:97], off, off offset:248
	;; [unrolled: 1-line block ×13, first 2 shown]
	v_cmp_lt_u32_e32 vcc, 7, v0
	ds_read2_b64 v[186:189], v172 offset0:113 offset1:114
	ds_read2_b64 v[194:197], v172 offset0:115 offset1:116
	;; [unrolled: 1-line block ×3, first 2 shown]
	s_waitcnt vmcnt(22) lgkmcnt(4)
	v_mul_f32_e32 v10, v2, v7
	v_fmac_f32_e32 v10, v3, v6
	v_mul_f32_e32 v11, v4, v9
	v_add_f32_e32 v10, 0, v10
	v_fmac_f32_e32 v11, v5, v8
	v_add_f32_e32 v18, v10, v11
	ds_read2_b64 v[10:13], v172 offset0:75 offset1:76
	v_mul_f32_e32 v3, v3, v7
	v_fma_f32 v2, v2, v6, -v3
	v_mul_f32_e32 v3, v5, v9
	v_add_f32_e32 v2, 0, v2
	s_waitcnt vmcnt(21) lgkmcnt(0)
	v_mul_f32_e32 v19, v10, v15
	v_fmac_f32_e32 v19, v11, v14
	v_add_f32_e32 v18, v18, v19
	v_mul_f32_e32 v19, v12, v17
	v_fmac_f32_e32 v19, v13, v16
	v_add_f32_e32 v26, v18, v19
	ds_read2_b64 v[18:21], v172 offset0:77 offset1:78
	v_fma_f32 v3, v4, v8, -v3
	v_add_f32_e32 v2, v2, v3
	v_mul_f32_e32 v3, v11, v15
	v_fma_f32 v3, v10, v14, -v3
	s_waitcnt vmcnt(20) lgkmcnt(0)
	v_mul_f32_e32 v27, v18, v23
	v_fmac_f32_e32 v27, v19, v22
	v_add_f32_e32 v26, v26, v27
	v_mul_f32_e32 v27, v20, v25
	v_fmac_f32_e32 v27, v21, v24
	v_add_f32_e32 v34, v26, v27
	ds_read2_b64 v[26:29], v172 offset0:79 offset1:80
	v_add_f32_e32 v2, v2, v3
	v_mul_f32_e32 v3, v13, v17
	v_fma_f32 v3, v12, v16, -v3
	v_add_f32_e32 v2, v2, v3
	s_waitcnt vmcnt(19) lgkmcnt(0)
	v_mul_f32_e32 v35, v26, v31
	v_fmac_f32_e32 v35, v27, v30
	v_add_f32_e32 v34, v34, v35
	v_mul_f32_e32 v35, v28, v33
	v_fmac_f32_e32 v35, v29, v32
	v_add_f32_e32 v42, v34, v35
	ds_read2_b64 v[34:37], v172 offset0:81 offset1:82
	v_mul_f32_e32 v3, v19, v23
	v_fma_f32 v3, v18, v22, -v3
	v_add_f32_e32 v2, v2, v3
	v_mul_f32_e32 v3, v21, v25
	s_waitcnt vmcnt(18) lgkmcnt(0)
	v_mul_f32_e32 v43, v34, v39
	v_fmac_f32_e32 v43, v35, v38
	v_add_f32_e32 v42, v42, v43
	v_mul_f32_e32 v43, v36, v41
	v_fmac_f32_e32 v43, v37, v40
	v_add_f32_e32 v50, v42, v43
	ds_read2_b64 v[42:45], v172 offset0:83 offset1:84
	v_fma_f32 v3, v20, v24, -v3
	v_add_f32_e32 v2, v2, v3
	v_mul_f32_e32 v3, v27, v31
	v_fma_f32 v3, v26, v30, -v3
	s_waitcnt vmcnt(17) lgkmcnt(0)
	v_mul_f32_e32 v51, v42, v47
	v_fmac_f32_e32 v51, v43, v46
	v_add_f32_e32 v50, v50, v51
	v_mul_f32_e32 v51, v44, v49
	v_fmac_f32_e32 v51, v45, v48
	v_add_f32_e32 v58, v50, v51
	ds_read2_b64 v[50:53], v172 offset0:85 offset1:86
	v_add_f32_e32 v2, v2, v3
	v_mul_f32_e32 v3, v29, v33
	v_fma_f32 v3, v28, v32, -v3
	v_add_f32_e32 v2, v2, v3
	s_waitcnt vmcnt(16) lgkmcnt(0)
	v_mul_f32_e32 v59, v50, v55
	v_fmac_f32_e32 v59, v51, v54
	v_add_f32_e32 v58, v58, v59
	v_mul_f32_e32 v59, v52, v57
	v_fmac_f32_e32 v59, v53, v56
	v_add_f32_e32 v66, v58, v59
	ds_read2_b64 v[58:61], v172 offset0:87 offset1:88
	v_mul_f32_e32 v3, v35, v39
	v_fma_f32 v3, v34, v38, -v3
	v_add_f32_e32 v2, v2, v3
	v_mul_f32_e32 v3, v37, v41
	;; [unrolled: 36-line block ×5, first 2 shown]
	s_waitcnt vmcnt(6) lgkmcnt(0)
	v_mul_f32_e32 v139, v130, v135
	v_fmac_f32_e32 v139, v131, v134
	v_add_f32_e32 v138, v138, v139
	v_mul_f32_e32 v139, v132, v137
	v_fmac_f32_e32 v139, v133, v136
	v_add_f32_e32 v146, v138, v139
	ds_read2_b64 v[138:141], v172 offset0:107 offset1:108
	v_fma_f32 v3, v84, v88, -v3
	v_add_f32_e32 v2, v2, v3
	v_mul_f32_e32 v3, v91, v95
	v_fma_f32 v3, v90, v94, -v3
	s_waitcnt vmcnt(5) lgkmcnt(0)
	v_mul_f32_e32 v147, v138, v143
	v_fmac_f32_e32 v147, v139, v142
	v_add_f32_e32 v146, v146, v147
	v_mul_f32_e32 v147, v140, v145
	v_fmac_f32_e32 v147, v141, v144
	v_add_f32_e32 v152, v146, v147
	ds_read2_b64 v[146:149], v172 offset0:109 offset1:110
	scratch_load_dwordx4 v[210:213], off, off offset:440
	scratch_load_dwordx4 v[214:217], off, off offset:456
	;; [unrolled: 1-line block ×4, first 2 shown]
	v_add_f32_e32 v2, v2, v3
	v_mul_f32_e32 v3, v93, v97
	v_fma_f32 v3, v92, v96, -v3
	v_add_f32_e32 v2, v2, v3
	v_mul_f32_e32 v3, v99, v103
	v_fma_f32 v3, v98, v102, -v3
	;; [unrolled: 3-line block ×13, first 2 shown]
	s_waitcnt vmcnt(8) lgkmcnt(0)
	v_mul_f32_e32 v153, v146, v175
	v_add_f32_e32 v2, v2, v3
	v_mul_f32_e32 v3, v147, v175
	v_fmac_f32_e32 v153, v147, v174
	v_fma_f32 v3, v146, v174, -v3
	v_add_f32_e32 v152, v152, v153
	v_mul_f32_e32 v153, v148, v177
	v_add_f32_e32 v2, v2, v3
	v_mul_f32_e32 v3, v149, v177
	v_fmac_f32_e32 v153, v149, v176
	v_fma_f32 v3, v148, v176, -v3
	v_add_f32_e32 v152, v152, v153
	s_waitcnt vmcnt(7)
	v_mul_f32_e32 v153, v178, v183
	v_add_f32_e32 v2, v2, v3
	v_mul_f32_e32 v3, v179, v183
	v_fmac_f32_e32 v153, v179, v182
	v_fma_f32 v3, v178, v182, -v3
	v_add_f32_e32 v152, v152, v153
	v_mul_f32_e32 v153, v180, v185
	v_add_f32_e32 v2, v2, v3
	v_mul_f32_e32 v3, v181, v185
	v_fmac_f32_e32 v153, v181, v184
	v_fma_f32 v3, v180, v184, -v3
	v_add_f32_e32 v152, v152, v153
	s_waitcnt vmcnt(6)
	;; [unrolled: 13-line block ×3, first 2 shown]
	v_mul_f32_e32 v153, v194, v199
	v_add_f32_e32 v2, v2, v3
	v_mul_f32_e32 v3, v195, v199
	v_fmac_f32_e32 v153, v195, v198
	v_fma_f32 v3, v194, v198, -v3
	v_add_f32_e32 v152, v152, v153
	v_mul_f32_e32 v153, v196, v201
	v_add_f32_e32 v2, v2, v3
	v_mul_f32_e32 v3, v197, v201
	v_fmac_f32_e32 v153, v197, v200
	v_fma_f32 v3, v196, v200, -v3
	v_add_f32_e32 v153, v152, v153
	v_add_f32_e32 v152, v2, v3
	s_waitcnt vmcnt(4)
	v_mul_f32_e32 v2, v203, v207
	v_fma_f32 v154, v202, v206, -v2
	v_mul_f32_e32 v2, v205, v209
	v_fma_f32 v226, v204, v208, -v2
	ds_read2_b64 v[2:5], v172 offset0:119 offset1:120
	ds_read2_b64 v[6:9], v172 offset0:121 offset1:122
	;; [unrolled: 1-line block ×4, first 2 shown]
	v_mul_f32_e32 v155, v202, v207
	v_fmac_f32_e32 v155, v203, v206
	v_mul_f32_e32 v227, v204, v209
	s_waitcnt vmcnt(3) lgkmcnt(3)
	v_pk_mul_f32 v[20:21], v[2:3], v[210:211] op_sel:[1,1] op_sel_hi:[0,1]
	v_fmac_f32_e32 v227, v205, v208
	v_pk_add_f32 v[18:19], v[152:153], v[154:155]
	v_pk_fma_f32 v[22:23], v[2:3], v[210:211], v[20:21] neg_lo:[0,0,1] neg_hi:[0,0,1]
	v_pk_fma_f32 v[2:3], v[2:3], v[210:211], v[20:21] op_sel_hi:[1,0,1]
	v_pk_add_f32 v[18:19], v[18:19], v[226:227]
	v_mov_b32_e32 v23, v3
	v_pk_add_f32 v[2:3], v[18:19], v[22:23]
	v_mov_b32_e32 v18, v213
	v_pk_mul_f32 v[18:19], v[4:5], v[18:19] op_sel:[1,0] op_sel_hi:[0,0]
	v_pk_fma_f32 v[20:21], v[4:5], v[212:213], v[18:19] neg_lo:[0,0,1] neg_hi:[0,0,1]
	v_pk_fma_f32 v[4:5], v[4:5], v[212:213], v[18:19] op_sel_hi:[1,0,1]
	s_nop 0
	v_mov_b32_e32 v21, v5
	s_waitcnt vmcnt(2) lgkmcnt(2)
	v_pk_mul_f32 v[4:5], v[6:7], v[214:215] op_sel:[1,1] op_sel_hi:[0,1]
	v_pk_fma_f32 v[18:19], v[6:7], v[214:215], v[4:5] neg_lo:[0,0,1] neg_hi:[0,0,1]
	v_pk_fma_f32 v[4:5], v[6:7], v[214:215], v[4:5] op_sel_hi:[1,0,1]
	v_pk_add_f32 v[2:3], v[2:3], v[20:21]
	v_mov_b32_e32 v4, v217
	v_mov_b32_e32 v19, v5
	v_pk_mul_f32 v[4:5], v[8:9], v[4:5] op_sel:[1,0] op_sel_hi:[0,0]
	v_pk_fma_f32 v[6:7], v[8:9], v[216:217], v[4:5] neg_lo:[0,0,1] neg_hi:[0,0,1]
	v_pk_fma_f32 v[4:5], v[8:9], v[216:217], v[4:5] op_sel_hi:[1,0,1]
	v_pk_add_f32 v[2:3], v[2:3], v[18:19]
	v_mov_b32_e32 v7, v5
	s_waitcnt vmcnt(1) lgkmcnt(1)
	v_pk_mul_f32 v[4:5], v[10:11], v[218:219] op_sel:[1,1] op_sel_hi:[0,1]
	v_pk_add_f32 v[2:3], v[2:3], v[6:7]
	v_pk_fma_f32 v[6:7], v[10:11], v[218:219], v[4:5] neg_lo:[0,0,1] neg_hi:[0,0,1]
	v_pk_fma_f32 v[4:5], v[10:11], v[218:219], v[4:5] op_sel_hi:[1,0,1]
	s_nop 0
	v_mov_b32_e32 v4, v221
	v_mov_b32_e32 v7, v5
	v_pk_mul_f32 v[4:5], v[12:13], v[4:5] op_sel:[1,0] op_sel_hi:[0,0]
	v_pk_add_f32 v[2:3], v[2:3], v[6:7]
	v_pk_fma_f32 v[6:7], v[12:13], v[220:221], v[4:5] neg_lo:[0,0,1] neg_hi:[0,0,1]
	v_pk_fma_f32 v[4:5], v[12:13], v[220:221], v[4:5] op_sel_hi:[1,0,1]
	s_nop 0
	v_mov_b32_e32 v7, v5
	s_waitcnt vmcnt(0) lgkmcnt(0)
	v_pk_mul_f32 v[4:5], v[14:15], v[222:223] op_sel:[1,1] op_sel_hi:[0,1]
	v_pk_add_f32 v[2:3], v[2:3], v[6:7]
	v_pk_fma_f32 v[6:7], v[14:15], v[222:223], v[4:5] neg_lo:[0,0,1] neg_hi:[0,0,1]
	v_pk_fma_f32 v[4:5], v[14:15], v[222:223], v[4:5] op_sel_hi:[1,0,1]
	s_nop 0
	v_mov_b32_e32 v4, v225
	v_mov_b32_e32 v7, v5
	v_pk_mul_f32 v[4:5], v[16:17], v[4:5] op_sel:[1,0] op_sel_hi:[0,0]
	v_pk_add_f32 v[2:3], v[2:3], v[6:7]
	v_pk_fma_f32 v[6:7], v[16:17], v[224:225], v[4:5] neg_lo:[0,0,1] neg_hi:[0,0,1]
	v_pk_fma_f32 v[4:5], v[16:17], v[224:225], v[4:5] op_sel_hi:[1,0,1]
	s_nop 0
	v_mov_b32_e32 v7, v5
	scratch_load_dwordx2 v[4:5], off, off offset:64
	v_pk_add_f32 v[2:3], v[2:3], v[6:7]
	s_waitcnt vmcnt(0)
	v_pk_add_f32 v[2:3], v[4:5], v[2:3] neg_lo:[0,1] neg_hi:[0,1]
	scratch_store_dwordx2 off, v[2:3], off offset:64
	s_and_saveexec_b64 s[0:1], vcc
	s_cbranch_execz .LBB126_377
; %bb.376:
	scratch_load_dwordx2 v[2:3], off, off offset:56
	v_mov_b32_e32 v4, 0
	v_mov_b32_e32 v5, v4
	scratch_store_dwordx2 off, v[4:5], off offset:56
	s_waitcnt vmcnt(1)
	ds_write_b64 v1, v[2:3]
.LBB126_377:
	s_or_b64 exec, exec, s[0:1]
	v_mov_b32_e32 v172, 0
	s_waitcnt lgkmcnt(0)
	; wave barrier
	ds_read_b128 v[14:17], v172 offset:576
	ds_read_b128 v[10:13], v172 offset:592
	;; [unrolled: 1-line block ×4, first 2 shown]
	scratch_load_dwordx4 v[18:21], off, off offset:64
	scratch_load_dwordx4 v[38:41], off, off offset:128
	;; [unrolled: 1-line block ×18, first 2 shown]
	v_cmp_lt_u32_e32 vcc, 6, v0
	scratch_load_dwordx4 v[46:49], off, off offset:144
	scratch_load_dwordx4 v[54:57], off, off offset:160
	scratch_load_dwordx4 v[62:65], off, off offset:176
	ds_read_b128 v[178:181], v172 offset:880
	ds_read_b128 v[186:189], v172 offset:896
	;; [unrolled: 1-line block ×5, first 2 shown]
	s_waitcnt vmcnt(20) lgkmcnt(8)
	v_mul_f32_e32 v22, v14, v19
	v_fmac_f32_e32 v22, v15, v18
	v_mul_f32_e32 v23, v16, v21
	v_add_f32_e32 v22, 0, v22
	v_fmac_f32_e32 v23, v17, v20
	v_add_f32_e32 v26, v22, v23
	scratch_load_dwordx4 v[22:25], off, off offset:80
	v_mul_f32_e32 v15, v15, v19
	v_fma_f32 v14, v14, v18, -v15
	v_mul_f32_e32 v15, v17, v21
	v_add_f32_e32 v14, 0, v14
	v_fma_f32 v15, v16, v20, -v15
	v_add_f32_e32 v14, v14, v15
	s_waitcnt vmcnt(5) lgkmcnt(1)
	v_mul_f32_e32 v155, v204, v209
	s_waitcnt vmcnt(4)
	v_mov_b32_e32 v18, v217
	v_fmac_f32_e32 v155, v205, v208
	s_waitcnt lgkmcnt(0)
	v_mul_f32_e32 v231, v210, v215
	v_pk_mul_f32 v[18:19], v[212:213], v[18:19] op_sel:[1,0] op_sel_hi:[0,0]
	v_fmac_f32_e32 v231, v211, v214
	v_pk_fma_f32 v[20:21], v[212:213], v[216:217], v[18:19] neg_lo:[0,0,1] neg_hi:[0,0,1]
	v_pk_fma_f32 v[18:19], v[212:213], v[216:217], v[18:19] op_sel_hi:[1,0,1]
	s_waitcnt vmcnt(0)
	v_mul_f32_e32 v27, v10, v23
	v_fmac_f32_e32 v27, v11, v22
	v_add_f32_e32 v26, v26, v27
	v_mul_f32_e32 v27, v12, v25
	v_fmac_f32_e32 v27, v13, v24
	v_add_f32_e32 v30, v26, v27
	scratch_load_dwordx4 v[26:29], off, off offset:96
	v_mul_f32_e32 v11, v11, v23
	v_fma_f32 v10, v10, v22, -v11
	v_mul_f32_e32 v11, v13, v25
	v_add_f32_e32 v10, v14, v10
	v_fma_f32 v11, v12, v24, -v11
	v_add_f32_e32 v10, v10, v11
	v_mov_b32_e32 v21, v19
	s_waitcnt vmcnt(0)
	v_mul_f32_e32 v31, v6, v27
	v_fmac_f32_e32 v31, v7, v26
	v_add_f32_e32 v30, v30, v31
	v_mul_f32_e32 v31, v8, v29
	v_fmac_f32_e32 v31, v9, v28
	v_add_f32_e32 v34, v30, v31
	scratch_load_dwordx4 v[30:33], off, off offset:112
	v_mul_f32_e32 v7, v7, v27
	v_fma_f32 v6, v6, v26, -v7
	v_mul_f32_e32 v7, v9, v29
	v_add_f32_e32 v6, v10, v6
	v_fma_f32 v7, v8, v28, -v7
	v_add_f32_e32 v6, v6, v7
	s_waitcnt vmcnt(0)
	v_mul_f32_e32 v35, v2, v31
	v_fmac_f32_e32 v35, v3, v30
	v_add_f32_e32 v34, v34, v35
	v_mul_f32_e32 v35, v4, v33
	v_fmac_f32_e32 v35, v5, v32
	v_add_f32_e32 v42, v34, v35
	ds_read_b128 v[34:37], v172 offset:640
	v_mul_f32_e32 v3, v3, v31
	v_fma_f32 v2, v2, v30, -v3
	v_mul_f32_e32 v3, v5, v33
	v_add_f32_e32 v2, v6, v2
	s_waitcnt lgkmcnt(0)
	v_mul_f32_e32 v43, v34, v39
	v_fmac_f32_e32 v43, v35, v38
	v_add_f32_e32 v42, v42, v43
	v_mul_f32_e32 v43, v36, v41
	v_fmac_f32_e32 v43, v37, v40
	v_add_f32_e32 v50, v42, v43
	ds_read_b128 v[42:45], v172 offset:656
	v_fma_f32 v3, v4, v32, -v3
	v_add_f32_e32 v2, v2, v3
	v_mul_f32_e32 v3, v35, v39
	v_fma_f32 v3, v34, v38, -v3
	s_waitcnt lgkmcnt(0)
	v_mul_f32_e32 v51, v42, v47
	v_fmac_f32_e32 v51, v43, v46
	v_add_f32_e32 v50, v50, v51
	v_mul_f32_e32 v51, v44, v49
	v_fmac_f32_e32 v51, v45, v48
	v_add_f32_e32 v58, v50, v51
	ds_read_b128 v[50:53], v172 offset:672
	v_add_f32_e32 v2, v2, v3
	v_mul_f32_e32 v3, v37, v41
	v_fma_f32 v3, v36, v40, -v3
	v_add_f32_e32 v2, v2, v3
	s_waitcnt lgkmcnt(0)
	v_mul_f32_e32 v59, v50, v55
	v_fmac_f32_e32 v59, v51, v54
	v_add_f32_e32 v58, v58, v59
	v_mul_f32_e32 v59, v52, v57
	v_fmac_f32_e32 v59, v53, v56
	v_add_f32_e32 v66, v58, v59
	ds_read_b128 v[58:61], v172 offset:688
	v_mul_f32_e32 v3, v43, v47
	v_fma_f32 v3, v42, v46, -v3
	v_add_f32_e32 v2, v2, v3
	v_mul_f32_e32 v3, v45, v49
	s_waitcnt lgkmcnt(0)
	v_mul_f32_e32 v67, v58, v63
	v_fmac_f32_e32 v67, v59, v62
	v_add_f32_e32 v66, v66, v67
	v_mul_f32_e32 v67, v60, v65
	v_fmac_f32_e32 v67, v61, v64
	v_add_f32_e32 v74, v66, v67
	ds_read_b128 v[66:69], v172 offset:704
	v_fma_f32 v3, v44, v48, -v3
	v_add_f32_e32 v2, v2, v3
	v_mul_f32_e32 v3, v51, v55
	v_fma_f32 v3, v50, v54, -v3
	s_waitcnt lgkmcnt(0)
	v_mul_f32_e32 v75, v66, v71
	v_fmac_f32_e32 v75, v67, v70
	v_add_f32_e32 v74, v74, v75
	v_mul_f32_e32 v75, v68, v73
	v_fmac_f32_e32 v75, v69, v72
	v_add_f32_e32 v82, v74, v75
	ds_read_b128 v[74:77], v172 offset:720
	v_add_f32_e32 v2, v2, v3
	v_mul_f32_e32 v3, v53, v57
	v_fma_f32 v3, v52, v56, -v3
	v_add_f32_e32 v2, v2, v3
	s_waitcnt lgkmcnt(0)
	v_mul_f32_e32 v83, v74, v79
	v_fmac_f32_e32 v83, v75, v78
	v_add_f32_e32 v82, v82, v83
	v_mul_f32_e32 v83, v76, v81
	v_fmac_f32_e32 v83, v77, v80
	v_add_f32_e32 v90, v82, v83
	ds_read_b128 v[82:85], v172 offset:736
	v_mul_f32_e32 v3, v59, v63
	v_fma_f32 v3, v58, v62, -v3
	v_add_f32_e32 v2, v2, v3
	v_mul_f32_e32 v3, v61, v65
	;; [unrolled: 36-line block ×4, first 2 shown]
	s_waitcnt lgkmcnt(0)
	v_mul_f32_e32 v139, v130, v135
	v_fmac_f32_e32 v139, v131, v134
	v_add_f32_e32 v138, v138, v139
	v_mul_f32_e32 v139, v132, v137
	v_fmac_f32_e32 v139, v133, v136
	v_add_f32_e32 v146, v138, v139
	ds_read_b128 v[138:141], v172 offset:848
	v_fma_f32 v3, v92, v96, -v3
	v_add_f32_e32 v2, v2, v3
	v_mul_f32_e32 v3, v99, v103
	v_fma_f32 v3, v98, v102, -v3
	s_waitcnt lgkmcnt(0)
	v_mul_f32_e32 v147, v138, v143
	v_fmac_f32_e32 v147, v139, v142
	v_add_f32_e32 v146, v146, v147
	v_mul_f32_e32 v147, v140, v145
	v_fmac_f32_e32 v147, v141, v144
	v_add_f32_e32 v152, v146, v147
	ds_read_b128 v[146:149], v172 offset:864
	scratch_load_dwordx4 v[218:221], off, off offset:448
	scratch_load_dwordx4 v[222:225], off, off offset:464
	;; [unrolled: 1-line block ×3, first 2 shown]
	scratch_load_dwordx2 v[232:233], off, off offset:496
	v_add_f32_e32 v2, v2, v3
	v_mul_f32_e32 v3, v101, v105
	v_fma_f32 v3, v100, v104, -v3
	v_add_f32_e32 v2, v2, v3
	v_mul_f32_e32 v3, v107, v111
	v_fma_f32 v3, v106, v110, -v3
	;; [unrolled: 3-line block ×11, first 2 shown]
	s_waitcnt lgkmcnt(0)
	v_mul_f32_e32 v153, v146, v175
	v_add_f32_e32 v2, v2, v3
	v_mul_f32_e32 v3, v147, v175
	v_fmac_f32_e32 v153, v147, v174
	v_fma_f32 v3, v146, v174, -v3
	v_add_f32_e32 v152, v152, v153
	v_mul_f32_e32 v153, v148, v177
	v_add_f32_e32 v2, v2, v3
	v_mul_f32_e32 v3, v149, v177
	v_fmac_f32_e32 v153, v149, v176
	v_fma_f32 v3, v148, v176, -v3
	v_add_f32_e32 v152, v152, v153
	;; [unrolled: 6-line block ×9, first 2 shown]
	v_add_f32_e32 v152, v2, v3
	v_mul_f32_e32 v2, v205, v209
	v_fma_f32 v154, v204, v208, -v2
	v_mul_f32_e32 v2, v211, v215
	v_fma_f32 v230, v210, v214, -v2
	ds_read_b128 v[2:5], v172 offset:960
	ds_read_b128 v[6:9], v172 offset:976
	;; [unrolled: 1-line block ×3, first 2 shown]
	ds_read_b64 v[14:15], v172 offset:1008
	v_pk_add_f32 v[16:17], v[152:153], v[154:155]
	s_waitcnt vmcnt(3) lgkmcnt(3)
	v_pk_mul_f32 v[18:19], v[2:3], v[218:219] op_sel:[1,1] op_sel_hi:[0,1]
	v_pk_add_f32 v[16:17], v[16:17], v[230:231]
	s_nop 0
	v_pk_add_f32 v[16:17], v[16:17], v[20:21]
	v_pk_fma_f32 v[20:21], v[2:3], v[218:219], v[18:19] neg_lo:[0,0,1] neg_hi:[0,0,1]
	v_pk_fma_f32 v[2:3], v[2:3], v[218:219], v[18:19] op_sel_hi:[1,0,1]
	s_nop 0
	v_mov_b32_e32 v21, v3
	v_pk_add_f32 v[2:3], v[16:17], v[20:21]
	v_mov_b32_e32 v16, v221
	v_pk_mul_f32 v[16:17], v[4:5], v[16:17] op_sel:[1,0] op_sel_hi:[0,0]
	v_pk_fma_f32 v[18:19], v[4:5], v[220:221], v[16:17] neg_lo:[0,0,1] neg_hi:[0,0,1]
	v_pk_fma_f32 v[4:5], v[4:5], v[220:221], v[16:17] op_sel_hi:[1,0,1]
	s_nop 0
	v_mov_b32_e32 v19, v5
	s_waitcnt vmcnt(2) lgkmcnt(2)
	v_pk_mul_f32 v[4:5], v[6:7], v[222:223] op_sel:[1,1] op_sel_hi:[0,1]
	v_pk_fma_f32 v[16:17], v[6:7], v[222:223], v[4:5] neg_lo:[0,0,1] neg_hi:[0,0,1]
	v_pk_fma_f32 v[4:5], v[6:7], v[222:223], v[4:5] op_sel_hi:[1,0,1]
	v_pk_add_f32 v[2:3], v[2:3], v[18:19]
	v_mov_b32_e32 v4, v225
	v_mov_b32_e32 v17, v5
	v_pk_mul_f32 v[4:5], v[8:9], v[4:5] op_sel:[1,0] op_sel_hi:[0,0]
	v_pk_fma_f32 v[6:7], v[8:9], v[224:225], v[4:5] neg_lo:[0,0,1] neg_hi:[0,0,1]
	v_pk_fma_f32 v[4:5], v[8:9], v[224:225], v[4:5] op_sel_hi:[1,0,1]
	v_pk_add_f32 v[2:3], v[2:3], v[16:17]
	v_mov_b32_e32 v7, v5
	s_waitcnt vmcnt(1) lgkmcnt(1)
	v_pk_mul_f32 v[4:5], v[10:11], v[226:227] op_sel:[1,1] op_sel_hi:[0,1]
	v_pk_add_f32 v[2:3], v[2:3], v[6:7]
	v_pk_fma_f32 v[6:7], v[10:11], v[226:227], v[4:5] neg_lo:[0,0,1] neg_hi:[0,0,1]
	v_pk_fma_f32 v[4:5], v[10:11], v[226:227], v[4:5] op_sel_hi:[1,0,1]
	s_nop 0
	v_mov_b32_e32 v4, v229
	v_mov_b32_e32 v7, v5
	v_pk_mul_f32 v[4:5], v[12:13], v[4:5] op_sel:[1,0] op_sel_hi:[0,0]
	v_pk_add_f32 v[2:3], v[2:3], v[6:7]
	v_pk_fma_f32 v[6:7], v[12:13], v[228:229], v[4:5] neg_lo:[0,0,1] neg_hi:[0,0,1]
	v_pk_fma_f32 v[4:5], v[12:13], v[228:229], v[4:5] op_sel_hi:[1,0,1]
	s_nop 0
	v_mov_b32_e32 v7, v5
	s_waitcnt vmcnt(0) lgkmcnt(0)
	v_pk_mul_f32 v[4:5], v[14:15], v[232:233] op_sel:[1,1] op_sel_hi:[0,1]
	v_pk_add_f32 v[2:3], v[2:3], v[6:7]
	v_pk_fma_f32 v[6:7], v[14:15], v[232:233], v[4:5] neg_lo:[0,0,1] neg_hi:[0,0,1]
	v_pk_fma_f32 v[4:5], v[14:15], v[232:233], v[4:5] op_sel_hi:[1,0,1]
	s_nop 0
	v_mov_b32_e32 v7, v5
	scratch_load_dwordx2 v[4:5], off, off offset:56
	v_pk_add_f32 v[2:3], v[2:3], v[6:7]
	s_waitcnt vmcnt(0)
	v_pk_add_f32 v[2:3], v[4:5], v[2:3] neg_lo:[0,1] neg_hi:[0,1]
	scratch_store_dwordx2 off, v[2:3], off offset:56
	s_and_saveexec_b64 s[0:1], vcc
	s_cbranch_execz .LBB126_379
; %bb.378:
	scratch_load_dwordx2 v[2:3], off, off offset:48
	v_mov_b32_e32 v173, v172
	scratch_store_dwordx2 off, v[172:173], off offset:48
	s_waitcnt vmcnt(1)
	ds_write_b64 v1, v[2:3]
.LBB126_379:
	s_or_b64 exec, exec, s[0:1]
	s_waitcnt lgkmcnt(0)
	; wave barrier
	scratch_load_dwordx4 v[6:9], off, off offset:56
	scratch_load_dwordx4 v[14:17], off, off offset:72
	;; [unrolled: 1-line block ×10, first 2 shown]
	ds_read2_b64 v[2:5], v172 offset0:71 offset1:72
	ds_read2_b64 v[178:181], v172 offset0:109 offset1:110
	scratch_load_dwordx4 v[86:89], off, off offset:216
	scratch_load_dwordx4 v[94:97], off, off offset:232
	scratch_load_dwordx4 v[102:105], off, off offset:248
	scratch_load_dwordx4 v[110:113], off, off offset:264
	scratch_load_dwordx4 v[118:121], off, off offset:280
	scratch_load_dwordx4 v[126:129], off, off offset:296
	scratch_load_dwordx4 v[134:137], off, off offset:312
	scratch_load_dwordx4 v[142:145], off, off offset:328
	scratch_load_dwordx4 v[174:177], off, off offset:344
	scratch_load_dwordx4 v[182:185], off, off offset:360
	scratch_load_dwordx4 v[190:193], off, off offset:376
	scratch_load_dwordx4 v[198:201], off, off offset:392
	scratch_load_dwordx4 v[206:209], off, off offset:408
	scratch_load_dwordx4 v[214:217], off, off offset:424
	v_cmp_lt_u32_e32 vcc, 5, v0
	ds_read2_b64 v[186:189], v172 offset0:111 offset1:112
	ds_read2_b64 v[194:197], v172 offset0:113 offset1:114
	;; [unrolled: 1-line block ×4, first 2 shown]
	s_waitcnt vmcnt(23) lgkmcnt(5)
	v_mul_f32_e32 v10, v2, v7
	v_fmac_f32_e32 v10, v3, v6
	v_mul_f32_e32 v11, v4, v9
	v_add_f32_e32 v10, 0, v10
	v_fmac_f32_e32 v11, v5, v8
	v_add_f32_e32 v18, v10, v11
	ds_read2_b64 v[10:13], v172 offset0:73 offset1:74
	v_mul_f32_e32 v3, v3, v7
	v_fma_f32 v2, v2, v6, -v3
	v_mul_f32_e32 v3, v5, v9
	v_add_f32_e32 v2, 0, v2
	s_waitcnt vmcnt(22) lgkmcnt(0)
	v_mul_f32_e32 v19, v10, v15
	v_fmac_f32_e32 v19, v11, v14
	v_add_f32_e32 v18, v18, v19
	v_mul_f32_e32 v19, v12, v17
	v_fmac_f32_e32 v19, v13, v16
	v_add_f32_e32 v26, v18, v19
	ds_read2_b64 v[18:21], v172 offset0:75 offset1:76
	v_fma_f32 v3, v4, v8, -v3
	v_add_f32_e32 v2, v2, v3
	v_mul_f32_e32 v3, v11, v15
	v_fma_f32 v3, v10, v14, -v3
	s_waitcnt vmcnt(21) lgkmcnt(0)
	v_mul_f32_e32 v27, v18, v23
	v_fmac_f32_e32 v27, v19, v22
	v_add_f32_e32 v26, v26, v27
	v_mul_f32_e32 v27, v20, v25
	v_fmac_f32_e32 v27, v21, v24
	v_add_f32_e32 v34, v26, v27
	ds_read2_b64 v[26:29], v172 offset0:77 offset1:78
	v_add_f32_e32 v2, v2, v3
	v_mul_f32_e32 v3, v13, v17
	v_fma_f32 v3, v12, v16, -v3
	v_add_f32_e32 v2, v2, v3
	s_waitcnt vmcnt(20) lgkmcnt(0)
	v_mul_f32_e32 v35, v26, v31
	v_fmac_f32_e32 v35, v27, v30
	v_add_f32_e32 v34, v34, v35
	v_mul_f32_e32 v35, v28, v33
	v_fmac_f32_e32 v35, v29, v32
	v_add_f32_e32 v42, v34, v35
	ds_read2_b64 v[34:37], v172 offset0:79 offset1:80
	v_mul_f32_e32 v3, v19, v23
	v_fma_f32 v3, v18, v22, -v3
	v_add_f32_e32 v2, v2, v3
	v_mul_f32_e32 v3, v21, v25
	s_waitcnt vmcnt(19) lgkmcnt(0)
	v_mul_f32_e32 v43, v34, v39
	v_fmac_f32_e32 v43, v35, v38
	v_add_f32_e32 v42, v42, v43
	v_mul_f32_e32 v43, v36, v41
	v_fmac_f32_e32 v43, v37, v40
	v_add_f32_e32 v50, v42, v43
	ds_read2_b64 v[42:45], v172 offset0:81 offset1:82
	v_fma_f32 v3, v20, v24, -v3
	v_add_f32_e32 v2, v2, v3
	v_mul_f32_e32 v3, v27, v31
	v_fma_f32 v3, v26, v30, -v3
	s_waitcnt vmcnt(18) lgkmcnt(0)
	v_mul_f32_e32 v51, v42, v47
	v_fmac_f32_e32 v51, v43, v46
	v_add_f32_e32 v50, v50, v51
	v_mul_f32_e32 v51, v44, v49
	v_fmac_f32_e32 v51, v45, v48
	v_add_f32_e32 v58, v50, v51
	ds_read2_b64 v[50:53], v172 offset0:83 offset1:84
	v_add_f32_e32 v2, v2, v3
	v_mul_f32_e32 v3, v29, v33
	v_fma_f32 v3, v28, v32, -v3
	v_add_f32_e32 v2, v2, v3
	s_waitcnt vmcnt(17) lgkmcnt(0)
	v_mul_f32_e32 v59, v50, v55
	v_fmac_f32_e32 v59, v51, v54
	v_add_f32_e32 v58, v58, v59
	v_mul_f32_e32 v59, v52, v57
	v_fmac_f32_e32 v59, v53, v56
	v_add_f32_e32 v66, v58, v59
	ds_read2_b64 v[58:61], v172 offset0:85 offset1:86
	v_mul_f32_e32 v3, v35, v39
	v_fma_f32 v3, v34, v38, -v3
	v_add_f32_e32 v2, v2, v3
	v_mul_f32_e32 v3, v37, v41
	;; [unrolled: 36-line block ×5, first 2 shown]
	s_waitcnt vmcnt(7) lgkmcnt(0)
	v_mul_f32_e32 v139, v130, v135
	v_fmac_f32_e32 v139, v131, v134
	v_add_f32_e32 v138, v138, v139
	v_mul_f32_e32 v139, v132, v137
	v_fmac_f32_e32 v139, v133, v136
	v_add_f32_e32 v146, v138, v139
	ds_read2_b64 v[138:141], v172 offset0:105 offset1:106
	v_fma_f32 v3, v84, v88, -v3
	v_add_f32_e32 v2, v2, v3
	v_mul_f32_e32 v3, v91, v95
	v_fma_f32 v3, v90, v94, -v3
	s_waitcnt vmcnt(6) lgkmcnt(0)
	v_mul_f32_e32 v147, v138, v143
	v_fmac_f32_e32 v147, v139, v142
	v_add_f32_e32 v146, v146, v147
	v_mul_f32_e32 v147, v140, v145
	v_fmac_f32_e32 v147, v141, v144
	v_add_f32_e32 v152, v146, v147
	ds_read2_b64 v[146:149], v172 offset0:107 offset1:108
	scratch_load_dwordx4 v[218:221], off, off offset:440
	scratch_load_dwordx4 v[222:225], off, off offset:456
	;; [unrolled: 1-line block ×4, first 2 shown]
	v_add_f32_e32 v2, v2, v3
	v_mul_f32_e32 v3, v93, v97
	v_fma_f32 v3, v92, v96, -v3
	v_add_f32_e32 v2, v2, v3
	v_mul_f32_e32 v3, v99, v103
	v_fma_f32 v3, v98, v102, -v3
	;; [unrolled: 3-line block ×13, first 2 shown]
	s_waitcnt vmcnt(9) lgkmcnt(0)
	v_mul_f32_e32 v153, v146, v175
	v_add_f32_e32 v2, v2, v3
	v_mul_f32_e32 v3, v147, v175
	v_fmac_f32_e32 v153, v147, v174
	v_fma_f32 v3, v146, v174, -v3
	v_add_f32_e32 v152, v152, v153
	v_mul_f32_e32 v153, v148, v177
	v_add_f32_e32 v2, v2, v3
	v_mul_f32_e32 v3, v149, v177
	v_fmac_f32_e32 v153, v149, v176
	v_fma_f32 v3, v148, v176, -v3
	v_add_f32_e32 v152, v152, v153
	s_waitcnt vmcnt(8)
	v_mul_f32_e32 v153, v178, v183
	v_add_f32_e32 v2, v2, v3
	v_mul_f32_e32 v3, v179, v183
	v_fmac_f32_e32 v153, v179, v182
	v_fma_f32 v3, v178, v182, -v3
	v_add_f32_e32 v152, v152, v153
	v_mul_f32_e32 v153, v180, v185
	v_add_f32_e32 v2, v2, v3
	v_mul_f32_e32 v3, v181, v185
	v_fmac_f32_e32 v153, v181, v184
	v_fma_f32 v3, v180, v184, -v3
	v_add_f32_e32 v152, v152, v153
	s_waitcnt vmcnt(7)
	;; [unrolled: 13-line block ×4, first 2 shown]
	v_mul_f32_e32 v153, v202, v207
	v_add_f32_e32 v2, v2, v3
	v_mul_f32_e32 v3, v203, v207
	v_fmac_f32_e32 v153, v203, v206
	v_fma_f32 v3, v202, v206, -v3
	v_add_f32_e32 v152, v152, v153
	v_mul_f32_e32 v153, v204, v209
	v_add_f32_e32 v2, v2, v3
	v_mul_f32_e32 v3, v205, v209
	v_fmac_f32_e32 v153, v205, v208
	v_fma_f32 v3, v204, v208, -v3
	v_add_f32_e32 v153, v152, v153
	v_add_f32_e32 v152, v2, v3
	s_waitcnt vmcnt(4)
	v_mul_f32_e32 v2, v211, v215
	v_fma_f32 v154, v210, v214, -v2
	v_mul_f32_e32 v2, v213, v217
	v_fma_f32 v234, v212, v216, -v2
	ds_read2_b64 v[2:5], v172 offset0:119 offset1:120
	ds_read2_b64 v[6:9], v172 offset0:121 offset1:122
	;; [unrolled: 1-line block ×4, first 2 shown]
	v_mul_f32_e32 v155, v210, v215
	v_fmac_f32_e32 v155, v211, v214
	v_mul_f32_e32 v235, v212, v217
	s_waitcnt vmcnt(3) lgkmcnt(3)
	v_pk_mul_f32 v[20:21], v[2:3], v[218:219] op_sel:[1,1] op_sel_hi:[0,1]
	v_fmac_f32_e32 v235, v213, v216
	v_pk_add_f32 v[18:19], v[152:153], v[154:155]
	v_pk_fma_f32 v[22:23], v[2:3], v[218:219], v[20:21] neg_lo:[0,0,1] neg_hi:[0,0,1]
	v_pk_fma_f32 v[2:3], v[2:3], v[218:219], v[20:21] op_sel_hi:[1,0,1]
	v_pk_add_f32 v[18:19], v[18:19], v[234:235]
	v_mov_b32_e32 v23, v3
	v_pk_add_f32 v[2:3], v[18:19], v[22:23]
	v_mov_b32_e32 v18, v221
	v_pk_mul_f32 v[18:19], v[4:5], v[18:19] op_sel:[1,0] op_sel_hi:[0,0]
	v_pk_fma_f32 v[20:21], v[4:5], v[220:221], v[18:19] neg_lo:[0,0,1] neg_hi:[0,0,1]
	v_pk_fma_f32 v[4:5], v[4:5], v[220:221], v[18:19] op_sel_hi:[1,0,1]
	s_nop 0
	v_mov_b32_e32 v21, v5
	s_waitcnt vmcnt(2) lgkmcnt(2)
	v_pk_mul_f32 v[4:5], v[6:7], v[222:223] op_sel:[1,1] op_sel_hi:[0,1]
	v_pk_fma_f32 v[18:19], v[6:7], v[222:223], v[4:5] neg_lo:[0,0,1] neg_hi:[0,0,1]
	v_pk_fma_f32 v[4:5], v[6:7], v[222:223], v[4:5] op_sel_hi:[1,0,1]
	v_pk_add_f32 v[2:3], v[2:3], v[20:21]
	v_mov_b32_e32 v4, v225
	v_mov_b32_e32 v19, v5
	v_pk_mul_f32 v[4:5], v[8:9], v[4:5] op_sel:[1,0] op_sel_hi:[0,0]
	v_pk_fma_f32 v[6:7], v[8:9], v[224:225], v[4:5] neg_lo:[0,0,1] neg_hi:[0,0,1]
	v_pk_fma_f32 v[4:5], v[8:9], v[224:225], v[4:5] op_sel_hi:[1,0,1]
	v_pk_add_f32 v[2:3], v[2:3], v[18:19]
	v_mov_b32_e32 v7, v5
	s_waitcnt vmcnt(1) lgkmcnt(1)
	v_pk_mul_f32 v[4:5], v[10:11], v[226:227] op_sel:[1,1] op_sel_hi:[0,1]
	v_pk_add_f32 v[2:3], v[2:3], v[6:7]
	v_pk_fma_f32 v[6:7], v[10:11], v[226:227], v[4:5] neg_lo:[0,0,1] neg_hi:[0,0,1]
	v_pk_fma_f32 v[4:5], v[10:11], v[226:227], v[4:5] op_sel_hi:[1,0,1]
	s_nop 0
	v_mov_b32_e32 v4, v229
	v_mov_b32_e32 v7, v5
	v_pk_mul_f32 v[4:5], v[12:13], v[4:5] op_sel:[1,0] op_sel_hi:[0,0]
	v_pk_add_f32 v[2:3], v[2:3], v[6:7]
	v_pk_fma_f32 v[6:7], v[12:13], v[228:229], v[4:5] neg_lo:[0,0,1] neg_hi:[0,0,1]
	v_pk_fma_f32 v[4:5], v[12:13], v[228:229], v[4:5] op_sel_hi:[1,0,1]
	s_nop 0
	v_mov_b32_e32 v7, v5
	s_waitcnt vmcnt(0) lgkmcnt(0)
	v_pk_mul_f32 v[4:5], v[14:15], v[230:231] op_sel:[1,1] op_sel_hi:[0,1]
	v_pk_add_f32 v[2:3], v[2:3], v[6:7]
	v_pk_fma_f32 v[6:7], v[14:15], v[230:231], v[4:5] neg_lo:[0,0,1] neg_hi:[0,0,1]
	v_pk_fma_f32 v[4:5], v[14:15], v[230:231], v[4:5] op_sel_hi:[1,0,1]
	s_nop 0
	v_mov_b32_e32 v4, v233
	v_mov_b32_e32 v7, v5
	v_pk_mul_f32 v[4:5], v[16:17], v[4:5] op_sel:[1,0] op_sel_hi:[0,0]
	v_pk_add_f32 v[2:3], v[2:3], v[6:7]
	v_pk_fma_f32 v[6:7], v[16:17], v[232:233], v[4:5] neg_lo:[0,0,1] neg_hi:[0,0,1]
	v_pk_fma_f32 v[4:5], v[16:17], v[232:233], v[4:5] op_sel_hi:[1,0,1]
	s_nop 0
	v_mov_b32_e32 v7, v5
	scratch_load_dwordx2 v[4:5], off, off offset:48
	v_pk_add_f32 v[2:3], v[2:3], v[6:7]
	s_waitcnt vmcnt(0)
	v_pk_add_f32 v[2:3], v[4:5], v[2:3] neg_lo:[0,1] neg_hi:[0,1]
	scratch_store_dwordx2 off, v[2:3], off offset:48
	s_and_saveexec_b64 s[0:1], vcc
	s_cbranch_execz .LBB126_381
; %bb.380:
	scratch_load_dwordx2 v[2:3], off, off offset:40
	v_mov_b32_e32 v4, 0
	v_mov_b32_e32 v5, v4
	scratch_store_dwordx2 off, v[4:5], off offset:40
	s_waitcnt vmcnt(1)
	ds_write_b64 v1, v[2:3]
.LBB126_381:
	s_or_b64 exec, exec, s[0:1]
	v_mov_b32_e32 v172, 0
	s_waitcnt lgkmcnt(0)
	; wave barrier
	ds_read_b128 v[14:17], v172 offset:560
	ds_read_b128 v[10:13], v172 offset:576
	;; [unrolled: 1-line block ×4, first 2 shown]
	scratch_load_dwordx4 v[18:21], off, off offset:48
	scratch_load_dwordx4 v[38:41], off, off offset:112
	;; [unrolled: 1-line block ×19, first 2 shown]
	v_cmp_lt_u32_e32 vcc, 4, v0
	scratch_load_dwordx4 v[46:49], off, off offset:128
	scratch_load_dwordx4 v[54:57], off, off offset:144
	;; [unrolled: 1-line block ×3, first 2 shown]
	ds_read_b128 v[178:181], v172 offset:864
	ds_read_b128 v[186:189], v172 offset:880
	;; [unrolled: 1-line block ×6, first 2 shown]
	s_waitcnt vmcnt(21) lgkmcnt(9)
	v_mul_f32_e32 v22, v14, v19
	v_fmac_f32_e32 v22, v15, v18
	v_mul_f32_e32 v23, v16, v21
	v_add_f32_e32 v22, 0, v22
	v_fmac_f32_e32 v23, v17, v20
	v_add_f32_e32 v26, v22, v23
	scratch_load_dwordx4 v[22:25], off, off offset:64
	v_mul_f32_e32 v15, v15, v19
	v_fma_f32 v14, v14, v18, -v15
	v_mul_f32_e32 v15, v17, v21
	v_add_f32_e32 v14, 0, v14
	v_fma_f32 v15, v16, v20, -v15
	v_add_f32_e32 v14, v14, v15
	s_waitcnt vmcnt(5) lgkmcnt(1)
	v_mul_f32_e32 v155, v212, v217
	s_waitcnt vmcnt(4)
	v_mov_b32_e32 v18, v225
	v_fmac_f32_e32 v155, v213, v216
	s_waitcnt lgkmcnt(0)
	v_mul_f32_e32 v239, v218, v223
	v_pk_mul_f32 v[18:19], v[220:221], v[18:19] op_sel:[1,0] op_sel_hi:[0,0]
	v_fmac_f32_e32 v239, v219, v222
	v_pk_fma_f32 v[20:21], v[220:221], v[224:225], v[18:19] neg_lo:[0,0,1] neg_hi:[0,0,1]
	v_pk_fma_f32 v[18:19], v[220:221], v[224:225], v[18:19] op_sel_hi:[1,0,1]
	s_waitcnt vmcnt(0)
	v_mul_f32_e32 v27, v10, v23
	v_fmac_f32_e32 v27, v11, v22
	v_add_f32_e32 v26, v26, v27
	v_mul_f32_e32 v27, v12, v25
	v_fmac_f32_e32 v27, v13, v24
	v_add_f32_e32 v30, v26, v27
	scratch_load_dwordx4 v[26:29], off, off offset:80
	v_mul_f32_e32 v11, v11, v23
	v_fma_f32 v10, v10, v22, -v11
	v_mul_f32_e32 v11, v13, v25
	v_add_f32_e32 v10, v14, v10
	v_fma_f32 v11, v12, v24, -v11
	v_add_f32_e32 v10, v10, v11
	v_mov_b32_e32 v21, v19
	s_waitcnt vmcnt(0)
	v_mul_f32_e32 v31, v6, v27
	v_fmac_f32_e32 v31, v7, v26
	v_add_f32_e32 v30, v30, v31
	v_mul_f32_e32 v31, v8, v29
	v_fmac_f32_e32 v31, v9, v28
	v_add_f32_e32 v34, v30, v31
	scratch_load_dwordx4 v[30:33], off, off offset:96
	v_mul_f32_e32 v7, v7, v27
	v_fma_f32 v6, v6, v26, -v7
	v_mul_f32_e32 v7, v9, v29
	v_add_f32_e32 v6, v10, v6
	v_fma_f32 v7, v8, v28, -v7
	v_add_f32_e32 v6, v6, v7
	s_waitcnt vmcnt(0)
	v_mul_f32_e32 v35, v2, v31
	v_fmac_f32_e32 v35, v3, v30
	v_add_f32_e32 v34, v34, v35
	v_mul_f32_e32 v35, v4, v33
	v_fmac_f32_e32 v35, v5, v32
	v_add_f32_e32 v42, v34, v35
	ds_read_b128 v[34:37], v172 offset:624
	v_mul_f32_e32 v3, v3, v31
	v_fma_f32 v2, v2, v30, -v3
	v_mul_f32_e32 v3, v5, v33
	v_add_f32_e32 v2, v6, v2
	s_waitcnt lgkmcnt(0)
	v_mul_f32_e32 v43, v34, v39
	v_fmac_f32_e32 v43, v35, v38
	v_add_f32_e32 v42, v42, v43
	v_mul_f32_e32 v43, v36, v41
	v_fmac_f32_e32 v43, v37, v40
	v_add_f32_e32 v50, v42, v43
	ds_read_b128 v[42:45], v172 offset:640
	v_fma_f32 v3, v4, v32, -v3
	v_add_f32_e32 v2, v2, v3
	v_mul_f32_e32 v3, v35, v39
	v_fma_f32 v3, v34, v38, -v3
	s_waitcnt lgkmcnt(0)
	v_mul_f32_e32 v51, v42, v47
	v_fmac_f32_e32 v51, v43, v46
	v_add_f32_e32 v50, v50, v51
	v_mul_f32_e32 v51, v44, v49
	v_fmac_f32_e32 v51, v45, v48
	v_add_f32_e32 v58, v50, v51
	ds_read_b128 v[50:53], v172 offset:656
	v_add_f32_e32 v2, v2, v3
	v_mul_f32_e32 v3, v37, v41
	v_fma_f32 v3, v36, v40, -v3
	v_add_f32_e32 v2, v2, v3
	s_waitcnt lgkmcnt(0)
	v_mul_f32_e32 v59, v50, v55
	v_fmac_f32_e32 v59, v51, v54
	v_add_f32_e32 v58, v58, v59
	v_mul_f32_e32 v59, v52, v57
	v_fmac_f32_e32 v59, v53, v56
	v_add_f32_e32 v66, v58, v59
	ds_read_b128 v[58:61], v172 offset:672
	v_mul_f32_e32 v3, v43, v47
	v_fma_f32 v3, v42, v46, -v3
	v_add_f32_e32 v2, v2, v3
	v_mul_f32_e32 v3, v45, v49
	s_waitcnt lgkmcnt(0)
	v_mul_f32_e32 v67, v58, v63
	v_fmac_f32_e32 v67, v59, v62
	v_add_f32_e32 v66, v66, v67
	v_mul_f32_e32 v67, v60, v65
	v_fmac_f32_e32 v67, v61, v64
	v_add_f32_e32 v74, v66, v67
	ds_read_b128 v[66:69], v172 offset:688
	v_fma_f32 v3, v44, v48, -v3
	v_add_f32_e32 v2, v2, v3
	v_mul_f32_e32 v3, v51, v55
	v_fma_f32 v3, v50, v54, -v3
	s_waitcnt lgkmcnt(0)
	v_mul_f32_e32 v75, v66, v71
	v_fmac_f32_e32 v75, v67, v70
	v_add_f32_e32 v74, v74, v75
	v_mul_f32_e32 v75, v68, v73
	v_fmac_f32_e32 v75, v69, v72
	v_add_f32_e32 v82, v74, v75
	ds_read_b128 v[74:77], v172 offset:704
	v_add_f32_e32 v2, v2, v3
	v_mul_f32_e32 v3, v53, v57
	v_fma_f32 v3, v52, v56, -v3
	v_add_f32_e32 v2, v2, v3
	s_waitcnt lgkmcnt(0)
	v_mul_f32_e32 v83, v74, v79
	v_fmac_f32_e32 v83, v75, v78
	v_add_f32_e32 v82, v82, v83
	v_mul_f32_e32 v83, v76, v81
	v_fmac_f32_e32 v83, v77, v80
	v_add_f32_e32 v90, v82, v83
	ds_read_b128 v[82:85], v172 offset:720
	v_mul_f32_e32 v3, v59, v63
	v_fma_f32 v3, v58, v62, -v3
	v_add_f32_e32 v2, v2, v3
	v_mul_f32_e32 v3, v61, v65
	;; [unrolled: 36-line block ×4, first 2 shown]
	s_waitcnt lgkmcnt(0)
	v_mul_f32_e32 v139, v130, v135
	v_fmac_f32_e32 v139, v131, v134
	v_add_f32_e32 v138, v138, v139
	v_mul_f32_e32 v139, v132, v137
	v_fmac_f32_e32 v139, v133, v136
	v_add_f32_e32 v146, v138, v139
	ds_read_b128 v[138:141], v172 offset:832
	v_fma_f32 v3, v92, v96, -v3
	v_add_f32_e32 v2, v2, v3
	v_mul_f32_e32 v3, v99, v103
	v_fma_f32 v3, v98, v102, -v3
	s_waitcnt lgkmcnt(0)
	v_mul_f32_e32 v147, v138, v143
	v_fmac_f32_e32 v147, v139, v142
	v_add_f32_e32 v146, v146, v147
	v_mul_f32_e32 v147, v140, v145
	v_fmac_f32_e32 v147, v141, v144
	v_add_f32_e32 v152, v146, v147
	ds_read_b128 v[146:149], v172 offset:848
	scratch_load_dwordx4 v[226:229], off, off offset:448
	scratch_load_dwordx4 v[230:233], off, off offset:464
	;; [unrolled: 1-line block ×3, first 2 shown]
	scratch_load_dwordx2 v[240:241], off, off offset:496
	v_add_f32_e32 v2, v2, v3
	v_mul_f32_e32 v3, v101, v105
	v_fma_f32 v3, v100, v104, -v3
	v_add_f32_e32 v2, v2, v3
	v_mul_f32_e32 v3, v107, v111
	v_fma_f32 v3, v106, v110, -v3
	;; [unrolled: 3-line block ×11, first 2 shown]
	s_waitcnt lgkmcnt(0)
	v_mul_f32_e32 v153, v146, v175
	v_add_f32_e32 v2, v2, v3
	v_mul_f32_e32 v3, v147, v175
	v_fmac_f32_e32 v153, v147, v174
	v_fma_f32 v3, v146, v174, -v3
	v_add_f32_e32 v152, v152, v153
	v_mul_f32_e32 v153, v148, v177
	v_add_f32_e32 v2, v2, v3
	v_mul_f32_e32 v3, v149, v177
	v_fmac_f32_e32 v153, v149, v176
	v_fma_f32 v3, v148, v176, -v3
	v_add_f32_e32 v152, v152, v153
	;; [unrolled: 6-line block ×11, first 2 shown]
	v_add_f32_e32 v152, v2, v3
	v_mul_f32_e32 v2, v213, v217
	v_fma_f32 v154, v212, v216, -v2
	v_mul_f32_e32 v2, v219, v223
	v_fma_f32 v238, v218, v222, -v2
	ds_read_b128 v[2:5], v172 offset:960
	ds_read_b128 v[6:9], v172 offset:976
	;; [unrolled: 1-line block ×3, first 2 shown]
	ds_read_b64 v[14:15], v172 offset:1008
	v_pk_add_f32 v[16:17], v[152:153], v[154:155]
	s_waitcnt vmcnt(3) lgkmcnt(3)
	v_pk_mul_f32 v[18:19], v[2:3], v[226:227] op_sel:[1,1] op_sel_hi:[0,1]
	v_pk_add_f32 v[16:17], v[16:17], v[238:239]
	s_nop 0
	v_pk_add_f32 v[16:17], v[16:17], v[20:21]
	v_pk_fma_f32 v[20:21], v[2:3], v[226:227], v[18:19] neg_lo:[0,0,1] neg_hi:[0,0,1]
	v_pk_fma_f32 v[2:3], v[2:3], v[226:227], v[18:19] op_sel_hi:[1,0,1]
	s_nop 0
	v_mov_b32_e32 v21, v3
	v_pk_add_f32 v[2:3], v[16:17], v[20:21]
	v_mov_b32_e32 v16, v229
	v_pk_mul_f32 v[16:17], v[4:5], v[16:17] op_sel:[1,0] op_sel_hi:[0,0]
	v_pk_fma_f32 v[18:19], v[4:5], v[228:229], v[16:17] neg_lo:[0,0,1] neg_hi:[0,0,1]
	v_pk_fma_f32 v[4:5], v[4:5], v[228:229], v[16:17] op_sel_hi:[1,0,1]
	s_nop 0
	v_mov_b32_e32 v19, v5
	s_waitcnt vmcnt(2) lgkmcnt(2)
	v_pk_mul_f32 v[4:5], v[6:7], v[230:231] op_sel:[1,1] op_sel_hi:[0,1]
	v_pk_fma_f32 v[16:17], v[6:7], v[230:231], v[4:5] neg_lo:[0,0,1] neg_hi:[0,0,1]
	v_pk_fma_f32 v[4:5], v[6:7], v[230:231], v[4:5] op_sel_hi:[1,0,1]
	v_pk_add_f32 v[2:3], v[2:3], v[18:19]
	v_mov_b32_e32 v4, v233
	v_mov_b32_e32 v17, v5
	v_pk_mul_f32 v[4:5], v[8:9], v[4:5] op_sel:[1,0] op_sel_hi:[0,0]
	v_pk_fma_f32 v[6:7], v[8:9], v[232:233], v[4:5] neg_lo:[0,0,1] neg_hi:[0,0,1]
	v_pk_fma_f32 v[4:5], v[8:9], v[232:233], v[4:5] op_sel_hi:[1,0,1]
	v_pk_add_f32 v[2:3], v[2:3], v[16:17]
	v_mov_b32_e32 v7, v5
	s_waitcnt vmcnt(1) lgkmcnt(1)
	v_pk_mul_f32 v[4:5], v[10:11], v[234:235] op_sel:[1,1] op_sel_hi:[0,1]
	v_pk_add_f32 v[2:3], v[2:3], v[6:7]
	v_pk_fma_f32 v[6:7], v[10:11], v[234:235], v[4:5] neg_lo:[0,0,1] neg_hi:[0,0,1]
	v_pk_fma_f32 v[4:5], v[10:11], v[234:235], v[4:5] op_sel_hi:[1,0,1]
	s_nop 0
	v_mov_b32_e32 v4, v237
	v_mov_b32_e32 v7, v5
	v_pk_mul_f32 v[4:5], v[12:13], v[4:5] op_sel:[1,0] op_sel_hi:[0,0]
	v_pk_add_f32 v[2:3], v[2:3], v[6:7]
	v_pk_fma_f32 v[6:7], v[12:13], v[236:237], v[4:5] neg_lo:[0,0,1] neg_hi:[0,0,1]
	v_pk_fma_f32 v[4:5], v[12:13], v[236:237], v[4:5] op_sel_hi:[1,0,1]
	s_nop 0
	v_mov_b32_e32 v7, v5
	s_waitcnt vmcnt(0) lgkmcnt(0)
	v_pk_mul_f32 v[4:5], v[14:15], v[240:241] op_sel:[1,1] op_sel_hi:[0,1]
	v_pk_add_f32 v[2:3], v[2:3], v[6:7]
	v_pk_fma_f32 v[6:7], v[14:15], v[240:241], v[4:5] neg_lo:[0,0,1] neg_hi:[0,0,1]
	v_pk_fma_f32 v[4:5], v[14:15], v[240:241], v[4:5] op_sel_hi:[1,0,1]
	s_nop 0
	v_mov_b32_e32 v7, v5
	scratch_load_dwordx2 v[4:5], off, off offset:40
	v_pk_add_f32 v[2:3], v[2:3], v[6:7]
	s_waitcnt vmcnt(0)
	v_pk_add_f32 v[2:3], v[4:5], v[2:3] neg_lo:[0,1] neg_hi:[0,1]
	scratch_store_dwordx2 off, v[2:3], off offset:40
	s_and_saveexec_b64 s[0:1], vcc
	s_cbranch_execz .LBB126_383
; %bb.382:
	scratch_load_dwordx2 v[2:3], off, off offset:32
	v_mov_b32_e32 v173, v172
	scratch_store_dwordx2 off, v[172:173], off offset:32
	s_waitcnt vmcnt(1)
	ds_write_b64 v1, v[2:3]
.LBB126_383:
	s_or_b64 exec, exec, s[0:1]
	s_waitcnt lgkmcnt(0)
	; wave barrier
	scratch_load_dwordx4 v[6:9], off, off offset:40
	scratch_load_dwordx4 v[14:17], off, off offset:56
	;; [unrolled: 1-line block ×10, first 2 shown]
	ds_read2_b64 v[2:5], v172 offset0:69 offset1:70
	ds_read2_b64 v[178:181], v172 offset0:107 offset1:108
	scratch_load_dwordx4 v[86:89], off, off offset:200
	scratch_load_dwordx4 v[94:97], off, off offset:216
	;; [unrolled: 1-line block ×15, first 2 shown]
	v_cmp_lt_u32_e32 vcc, 3, v0
	ds_read2_b64 v[186:189], v172 offset0:109 offset1:110
	ds_read2_b64 v[194:197], v172 offset0:111 offset1:112
	;; [unrolled: 1-line block ×5, first 2 shown]
	s_waitcnt vmcnt(24) lgkmcnt(6)
	v_mul_f32_e32 v10, v2, v7
	v_fmac_f32_e32 v10, v3, v6
	v_mul_f32_e32 v11, v4, v9
	v_add_f32_e32 v10, 0, v10
	v_fmac_f32_e32 v11, v5, v8
	v_add_f32_e32 v18, v10, v11
	ds_read2_b64 v[10:13], v172 offset0:71 offset1:72
	v_mul_f32_e32 v3, v3, v7
	v_fma_f32 v2, v2, v6, -v3
	v_mul_f32_e32 v3, v5, v9
	v_add_f32_e32 v2, 0, v2
	s_waitcnt vmcnt(23) lgkmcnt(0)
	v_mul_f32_e32 v19, v10, v15
	v_fmac_f32_e32 v19, v11, v14
	v_add_f32_e32 v18, v18, v19
	v_mul_f32_e32 v19, v12, v17
	v_fmac_f32_e32 v19, v13, v16
	v_add_f32_e32 v26, v18, v19
	ds_read2_b64 v[18:21], v172 offset0:73 offset1:74
	v_fma_f32 v3, v4, v8, -v3
	v_add_f32_e32 v2, v2, v3
	v_mul_f32_e32 v3, v11, v15
	v_fma_f32 v3, v10, v14, -v3
	s_waitcnt vmcnt(22) lgkmcnt(0)
	v_mul_f32_e32 v27, v18, v23
	v_fmac_f32_e32 v27, v19, v22
	v_add_f32_e32 v26, v26, v27
	v_mul_f32_e32 v27, v20, v25
	v_fmac_f32_e32 v27, v21, v24
	v_add_f32_e32 v34, v26, v27
	ds_read2_b64 v[26:29], v172 offset0:75 offset1:76
	v_add_f32_e32 v2, v2, v3
	v_mul_f32_e32 v3, v13, v17
	v_fma_f32 v3, v12, v16, -v3
	v_add_f32_e32 v2, v2, v3
	s_waitcnt vmcnt(21) lgkmcnt(0)
	v_mul_f32_e32 v35, v26, v31
	v_fmac_f32_e32 v35, v27, v30
	v_add_f32_e32 v34, v34, v35
	v_mul_f32_e32 v35, v28, v33
	v_fmac_f32_e32 v35, v29, v32
	v_add_f32_e32 v42, v34, v35
	ds_read2_b64 v[34:37], v172 offset0:77 offset1:78
	v_mul_f32_e32 v3, v19, v23
	v_fma_f32 v3, v18, v22, -v3
	v_add_f32_e32 v2, v2, v3
	v_mul_f32_e32 v3, v21, v25
	s_waitcnt vmcnt(20) lgkmcnt(0)
	v_mul_f32_e32 v43, v34, v39
	v_fmac_f32_e32 v43, v35, v38
	v_add_f32_e32 v42, v42, v43
	v_mul_f32_e32 v43, v36, v41
	v_fmac_f32_e32 v43, v37, v40
	v_add_f32_e32 v50, v42, v43
	ds_read2_b64 v[42:45], v172 offset0:79 offset1:80
	v_fma_f32 v3, v20, v24, -v3
	v_add_f32_e32 v2, v2, v3
	v_mul_f32_e32 v3, v27, v31
	v_fma_f32 v3, v26, v30, -v3
	s_waitcnt vmcnt(19) lgkmcnt(0)
	v_mul_f32_e32 v51, v42, v47
	v_fmac_f32_e32 v51, v43, v46
	v_add_f32_e32 v50, v50, v51
	v_mul_f32_e32 v51, v44, v49
	v_fmac_f32_e32 v51, v45, v48
	v_add_f32_e32 v58, v50, v51
	ds_read2_b64 v[50:53], v172 offset0:81 offset1:82
	v_add_f32_e32 v2, v2, v3
	v_mul_f32_e32 v3, v29, v33
	v_fma_f32 v3, v28, v32, -v3
	v_add_f32_e32 v2, v2, v3
	s_waitcnt vmcnt(18) lgkmcnt(0)
	v_mul_f32_e32 v59, v50, v55
	v_fmac_f32_e32 v59, v51, v54
	v_add_f32_e32 v58, v58, v59
	v_mul_f32_e32 v59, v52, v57
	v_fmac_f32_e32 v59, v53, v56
	v_add_f32_e32 v66, v58, v59
	ds_read2_b64 v[58:61], v172 offset0:83 offset1:84
	v_mul_f32_e32 v3, v35, v39
	v_fma_f32 v3, v34, v38, -v3
	v_add_f32_e32 v2, v2, v3
	v_mul_f32_e32 v3, v37, v41
	;; [unrolled: 36-line block ×5, first 2 shown]
	s_waitcnt vmcnt(8) lgkmcnt(0)
	v_mul_f32_e32 v139, v130, v135
	v_fmac_f32_e32 v139, v131, v134
	v_add_f32_e32 v138, v138, v139
	v_mul_f32_e32 v139, v132, v137
	v_fmac_f32_e32 v139, v133, v136
	v_add_f32_e32 v146, v138, v139
	ds_read2_b64 v[138:141], v172 offset0:103 offset1:104
	v_fma_f32 v3, v84, v88, -v3
	v_add_f32_e32 v2, v2, v3
	v_mul_f32_e32 v3, v91, v95
	v_fma_f32 v3, v90, v94, -v3
	s_waitcnt vmcnt(7) lgkmcnt(0)
	v_mul_f32_e32 v147, v138, v143
	v_fmac_f32_e32 v147, v139, v142
	v_add_f32_e32 v146, v146, v147
	v_mul_f32_e32 v147, v140, v145
	v_fmac_f32_e32 v147, v141, v144
	v_add_f32_e32 v152, v146, v147
	ds_read2_b64 v[146:149], v172 offset0:105 offset1:106
	scratch_load_dwordx4 v[226:229], off, off offset:440
	scratch_load_dwordx4 v[230:233], off, off offset:456
	;; [unrolled: 1-line block ×4, first 2 shown]
	v_add_f32_e32 v2, v2, v3
	v_mul_f32_e32 v3, v93, v97
	v_fma_f32 v3, v92, v96, -v3
	v_add_f32_e32 v2, v2, v3
	v_mul_f32_e32 v3, v99, v103
	v_fma_f32 v3, v98, v102, -v3
	;; [unrolled: 3-line block ×13, first 2 shown]
	s_waitcnt vmcnt(10) lgkmcnt(0)
	v_mul_f32_e32 v153, v146, v175
	v_add_f32_e32 v2, v2, v3
	v_mul_f32_e32 v3, v147, v175
	v_fmac_f32_e32 v153, v147, v174
	v_fma_f32 v3, v146, v174, -v3
	v_add_f32_e32 v152, v152, v153
	v_mul_f32_e32 v153, v148, v177
	v_add_f32_e32 v2, v2, v3
	v_mul_f32_e32 v3, v149, v177
	v_fmac_f32_e32 v153, v149, v176
	v_fma_f32 v3, v148, v176, -v3
	v_add_f32_e32 v152, v152, v153
	s_waitcnt vmcnt(9)
	v_mul_f32_e32 v153, v178, v183
	v_add_f32_e32 v2, v2, v3
	v_mul_f32_e32 v3, v179, v183
	v_fmac_f32_e32 v153, v179, v182
	v_fma_f32 v3, v178, v182, -v3
	v_add_f32_e32 v152, v152, v153
	v_mul_f32_e32 v153, v180, v185
	v_add_f32_e32 v2, v2, v3
	v_mul_f32_e32 v3, v181, v185
	v_fmac_f32_e32 v153, v181, v184
	v_fma_f32 v3, v180, v184, -v3
	v_add_f32_e32 v152, v152, v153
	s_waitcnt vmcnt(8)
	;; [unrolled: 13-line block ×5, first 2 shown]
	v_mul_f32_e32 v153, v210, v215
	v_add_f32_e32 v2, v2, v3
	v_mul_f32_e32 v3, v211, v215
	v_fmac_f32_e32 v153, v211, v214
	v_fma_f32 v3, v210, v214, -v3
	v_add_f32_e32 v152, v152, v153
	v_mul_f32_e32 v153, v212, v217
	v_add_f32_e32 v2, v2, v3
	v_mul_f32_e32 v3, v213, v217
	v_fmac_f32_e32 v153, v213, v216
	v_fma_f32 v3, v212, v216, -v3
	v_add_f32_e32 v153, v152, v153
	v_add_f32_e32 v152, v2, v3
	s_waitcnt vmcnt(4)
	v_mul_f32_e32 v2, v219, v223
	v_fma_f32 v154, v218, v222, -v2
	v_mul_f32_e32 v2, v221, v225
	v_fma_f32 v242, v220, v224, -v2
	ds_read2_b64 v[2:5], v172 offset0:119 offset1:120
	ds_read2_b64 v[6:9], v172 offset0:121 offset1:122
	;; [unrolled: 1-line block ×4, first 2 shown]
	v_mul_f32_e32 v155, v218, v223
	v_fmac_f32_e32 v155, v219, v222
	v_mul_f32_e32 v243, v220, v225
	s_waitcnt vmcnt(3) lgkmcnt(3)
	v_pk_mul_f32 v[20:21], v[2:3], v[226:227] op_sel:[1,1] op_sel_hi:[0,1]
	v_fmac_f32_e32 v243, v221, v224
	v_pk_add_f32 v[18:19], v[152:153], v[154:155]
	v_pk_fma_f32 v[22:23], v[2:3], v[226:227], v[20:21] neg_lo:[0,0,1] neg_hi:[0,0,1]
	v_pk_fma_f32 v[2:3], v[2:3], v[226:227], v[20:21] op_sel_hi:[1,0,1]
	v_pk_add_f32 v[18:19], v[18:19], v[242:243]
	v_mov_b32_e32 v23, v3
	v_pk_add_f32 v[2:3], v[18:19], v[22:23]
	v_mov_b32_e32 v18, v229
	v_pk_mul_f32 v[18:19], v[4:5], v[18:19] op_sel:[1,0] op_sel_hi:[0,0]
	v_pk_fma_f32 v[20:21], v[4:5], v[228:229], v[18:19] neg_lo:[0,0,1] neg_hi:[0,0,1]
	v_pk_fma_f32 v[4:5], v[4:5], v[228:229], v[18:19] op_sel_hi:[1,0,1]
	s_nop 0
	v_mov_b32_e32 v21, v5
	s_waitcnt vmcnt(2) lgkmcnt(2)
	v_pk_mul_f32 v[4:5], v[6:7], v[230:231] op_sel:[1,1] op_sel_hi:[0,1]
	v_pk_fma_f32 v[18:19], v[6:7], v[230:231], v[4:5] neg_lo:[0,0,1] neg_hi:[0,0,1]
	v_pk_fma_f32 v[4:5], v[6:7], v[230:231], v[4:5] op_sel_hi:[1,0,1]
	v_pk_add_f32 v[2:3], v[2:3], v[20:21]
	v_mov_b32_e32 v4, v233
	v_mov_b32_e32 v19, v5
	v_pk_mul_f32 v[4:5], v[8:9], v[4:5] op_sel:[1,0] op_sel_hi:[0,0]
	v_pk_fma_f32 v[6:7], v[8:9], v[232:233], v[4:5] neg_lo:[0,0,1] neg_hi:[0,0,1]
	v_pk_fma_f32 v[4:5], v[8:9], v[232:233], v[4:5] op_sel_hi:[1,0,1]
	v_pk_add_f32 v[2:3], v[2:3], v[18:19]
	v_mov_b32_e32 v7, v5
	s_waitcnt vmcnt(1) lgkmcnt(1)
	v_pk_mul_f32 v[4:5], v[10:11], v[234:235] op_sel:[1,1] op_sel_hi:[0,1]
	v_pk_add_f32 v[2:3], v[2:3], v[6:7]
	v_pk_fma_f32 v[6:7], v[10:11], v[234:235], v[4:5] neg_lo:[0,0,1] neg_hi:[0,0,1]
	v_pk_fma_f32 v[4:5], v[10:11], v[234:235], v[4:5] op_sel_hi:[1,0,1]
	s_nop 0
	v_mov_b32_e32 v4, v237
	v_mov_b32_e32 v7, v5
	v_pk_mul_f32 v[4:5], v[12:13], v[4:5] op_sel:[1,0] op_sel_hi:[0,0]
	v_pk_add_f32 v[2:3], v[2:3], v[6:7]
	v_pk_fma_f32 v[6:7], v[12:13], v[236:237], v[4:5] neg_lo:[0,0,1] neg_hi:[0,0,1]
	v_pk_fma_f32 v[4:5], v[12:13], v[236:237], v[4:5] op_sel_hi:[1,0,1]
	s_nop 0
	v_mov_b32_e32 v7, v5
	s_waitcnt vmcnt(0) lgkmcnt(0)
	v_pk_mul_f32 v[4:5], v[14:15], v[238:239] op_sel:[1,1] op_sel_hi:[0,1]
	v_pk_add_f32 v[2:3], v[2:3], v[6:7]
	v_pk_fma_f32 v[6:7], v[14:15], v[238:239], v[4:5] neg_lo:[0,0,1] neg_hi:[0,0,1]
	v_pk_fma_f32 v[4:5], v[14:15], v[238:239], v[4:5] op_sel_hi:[1,0,1]
	s_nop 0
	v_mov_b32_e32 v4, v241
	v_mov_b32_e32 v7, v5
	v_pk_mul_f32 v[4:5], v[16:17], v[4:5] op_sel:[1,0] op_sel_hi:[0,0]
	v_pk_add_f32 v[2:3], v[2:3], v[6:7]
	v_pk_fma_f32 v[6:7], v[16:17], v[240:241], v[4:5] neg_lo:[0,0,1] neg_hi:[0,0,1]
	v_pk_fma_f32 v[4:5], v[16:17], v[240:241], v[4:5] op_sel_hi:[1,0,1]
	s_nop 0
	v_mov_b32_e32 v7, v5
	scratch_load_dwordx2 v[4:5], off, off offset:32
	v_pk_add_f32 v[2:3], v[2:3], v[6:7]
	s_waitcnt vmcnt(0)
	v_pk_add_f32 v[2:3], v[4:5], v[2:3] neg_lo:[0,1] neg_hi:[0,1]
	scratch_store_dwordx2 off, v[2:3], off offset:32
	s_and_saveexec_b64 s[0:1], vcc
	s_cbranch_execz .LBB126_385
; %bb.384:
	scratch_load_dwordx2 v[2:3], off, off offset:24
	v_mov_b32_e32 v4, 0
	v_mov_b32_e32 v5, v4
	scratch_store_dwordx2 off, v[4:5], off offset:24
	s_waitcnt vmcnt(1)
	ds_write_b64 v1, v[2:3]
.LBB126_385:
	s_or_b64 exec, exec, s[0:1]
	v_mov_b32_e32 v172, 0
	s_waitcnt lgkmcnt(0)
	; wave barrier
	ds_read_b128 v[14:17], v172 offset:544
	ds_read_b128 v[10:13], v172 offset:560
	ds_read_b128 v[6:9], v172 offset:576
	ds_read_b128 v[2:5], v172 offset:592
	scratch_load_dwordx4 v[18:21], off, off offset:32
	scratch_load_dwordx4 v[38:41], off, off offset:96
	;; [unrolled: 1-line block ×20, first 2 shown]
	v_cmp_lt_u32_e32 vcc, 2, v0
	scratch_load_dwordx4 v[46:49], off, off offset:112
	scratch_load_dwordx4 v[54:57], off, off offset:128
	;; [unrolled: 1-line block ×3, first 2 shown]
	ds_read_b128 v[178:181], v172 offset:848
	ds_read_b128 v[186:189], v172 offset:864
	ds_read_b128 v[194:197], v172 offset:880
	ds_read_b128 v[202:205], v172 offset:896
	ds_read_b128 v[210:213], v172 offset:912
	ds_read_b128 v[218:221], v172 offset:928
	ds_read_b128 v[226:229], v172 offset:944
	s_waitcnt vmcnt(22) lgkmcnt(10)
	v_mul_f32_e32 v22, v14, v19
	v_fmac_f32_e32 v22, v15, v18
	v_mul_f32_e32 v23, v16, v21
	v_add_f32_e32 v22, 0, v22
	v_fmac_f32_e32 v23, v17, v20
	v_add_f32_e32 v26, v22, v23
	scratch_load_dwordx4 v[22:25], off, off offset:48
	v_mul_f32_e32 v15, v15, v19
	v_fma_f32 v14, v14, v18, -v15
	v_mul_f32_e32 v15, v17, v21
	v_add_f32_e32 v14, 0, v14
	v_fma_f32 v15, v16, v20, -v15
	v_add_f32_e32 v14, v14, v15
	s_waitcnt vmcnt(5) lgkmcnt(1)
	v_mul_f32_e32 v155, v220, v225
	s_waitcnt vmcnt(4)
	v_mov_b32_e32 v18, v233
	v_fmac_f32_e32 v155, v221, v224
	s_waitcnt lgkmcnt(0)
	v_mul_f32_e32 v247, v226, v231
	v_pk_mul_f32 v[18:19], v[228:229], v[18:19] op_sel:[1,0] op_sel_hi:[0,0]
	v_fmac_f32_e32 v247, v227, v230
	v_pk_fma_f32 v[20:21], v[228:229], v[232:233], v[18:19] neg_lo:[0,0,1] neg_hi:[0,0,1]
	v_pk_fma_f32 v[18:19], v[228:229], v[232:233], v[18:19] op_sel_hi:[1,0,1]
	s_waitcnt vmcnt(0)
	v_mul_f32_e32 v27, v10, v23
	v_fmac_f32_e32 v27, v11, v22
	v_add_f32_e32 v26, v26, v27
	v_mul_f32_e32 v27, v12, v25
	v_fmac_f32_e32 v27, v13, v24
	v_add_f32_e32 v30, v26, v27
	scratch_load_dwordx4 v[26:29], off, off offset:64
	v_mul_f32_e32 v11, v11, v23
	v_fma_f32 v10, v10, v22, -v11
	v_mul_f32_e32 v11, v13, v25
	v_add_f32_e32 v10, v14, v10
	v_fma_f32 v11, v12, v24, -v11
	v_add_f32_e32 v10, v10, v11
	v_mov_b32_e32 v21, v19
	s_waitcnt vmcnt(0)
	v_mul_f32_e32 v31, v6, v27
	v_fmac_f32_e32 v31, v7, v26
	v_add_f32_e32 v30, v30, v31
	v_mul_f32_e32 v31, v8, v29
	v_fmac_f32_e32 v31, v9, v28
	v_add_f32_e32 v34, v30, v31
	scratch_load_dwordx4 v[30:33], off, off offset:80
	v_mul_f32_e32 v7, v7, v27
	v_fma_f32 v6, v6, v26, -v7
	v_mul_f32_e32 v7, v9, v29
	v_add_f32_e32 v6, v10, v6
	v_fma_f32 v7, v8, v28, -v7
	v_add_f32_e32 v6, v6, v7
	s_waitcnt vmcnt(0)
	v_mul_f32_e32 v35, v2, v31
	v_fmac_f32_e32 v35, v3, v30
	v_add_f32_e32 v34, v34, v35
	v_mul_f32_e32 v35, v4, v33
	v_fmac_f32_e32 v35, v5, v32
	v_add_f32_e32 v42, v34, v35
	ds_read_b128 v[34:37], v172 offset:608
	v_mul_f32_e32 v3, v3, v31
	v_fma_f32 v2, v2, v30, -v3
	v_mul_f32_e32 v3, v5, v33
	v_add_f32_e32 v2, v6, v2
	s_waitcnt lgkmcnt(0)
	v_mul_f32_e32 v43, v34, v39
	v_fmac_f32_e32 v43, v35, v38
	v_add_f32_e32 v42, v42, v43
	v_mul_f32_e32 v43, v36, v41
	v_fmac_f32_e32 v43, v37, v40
	v_add_f32_e32 v50, v42, v43
	ds_read_b128 v[42:45], v172 offset:624
	v_fma_f32 v3, v4, v32, -v3
	v_add_f32_e32 v2, v2, v3
	v_mul_f32_e32 v3, v35, v39
	v_fma_f32 v3, v34, v38, -v3
	s_waitcnt lgkmcnt(0)
	v_mul_f32_e32 v51, v42, v47
	v_fmac_f32_e32 v51, v43, v46
	v_add_f32_e32 v50, v50, v51
	v_mul_f32_e32 v51, v44, v49
	v_fmac_f32_e32 v51, v45, v48
	v_add_f32_e32 v58, v50, v51
	ds_read_b128 v[50:53], v172 offset:640
	v_add_f32_e32 v2, v2, v3
	v_mul_f32_e32 v3, v37, v41
	v_fma_f32 v3, v36, v40, -v3
	v_add_f32_e32 v2, v2, v3
	s_waitcnt lgkmcnt(0)
	v_mul_f32_e32 v59, v50, v55
	v_fmac_f32_e32 v59, v51, v54
	v_add_f32_e32 v58, v58, v59
	v_mul_f32_e32 v59, v52, v57
	v_fmac_f32_e32 v59, v53, v56
	v_add_f32_e32 v66, v58, v59
	ds_read_b128 v[58:61], v172 offset:656
	v_mul_f32_e32 v3, v43, v47
	v_fma_f32 v3, v42, v46, -v3
	v_add_f32_e32 v2, v2, v3
	v_mul_f32_e32 v3, v45, v49
	s_waitcnt lgkmcnt(0)
	v_mul_f32_e32 v67, v58, v63
	v_fmac_f32_e32 v67, v59, v62
	v_add_f32_e32 v66, v66, v67
	v_mul_f32_e32 v67, v60, v65
	v_fmac_f32_e32 v67, v61, v64
	v_add_f32_e32 v74, v66, v67
	ds_read_b128 v[66:69], v172 offset:672
	v_fma_f32 v3, v44, v48, -v3
	v_add_f32_e32 v2, v2, v3
	v_mul_f32_e32 v3, v51, v55
	v_fma_f32 v3, v50, v54, -v3
	s_waitcnt lgkmcnt(0)
	v_mul_f32_e32 v75, v66, v71
	v_fmac_f32_e32 v75, v67, v70
	v_add_f32_e32 v74, v74, v75
	v_mul_f32_e32 v75, v68, v73
	v_fmac_f32_e32 v75, v69, v72
	v_add_f32_e32 v82, v74, v75
	ds_read_b128 v[74:77], v172 offset:688
	v_add_f32_e32 v2, v2, v3
	v_mul_f32_e32 v3, v53, v57
	v_fma_f32 v3, v52, v56, -v3
	v_add_f32_e32 v2, v2, v3
	s_waitcnt lgkmcnt(0)
	v_mul_f32_e32 v83, v74, v79
	v_fmac_f32_e32 v83, v75, v78
	v_add_f32_e32 v82, v82, v83
	v_mul_f32_e32 v83, v76, v81
	v_fmac_f32_e32 v83, v77, v80
	v_add_f32_e32 v90, v82, v83
	ds_read_b128 v[82:85], v172 offset:704
	v_mul_f32_e32 v3, v59, v63
	v_fma_f32 v3, v58, v62, -v3
	v_add_f32_e32 v2, v2, v3
	v_mul_f32_e32 v3, v61, v65
	;; [unrolled: 36-line block ×4, first 2 shown]
	s_waitcnt lgkmcnt(0)
	v_mul_f32_e32 v139, v130, v135
	v_fmac_f32_e32 v139, v131, v134
	v_add_f32_e32 v138, v138, v139
	v_mul_f32_e32 v139, v132, v137
	v_fmac_f32_e32 v139, v133, v136
	v_add_f32_e32 v146, v138, v139
	ds_read_b128 v[138:141], v172 offset:816
	v_fma_f32 v3, v92, v96, -v3
	v_add_f32_e32 v2, v2, v3
	v_mul_f32_e32 v3, v99, v103
	v_fma_f32 v3, v98, v102, -v3
	s_waitcnt lgkmcnt(0)
	v_mul_f32_e32 v147, v138, v143
	v_fmac_f32_e32 v147, v139, v142
	v_add_f32_e32 v146, v146, v147
	v_mul_f32_e32 v147, v140, v145
	v_fmac_f32_e32 v147, v141, v144
	v_add_f32_e32 v152, v146, v147
	ds_read_b128 v[146:149], v172 offset:832
	scratch_load_dwordx4 v[234:237], off, off offset:448
	scratch_load_dwordx4 v[238:241], off, off offset:464
	;; [unrolled: 1-line block ×3, first 2 shown]
	scratch_load_dwordx2 v[248:249], off, off offset:496
	v_add_f32_e32 v2, v2, v3
	v_mul_f32_e32 v3, v101, v105
	v_fma_f32 v3, v100, v104, -v3
	v_add_f32_e32 v2, v2, v3
	v_mul_f32_e32 v3, v107, v111
	v_fma_f32 v3, v106, v110, -v3
	;; [unrolled: 3-line block ×11, first 2 shown]
	s_waitcnt lgkmcnt(0)
	v_mul_f32_e32 v153, v146, v175
	v_add_f32_e32 v2, v2, v3
	v_mul_f32_e32 v3, v147, v175
	v_fmac_f32_e32 v153, v147, v174
	v_fma_f32 v3, v146, v174, -v3
	v_add_f32_e32 v152, v152, v153
	v_mul_f32_e32 v153, v148, v177
	v_add_f32_e32 v2, v2, v3
	v_mul_f32_e32 v3, v149, v177
	v_fmac_f32_e32 v153, v149, v176
	v_fma_f32 v3, v148, v176, -v3
	v_add_f32_e32 v152, v152, v153
	;; [unrolled: 6-line block ×13, first 2 shown]
	v_add_f32_e32 v152, v2, v3
	v_mul_f32_e32 v2, v221, v225
	v_fma_f32 v154, v220, v224, -v2
	v_mul_f32_e32 v2, v227, v231
	v_fma_f32 v246, v226, v230, -v2
	ds_read_b128 v[2:5], v172 offset:960
	ds_read_b128 v[6:9], v172 offset:976
	;; [unrolled: 1-line block ×3, first 2 shown]
	ds_read_b64 v[14:15], v172 offset:1008
	v_pk_add_f32 v[16:17], v[152:153], v[154:155]
	s_waitcnt vmcnt(3) lgkmcnt(3)
	v_pk_mul_f32 v[18:19], v[2:3], v[234:235] op_sel:[1,1] op_sel_hi:[0,1]
	v_pk_add_f32 v[16:17], v[16:17], v[246:247]
	s_nop 0
	v_pk_add_f32 v[16:17], v[16:17], v[20:21]
	v_pk_fma_f32 v[20:21], v[2:3], v[234:235], v[18:19] neg_lo:[0,0,1] neg_hi:[0,0,1]
	v_pk_fma_f32 v[2:3], v[2:3], v[234:235], v[18:19] op_sel_hi:[1,0,1]
	s_nop 0
	v_mov_b32_e32 v21, v3
	v_pk_add_f32 v[2:3], v[16:17], v[20:21]
	v_mov_b32_e32 v16, v237
	v_pk_mul_f32 v[16:17], v[4:5], v[16:17] op_sel:[1,0] op_sel_hi:[0,0]
	v_pk_fma_f32 v[18:19], v[4:5], v[236:237], v[16:17] neg_lo:[0,0,1] neg_hi:[0,0,1]
	v_pk_fma_f32 v[4:5], v[4:5], v[236:237], v[16:17] op_sel_hi:[1,0,1]
	s_nop 0
	v_mov_b32_e32 v19, v5
	s_waitcnt vmcnt(2) lgkmcnt(2)
	v_pk_mul_f32 v[4:5], v[6:7], v[238:239] op_sel:[1,1] op_sel_hi:[0,1]
	v_pk_fma_f32 v[16:17], v[6:7], v[238:239], v[4:5] neg_lo:[0,0,1] neg_hi:[0,0,1]
	v_pk_fma_f32 v[4:5], v[6:7], v[238:239], v[4:5] op_sel_hi:[1,0,1]
	v_pk_add_f32 v[2:3], v[2:3], v[18:19]
	v_mov_b32_e32 v4, v241
	v_mov_b32_e32 v17, v5
	v_pk_mul_f32 v[4:5], v[8:9], v[4:5] op_sel:[1,0] op_sel_hi:[0,0]
	v_pk_fma_f32 v[6:7], v[8:9], v[240:241], v[4:5] neg_lo:[0,0,1] neg_hi:[0,0,1]
	v_pk_fma_f32 v[4:5], v[8:9], v[240:241], v[4:5] op_sel_hi:[1,0,1]
	v_pk_add_f32 v[2:3], v[2:3], v[16:17]
	v_mov_b32_e32 v7, v5
	s_waitcnt vmcnt(1) lgkmcnt(1)
	v_pk_mul_f32 v[4:5], v[10:11], v[242:243] op_sel:[1,1] op_sel_hi:[0,1]
	v_pk_add_f32 v[2:3], v[2:3], v[6:7]
	v_pk_fma_f32 v[6:7], v[10:11], v[242:243], v[4:5] neg_lo:[0,0,1] neg_hi:[0,0,1]
	v_pk_fma_f32 v[4:5], v[10:11], v[242:243], v[4:5] op_sel_hi:[1,0,1]
	s_nop 0
	v_mov_b32_e32 v4, v245
	v_mov_b32_e32 v7, v5
	v_pk_mul_f32 v[4:5], v[12:13], v[4:5] op_sel:[1,0] op_sel_hi:[0,0]
	v_pk_add_f32 v[2:3], v[2:3], v[6:7]
	v_pk_fma_f32 v[6:7], v[12:13], v[244:245], v[4:5] neg_lo:[0,0,1] neg_hi:[0,0,1]
	v_pk_fma_f32 v[4:5], v[12:13], v[244:245], v[4:5] op_sel_hi:[1,0,1]
	s_nop 0
	v_mov_b32_e32 v7, v5
	s_waitcnt vmcnt(0) lgkmcnt(0)
	v_pk_mul_f32 v[4:5], v[14:15], v[248:249] op_sel:[1,1] op_sel_hi:[0,1]
	v_pk_add_f32 v[2:3], v[2:3], v[6:7]
	v_pk_fma_f32 v[6:7], v[14:15], v[248:249], v[4:5] neg_lo:[0,0,1] neg_hi:[0,0,1]
	v_pk_fma_f32 v[4:5], v[14:15], v[248:249], v[4:5] op_sel_hi:[1,0,1]
	s_nop 0
	v_mov_b32_e32 v7, v5
	scratch_load_dwordx2 v[4:5], off, off offset:24
	v_pk_add_f32 v[2:3], v[2:3], v[6:7]
	s_waitcnt vmcnt(0)
	v_pk_add_f32 v[2:3], v[4:5], v[2:3] neg_lo:[0,1] neg_hi:[0,1]
	scratch_store_dwordx2 off, v[2:3], off offset:24
	s_and_saveexec_b64 s[0:1], vcc
	s_cbranch_execz .LBB126_387
; %bb.386:
	scratch_load_dwordx2 v[2:3], off, off offset:16
	v_mov_b32_e32 v173, v172
	scratch_store_dwordx2 off, v[172:173], off offset:16
	s_waitcnt vmcnt(1)
	ds_write_b64 v1, v[2:3]
.LBB126_387:
	s_or_b64 exec, exec, s[0:1]
	s_waitcnt lgkmcnt(0)
	; wave barrier
	scratch_load_dwordx4 v[6:9], off, off offset:24
	scratch_load_dwordx4 v[14:17], off, off offset:40
	;; [unrolled: 1-line block ×10, first 2 shown]
	ds_read2_b64 v[2:5], v172 offset0:67 offset1:68
	ds_read2_b64 v[178:181], v172 offset0:105 offset1:106
	scratch_load_dwordx4 v[86:89], off, off offset:184
	scratch_load_dwordx4 v[94:97], off, off offset:200
	;; [unrolled: 1-line block ×16, first 2 shown]
	v_cmp_lt_u32_e32 vcc, 1, v0
	ds_read2_b64 v[186:189], v172 offset0:107 offset1:108
	ds_read2_b64 v[194:197], v172 offset0:109 offset1:110
	;; [unrolled: 1-line block ×6, first 2 shown]
	s_waitcnt vmcnt(25) lgkmcnt(7)
	v_mul_f32_e32 v10, v2, v7
	v_fmac_f32_e32 v10, v3, v6
	v_mul_f32_e32 v11, v4, v9
	v_add_f32_e32 v10, 0, v10
	v_fmac_f32_e32 v11, v5, v8
	v_add_f32_e32 v18, v10, v11
	ds_read2_b64 v[10:13], v172 offset0:69 offset1:70
	v_mul_f32_e32 v3, v3, v7
	v_fma_f32 v2, v2, v6, -v3
	v_mul_f32_e32 v3, v5, v9
	v_add_f32_e32 v2, 0, v2
	s_waitcnt vmcnt(24) lgkmcnt(0)
	v_mul_f32_e32 v19, v10, v15
	v_fmac_f32_e32 v19, v11, v14
	v_add_f32_e32 v18, v18, v19
	v_mul_f32_e32 v19, v12, v17
	v_fmac_f32_e32 v19, v13, v16
	v_add_f32_e32 v26, v18, v19
	ds_read2_b64 v[18:21], v172 offset0:71 offset1:72
	v_fma_f32 v3, v4, v8, -v3
	v_add_f32_e32 v2, v2, v3
	v_mul_f32_e32 v3, v11, v15
	v_fma_f32 v3, v10, v14, -v3
	s_waitcnt vmcnt(23) lgkmcnt(0)
	v_mul_f32_e32 v27, v18, v23
	v_fmac_f32_e32 v27, v19, v22
	v_add_f32_e32 v26, v26, v27
	v_mul_f32_e32 v27, v20, v25
	v_fmac_f32_e32 v27, v21, v24
	v_add_f32_e32 v34, v26, v27
	ds_read2_b64 v[26:29], v172 offset0:73 offset1:74
	v_add_f32_e32 v2, v2, v3
	v_mul_f32_e32 v3, v13, v17
	v_fma_f32 v3, v12, v16, -v3
	v_add_f32_e32 v2, v2, v3
	s_waitcnt vmcnt(22) lgkmcnt(0)
	v_mul_f32_e32 v35, v26, v31
	v_fmac_f32_e32 v35, v27, v30
	v_add_f32_e32 v34, v34, v35
	v_mul_f32_e32 v35, v28, v33
	v_fmac_f32_e32 v35, v29, v32
	v_add_f32_e32 v42, v34, v35
	ds_read2_b64 v[34:37], v172 offset0:75 offset1:76
	v_mul_f32_e32 v3, v19, v23
	v_fma_f32 v3, v18, v22, -v3
	v_add_f32_e32 v2, v2, v3
	v_mul_f32_e32 v3, v21, v25
	s_waitcnt vmcnt(21) lgkmcnt(0)
	v_mul_f32_e32 v43, v34, v39
	v_fmac_f32_e32 v43, v35, v38
	v_add_f32_e32 v42, v42, v43
	v_mul_f32_e32 v43, v36, v41
	v_fmac_f32_e32 v43, v37, v40
	v_add_f32_e32 v50, v42, v43
	ds_read2_b64 v[42:45], v172 offset0:77 offset1:78
	v_fma_f32 v3, v20, v24, -v3
	v_add_f32_e32 v2, v2, v3
	v_mul_f32_e32 v3, v27, v31
	v_fma_f32 v3, v26, v30, -v3
	s_waitcnt vmcnt(20) lgkmcnt(0)
	v_mul_f32_e32 v51, v42, v47
	v_fmac_f32_e32 v51, v43, v46
	v_add_f32_e32 v50, v50, v51
	v_mul_f32_e32 v51, v44, v49
	v_fmac_f32_e32 v51, v45, v48
	v_add_f32_e32 v58, v50, v51
	ds_read2_b64 v[50:53], v172 offset0:79 offset1:80
	v_add_f32_e32 v2, v2, v3
	v_mul_f32_e32 v3, v29, v33
	v_fma_f32 v3, v28, v32, -v3
	v_add_f32_e32 v2, v2, v3
	s_waitcnt vmcnt(19) lgkmcnt(0)
	v_mul_f32_e32 v59, v50, v55
	v_fmac_f32_e32 v59, v51, v54
	v_add_f32_e32 v58, v58, v59
	v_mul_f32_e32 v59, v52, v57
	v_fmac_f32_e32 v59, v53, v56
	v_add_f32_e32 v66, v58, v59
	ds_read2_b64 v[58:61], v172 offset0:81 offset1:82
	v_mul_f32_e32 v3, v35, v39
	v_fma_f32 v3, v34, v38, -v3
	v_add_f32_e32 v2, v2, v3
	v_mul_f32_e32 v3, v37, v41
	;; [unrolled: 36-line block ×5, first 2 shown]
	s_waitcnt vmcnt(9) lgkmcnt(0)
	v_mul_f32_e32 v139, v130, v135
	v_fmac_f32_e32 v139, v131, v134
	v_add_f32_e32 v138, v138, v139
	v_mul_f32_e32 v139, v132, v137
	v_fmac_f32_e32 v139, v133, v136
	v_add_f32_e32 v146, v138, v139
	ds_read2_b64 v[138:141], v172 offset0:101 offset1:102
	v_fma_f32 v3, v84, v88, -v3
	v_add_f32_e32 v2, v2, v3
	v_mul_f32_e32 v3, v91, v95
	v_fma_f32 v3, v90, v94, -v3
	s_waitcnt vmcnt(8) lgkmcnt(0)
	v_mul_f32_e32 v147, v138, v143
	v_fmac_f32_e32 v147, v139, v142
	v_add_f32_e32 v146, v146, v147
	v_mul_f32_e32 v147, v140, v145
	v_fmac_f32_e32 v147, v141, v144
	v_add_f32_e32 v152, v146, v147
	ds_read2_b64 v[146:149], v172 offset0:103 offset1:104
	scratch_load_dwordx4 v[234:237], off, off offset:440
	scratch_load_dwordx4 v[238:241], off, off offset:456
	;; [unrolled: 1-line block ×4, first 2 shown]
	v_add_f32_e32 v2, v2, v3
	v_mul_f32_e32 v3, v93, v97
	v_fma_f32 v3, v92, v96, -v3
	v_add_f32_e32 v2, v2, v3
	v_mul_f32_e32 v3, v99, v103
	v_fma_f32 v3, v98, v102, -v3
	;; [unrolled: 3-line block ×13, first 2 shown]
	s_waitcnt vmcnt(11) lgkmcnt(0)
	v_mul_f32_e32 v153, v146, v175
	v_add_f32_e32 v2, v2, v3
	v_mul_f32_e32 v3, v147, v175
	v_fmac_f32_e32 v153, v147, v174
	v_fma_f32 v3, v146, v174, -v3
	v_add_f32_e32 v152, v152, v153
	v_mul_f32_e32 v153, v148, v177
	v_add_f32_e32 v2, v2, v3
	v_mul_f32_e32 v3, v149, v177
	v_fmac_f32_e32 v153, v149, v176
	v_fma_f32 v3, v148, v176, -v3
	v_add_f32_e32 v152, v152, v153
	s_waitcnt vmcnt(10)
	v_mul_f32_e32 v153, v178, v183
	v_add_f32_e32 v2, v2, v3
	v_mul_f32_e32 v3, v179, v183
	v_fmac_f32_e32 v153, v179, v182
	v_fma_f32 v3, v178, v182, -v3
	v_add_f32_e32 v152, v152, v153
	v_mul_f32_e32 v153, v180, v185
	v_add_f32_e32 v2, v2, v3
	v_mul_f32_e32 v3, v181, v185
	v_fmac_f32_e32 v153, v181, v184
	v_fma_f32 v3, v180, v184, -v3
	v_add_f32_e32 v152, v152, v153
	s_waitcnt vmcnt(9)
	;; [unrolled: 13-line block ×6, first 2 shown]
	v_mul_f32_e32 v153, v218, v223
	v_add_f32_e32 v2, v2, v3
	v_mul_f32_e32 v3, v219, v223
	v_fmac_f32_e32 v153, v219, v222
	v_fma_f32 v3, v218, v222, -v3
	v_add_f32_e32 v152, v152, v153
	v_mul_f32_e32 v153, v220, v225
	v_add_f32_e32 v2, v2, v3
	v_mul_f32_e32 v3, v221, v225
	v_fmac_f32_e32 v153, v221, v224
	v_fma_f32 v3, v220, v224, -v3
	v_add_f32_e32 v153, v152, v153
	v_add_f32_e32 v152, v2, v3
	s_waitcnt vmcnt(4)
	v_mul_f32_e32 v2, v227, v231
	v_fma_f32 v154, v226, v230, -v2
	v_mul_f32_e32 v2, v229, v233
	v_fma_f32 v250, v228, v232, -v2
	ds_read2_b64 v[2:5], v172 offset0:119 offset1:120
	ds_read2_b64 v[6:9], v172 offset0:121 offset1:122
	;; [unrolled: 1-line block ×4, first 2 shown]
	v_mul_f32_e32 v155, v226, v231
	v_fmac_f32_e32 v155, v227, v230
	v_mul_f32_e32 v251, v228, v233
	s_waitcnt vmcnt(3) lgkmcnt(3)
	v_pk_mul_f32 v[20:21], v[2:3], v[234:235] op_sel:[1,1] op_sel_hi:[0,1]
	v_fmac_f32_e32 v251, v229, v232
	v_pk_add_f32 v[18:19], v[152:153], v[154:155]
	v_pk_fma_f32 v[22:23], v[2:3], v[234:235], v[20:21] neg_lo:[0,0,1] neg_hi:[0,0,1]
	v_pk_fma_f32 v[2:3], v[2:3], v[234:235], v[20:21] op_sel_hi:[1,0,1]
	v_pk_add_f32 v[18:19], v[18:19], v[250:251]
	v_mov_b32_e32 v23, v3
	v_pk_add_f32 v[2:3], v[18:19], v[22:23]
	v_mov_b32_e32 v18, v237
	v_pk_mul_f32 v[18:19], v[4:5], v[18:19] op_sel:[1,0] op_sel_hi:[0,0]
	v_pk_fma_f32 v[20:21], v[4:5], v[236:237], v[18:19] neg_lo:[0,0,1] neg_hi:[0,0,1]
	v_pk_fma_f32 v[4:5], v[4:5], v[236:237], v[18:19] op_sel_hi:[1,0,1]
	s_nop 0
	v_mov_b32_e32 v21, v5
	s_waitcnt vmcnt(2) lgkmcnt(2)
	v_pk_mul_f32 v[4:5], v[6:7], v[238:239] op_sel:[1,1] op_sel_hi:[0,1]
	v_pk_fma_f32 v[18:19], v[6:7], v[238:239], v[4:5] neg_lo:[0,0,1] neg_hi:[0,0,1]
	v_pk_fma_f32 v[4:5], v[6:7], v[238:239], v[4:5] op_sel_hi:[1,0,1]
	v_pk_add_f32 v[2:3], v[2:3], v[20:21]
	v_mov_b32_e32 v4, v241
	v_mov_b32_e32 v19, v5
	v_pk_mul_f32 v[4:5], v[8:9], v[4:5] op_sel:[1,0] op_sel_hi:[0,0]
	v_pk_fma_f32 v[6:7], v[8:9], v[240:241], v[4:5] neg_lo:[0,0,1] neg_hi:[0,0,1]
	v_pk_fma_f32 v[4:5], v[8:9], v[240:241], v[4:5] op_sel_hi:[1,0,1]
	v_pk_add_f32 v[2:3], v[2:3], v[18:19]
	v_mov_b32_e32 v7, v5
	s_waitcnt vmcnt(1) lgkmcnt(1)
	v_pk_mul_f32 v[4:5], v[10:11], v[242:243] op_sel:[1,1] op_sel_hi:[0,1]
	v_pk_add_f32 v[2:3], v[2:3], v[6:7]
	v_pk_fma_f32 v[6:7], v[10:11], v[242:243], v[4:5] neg_lo:[0,0,1] neg_hi:[0,0,1]
	v_pk_fma_f32 v[4:5], v[10:11], v[242:243], v[4:5] op_sel_hi:[1,0,1]
	s_nop 0
	v_mov_b32_e32 v4, v245
	v_mov_b32_e32 v7, v5
	v_pk_mul_f32 v[4:5], v[12:13], v[4:5] op_sel:[1,0] op_sel_hi:[0,0]
	v_pk_add_f32 v[2:3], v[2:3], v[6:7]
	v_pk_fma_f32 v[6:7], v[12:13], v[244:245], v[4:5] neg_lo:[0,0,1] neg_hi:[0,0,1]
	v_pk_fma_f32 v[4:5], v[12:13], v[244:245], v[4:5] op_sel_hi:[1,0,1]
	s_nop 0
	v_mov_b32_e32 v7, v5
	s_waitcnt vmcnt(0) lgkmcnt(0)
	v_pk_mul_f32 v[4:5], v[14:15], v[246:247] op_sel:[1,1] op_sel_hi:[0,1]
	v_pk_add_f32 v[2:3], v[2:3], v[6:7]
	v_pk_fma_f32 v[6:7], v[14:15], v[246:247], v[4:5] neg_lo:[0,0,1] neg_hi:[0,0,1]
	v_pk_fma_f32 v[4:5], v[14:15], v[246:247], v[4:5] op_sel_hi:[1,0,1]
	s_nop 0
	v_mov_b32_e32 v4, v249
	v_mov_b32_e32 v7, v5
	v_pk_mul_f32 v[4:5], v[16:17], v[4:5] op_sel:[1,0] op_sel_hi:[0,0]
	v_pk_add_f32 v[2:3], v[2:3], v[6:7]
	v_pk_fma_f32 v[6:7], v[16:17], v[248:249], v[4:5] neg_lo:[0,0,1] neg_hi:[0,0,1]
	v_pk_fma_f32 v[4:5], v[16:17], v[248:249], v[4:5] op_sel_hi:[1,0,1]
	s_nop 0
	v_mov_b32_e32 v7, v5
	scratch_load_dwordx2 v[4:5], off, off offset:16
	v_pk_add_f32 v[2:3], v[2:3], v[6:7]
	s_waitcnt vmcnt(0)
	v_pk_add_f32 v[2:3], v[4:5], v[2:3] neg_lo:[0,1] neg_hi:[0,1]
	scratch_store_dwordx2 off, v[2:3], off offset:16
	s_and_saveexec_b64 s[0:1], vcc
	s_cbranch_execz .LBB126_389
; %bb.388:
	scratch_load_dwordx2 v[2:3], off, off offset:8
	v_mov_b32_e32 v4, 0
	v_mov_b32_e32 v5, v4
	scratch_store_dwordx2 off, v[4:5], off offset:8
	s_waitcnt vmcnt(1)
	ds_write_b64 v1, v[2:3]
.LBB126_389:
	s_or_b64 exec, exec, s[0:1]
	v_mov_b32_e32 v172, 0
	s_waitcnt lgkmcnt(0)
	; wave barrier
	ds_read_b128 v[14:17], v172 offset:528
	ds_read_b128 v[10:13], v172 offset:544
	;; [unrolled: 1-line block ×4, first 2 shown]
	scratch_load_dwordx4 v[18:21], off, off offset:16
	scratch_load_dwordx4 v[38:41], off, off offset:80
	;; [unrolled: 1-line block ×21, first 2 shown]
	v_cmp_ne_u32_e32 vcc, 0, v0
	scratch_load_dwordx4 v[46:49], off, off offset:96
	scratch_load_dwordx4 v[54:57], off, off offset:112
	;; [unrolled: 1-line block ×3, first 2 shown]
	ds_read_b128 v[178:181], v172 offset:832
	ds_read_b128 v[186:189], v172 offset:848
	;; [unrolled: 1-line block ×8, first 2 shown]
	s_waitcnt vmcnt(23) lgkmcnt(11)
	v_mul_f32_e32 v22, v14, v19
	v_fmac_f32_e32 v22, v15, v18
	v_mul_f32_e32 v23, v16, v21
	v_add_f32_e32 v22, 0, v22
	v_fmac_f32_e32 v23, v17, v20
	v_add_f32_e32 v26, v22, v23
	scratch_load_dwordx4 v[22:25], off, off offset:32
	v_mul_f32_e32 v15, v15, v19
	v_fma_f32 v14, v14, v18, -v15
	v_mul_f32_e32 v15, v17, v21
	v_add_f32_e32 v14, 0, v14
	v_fma_f32 v15, v16, v20, -v15
	v_add_f32_e32 v14, v14, v15
	s_waitcnt vmcnt(5) lgkmcnt(1)
	v_mul_f32_e32 v155, v228, v233
	s_waitcnt vmcnt(4)
	v_mov_b32_e32 v18, v241
	v_fmac_f32_e32 v155, v229, v232
	s_waitcnt lgkmcnt(0)
	v_mul_f32_e32 v255, v234, v239
	v_pk_mul_f32 v[18:19], v[236:237], v[18:19] op_sel:[1,0] op_sel_hi:[0,0]
	v_fmac_f32_e32 v255, v235, v238
	v_pk_fma_f32 v[20:21], v[236:237], v[240:241], v[18:19] neg_lo:[0,0,1] neg_hi:[0,0,1]
	v_pk_fma_f32 v[18:19], v[236:237], v[240:241], v[18:19] op_sel_hi:[1,0,1]
	s_waitcnt vmcnt(0)
	v_mul_f32_e32 v27, v10, v23
	v_fmac_f32_e32 v27, v11, v22
	v_add_f32_e32 v26, v26, v27
	v_mul_f32_e32 v27, v12, v25
	v_fmac_f32_e32 v27, v13, v24
	v_add_f32_e32 v30, v26, v27
	scratch_load_dwordx4 v[26:29], off, off offset:48
	v_mul_f32_e32 v11, v11, v23
	v_fma_f32 v10, v10, v22, -v11
	v_mul_f32_e32 v11, v13, v25
	v_add_f32_e32 v10, v14, v10
	v_fma_f32 v11, v12, v24, -v11
	v_add_f32_e32 v10, v10, v11
	v_mov_b32_e32 v21, v19
	s_waitcnt vmcnt(0)
	v_mul_f32_e32 v31, v6, v27
	v_fmac_f32_e32 v31, v7, v26
	v_add_f32_e32 v30, v30, v31
	v_mul_f32_e32 v31, v8, v29
	v_fmac_f32_e32 v31, v9, v28
	v_add_f32_e32 v34, v30, v31
	scratch_load_dwordx4 v[30:33], off, off offset:64
	v_mul_f32_e32 v7, v7, v27
	v_fma_f32 v6, v6, v26, -v7
	v_mul_f32_e32 v7, v9, v29
	v_add_f32_e32 v6, v10, v6
	v_fma_f32 v7, v8, v28, -v7
	v_add_f32_e32 v6, v6, v7
	s_waitcnt vmcnt(0)
	v_mul_f32_e32 v35, v2, v31
	v_fmac_f32_e32 v35, v3, v30
	v_add_f32_e32 v34, v34, v35
	v_mul_f32_e32 v35, v4, v33
	v_fmac_f32_e32 v35, v5, v32
	v_add_f32_e32 v42, v34, v35
	ds_read_b128 v[34:37], v172 offset:592
	v_mul_f32_e32 v3, v3, v31
	v_fma_f32 v2, v2, v30, -v3
	v_mul_f32_e32 v3, v5, v33
	v_add_f32_e32 v2, v6, v2
	s_waitcnt lgkmcnt(0)
	v_mul_f32_e32 v43, v34, v39
	v_fmac_f32_e32 v43, v35, v38
	v_add_f32_e32 v42, v42, v43
	v_mul_f32_e32 v43, v36, v41
	v_fmac_f32_e32 v43, v37, v40
	v_add_f32_e32 v50, v42, v43
	ds_read_b128 v[42:45], v172 offset:608
	v_fma_f32 v3, v4, v32, -v3
	v_add_f32_e32 v2, v2, v3
	v_mul_f32_e32 v3, v35, v39
	v_fma_f32 v3, v34, v38, -v3
	s_waitcnt lgkmcnt(0)
	v_mul_f32_e32 v51, v42, v47
	v_fmac_f32_e32 v51, v43, v46
	v_add_f32_e32 v50, v50, v51
	v_mul_f32_e32 v51, v44, v49
	v_fmac_f32_e32 v51, v45, v48
	v_add_f32_e32 v58, v50, v51
	ds_read_b128 v[50:53], v172 offset:624
	v_add_f32_e32 v2, v2, v3
	v_mul_f32_e32 v3, v37, v41
	v_fma_f32 v3, v36, v40, -v3
	v_add_f32_e32 v2, v2, v3
	s_waitcnt lgkmcnt(0)
	v_mul_f32_e32 v59, v50, v55
	v_fmac_f32_e32 v59, v51, v54
	v_add_f32_e32 v58, v58, v59
	v_mul_f32_e32 v59, v52, v57
	v_fmac_f32_e32 v59, v53, v56
	v_add_f32_e32 v66, v58, v59
	ds_read_b128 v[58:61], v172 offset:640
	v_mul_f32_e32 v3, v43, v47
	v_fma_f32 v3, v42, v46, -v3
	v_add_f32_e32 v2, v2, v3
	v_mul_f32_e32 v3, v45, v49
	s_waitcnt lgkmcnt(0)
	v_mul_f32_e32 v67, v58, v63
	v_fmac_f32_e32 v67, v59, v62
	v_add_f32_e32 v66, v66, v67
	v_mul_f32_e32 v67, v60, v65
	v_fmac_f32_e32 v67, v61, v64
	v_add_f32_e32 v74, v66, v67
	ds_read_b128 v[66:69], v172 offset:656
	v_fma_f32 v3, v44, v48, -v3
	v_add_f32_e32 v2, v2, v3
	v_mul_f32_e32 v3, v51, v55
	v_fma_f32 v3, v50, v54, -v3
	s_waitcnt lgkmcnt(0)
	v_mul_f32_e32 v75, v66, v71
	v_fmac_f32_e32 v75, v67, v70
	v_add_f32_e32 v74, v74, v75
	v_mul_f32_e32 v75, v68, v73
	v_fmac_f32_e32 v75, v69, v72
	v_add_f32_e32 v82, v74, v75
	ds_read_b128 v[74:77], v172 offset:672
	v_add_f32_e32 v2, v2, v3
	v_mul_f32_e32 v3, v53, v57
	v_fma_f32 v3, v52, v56, -v3
	v_add_f32_e32 v2, v2, v3
	s_waitcnt lgkmcnt(0)
	v_mul_f32_e32 v83, v74, v79
	v_fmac_f32_e32 v83, v75, v78
	v_add_f32_e32 v82, v82, v83
	v_mul_f32_e32 v83, v76, v81
	v_fmac_f32_e32 v83, v77, v80
	v_add_f32_e32 v90, v82, v83
	ds_read_b128 v[82:85], v172 offset:688
	v_mul_f32_e32 v3, v59, v63
	v_fma_f32 v3, v58, v62, -v3
	v_add_f32_e32 v2, v2, v3
	v_mul_f32_e32 v3, v61, v65
	;; [unrolled: 36-line block ×4, first 2 shown]
	s_waitcnt lgkmcnt(0)
	v_mul_f32_e32 v139, v130, v135
	v_fmac_f32_e32 v139, v131, v134
	v_add_f32_e32 v138, v138, v139
	v_mul_f32_e32 v139, v132, v137
	v_fmac_f32_e32 v139, v133, v136
	v_add_f32_e32 v146, v138, v139
	ds_read_b128 v[138:141], v172 offset:800
	v_fma_f32 v3, v92, v96, -v3
	v_add_f32_e32 v2, v2, v3
	v_mul_f32_e32 v3, v99, v103
	v_fma_f32 v3, v98, v102, -v3
	s_waitcnt lgkmcnt(0)
	v_mul_f32_e32 v147, v138, v143
	v_fmac_f32_e32 v147, v139, v142
	v_add_f32_e32 v146, v146, v147
	v_mul_f32_e32 v147, v140, v145
	v_fmac_f32_e32 v147, v141, v144
	v_add_f32_e32 v152, v146, v147
	ds_read_b128 v[146:149], v172 offset:816
	scratch_load_dwordx4 v[242:245], off, off offset:448
	scratch_load_dwordx4 v[246:249], off, off offset:464
	;; [unrolled: 1-line block ×3, first 2 shown]
	scratch_load_dwordx2 v[156:157], off, off offset:496
	v_add_f32_e32 v2, v2, v3
	v_mul_f32_e32 v3, v101, v105
	v_fma_f32 v3, v100, v104, -v3
	v_add_f32_e32 v2, v2, v3
	v_mul_f32_e32 v3, v107, v111
	v_fma_f32 v3, v106, v110, -v3
	;; [unrolled: 3-line block ×11, first 2 shown]
	s_waitcnt lgkmcnt(0)
	v_mul_f32_e32 v153, v146, v175
	v_add_f32_e32 v2, v2, v3
	v_mul_f32_e32 v3, v147, v175
	v_fmac_f32_e32 v153, v147, v174
	v_fma_f32 v3, v146, v174, -v3
	v_add_f32_e32 v152, v152, v153
	v_mul_f32_e32 v153, v148, v177
	v_add_f32_e32 v2, v2, v3
	v_mul_f32_e32 v3, v149, v177
	v_fmac_f32_e32 v153, v149, v176
	v_fma_f32 v3, v148, v176, -v3
	v_add_f32_e32 v152, v152, v153
	;; [unrolled: 6-line block ×15, first 2 shown]
	v_add_f32_e32 v152, v2, v3
	v_mul_f32_e32 v2, v229, v233
	v_fma_f32 v154, v228, v232, -v2
	v_mul_f32_e32 v2, v235, v239
	v_fma_f32 v254, v234, v238, -v2
	ds_read_b128 v[2:5], v172 offset:960
	ds_read_b128 v[6:9], v172 offset:976
	;; [unrolled: 1-line block ×3, first 2 shown]
	ds_read_b64 v[14:15], v172 offset:1008
	v_pk_add_f32 v[16:17], v[152:153], v[154:155]
	s_waitcnt vmcnt(3) lgkmcnt(3)
	v_pk_mul_f32 v[18:19], v[2:3], v[242:243] op_sel:[1,1] op_sel_hi:[0,1]
	v_pk_add_f32 v[16:17], v[16:17], v[254:255]
	s_nop 0
	v_pk_add_f32 v[16:17], v[16:17], v[20:21]
	v_pk_fma_f32 v[20:21], v[2:3], v[242:243], v[18:19] neg_lo:[0,0,1] neg_hi:[0,0,1]
	v_pk_fma_f32 v[2:3], v[2:3], v[242:243], v[18:19] op_sel_hi:[1,0,1]
	s_nop 0
	v_mov_b32_e32 v21, v3
	v_pk_add_f32 v[2:3], v[16:17], v[20:21]
	v_mov_b32_e32 v16, v245
	v_pk_mul_f32 v[16:17], v[4:5], v[16:17] op_sel:[1,0] op_sel_hi:[0,0]
	v_pk_fma_f32 v[18:19], v[4:5], v[244:245], v[16:17] neg_lo:[0,0,1] neg_hi:[0,0,1]
	v_pk_fma_f32 v[4:5], v[4:5], v[244:245], v[16:17] op_sel_hi:[1,0,1]
	s_nop 0
	v_mov_b32_e32 v19, v5
	s_waitcnt vmcnt(2) lgkmcnt(2)
	v_pk_mul_f32 v[4:5], v[6:7], v[246:247] op_sel:[1,1] op_sel_hi:[0,1]
	v_pk_fma_f32 v[16:17], v[6:7], v[246:247], v[4:5] neg_lo:[0,0,1] neg_hi:[0,0,1]
	v_pk_fma_f32 v[4:5], v[6:7], v[246:247], v[4:5] op_sel_hi:[1,0,1]
	v_pk_add_f32 v[2:3], v[2:3], v[18:19]
	v_mov_b32_e32 v4, v249
	v_mov_b32_e32 v17, v5
	v_pk_mul_f32 v[4:5], v[8:9], v[4:5] op_sel:[1,0] op_sel_hi:[0,0]
	v_pk_fma_f32 v[6:7], v[8:9], v[248:249], v[4:5] neg_lo:[0,0,1] neg_hi:[0,0,1]
	v_pk_fma_f32 v[4:5], v[8:9], v[248:249], v[4:5] op_sel_hi:[1,0,1]
	v_pk_add_f32 v[2:3], v[2:3], v[16:17]
	v_mov_b32_e32 v7, v5
	s_waitcnt vmcnt(1) lgkmcnt(1)
	v_pk_mul_f32 v[4:5], v[10:11], v[250:251] op_sel:[1,1] op_sel_hi:[0,1]
	v_pk_add_f32 v[2:3], v[2:3], v[6:7]
	v_pk_fma_f32 v[6:7], v[10:11], v[250:251], v[4:5] neg_lo:[0,0,1] neg_hi:[0,0,1]
	v_pk_fma_f32 v[4:5], v[10:11], v[250:251], v[4:5] op_sel_hi:[1,0,1]
	s_nop 0
	v_mov_b32_e32 v4, v253
	v_mov_b32_e32 v7, v5
	v_pk_mul_f32 v[4:5], v[12:13], v[4:5] op_sel:[1,0] op_sel_hi:[0,0]
	v_pk_add_f32 v[2:3], v[2:3], v[6:7]
	v_pk_fma_f32 v[6:7], v[12:13], v[252:253], v[4:5] neg_lo:[0,0,1] neg_hi:[0,0,1]
	v_pk_fma_f32 v[4:5], v[12:13], v[252:253], v[4:5] op_sel_hi:[1,0,1]
	s_nop 0
	v_mov_b32_e32 v7, v5
	s_waitcnt vmcnt(0) lgkmcnt(0)
	v_pk_mul_f32 v[4:5], v[14:15], v[156:157] op_sel:[1,1] op_sel_hi:[0,1]
	v_pk_add_f32 v[2:3], v[2:3], v[6:7]
	v_pk_fma_f32 v[6:7], v[14:15], v[156:157], v[4:5] neg_lo:[0,0,1] neg_hi:[0,0,1]
	v_pk_fma_f32 v[4:5], v[14:15], v[156:157], v[4:5] op_sel_hi:[1,0,1]
	s_nop 0
	v_mov_b32_e32 v7, v5
	scratch_load_dwordx2 v[4:5], off, off offset:8
	v_pk_add_f32 v[2:3], v[2:3], v[6:7]
	s_waitcnt vmcnt(0)
	v_pk_add_f32 v[2:3], v[4:5], v[2:3] neg_lo:[0,1] neg_hi:[0,1]
	scratch_store_dwordx2 off, v[2:3], off offset:8
	s_and_saveexec_b64 s[0:1], vcc
	s_cbranch_execz .LBB126_391
; %bb.390:
	scratch_load_dwordx2 v[2:3], off, off
	v_mov_b32_e32 v173, v172
	scratch_store_dwordx2 off, v[172:173], off
	s_waitcnt vmcnt(1)
	ds_write_b64 v1, v[2:3]
.LBB126_391:
	s_or_b64 exec, exec, s[0:1]
	s_waitcnt lgkmcnt(0)
	; wave barrier
	scratch_load_dwordx4 v[4:7], off, off offset:8
	scratch_load_dwordx4 v[12:15], off, off offset:24
	;; [unrolled: 1-line block ×10, first 2 shown]
	ds_read2_b64 v[0:3], v172 offset0:65 offset1:66
	ds_read2_b64 v[178:181], v172 offset0:103 offset1:104
	scratch_load_dwordx4 v[84:87], off, off offset:168
	scratch_load_dwordx4 v[92:95], off, off offset:184
	;; [unrolled: 1-line block ×17, first 2 shown]
	s_and_b64 vcc, exec, s[10:11]
	ds_read2_b64 v[186:189], v172 offset0:105 offset1:106
	ds_read2_b64 v[194:197], v172 offset0:107 offset1:108
	;; [unrolled: 1-line block ×7, first 2 shown]
	s_waitcnt vmcnt(26) lgkmcnt(8)
	v_mul_f32_e32 v8, v0, v5
	v_fmac_f32_e32 v8, v1, v4
	v_mul_f32_e32 v9, v2, v7
	v_add_f32_e32 v8, 0, v8
	v_fmac_f32_e32 v9, v3, v6
	v_add_f32_e32 v16, v8, v9
	ds_read2_b64 v[8:11], v172 offset0:67 offset1:68
	v_mul_f32_e32 v1, v1, v5
	v_fma_f32 v0, v0, v4, -v1
	v_mul_f32_e32 v1, v3, v7
	v_add_f32_e32 v0, 0, v0
	s_waitcnt vmcnt(25) lgkmcnt(0)
	v_mul_f32_e32 v17, v8, v13
	v_fmac_f32_e32 v17, v9, v12
	v_add_f32_e32 v16, v16, v17
	v_mul_f32_e32 v17, v10, v15
	v_fmac_f32_e32 v17, v11, v14
	v_add_f32_e32 v24, v16, v17
	ds_read2_b64 v[16:19], v172 offset0:69 offset1:70
	v_fma_f32 v1, v2, v6, -v1
	v_add_f32_e32 v0, v0, v1
	v_mul_f32_e32 v1, v9, v13
	v_fma_f32 v1, v8, v12, -v1
	s_waitcnt vmcnt(24) lgkmcnt(0)
	v_mul_f32_e32 v25, v16, v21
	v_fmac_f32_e32 v25, v17, v20
	v_add_f32_e32 v24, v24, v25
	v_mul_f32_e32 v25, v18, v23
	v_fmac_f32_e32 v25, v19, v22
	v_add_f32_e32 v32, v24, v25
	ds_read2_b64 v[24:27], v172 offset0:71 offset1:72
	v_add_f32_e32 v0, v0, v1
	v_mul_f32_e32 v1, v11, v15
	v_fma_f32 v1, v10, v14, -v1
	v_add_f32_e32 v0, v0, v1
	s_waitcnt vmcnt(23) lgkmcnt(0)
	v_mul_f32_e32 v33, v24, v29
	v_fmac_f32_e32 v33, v25, v28
	v_add_f32_e32 v32, v32, v33
	v_mul_f32_e32 v33, v26, v31
	v_fmac_f32_e32 v33, v27, v30
	v_add_f32_e32 v40, v32, v33
	ds_read2_b64 v[32:35], v172 offset0:73 offset1:74
	v_mul_f32_e32 v1, v17, v21
	v_fma_f32 v1, v16, v20, -v1
	v_add_f32_e32 v0, v0, v1
	v_mul_f32_e32 v1, v19, v23
	s_waitcnt vmcnt(22) lgkmcnt(0)
	v_mul_f32_e32 v41, v32, v37
	v_fmac_f32_e32 v41, v33, v36
	v_add_f32_e32 v40, v40, v41
	v_mul_f32_e32 v41, v34, v39
	v_fmac_f32_e32 v41, v35, v38
	v_add_f32_e32 v48, v40, v41
	ds_read2_b64 v[40:43], v172 offset0:75 offset1:76
	v_fma_f32 v1, v18, v22, -v1
	v_add_f32_e32 v0, v0, v1
	v_mul_f32_e32 v1, v25, v29
	v_fma_f32 v1, v24, v28, -v1
	s_waitcnt vmcnt(21) lgkmcnt(0)
	v_mul_f32_e32 v49, v40, v45
	v_fmac_f32_e32 v49, v41, v44
	v_add_f32_e32 v48, v48, v49
	v_mul_f32_e32 v49, v42, v47
	v_fmac_f32_e32 v49, v43, v46
	v_add_f32_e32 v56, v48, v49
	ds_read2_b64 v[48:51], v172 offset0:77 offset1:78
	v_add_f32_e32 v0, v0, v1
	v_mul_f32_e32 v1, v27, v31
	v_fma_f32 v1, v26, v30, -v1
	v_add_f32_e32 v0, v0, v1
	s_waitcnt vmcnt(20) lgkmcnt(0)
	v_mul_f32_e32 v57, v48, v53
	v_fmac_f32_e32 v57, v49, v52
	v_add_f32_e32 v56, v56, v57
	v_mul_f32_e32 v57, v50, v55
	v_fmac_f32_e32 v57, v51, v54
	v_add_f32_e32 v64, v56, v57
	ds_read2_b64 v[56:59], v172 offset0:79 offset1:80
	v_mul_f32_e32 v1, v33, v37
	v_fma_f32 v1, v32, v36, -v1
	v_add_f32_e32 v0, v0, v1
	v_mul_f32_e32 v1, v35, v39
	s_waitcnt vmcnt(19) lgkmcnt(0)
	v_mul_f32_e32 v65, v56, v61
	v_fmac_f32_e32 v65, v57, v60
	v_add_f32_e32 v64, v64, v65
	v_mul_f32_e32 v65, v58, v63
	v_fmac_f32_e32 v65, v59, v62
	v_add_f32_e32 v72, v64, v65
	ds_read2_b64 v[64:67], v172 offset0:81 offset1:82
	v_fma_f32 v1, v34, v38, -v1
	v_add_f32_e32 v0, v0, v1
	v_mul_f32_e32 v1, v41, v45
	v_fma_f32 v1, v40, v44, -v1
	s_waitcnt vmcnt(18) lgkmcnt(0)
	v_mul_f32_e32 v73, v64, v69
	v_fmac_f32_e32 v73, v65, v68
	v_add_f32_e32 v72, v72, v73
	v_mul_f32_e32 v73, v66, v71
	v_fmac_f32_e32 v73, v67, v70
	v_add_f32_e32 v80, v72, v73
	ds_read2_b64 v[72:75], v172 offset0:83 offset1:84
	v_add_f32_e32 v0, v0, v1
	v_mul_f32_e32 v1, v43, v47
	v_fma_f32 v1, v42, v46, -v1
	v_add_f32_e32 v0, v0, v1
	s_waitcnt vmcnt(17) lgkmcnt(0)
	v_mul_f32_e32 v81, v72, v77
	v_fmac_f32_e32 v81, v73, v76
	v_add_f32_e32 v80, v80, v81
	v_mul_f32_e32 v81, v74, v79
	v_fmac_f32_e32 v81, v75, v78
	v_add_f32_e32 v88, v80, v81
	ds_read2_b64 v[80:83], v172 offset0:85 offset1:86
	v_mul_f32_e32 v1, v49, v53
	v_fma_f32 v1, v48, v52, -v1
	v_add_f32_e32 v0, v0, v1
	v_mul_f32_e32 v1, v51, v55
	s_waitcnt vmcnt(16) lgkmcnt(0)
	v_mul_f32_e32 v89, v80, v85
	v_fmac_f32_e32 v89, v81, v84
	v_add_f32_e32 v88, v88, v89
	v_mul_f32_e32 v89, v82, v87
	v_fmac_f32_e32 v89, v83, v86
	v_add_f32_e32 v96, v88, v89
	ds_read2_b64 v[88:91], v172 offset0:87 offset1:88
	v_fma_f32 v1, v50, v54, -v1
	v_add_f32_e32 v0, v0, v1
	v_mul_f32_e32 v1, v57, v61
	v_fma_f32 v1, v56, v60, -v1
	s_waitcnt vmcnt(15) lgkmcnt(0)
	v_mul_f32_e32 v97, v88, v93
	v_fmac_f32_e32 v97, v89, v92
	v_add_f32_e32 v96, v96, v97
	v_mul_f32_e32 v97, v90, v95
	v_fmac_f32_e32 v97, v91, v94
	v_add_f32_e32 v104, v96, v97
	ds_read2_b64 v[96:99], v172 offset0:89 offset1:90
	v_add_f32_e32 v0, v0, v1
	v_mul_f32_e32 v1, v59, v63
	v_fma_f32 v1, v58, v62, -v1
	v_add_f32_e32 v0, v0, v1
	s_waitcnt vmcnt(14) lgkmcnt(0)
	v_mul_f32_e32 v105, v96, v101
	v_fmac_f32_e32 v105, v97, v100
	v_add_f32_e32 v104, v104, v105
	v_mul_f32_e32 v105, v98, v103
	v_fmac_f32_e32 v105, v99, v102
	v_add_f32_e32 v112, v104, v105
	ds_read2_b64 v[104:107], v172 offset0:91 offset1:92
	v_mul_f32_e32 v1, v65, v69
	v_fma_f32 v1, v64, v68, -v1
	v_add_f32_e32 v0, v0, v1
	v_mul_f32_e32 v1, v67, v71
	s_waitcnt vmcnt(13) lgkmcnt(0)
	v_mul_f32_e32 v113, v104, v109
	v_fmac_f32_e32 v113, v105, v108
	v_add_f32_e32 v112, v112, v113
	v_mul_f32_e32 v113, v106, v111
	v_fmac_f32_e32 v113, v107, v110
	v_add_f32_e32 v120, v112, v113
	ds_read2_b64 v[112:115], v172 offset0:93 offset1:94
	v_fma_f32 v1, v66, v70, -v1
	v_add_f32_e32 v0, v0, v1
	v_mul_f32_e32 v1, v73, v77
	v_fma_f32 v1, v72, v76, -v1
	s_waitcnt vmcnt(12) lgkmcnt(0)
	v_mul_f32_e32 v121, v112, v117
	v_fmac_f32_e32 v121, v113, v116
	v_add_f32_e32 v120, v120, v121
	v_mul_f32_e32 v121, v114, v119
	v_fmac_f32_e32 v121, v115, v118
	v_add_f32_e32 v128, v120, v121
	ds_read2_b64 v[120:123], v172 offset0:95 offset1:96
	v_add_f32_e32 v0, v0, v1
	v_mul_f32_e32 v1, v75, v79
	v_fma_f32 v1, v74, v78, -v1
	v_add_f32_e32 v0, v0, v1
	s_waitcnt vmcnt(11) lgkmcnt(0)
	v_mul_f32_e32 v129, v120, v125
	v_fmac_f32_e32 v129, v121, v124
	v_add_f32_e32 v128, v128, v129
	v_mul_f32_e32 v129, v122, v127
	v_fmac_f32_e32 v129, v123, v126
	v_add_f32_e32 v136, v128, v129
	ds_read2_b64 v[128:131], v172 offset0:97 offset1:98
	v_mul_f32_e32 v1, v81, v85
	v_fma_f32 v1, v80, v84, -v1
	v_add_f32_e32 v0, v0, v1
	v_mul_f32_e32 v1, v83, v87
	s_waitcnt vmcnt(10) lgkmcnt(0)
	v_mul_f32_e32 v137, v128, v133
	v_fmac_f32_e32 v137, v129, v132
	v_add_f32_e32 v136, v136, v137
	v_mul_f32_e32 v137, v130, v135
	v_fmac_f32_e32 v137, v131, v134
	v_add_f32_e32 v144, v136, v137
	ds_read2_b64 v[136:139], v172 offset0:99 offset1:100
	v_fma_f32 v1, v82, v86, -v1
	v_add_f32_e32 v0, v0, v1
	v_mul_f32_e32 v1, v89, v93
	v_fma_f32 v1, v88, v92, -v1
	s_waitcnt vmcnt(9) lgkmcnt(0)
	v_mul_f32_e32 v145, v136, v141
	v_fmac_f32_e32 v145, v137, v140
	v_add_f32_e32 v144, v144, v145
	v_mul_f32_e32 v145, v138, v143
	v_fmac_f32_e32 v145, v139, v142
	v_add_f32_e32 v148, v144, v145
	ds_read2_b64 v[144:147], v172 offset0:101 offset1:102
	scratch_load_dwordx4 v[242:245], off, off offset:440
	scratch_load_dwordx4 v[246:249], off, off offset:456
	;; [unrolled: 1-line block ×4, first 2 shown]
	v_add_f32_e32 v0, v0, v1
	v_mul_f32_e32 v1, v91, v95
	v_fma_f32 v1, v90, v94, -v1
	v_add_f32_e32 v0, v0, v1
	v_mul_f32_e32 v1, v97, v101
	v_fma_f32 v1, v96, v100, -v1
	v_add_f32_e32 v0, v0, v1
	v_mul_f32_e32 v1, v99, v103
	v_fma_f32 v1, v98, v102, -v1
	v_add_f32_e32 v0, v0, v1
	v_mul_f32_e32 v1, v105, v109
	v_fma_f32 v1, v104, v108, -v1
	v_add_f32_e32 v0, v0, v1
	v_mul_f32_e32 v1, v107, v111
	v_fma_f32 v1, v106, v110, -v1
	v_add_f32_e32 v0, v0, v1
	v_mul_f32_e32 v1, v113, v117
	v_fma_f32 v1, v112, v116, -v1
	v_add_f32_e32 v0, v0, v1
	v_mul_f32_e32 v1, v115, v119
	v_fma_f32 v1, v114, v118, -v1
	v_add_f32_e32 v0, v0, v1
	v_mul_f32_e32 v1, v121, v125
	v_fma_f32 v1, v120, v124, -v1
	v_add_f32_e32 v0, v0, v1
	v_mul_f32_e32 v1, v123, v127
	v_fma_f32 v1, v122, v126, -v1
	v_add_f32_e32 v0, v0, v1
	v_mul_f32_e32 v1, v129, v133
	v_fma_f32 v1, v128, v132, -v1
	v_add_f32_e32 v0, v0, v1
	v_mul_f32_e32 v1, v131, v135
	v_fma_f32 v1, v130, v134, -v1
	v_add_f32_e32 v0, v0, v1
	v_mul_f32_e32 v1, v137, v141
	v_fma_f32 v1, v136, v140, -v1
	v_add_f32_e32 v0, v0, v1
	v_mul_f32_e32 v1, v139, v143
	v_fma_f32 v1, v138, v142, -v1
	s_waitcnt vmcnt(12) lgkmcnt(0)
	v_mul_f32_e32 v149, v144, v175
	v_add_f32_e32 v0, v0, v1
	v_mul_f32_e32 v1, v145, v175
	v_fmac_f32_e32 v149, v145, v174
	v_fma_f32 v1, v144, v174, -v1
	v_add_f32_e32 v148, v148, v149
	v_mul_f32_e32 v149, v146, v177
	v_add_f32_e32 v0, v0, v1
	v_mul_f32_e32 v1, v147, v177
	v_fmac_f32_e32 v149, v147, v176
	v_fma_f32 v1, v146, v176, -v1
	v_add_f32_e32 v148, v148, v149
	s_waitcnt vmcnt(11)
	v_mul_f32_e32 v149, v178, v183
	v_add_f32_e32 v0, v0, v1
	v_mul_f32_e32 v1, v179, v183
	v_fmac_f32_e32 v149, v179, v182
	v_fma_f32 v1, v178, v182, -v1
	v_add_f32_e32 v148, v148, v149
	v_mul_f32_e32 v149, v180, v185
	v_add_f32_e32 v0, v0, v1
	v_mul_f32_e32 v1, v181, v185
	v_fmac_f32_e32 v149, v181, v184
	v_fma_f32 v1, v180, v184, -v1
	v_add_f32_e32 v148, v148, v149
	s_waitcnt vmcnt(10)
	;; [unrolled: 13-line block ×7, first 2 shown]
	v_mul_f32_e32 v149, v226, v231
	v_add_f32_e32 v0, v0, v1
	v_mul_f32_e32 v1, v227, v231
	v_fmac_f32_e32 v149, v227, v230
	v_fma_f32 v1, v226, v230, -v1
	v_add_f32_e32 v148, v148, v149
	v_mul_f32_e32 v149, v228, v233
	v_add_f32_e32 v0, v0, v1
	v_mul_f32_e32 v1, v229, v233
	v_fmac_f32_e32 v149, v229, v232
	v_fma_f32 v1, v228, v232, -v1
	v_add_f32_e32 v149, v148, v149
	v_add_f32_e32 v148, v0, v1
	s_waitcnt vmcnt(4)
	v_mul_f32_e32 v0, v235, v239
	v_fma_f32 v156, v234, v238, -v0
	v_mul_f32_e32 v0, v237, v241
	v_fma_f32 v254, v236, v240, -v0
	ds_read2_b64 v[0:3], v172 offset0:119 offset1:120
	ds_read2_b64 v[4:7], v172 offset0:121 offset1:122
	;; [unrolled: 1-line block ×4, first 2 shown]
	v_mul_f32_e32 v157, v234, v239
	v_fmac_f32_e32 v157, v235, v238
	v_mul_f32_e32 v255, v236, v241
	s_waitcnt vmcnt(3) lgkmcnt(3)
	v_pk_mul_f32 v[18:19], v[0:1], v[242:243] op_sel:[1,1] op_sel_hi:[0,1]
	v_fmac_f32_e32 v255, v237, v240
	v_pk_add_f32 v[16:17], v[148:149], v[156:157]
	v_pk_fma_f32 v[20:21], v[0:1], v[242:243], v[18:19] neg_lo:[0,0,1] neg_hi:[0,0,1]
	v_pk_fma_f32 v[0:1], v[0:1], v[242:243], v[18:19] op_sel_hi:[1,0,1]
	v_pk_add_f32 v[16:17], v[16:17], v[254:255]
	v_mov_b32_e32 v21, v1
	v_pk_add_f32 v[0:1], v[16:17], v[20:21]
	v_mov_b32_e32 v16, v245
	v_pk_mul_f32 v[16:17], v[2:3], v[16:17] op_sel:[1,0] op_sel_hi:[0,0]
	v_pk_fma_f32 v[18:19], v[2:3], v[244:245], v[16:17] neg_lo:[0,0,1] neg_hi:[0,0,1]
	v_pk_fma_f32 v[2:3], v[2:3], v[244:245], v[16:17] op_sel_hi:[1,0,1]
	s_nop 0
	v_mov_b32_e32 v19, v3
	s_waitcnt vmcnt(2) lgkmcnt(2)
	v_pk_mul_f32 v[2:3], v[4:5], v[246:247] op_sel:[1,1] op_sel_hi:[0,1]
	v_pk_fma_f32 v[16:17], v[4:5], v[246:247], v[2:3] neg_lo:[0,0,1] neg_hi:[0,0,1]
	v_pk_fma_f32 v[2:3], v[4:5], v[246:247], v[2:3] op_sel_hi:[1,0,1]
	v_pk_add_f32 v[0:1], v[0:1], v[18:19]
	v_mov_b32_e32 v2, v249
	v_mov_b32_e32 v17, v3
	v_pk_mul_f32 v[2:3], v[6:7], v[2:3] op_sel:[1,0] op_sel_hi:[0,0]
	v_pk_fma_f32 v[4:5], v[6:7], v[248:249], v[2:3] neg_lo:[0,0,1] neg_hi:[0,0,1]
	v_pk_fma_f32 v[2:3], v[6:7], v[248:249], v[2:3] op_sel_hi:[1,0,1]
	v_pk_add_f32 v[0:1], v[0:1], v[16:17]
	v_mov_b32_e32 v5, v3
	s_waitcnt vmcnt(1) lgkmcnt(1)
	v_pk_mul_f32 v[2:3], v[8:9], v[250:251] op_sel:[1,1] op_sel_hi:[0,1]
	v_pk_add_f32 v[0:1], v[0:1], v[4:5]
	v_pk_fma_f32 v[4:5], v[8:9], v[250:251], v[2:3] neg_lo:[0,0,1] neg_hi:[0,0,1]
	v_pk_fma_f32 v[2:3], v[8:9], v[250:251], v[2:3] op_sel_hi:[1,0,1]
	s_nop 0
	v_mov_b32_e32 v2, v253
	v_mov_b32_e32 v5, v3
	v_pk_mul_f32 v[2:3], v[10:11], v[2:3] op_sel:[1,0] op_sel_hi:[0,0]
	v_pk_add_f32 v[0:1], v[0:1], v[4:5]
	v_pk_fma_f32 v[4:5], v[10:11], v[252:253], v[2:3] neg_lo:[0,0,1] neg_hi:[0,0,1]
	v_pk_fma_f32 v[2:3], v[10:11], v[252:253], v[2:3] op_sel_hi:[1,0,1]
	s_nop 0
	v_mov_b32_e32 v5, v3
	s_waitcnt vmcnt(0) lgkmcnt(0)
	v_pk_mul_f32 v[2:3], v[12:13], v[152:153] op_sel:[1,1] op_sel_hi:[0,1]
	v_pk_add_f32 v[0:1], v[0:1], v[4:5]
	v_pk_fma_f32 v[4:5], v[12:13], v[152:153], v[2:3] neg_lo:[0,0,1] neg_hi:[0,0,1]
	v_pk_fma_f32 v[2:3], v[12:13], v[152:153], v[2:3] op_sel_hi:[1,0,1]
	s_nop 0
	v_mov_b32_e32 v2, v155
	v_mov_b32_e32 v5, v3
	v_pk_mul_f32 v[2:3], v[14:15], v[2:3] op_sel:[1,0] op_sel_hi:[0,0]
	v_pk_add_f32 v[0:1], v[0:1], v[4:5]
	v_pk_fma_f32 v[4:5], v[14:15], v[154:155], v[2:3] neg_lo:[0,0,1] neg_hi:[0,0,1]
	v_pk_fma_f32 v[2:3], v[14:15], v[154:155], v[2:3] op_sel_hi:[1,0,1]
	s_nop 0
	v_mov_b32_e32 v5, v3
	scratch_load_dwordx2 v[2:3], off, off
	v_pk_add_f32 v[0:1], v[0:1], v[4:5]
	s_waitcnt vmcnt(0)
	v_pk_add_f32 v[0:1], v[2:3], v[0:1] neg_lo:[0,1] neg_hi:[0,1]
	scratch_store_dwordx2 off, v[0:1], off
	s_cbranch_vccz .LBB126_516
; %bb.392:
	v_mov_b32_e32 v0, 0
	global_load_dword v1, v0, s[8:9] offset:244
	s_waitcnt vmcnt(0)
	v_readfirstlane_b32 s0, v1
	s_add_i32 s0, s0, -1
	s_cmp_lg_u32 s0, 61
	s_cbranch_scc0 .LBB126_394
; %bb.393:
	s_lshl_b32 s0, s0, 3
	s_nop 0
	scratch_load_dwordx2 v[2:3], off, s0
	scratch_load_dwordx2 v[4:5], off, off offset:488
	s_waitcnt vmcnt(1)
	scratch_store_dwordx2 off, v[2:3], off offset:488
	s_waitcnt vmcnt(1)
	scratch_store_dwordx2 off, v[4:5], s0
.LBB126_394:
	global_load_dword v0, v0, s[8:9] offset:240
	s_waitcnt vmcnt(0)
	v_readfirstlane_b32 s0, v0
	s_add_i32 s0, s0, -1
	s_cmp_eq_u32 s0, 60
	s_cbranch_scc1 .LBB126_396
; %bb.395:
	s_lshl_b32 s0, s0, 3
	s_nop 0
	scratch_load_dwordx2 v[0:1], off, s0
	scratch_load_dwordx2 v[2:3], off, off offset:480
	s_waitcnt vmcnt(1)
	scratch_store_dwordx2 off, v[0:1], off offset:480
	s_waitcnt vmcnt(1)
	scratch_store_dwordx2 off, v[2:3], s0
.LBB126_396:
	v_mov_b32_e32 v0, 0
	global_load_dword v1, v0, s[8:9] offset:236
	s_waitcnt vmcnt(0)
	v_readfirstlane_b32 s0, v1
	s_add_i32 s0, s0, -1
	s_cmp_eq_u32 s0, 59
	s_cbranch_scc1 .LBB126_398
; %bb.397:
	s_lshl_b32 s0, s0, 3
	s_nop 0
	scratch_load_dwordx2 v[2:3], off, s0
	scratch_load_dwordx2 v[4:5], off, off offset:472
	s_waitcnt vmcnt(1)
	scratch_store_dwordx2 off, v[2:3], off offset:472
	s_waitcnt vmcnt(1)
	scratch_store_dwordx2 off, v[4:5], s0
.LBB126_398:
	global_load_dword v0, v0, s[8:9] offset:232
	s_waitcnt vmcnt(0)
	v_readfirstlane_b32 s0, v0
	s_add_i32 s0, s0, -1
	s_cmp_eq_u32 s0, 58
	s_cbranch_scc1 .LBB126_400
; %bb.399:
	s_lshl_b32 s0, s0, 3
	s_nop 0
	scratch_load_dwordx2 v[0:1], off, s0
	scratch_load_dwordx2 v[2:3], off, off offset:464
	s_waitcnt vmcnt(1)
	scratch_store_dwordx2 off, v[0:1], off offset:464
	s_waitcnt vmcnt(1)
	scratch_store_dwordx2 off, v[2:3], s0
.LBB126_400:
	v_mov_b32_e32 v0, 0
	global_load_dword v1, v0, s[8:9] offset:228
	s_waitcnt vmcnt(0)
	v_readfirstlane_b32 s0, v1
	s_add_i32 s0, s0, -1
	s_cmp_eq_u32 s0, 57
	s_cbranch_scc1 .LBB126_402
; %bb.401:
	s_lshl_b32 s0, s0, 3
	s_nop 0
	scratch_load_dwordx2 v[2:3], off, s0
	scratch_load_dwordx2 v[4:5], off, off offset:456
	s_waitcnt vmcnt(1)
	scratch_store_dwordx2 off, v[2:3], off offset:456
	s_waitcnt vmcnt(1)
	scratch_store_dwordx2 off, v[4:5], s0
.LBB126_402:
	;; [unrolled: 33-line block ×30, first 2 shown]
	global_load_dword v2, v0, s[8:9]
	s_nop 0
	scratch_load_dwordx2 v[0:1], off, off
	s_waitcnt vmcnt(1)
	v_readfirstlane_b32 s0, v2
	s_add_i32 s0, s0, -1
	s_cmp_eq_u32 s0, 0
	s_cbranch_scc1 .LBB126_516
; %bb.515:
	s_lshl_b32 s0, s0, 3
	s_nop 0
	scratch_load_dwordx2 v[2:3], off, s0
	s_waitcnt vmcnt(0)
	scratch_store_dwordx2 off, v[2:3], off
	scratch_store_dwordx2 off, v[0:1], s0
	scratch_load_dwordx2 v[0:1], off, off
.LBB126_516:
	s_waitcnt vmcnt(0)
	flat_store_dwordx2 v[150:151], v[0:1]
	scratch_load_dwordx2 v[0:1], off, off offset:8
	v_accvgpr_read_b32 v3, a1
	v_accvgpr_read_b32 v2, a0
	s_waitcnt vmcnt(0)
	flat_store_dwordx2 v[2:3], v[0:1]
	scratch_load_dwordx2 v[0:1], off, off offset:16
	v_accvgpr_read_b32 v2, a2
	v_accvgpr_read_b32 v3, a3
	;; [unrolled: 5-line block ×55, first 2 shown]
	s_waitcnt vmcnt(0)
	flat_store_dwordx2 v[2:3], v[0:1]
	scratch_load_dwordx2 v[0:1], off, off offset:448
	s_waitcnt vmcnt(0)
	flat_store_dwordx2 v[158:159], v[0:1]
	scratch_load_dwordx2 v[0:1], off, off offset:456
	;; [unrolled: 3-line block ×7, first 2 shown]
	s_waitcnt vmcnt(0)
	flat_store_dwordx2 v[170:171], v[0:1]
	s_endpgm
	.section	.rodata,"a",@progbits
	.p2align	6, 0x0
	.amdhsa_kernel _ZN9rocsolver6v33100L18getri_kernel_smallILi63E19rocblas_complex_numIfEPKPS3_EEvT1_iilPiilS8_bb
		.amdhsa_group_segment_fixed_size 1016
		.amdhsa_private_segment_fixed_size 512
		.amdhsa_kernarg_size 60
		.amdhsa_user_sgpr_count 2
		.amdhsa_user_sgpr_dispatch_ptr 0
		.amdhsa_user_sgpr_queue_ptr 0
		.amdhsa_user_sgpr_kernarg_segment_ptr 1
		.amdhsa_user_sgpr_dispatch_id 0
		.amdhsa_user_sgpr_kernarg_preload_length 0
		.amdhsa_user_sgpr_kernarg_preload_offset 0
		.amdhsa_user_sgpr_private_segment_size 0
		.amdhsa_uses_dynamic_stack 0
		.amdhsa_enable_private_segment 1
		.amdhsa_system_sgpr_workgroup_id_x 1
		.amdhsa_system_sgpr_workgroup_id_y 0
		.amdhsa_system_sgpr_workgroup_id_z 0
		.amdhsa_system_sgpr_workgroup_info 0
		.amdhsa_system_vgpr_workitem_id 0
		.amdhsa_next_free_vgpr 366
		.amdhsa_next_free_sgpr 17
		.amdhsa_accum_offset 256
		.amdhsa_reserve_vcc 1
		.amdhsa_float_round_mode_32 0
		.amdhsa_float_round_mode_16_64 0
		.amdhsa_float_denorm_mode_32 3
		.amdhsa_float_denorm_mode_16_64 3
		.amdhsa_dx10_clamp 1
		.amdhsa_ieee_mode 1
		.amdhsa_fp16_overflow 0
		.amdhsa_tg_split 0
		.amdhsa_exception_fp_ieee_invalid_op 0
		.amdhsa_exception_fp_denorm_src 0
		.amdhsa_exception_fp_ieee_div_zero 0
		.amdhsa_exception_fp_ieee_overflow 0
		.amdhsa_exception_fp_ieee_underflow 0
		.amdhsa_exception_fp_ieee_inexact 0
		.amdhsa_exception_int_div_zero 0
	.end_amdhsa_kernel
	.section	.text._ZN9rocsolver6v33100L18getri_kernel_smallILi63E19rocblas_complex_numIfEPKPS3_EEvT1_iilPiilS8_bb,"axG",@progbits,_ZN9rocsolver6v33100L18getri_kernel_smallILi63E19rocblas_complex_numIfEPKPS3_EEvT1_iilPiilS8_bb,comdat
.Lfunc_end126:
	.size	_ZN9rocsolver6v33100L18getri_kernel_smallILi63E19rocblas_complex_numIfEPKPS3_EEvT1_iilPiilS8_bb, .Lfunc_end126-_ZN9rocsolver6v33100L18getri_kernel_smallILi63E19rocblas_complex_numIfEPKPS3_EEvT1_iilPiilS8_bb
                                        ; -- End function
	.set _ZN9rocsolver6v33100L18getri_kernel_smallILi63E19rocblas_complex_numIfEPKPS3_EEvT1_iilPiilS8_bb.num_vgpr, 256
	.set _ZN9rocsolver6v33100L18getri_kernel_smallILi63E19rocblas_complex_numIfEPKPS3_EEvT1_iilPiilS8_bb.num_agpr, 110
	.set _ZN9rocsolver6v33100L18getri_kernel_smallILi63E19rocblas_complex_numIfEPKPS3_EEvT1_iilPiilS8_bb.numbered_sgpr, 17
	.set _ZN9rocsolver6v33100L18getri_kernel_smallILi63E19rocblas_complex_numIfEPKPS3_EEvT1_iilPiilS8_bb.num_named_barrier, 0
	.set _ZN9rocsolver6v33100L18getri_kernel_smallILi63E19rocblas_complex_numIfEPKPS3_EEvT1_iilPiilS8_bb.private_seg_size, 512
	.set _ZN9rocsolver6v33100L18getri_kernel_smallILi63E19rocblas_complex_numIfEPKPS3_EEvT1_iilPiilS8_bb.uses_vcc, 1
	.set _ZN9rocsolver6v33100L18getri_kernel_smallILi63E19rocblas_complex_numIfEPKPS3_EEvT1_iilPiilS8_bb.uses_flat_scratch, 0
	.set _ZN9rocsolver6v33100L18getri_kernel_smallILi63E19rocblas_complex_numIfEPKPS3_EEvT1_iilPiilS8_bb.has_dyn_sized_stack, 0
	.set _ZN9rocsolver6v33100L18getri_kernel_smallILi63E19rocblas_complex_numIfEPKPS3_EEvT1_iilPiilS8_bb.has_recursion, 0
	.set _ZN9rocsolver6v33100L18getri_kernel_smallILi63E19rocblas_complex_numIfEPKPS3_EEvT1_iilPiilS8_bb.has_indirect_call, 0
	.section	.AMDGPU.csdata,"",@progbits
; Kernel info:
; codeLenInByte = 109740
; TotalNumSgprs: 23
; NumVgprs: 256
; NumAgprs: 110
; TotalNumVgprs: 366
; ScratchSize: 512
; MemoryBound: 0
; FloatMode: 240
; IeeeMode: 1
; LDSByteSize: 1016 bytes/workgroup (compile time only)
; SGPRBlocks: 2
; VGPRBlocks: 45
; NumSGPRsForWavesPerEU: 23
; NumVGPRsForWavesPerEU: 366
; AccumOffset: 256
; Occupancy: 1
; WaveLimiterHint : 1
; COMPUTE_PGM_RSRC2:SCRATCH_EN: 1
; COMPUTE_PGM_RSRC2:USER_SGPR: 2
; COMPUTE_PGM_RSRC2:TRAP_HANDLER: 0
; COMPUTE_PGM_RSRC2:TGID_X_EN: 1
; COMPUTE_PGM_RSRC2:TGID_Y_EN: 0
; COMPUTE_PGM_RSRC2:TGID_Z_EN: 0
; COMPUTE_PGM_RSRC2:TIDIG_COMP_CNT: 0
; COMPUTE_PGM_RSRC3_GFX90A:ACCUM_OFFSET: 63
; COMPUTE_PGM_RSRC3_GFX90A:TG_SPLIT: 0
	.section	.text._ZN9rocsolver6v33100L18getri_kernel_smallILi64E19rocblas_complex_numIfEPKPS3_EEvT1_iilPiilS8_bb,"axG",@progbits,_ZN9rocsolver6v33100L18getri_kernel_smallILi64E19rocblas_complex_numIfEPKPS3_EEvT1_iilPiilS8_bb,comdat
	.globl	_ZN9rocsolver6v33100L18getri_kernel_smallILi64E19rocblas_complex_numIfEPKPS3_EEvT1_iilPiilS8_bb ; -- Begin function _ZN9rocsolver6v33100L18getri_kernel_smallILi64E19rocblas_complex_numIfEPKPS3_EEvT1_iilPiilS8_bb
	.p2align	8
	.type	_ZN9rocsolver6v33100L18getri_kernel_smallILi64E19rocblas_complex_numIfEPKPS3_EEvT1_iilPiilS8_bb,@function
_ZN9rocsolver6v33100L18getri_kernel_smallILi64E19rocblas_complex_numIfEPKPS3_EEvT1_iilPiilS8_bb: ; @_ZN9rocsolver6v33100L18getri_kernel_smallILi64E19rocblas_complex_numIfEPKPS3_EEvT1_iilPiilS8_bb
; %bb.0:
	v_cmp_gt_u32_e32 vcc, 64, v0
	s_and_saveexec_b64 s[4:5], vcc
	s_cbranch_execz .LBB127_270
; %bb.1:
	s_load_dword s14, s[0:1], 0x38
	s_load_dwordx2 s[8:9], s[0:1], 0x0
	s_load_dwordx4 s[4:7], s[0:1], 0x28
	s_waitcnt lgkmcnt(0)
	s_bitcmp1_b32 s14, 8
	s_cselect_b64 s[10:11], -1, 0
	s_ashr_i32 s3, s2, 31
	s_lshl_b64 s[12:13], s[2:3], 3
	s_add_u32 s8, s8, s12
	s_addc_u32 s9, s9, s13
	s_load_dwordx2 s[12:13], s[8:9], 0x0
	s_bfe_u32 s8, s14, 0x10008
	s_cmp_eq_u32 s8, 0
                                        ; implicit-def: $sgpr8_sgpr9
	s_cbranch_scc1 .LBB127_3
; %bb.2:
	s_load_dword s8, s[0:1], 0x20
	s_load_dwordx2 s[14:15], s[0:1], 0x18
	s_mul_i32 s9, s4, s3
	s_mul_hi_u32 s16, s4, s2
	s_add_i32 s16, s16, s9
	s_mul_i32 s5, s5, s2
	s_add_i32 s5, s16, s5
	s_mul_i32 s4, s4, s2
	s_waitcnt lgkmcnt(0)
	s_ashr_i32 s9, s8, 31
	s_lshl_b64 s[4:5], s[4:5], 2
	s_add_u32 s14, s14, s4
	s_addc_u32 s15, s15, s5
	s_lshl_b64 s[4:5], s[8:9], 2
	s_add_u32 s8, s14, s4
	s_addc_u32 s9, s15, s5
.LBB127_3:
	s_load_dwordx2 s[4:5], s[0:1], 0x8
	s_load_dword s14, s[0:1], 0x38
	v_lshlrev_b32_e32 v2, 3, v0
	v_mov_b32_e32 v3, 0
	s_waitcnt lgkmcnt(0)
	s_ashr_i32 s1, s4, 31
	s_mov_b32 s0, s4
	s_lshl_b64 s[0:1], s[0:1], 3
	s_add_u32 s0, s12, s0
	s_addc_u32 s1, s13, s1
	v_lshl_add_u64 v[156:157], s[0:1], 0, v[2:3]
	flat_load_dwordx2 v[4:5], v[156:157]
	s_mov_b32 s12, s5
	s_ashr_i32 s13, s5, 31
	v_lshl_add_u64 v[6:7], s[12:13], 3, v[156:157]
	v_accvgpr_write_b32 a0, v6
	s_add_i32 s4, s5, s5
	v_accvgpr_write_b32 a1, v7
	s_bitcmp0_b32 s14, 0
	s_waitcnt vmcnt(0) lgkmcnt(0)
	scratch_store_dwordx2 off, v[4:5], off
	flat_load_dwordx2 v[4:5], v[6:7]
	v_add_u32_e32 v6, s4, v0
	v_ashrrev_i32_e32 v7, 31, v6
	v_lshl_add_u64 v[8:9], v[6:7], 3, s[0:1]
	v_add_u32_e32 v6, s5, v6
	v_accvgpr_write_b32 a2, v8
	v_ashrrev_i32_e32 v7, 31, v6
	v_accvgpr_write_b32 a3, v9
	s_waitcnt vmcnt(0) lgkmcnt(0)
	scratch_store_dwordx2 off, v[4:5], off offset:8
	flat_load_dwordx2 v[4:5], v[8:9]
	v_lshl_add_u64 v[8:9], v[6:7], 3, s[0:1]
	v_add_u32_e32 v6, s5, v6
	v_accvgpr_write_b32 a4, v8
	v_ashrrev_i32_e32 v7, 31, v6
	v_accvgpr_write_b32 a5, v9
	s_waitcnt vmcnt(0) lgkmcnt(0)
	scratch_store_dwordx2 off, v[4:5], off offset:16
	flat_load_dwordx2 v[4:5], v[8:9]
	;; [unrolled: 8-line block ×55, first 2 shown]
	v_lshl_add_u64 v[8:9], v[6:7], 3, s[0:1]
	v_add_u32_e32 v6, s5, v6
	v_ashrrev_i32_e32 v7, 31, v6
	v_lshl_add_u64 v[254:255], v[6:7], 3, s[0:1]
	v_add_u32_e32 v6, s5, v6
	v_accvgpr_write_b32 a113, v9
	v_ashrrev_i32_e32 v7, 31, v6
	v_accvgpr_write_b32 a112, v8
	s_waitcnt vmcnt(0) lgkmcnt(0)
	scratch_store_dwordx2 off, v[4:5], off offset:448
	flat_load_dwordx2 v[4:5], v[8:9]
	v_lshl_add_u64 v[8:9], v[6:7], 3, s[0:1]
	v_add_u32_e32 v6, s5, v6
	v_ashrrev_i32_e32 v7, 31, v6
	v_lshl_add_u64 v[178:179], v[6:7], 3, s[0:1]
	v_add_u32_e32 v6, s5, v6
	v_ashrrev_i32_e32 v7, 31, v6
	;; [unrolled: 3-line block ×4, first 2 shown]
	v_lshl_add_u64 v[184:185], v[6:7], 3, s[0:1]
	v_accvgpr_write_b32 a115, v9
	v_accvgpr_write_b32 a114, v8
	s_mov_b64 s[4:5], -1
	s_waitcnt vmcnt(0) lgkmcnt(0)
	scratch_store_dwordx2 off, v[4:5], off offset:456
	flat_load_dwordx2 v[4:5], v[254:255]
	s_waitcnt vmcnt(0) lgkmcnt(0)
	scratch_store_dwordx2 off, v[4:5], off offset:464
	flat_load_dwordx2 v[4:5], v[8:9]
	;; [unrolled: 3-line block ×6, first 2 shown]
	s_waitcnt vmcnt(0) lgkmcnt(0)
	scratch_store_dwordx2 off, v[4:5], off offset:504
	s_cbranch_scc1 .LBB127_268
; %bb.4:
	v_cmp_eq_u32_e64 s[0:1], 0, v0
	s_and_saveexec_b64 s[4:5], s[0:1]
; %bb.5:
	v_mov_b32_e32 v1, 0
	ds_write_b32 v1, v1 offset:1024
; %bb.6:
	s_or_b64 exec, exec, s[4:5]
	s_waitcnt lgkmcnt(0)
	; wave barrier
	scratch_load_dwordx2 v[4:5], v2, off
	s_waitcnt vmcnt(0)
	v_cmp_eq_f32_e32 vcc, 0, v4
	v_cmp_eq_f32_e64 s[4:5], 0, v5
	s_and_b64 s[4:5], vcc, s[4:5]
	s_and_saveexec_b64 s[12:13], s[4:5]
	s_cbranch_execz .LBB127_10
; %bb.7:
	v_mov_b32_e32 v1, 0
	ds_read_b32 v4, v1 offset:1024
	v_add_u32_e32 v3, 1, v0
	s_waitcnt lgkmcnt(0)
	v_readfirstlane_b32 s4, v4
	s_cmp_eq_u32 s4, 0
	s_cselect_b64 s[14:15], -1, 0
	v_cmp_gt_i32_e32 vcc, s4, v3
	s_or_b64 s[14:15], s[14:15], vcc
	s_and_b64 exec, exec, s[14:15]
	s_cbranch_execz .LBB127_10
; %bb.8:
	s_mov_b64 s[14:15], 0
	v_mov_b32_e32 v4, s4
.LBB127_9:                              ; =>This Inner Loop Header: Depth=1
	ds_cmpst_rtn_b32 v4, v1, v4, v3 offset:1024
	s_waitcnt lgkmcnt(0)
	v_cmp_ne_u32_e32 vcc, 0, v4
	v_cmp_le_i32_e64 s[4:5], v4, v3
	s_and_b64 s[4:5], vcc, s[4:5]
	s_and_b64 s[4:5], exec, s[4:5]
	s_or_b64 s[14:15], s[4:5], s[14:15]
	s_andn2_b64 exec, exec, s[14:15]
	s_cbranch_execnz .LBB127_9
.LBB127_10:
	s_or_b64 exec, exec, s[12:13]
	v_mov_b32_e32 v3, 0
	; wave barrier
	ds_read_b32 v1, v3 offset:1024
	s_and_saveexec_b64 s[4:5], s[0:1]
	s_cbranch_execz .LBB127_12
; %bb.11:
	s_lshl_b64 s[12:13], s[2:3], 2
	s_add_u32 s12, s6, s12
	s_addc_u32 s13, s7, s13
	s_waitcnt lgkmcnt(0)
	global_store_dword v3, v1, s[12:13]
.LBB127_12:
	s_or_b64 exec, exec, s[4:5]
	s_waitcnt lgkmcnt(0)
	v_cmp_ne_u32_e32 vcc, 0, v1
	s_mov_b64 s[4:5], 0
	s_cbranch_vccnz .LBB127_268
; %bb.13:
	v_mov_b32_e32 v3, v2
	scratch_load_dwordx2 v[4:5], v3, off
                                        ; implicit-def: $vgpr7
                                        ; implicit-def: $vgpr8
	s_waitcnt vmcnt(0)
	v_cmp_ngt_f32_e64 s[4:5], |v4|, |v5|
	s_and_saveexec_b64 s[12:13], s[4:5]
	s_xor_b64 s[4:5], exec, s[12:13]
	s_cbranch_execz .LBB127_15
; %bb.14:
	v_div_scale_f32 v1, s[12:13], v5, v5, v4
	v_rcp_f32_e32 v6, v1
	v_div_scale_f32 v7, vcc, v4, v5, v4
	v_fma_f32 v8, -v1, v6, 1.0
	v_fmac_f32_e32 v6, v8, v6
	v_mul_f32_e32 v8, v7, v6
	v_fma_f32 v9, -v1, v8, v7
	v_fmac_f32_e32 v8, v9, v6
	v_fma_f32 v1, -v1, v8, v7
	v_div_fmas_f32 v1, v1, v6, v8
	v_div_fixup_f32 v1, v1, v5, v4
	v_fmac_f32_e32 v5, v4, v1
	v_div_scale_f32 v4, s[12:13], v5, v5, -1.0
	v_rcp_f32_e32 v6, v4
	s_nop 0
	v_fma_f32 v7, -v4, v6, 1.0
	v_fmac_f32_e32 v6, v7, v6
	v_div_scale_f32 v7, vcc, -1.0, v5, -1.0
	v_mul_f32_e32 v8, v7, v6
	v_fma_f32 v9, -v4, v8, v7
	v_fmac_f32_e32 v8, v9, v6
	v_fma_f32 v4, -v4, v8, v7
	v_div_fmas_f32 v4, v4, v6, v8
	v_div_fixup_f32 v7, v4, v5, -1.0
	v_mul_f32_e32 v8, v1, v7
	v_xor_b32_e32 v6, 0x80000000, v8
                                        ; implicit-def: $vgpr4_vgpr5
.LBB127_15:
	s_andn2_saveexec_b64 s[4:5], s[4:5]
	s_cbranch_execz .LBB127_17
; %bb.16:
	v_div_scale_f32 v1, s[12:13], v4, v4, v5
	v_rcp_f32_e32 v6, v1
	v_div_scale_f32 v7, vcc, v5, v4, v5
	v_fma_f32 v8, -v1, v6, 1.0
	v_fmac_f32_e32 v6, v8, v6
	v_mul_f32_e32 v8, v7, v6
	v_fma_f32 v9, -v1, v8, v7
	v_fmac_f32_e32 v8, v9, v6
	v_fma_f32 v1, -v1, v8, v7
	v_div_fmas_f32 v1, v1, v6, v8
	v_div_fixup_f32 v1, v1, v4, v5
	v_fmac_f32_e32 v4, v5, v1
	v_div_scale_f32 v5, s[12:13], v4, v4, 1.0
	v_rcp_f32_e32 v6, v5
	s_nop 0
	v_fma_f32 v7, -v5, v6, 1.0
	v_fmac_f32_e32 v6, v7, v6
	v_div_scale_f32 v7, vcc, 1.0, v4, 1.0
	v_mul_f32_e32 v8, v7, v6
	v_fma_f32 v9, -v5, v8, v7
	v_fmac_f32_e32 v8, v9, v6
	v_fma_f32 v5, -v5, v8, v7
	v_div_fmas_f32 v5, v5, v6, v8
	v_div_fixup_f32 v6, v5, v4, 1.0
	v_xor_b32_e32 v8, 0x80000000, v6
	v_mul_f32_e64 v7, v1, -v6
.LBB127_17:
	s_or_b64 exec, exec, s[4:5]
	scratch_store_dwordx2 v3, v[6:7], off
	scratch_load_dwordx2 v[4:5], off, off offset:8
	v_xor_b32_e32 v9, 0x80000000, v7
	v_or_b32_e32 v1, 0x200, v2
	s_waitcnt vmcnt(0)
	ds_write2st64_b64 v2, v[8:9], v[4:5] offset1:1
	s_waitcnt lgkmcnt(0)
	; wave barrier
	s_and_saveexec_b64 s[4:5], s[0:1]
	s_cbranch_execz .LBB127_19
; %bb.18:
	scratch_load_dwordx2 v[4:5], v3, off
	ds_read_b64 v[6:7], v1
	v_mov_b32_e32 v8, 0
	ds_read_b64 v[8:9], v8 offset:8
	s_waitcnt vmcnt(0) lgkmcnt(1)
	v_pk_mul_f32 v[10:11], v[6:7], v[4:5] op_sel:[1,1] op_sel_hi:[0,1]
	v_pk_fma_f32 v[12:13], v[6:7], v[4:5], v[10:11] neg_lo:[0,0,1] neg_hi:[0,0,1]
	v_pk_fma_f32 v[4:5], v[6:7], v[4:5], v[10:11] op_sel_hi:[1,0,1]
	s_nop 0
	v_mov_b32_e32 v13, v5
	v_pk_add_f32 v[4:5], v[12:13], 0 op_sel_hi:[1,0]
	s_waitcnt lgkmcnt(0)
	v_pk_mul_f32 v[6:7], v[4:5], v[8:9] op_sel:[1,1] op_sel_hi:[0,1]
	v_pk_fma_f32 v[10:11], v[4:5], v[8:9], v[6:7] neg_lo:[0,0,1] neg_hi:[0,0,1]
	v_pk_fma_f32 v[4:5], v[4:5], v[8:9], v[6:7] op_sel_hi:[1,0,1]
	s_nop 0
	v_mov_b32_e32 v11, v5
	scratch_store_dwordx2 off, v[10:11], off offset:8
.LBB127_19:
	s_or_b64 exec, exec, s[4:5]
	; wave barrier
	scratch_load_dwordx2 v[4:5], off, off offset:16
	v_cmp_gt_u32_e32 vcc, 2, v0
	s_waitcnt vmcnt(0)
	ds_write_b64 v1, v[4:5]
	s_waitcnt lgkmcnt(0)
	; wave barrier
	s_and_saveexec_b64 s[4:5], vcc
	s_cbranch_execz .LBB127_23
; %bb.20:
	scratch_load_dwordx2 v[4:5], v3, off
	ds_read_b64 v[6:7], v1
	s_waitcnt vmcnt(0) lgkmcnt(0)
	v_pk_mul_f32 v[8:9], v[6:7], v[4:5] op_sel:[1,1] op_sel_hi:[0,1]
	v_pk_fma_f32 v[10:11], v[6:7], v[4:5], v[8:9] neg_lo:[0,0,1] neg_hi:[0,0,1]
	v_pk_fma_f32 v[4:5], v[6:7], v[4:5], v[8:9] op_sel_hi:[1,0,1]
	s_nop 0
	v_mov_b32_e32 v11, v5
	v_pk_add_f32 v[4:5], v[10:11], 0 op_sel_hi:[1,0]
	s_and_saveexec_b64 s[12:13], s[0:1]
	s_cbranch_execz .LBB127_22
; %bb.21:
	scratch_load_dwordx2 v[6:7], off, off offset:8
	v_mov_b32_e32 v3, 0
	ds_read_b64 v[8:9], v3 offset:520
	s_waitcnt vmcnt(0) lgkmcnt(0)
	v_pk_mul_f32 v[10:11], v[8:9], v[6:7] op_sel:[1,1] op_sel_hi:[0,1]
	v_pk_fma_f32 v[12:13], v[8:9], v[6:7], v[10:11] neg_lo:[0,0,1] neg_hi:[0,0,1]
	v_pk_fma_f32 v[6:7], v[8:9], v[6:7], v[10:11] op_sel_hi:[1,0,1]
	s_nop 0
	v_mov_b32_e32 v13, v7
	v_pk_add_f32 v[4:5], v[4:5], v[12:13]
.LBB127_22:
	s_or_b64 exec, exec, s[12:13]
	v_mov_b32_e32 v3, 0
	ds_read_b64 v[6:7], v3 offset:16
	s_waitcnt lgkmcnt(0)
	v_pk_mul_f32 v[8:9], v[4:5], v[6:7] op_sel:[1,1] op_sel_hi:[0,1]
	v_pk_fma_f32 v[10:11], v[4:5], v[6:7], v[8:9] neg_lo:[0,0,1] neg_hi:[0,0,1]
	v_pk_fma_f32 v[4:5], v[4:5], v[6:7], v[8:9] op_sel_hi:[1,0,1]
	s_nop 0
	v_mov_b32_e32 v11, v5
	scratch_store_dwordx2 off, v[10:11], off offset:16
.LBB127_23:
	s_or_b64 exec, exec, s[4:5]
	; wave barrier
	scratch_load_dwordx2 v[4:5], off, off offset:24
	v_cmp_gt_u32_e32 vcc, 3, v0
	v_add_u32_e32 v6, -1, v0
	s_waitcnt vmcnt(0)
	ds_write_b64 v1, v[4:5]
	s_waitcnt lgkmcnt(0)
	; wave barrier
	s_and_saveexec_b64 s[0:1], vcc
	s_cbranch_execz .LBB127_27
; %bb.24:
	v_mov_b32_e32 v4, 0
	v_add_u32_e32 v3, -1, v0
	v_or_b32_e32 v7, 0x200, v2
	v_mov_b32_e32 v8, v2
	s_mov_b64 s[4:5], 0
	v_mov_b32_e32 v5, v4
.LBB127_25:                             ; =>This Inner Loop Header: Depth=1
	scratch_load_dwordx2 v[10:11], v8, off
	ds_read_b64 v[12:13], v7
	v_add_u32_e32 v3, 1, v3
	v_cmp_lt_u32_e32 vcc, 1, v3
	v_add_u32_e32 v7, 8, v7
	v_add_u32_e32 v8, 8, v8
	s_or_b64 s[4:5], vcc, s[4:5]
	s_waitcnt vmcnt(0) lgkmcnt(0)
	v_pk_mul_f32 v[14:15], v[12:13], v[10:11] op_sel:[1,1] op_sel_hi:[0,1]
	v_pk_fma_f32 v[16:17], v[12:13], v[10:11], v[14:15] neg_lo:[0,0,1] neg_hi:[0,0,1]
	v_pk_fma_f32 v[10:11], v[12:13], v[10:11], v[14:15] op_sel_hi:[1,0,1]
	s_nop 0
	v_mov_b32_e32 v17, v11
	v_pk_add_f32 v[4:5], v[4:5], v[16:17]
	s_andn2_b64 exec, exec, s[4:5]
	s_cbranch_execnz .LBB127_25
; %bb.26:
	s_or_b64 exec, exec, s[4:5]
	v_mov_b32_e32 v3, 0
	ds_read_b64 v[8:9], v3 offset:24
	s_waitcnt lgkmcnt(0)
	v_pk_mul_f32 v[10:11], v[4:5], v[8:9] op_sel:[1,1] op_sel_hi:[0,1]
	v_pk_fma_f32 v[12:13], v[4:5], v[8:9], v[10:11] neg_lo:[0,0,1] neg_hi:[0,0,1]
	v_pk_fma_f32 v[4:5], v[4:5], v[8:9], v[10:11] op_sel_hi:[1,0,1]
	s_nop 0
	v_mov_b32_e32 v13, v5
	scratch_store_dwordx2 off, v[12:13], off offset:24
.LBB127_27:
	s_or_b64 exec, exec, s[0:1]
	; wave barrier
	scratch_load_dwordx2 v[4:5], off, off offset:32
	v_cmp_gt_u32_e32 vcc, 4, v0
	s_waitcnt vmcnt(0)
	ds_write_b64 v1, v[4:5]
	s_waitcnt lgkmcnt(0)
	; wave barrier
	s_and_saveexec_b64 s[0:1], vcc
	s_cbranch_execz .LBB127_31
; %bb.28:
	v_mov_b32_e32 v4, 0
	v_add_u32_e32 v3, -1, v0
	v_or_b32_e32 v7, 0x200, v2
	v_mov_b32_e32 v8, v2
	s_mov_b64 s[4:5], 0
	v_mov_b32_e32 v5, v4
.LBB127_29:                             ; =>This Inner Loop Header: Depth=1
	scratch_load_dwordx2 v[10:11], v8, off
	ds_read_b64 v[12:13], v7
	v_add_u32_e32 v3, 1, v3
	v_cmp_lt_u32_e32 vcc, 2, v3
	v_add_u32_e32 v7, 8, v7
	v_add_u32_e32 v8, 8, v8
	s_or_b64 s[4:5], vcc, s[4:5]
	s_waitcnt vmcnt(0) lgkmcnt(0)
	v_pk_mul_f32 v[14:15], v[12:13], v[10:11] op_sel:[1,1] op_sel_hi:[0,1]
	v_pk_fma_f32 v[16:17], v[12:13], v[10:11], v[14:15] neg_lo:[0,0,1] neg_hi:[0,0,1]
	v_pk_fma_f32 v[10:11], v[12:13], v[10:11], v[14:15] op_sel_hi:[1,0,1]
	s_nop 0
	v_mov_b32_e32 v17, v11
	v_pk_add_f32 v[4:5], v[4:5], v[16:17]
	s_andn2_b64 exec, exec, s[4:5]
	s_cbranch_execnz .LBB127_29
; %bb.30:
	s_or_b64 exec, exec, s[4:5]
	v_mov_b32_e32 v3, 0
	ds_read_b64 v[8:9], v3 offset:32
	s_waitcnt lgkmcnt(0)
	v_pk_mul_f32 v[10:11], v[4:5], v[8:9] op_sel:[1,1] op_sel_hi:[0,1]
	v_pk_fma_f32 v[12:13], v[4:5], v[8:9], v[10:11] neg_lo:[0,0,1] neg_hi:[0,0,1]
	v_pk_fma_f32 v[4:5], v[4:5], v[8:9], v[10:11] op_sel_hi:[1,0,1]
	s_nop 0
	v_mov_b32_e32 v13, v5
	scratch_store_dwordx2 off, v[12:13], off offset:32
.LBB127_31:
	s_or_b64 exec, exec, s[0:1]
	; wave barrier
	scratch_load_dwordx2 v[4:5], off, off offset:40
	v_cmp_gt_u32_e32 vcc, 5, v0
	;; [unrolled: 46-line block ×19, first 2 shown]
	s_waitcnt vmcnt(0)
	ds_write_b64 v1, v[4:5]
	s_waitcnt lgkmcnt(0)
	; wave barrier
	s_and_saveexec_b64 s[0:1], vcc
	s_cbranch_execz .LBB127_103
; %bb.100:
	v_mov_b32_e32 v4, 0
	v_add_u32_e32 v3, -1, v0
	v_or_b32_e32 v7, 0x200, v2
	v_mov_b32_e32 v8, v2
	s_mov_b64 s[4:5], 0
	v_mov_b32_e32 v5, v4
.LBB127_101:                            ; =>This Inner Loop Header: Depth=1
	scratch_load_dwordx2 v[10:11], v8, off
	ds_read_b64 v[12:13], v7
	v_add_u32_e32 v3, 1, v3
	v_cmp_lt_u32_e32 vcc, 20, v3
	v_add_u32_e32 v7, 8, v7
	v_add_u32_e32 v8, 8, v8
	s_or_b64 s[4:5], vcc, s[4:5]
	s_waitcnt vmcnt(0) lgkmcnt(0)
	v_pk_mul_f32 v[14:15], v[12:13], v[10:11] op_sel:[1,1] op_sel_hi:[0,1]
	v_pk_fma_f32 v[16:17], v[12:13], v[10:11], v[14:15] neg_lo:[0,0,1] neg_hi:[0,0,1]
	v_pk_fma_f32 v[10:11], v[12:13], v[10:11], v[14:15] op_sel_hi:[1,0,1]
	s_nop 0
	v_mov_b32_e32 v17, v11
	v_pk_add_f32 v[4:5], v[4:5], v[16:17]
	s_andn2_b64 exec, exec, s[4:5]
	s_cbranch_execnz .LBB127_101
; %bb.102:
	s_or_b64 exec, exec, s[4:5]
	v_mov_b32_e32 v3, 0
	ds_read_b64 v[8:9], v3 offset:176
	s_waitcnt lgkmcnt(0)
	v_pk_mul_f32 v[10:11], v[4:5], v[8:9] op_sel:[1,1] op_sel_hi:[0,1]
	v_pk_fma_f32 v[12:13], v[4:5], v[8:9], v[10:11] neg_lo:[0,0,1] neg_hi:[0,0,1]
	v_pk_fma_f32 v[4:5], v[4:5], v[8:9], v[10:11] op_sel_hi:[1,0,1]
	s_nop 0
	v_mov_b32_e32 v13, v5
	scratch_store_dwordx2 off, v[12:13], off offset:176
.LBB127_103:
	s_or_b64 exec, exec, s[0:1]
	; wave barrier
	scratch_load_dwordx2 v[4:5], off, off offset:184
	v_cmp_gt_u32_e32 vcc, 23, v0
	s_waitcnt vmcnt(0)
	ds_write_b64 v1, v[4:5]
	s_waitcnt lgkmcnt(0)
	; wave barrier
	s_and_saveexec_b64 s[0:1], vcc
	s_cbranch_execz .LBB127_107
; %bb.104:
	v_mov_b32_e32 v4, 0
	v_add_u32_e32 v3, -1, v0
	v_or_b32_e32 v7, 0x200, v2
	v_mov_b32_e32 v8, v2
	s_mov_b64 s[4:5], 0
	v_mov_b32_e32 v5, v4
.LBB127_105:                            ; =>This Inner Loop Header: Depth=1
	scratch_load_dwordx2 v[10:11], v8, off
	ds_read_b64 v[12:13], v7
	v_add_u32_e32 v3, 1, v3
	v_cmp_lt_u32_e32 vcc, 21, v3
	v_add_u32_e32 v7, 8, v7
	v_add_u32_e32 v8, 8, v8
	s_or_b64 s[4:5], vcc, s[4:5]
	s_waitcnt vmcnt(0) lgkmcnt(0)
	v_pk_mul_f32 v[14:15], v[12:13], v[10:11] op_sel:[1,1] op_sel_hi:[0,1]
	v_pk_fma_f32 v[16:17], v[12:13], v[10:11], v[14:15] neg_lo:[0,0,1] neg_hi:[0,0,1]
	v_pk_fma_f32 v[10:11], v[12:13], v[10:11], v[14:15] op_sel_hi:[1,0,1]
	s_nop 0
	v_mov_b32_e32 v17, v11
	v_pk_add_f32 v[4:5], v[4:5], v[16:17]
	s_andn2_b64 exec, exec, s[4:5]
	s_cbranch_execnz .LBB127_105
; %bb.106:
	s_or_b64 exec, exec, s[4:5]
	v_mov_b32_e32 v3, 0
	ds_read_b64 v[8:9], v3 offset:184
	s_waitcnt lgkmcnt(0)
	v_pk_mul_f32 v[10:11], v[4:5], v[8:9] op_sel:[1,1] op_sel_hi:[0,1]
	v_pk_fma_f32 v[12:13], v[4:5], v[8:9], v[10:11] neg_lo:[0,0,1] neg_hi:[0,0,1]
	v_pk_fma_f32 v[4:5], v[4:5], v[8:9], v[10:11] op_sel_hi:[1,0,1]
	s_nop 0
	v_mov_b32_e32 v13, v5
	scratch_store_dwordx2 off, v[12:13], off offset:184
.LBB127_107:
	s_or_b64 exec, exec, s[0:1]
	; wave barrier
	scratch_load_dwordx2 v[4:5], off, off offset:192
	v_cmp_gt_u32_e32 vcc, 24, v0
	;; [unrolled: 46-line block ×40, first 2 shown]
	s_waitcnt vmcnt(0)
	ds_write_b64 v1, v[4:5]
	s_waitcnt lgkmcnt(0)
	; wave barrier
	s_and_saveexec_b64 s[0:1], vcc
	s_cbranch_execz .LBB127_263
; %bb.260:
	v_mov_b32_e32 v4, 0
	v_add_u32_e32 v3, -1, v0
	v_or_b32_e32 v7, 0x200, v2
	v_mov_b32_e32 v8, v2
	s_mov_b64 s[4:5], 0
	v_mov_b32_e32 v5, v4
.LBB127_261:                            ; =>This Inner Loop Header: Depth=1
	scratch_load_dwordx2 v[10:11], v8, off
	ds_read_b64 v[12:13], v7
	v_add_u32_e32 v3, 1, v3
	v_cmp_lt_u32_e32 vcc, 60, v3
	v_add_u32_e32 v7, 8, v7
	v_add_u32_e32 v8, 8, v8
	s_or_b64 s[4:5], vcc, s[4:5]
	s_waitcnt vmcnt(0) lgkmcnt(0)
	v_pk_mul_f32 v[14:15], v[12:13], v[10:11] op_sel:[1,1] op_sel_hi:[0,1]
	v_pk_fma_f32 v[16:17], v[12:13], v[10:11], v[14:15] neg_lo:[0,0,1] neg_hi:[0,0,1]
	v_pk_fma_f32 v[10:11], v[12:13], v[10:11], v[14:15] op_sel_hi:[1,0,1]
	s_nop 0
	v_mov_b32_e32 v17, v11
	v_pk_add_f32 v[4:5], v[4:5], v[16:17]
	s_andn2_b64 exec, exec, s[4:5]
	s_cbranch_execnz .LBB127_261
; %bb.262:
	s_or_b64 exec, exec, s[4:5]
	v_mov_b32_e32 v3, 0
	ds_read_b64 v[8:9], v3 offset:496
	s_waitcnt lgkmcnt(0)
	v_pk_mul_f32 v[10:11], v[4:5], v[8:9] op_sel:[1,1] op_sel_hi:[0,1]
	v_pk_fma_f32 v[12:13], v[4:5], v[8:9], v[10:11] neg_lo:[0,0,1] neg_hi:[0,0,1]
	v_pk_fma_f32 v[4:5], v[4:5], v[8:9], v[10:11] op_sel_hi:[1,0,1]
	s_nop 0
	v_mov_b32_e32 v13, v5
	scratch_store_dwordx2 off, v[12:13], off offset:496
.LBB127_263:
	s_or_b64 exec, exec, s[0:1]
	; wave barrier
	scratch_load_dwordx2 v[4:5], off, off offset:504
	v_cmp_ne_u32_e32 vcc, 63, v0
	s_waitcnt vmcnt(0)
	ds_write_b64 v1, v[4:5]
	s_waitcnt lgkmcnt(0)
	; wave barrier
	s_and_saveexec_b64 s[0:1], vcc
	s_cbranch_execz .LBB127_267
; %bb.264:
	v_or_b32_e32 v1, 0x200, v2
	v_mov_b32_e32 v4, v2
	v_mov_b32_e32 v2, 0
	s_mov_b64 s[4:5], 0
	v_mov_b32_e32 v3, v2
.LBB127_265:                            ; =>This Inner Loop Header: Depth=1
	scratch_load_dwordx2 v[8:9], v4, off
	ds_read_b64 v[10:11], v1
	v_add_u32_e32 v6, 1, v6
	v_cmp_lt_u32_e32 vcc, 61, v6
	v_add_u32_e32 v1, 8, v1
	v_add_u32_e32 v4, 8, v4
	s_or_b64 s[4:5], vcc, s[4:5]
	s_waitcnt vmcnt(0) lgkmcnt(0)
	v_pk_mul_f32 v[12:13], v[10:11], v[8:9] op_sel:[1,1] op_sel_hi:[0,1]
	v_pk_fma_f32 v[14:15], v[10:11], v[8:9], v[12:13] neg_lo:[0,0,1] neg_hi:[0,0,1]
	v_pk_fma_f32 v[8:9], v[10:11], v[8:9], v[12:13] op_sel_hi:[1,0,1]
	s_nop 0
	v_mov_b32_e32 v15, v9
	v_pk_add_f32 v[2:3], v[2:3], v[14:15]
	s_andn2_b64 exec, exec, s[4:5]
	s_cbranch_execnz .LBB127_265
; %bb.266:
	s_or_b64 exec, exec, s[4:5]
	v_mov_b32_e32 v1, 0
	ds_read_b64 v[4:5], v1 offset:504
	s_waitcnt lgkmcnt(0)
	v_pk_mul_f32 v[6:7], v[2:3], v[4:5] op_sel:[1,1] op_sel_hi:[0,1]
	v_pk_fma_f32 v[8:9], v[2:3], v[4:5], v[6:7] neg_lo:[0,0,1] neg_hi:[0,0,1]
	v_pk_fma_f32 v[2:3], v[2:3], v[4:5], v[6:7] op_sel_hi:[1,0,1]
	s_nop 0
	v_mov_b32_e32 v9, v3
	scratch_store_dwordx2 off, v[8:9], off offset:504
.LBB127_267:
	s_or_b64 exec, exec, s[0:1]
	s_mov_b64 s[4:5], -1
	; wave barrier
.LBB127_268:
	s_and_b64 vcc, exec, s[4:5]
	s_cbranch_vccz .LBB127_270
; %bb.269:
	s_lshl_b64 s[0:1], s[2:3], 2
	s_add_u32 s0, s6, s0
	s_addc_u32 s1, s7, s1
	v_mov_b32_e32 v1, 0
	global_load_dword v1, v1, s[0:1]
	s_waitcnt vmcnt(0)
	v_cmp_ne_u32_e32 vcc, 0, v1
	s_cbranch_vccz .LBB127_271
.LBB127_270:
	s_endpgm
.LBB127_271:
	v_mov_b32_e32 v1, 0x200
	v_lshl_or_b32 v1, v0, 3, v1
	v_cmp_eq_u32_e32 vcc, 63, v0
	s_and_saveexec_b64 s[0:1], vcc
	s_cbranch_execz .LBB127_273
; %bb.272:
	scratch_load_dwordx2 v[2:3], off, off offset:496
	v_mov_b32_e32 v4, 0
	v_mov_b32_e32 v5, v4
	scratch_store_dwordx2 off, v[4:5], off offset:496
	s_waitcnt vmcnt(1)
	ds_write_b64 v1, v[2:3]
.LBB127_273:
	s_or_b64 exec, exec, s[0:1]
	s_waitcnt lgkmcnt(0)
	; wave barrier
	scratch_load_dwordx2 v[4:5], off, off offset:504
	scratch_load_dwordx2 v[6:7], off, off offset:496
	v_mov_b32_e32 v2, 0
	ds_read_b64 v[8:9], v2 offset:1016
	v_cmp_lt_u32_e32 vcc, 61, v0
	s_waitcnt vmcnt(1) lgkmcnt(0)
	v_pk_mul_f32 v[10:11], v[8:9], v[4:5] op_sel:[1,1] op_sel_hi:[0,1]
	v_pk_fma_f32 v[12:13], v[8:9], v[4:5], v[10:11] neg_lo:[0,0,1] neg_hi:[0,0,1]
	v_pk_fma_f32 v[4:5], v[8:9], v[4:5], v[10:11] op_sel_hi:[1,0,1]
	s_nop 0
	v_mov_b32_e32 v13, v5
	v_pk_add_f32 v[4:5], v[12:13], 0 op_sel_hi:[1,0]
	s_waitcnt vmcnt(0)
	v_pk_add_f32 v[4:5], v[6:7], v[4:5] neg_lo:[0,1] neg_hi:[0,1]
	scratch_store_dwordx2 off, v[4:5], off offset:496
	s_and_saveexec_b64 s[0:1], vcc
	s_cbranch_execz .LBB127_275
; %bb.274:
	scratch_load_dwordx2 v[4:5], off, off offset:488
	v_mov_b32_e32 v3, v2
	scratch_store_dwordx2 off, v[2:3], off offset:488
	s_waitcnt vmcnt(1)
	ds_write_b64 v1, v[4:5]
.LBB127_275:
	s_or_b64 exec, exec, s[0:1]
	s_waitcnt lgkmcnt(0)
	; wave barrier
	scratch_load_dwordx4 v[4:7], off, off offset:496
	scratch_load_dwordx2 v[12:13], off, off offset:488
	ds_read_b128 v[8:11], v2 offset:1008
	v_cmp_lt_u32_e32 vcc, 60, v0
	s_waitcnt vmcnt(1) lgkmcnt(0)
	v_pk_mul_f32 v[2:3], v[8:9], v[4:5] op_sel:[1,1] op_sel_hi:[0,1]
	v_mov_b32_e32 v14, v7
	v_pk_fma_f32 v[16:17], v[8:9], v[4:5], v[2:3] neg_lo:[0,0,1] neg_hi:[0,0,1]
	v_pk_fma_f32 v[2:3], v[8:9], v[4:5], v[2:3] op_sel_hi:[1,0,1]
	v_pk_mul_f32 v[4:5], v[10:11], v[14:15] op_sel:[1,0] op_sel_hi:[0,0]
	v_mov_b32_e32 v17, v3
	v_pk_fma_f32 v[2:3], v[10:11], v[6:7], v[4:5] neg_lo:[0,0,1] neg_hi:[0,0,1]
	v_pk_fma_f32 v[4:5], v[10:11], v[6:7], v[4:5] op_sel_hi:[1,0,1]
	v_pk_add_f32 v[6:7], v[16:17], 0 op_sel_hi:[1,0]
	v_mov_b32_e32 v3, v5
	v_pk_add_f32 v[2:3], v[6:7], v[2:3]
	s_waitcnt vmcnt(0)
	v_pk_add_f32 v[2:3], v[12:13], v[2:3] neg_lo:[0,1] neg_hi:[0,1]
	scratch_store_dwordx2 off, v[2:3], off offset:488
	s_and_saveexec_b64 s[0:1], vcc
	s_cbranch_execz .LBB127_277
; %bb.276:
	scratch_load_dwordx2 v[2:3], off, off offset:480
	v_mov_b32_e32 v4, 0
	v_mov_b32_e32 v5, v4
	scratch_store_dwordx2 off, v[4:5], off offset:480
	s_waitcnt vmcnt(1)
	ds_write_b64 v1, v[2:3]
.LBB127_277:
	s_or_b64 exec, exec, s[0:1]
	s_waitcnt lgkmcnt(0)
	; wave barrier
	scratch_load_dwordx4 v[4:7], off, off offset:488
	scratch_load_dwordx2 v[12:13], off, off offset:504
	scratch_load_dwordx2 v[14:15], off, off offset:480
	v_mov_b32_e32 v2, 0
	ds_read2_b64 v[8:11], v2 offset0:125 offset1:126
	ds_read_b64 v[16:17], v2 offset:1016
	v_cmp_lt_u32_e32 vcc, 59, v0
	s_waitcnt vmcnt(2) lgkmcnt(1)
	v_pk_mul_f32 v[18:19], v[8:9], v[4:5] op_sel:[1,1] op_sel_hi:[0,1]
	v_mov_b32_e32 v20, v7
	v_pk_fma_f32 v[24:25], v[8:9], v[4:5], v[18:19] neg_lo:[0,0,1] neg_hi:[0,0,1]
	v_pk_fma_f32 v[4:5], v[8:9], v[4:5], v[18:19] op_sel_hi:[1,0,1]
	v_pk_mul_f32 v[8:9], v[10:11], v[20:21] op_sel:[1,0] op_sel_hi:[0,0]
	s_waitcnt vmcnt(1) lgkmcnt(0)
	v_pk_mul_f32 v[22:23], v[16:17], v[12:13] op_sel:[1,1] op_sel_hi:[0,1]
	v_mov_b32_e32 v25, v5
	v_pk_fma_f32 v[4:5], v[10:11], v[6:7], v[8:9] neg_lo:[0,0,1] neg_hi:[0,0,1]
	v_pk_fma_f32 v[6:7], v[10:11], v[6:7], v[8:9] op_sel_hi:[1,0,1]
	v_pk_fma_f32 v[18:19], v[16:17], v[12:13], v[22:23] neg_lo:[0,0,1] neg_hi:[0,0,1]
	v_pk_fma_f32 v[12:13], v[16:17], v[12:13], v[22:23] op_sel_hi:[1,0,1]
	v_pk_add_f32 v[8:9], v[24:25], 0 op_sel_hi:[1,0]
	v_mov_b32_e32 v5, v7
	v_mov_b32_e32 v19, v13
	v_pk_add_f32 v[4:5], v[8:9], v[4:5]
	s_nop 0
	v_pk_add_f32 v[4:5], v[4:5], v[18:19]
	s_waitcnt vmcnt(0)
	v_pk_add_f32 v[4:5], v[14:15], v[4:5] neg_lo:[0,1] neg_hi:[0,1]
	scratch_store_dwordx2 off, v[4:5], off offset:480
	s_and_saveexec_b64 s[0:1], vcc
	s_cbranch_execz .LBB127_279
; %bb.278:
	scratch_load_dwordx2 v[4:5], off, off offset:472
	v_mov_b32_e32 v3, v2
	scratch_store_dwordx2 off, v[2:3], off offset:472
	s_waitcnt vmcnt(1)
	ds_write_b64 v1, v[4:5]
.LBB127_279:
	s_or_b64 exec, exec, s[0:1]
	s_waitcnt lgkmcnt(0)
	; wave barrier
	scratch_load_dwordx4 v[4:7], off, off offset:480
	scratch_load_dwordx4 v[8:11], off, off offset:496
	scratch_load_dwordx2 v[20:21], off, off offset:472
	ds_read_b128 v[12:15], v2 offset:992
	ds_read_b128 v[16:19], v2 offset:1008
	v_cmp_lt_u32_e32 vcc, 58, v0
	s_waitcnt vmcnt(2) lgkmcnt(1)
	v_pk_mul_f32 v[2:3], v[12:13], v[4:5] op_sel:[1,1] op_sel_hi:[0,1]
	v_mov_b32_e32 v22, v7
	s_waitcnt vmcnt(1) lgkmcnt(0)
	v_pk_mul_f32 v[24:25], v[16:17], v[8:9] op_sel:[1,1] op_sel_hi:[0,1]
	v_mov_b32_e32 v26, v11
	v_pk_fma_f32 v[28:29], v[12:13], v[4:5], v[2:3] neg_lo:[0,0,1] neg_hi:[0,0,1]
	v_pk_fma_f32 v[2:3], v[12:13], v[4:5], v[2:3] op_sel_hi:[1,0,1]
	v_pk_mul_f32 v[4:5], v[14:15], v[22:23] op_sel:[1,0] op_sel_hi:[0,0]
	v_pk_fma_f32 v[12:13], v[16:17], v[8:9], v[24:25] neg_lo:[0,0,1] neg_hi:[0,0,1]
	v_pk_fma_f32 v[8:9], v[16:17], v[8:9], v[24:25] op_sel_hi:[1,0,1]
	v_pk_mul_f32 v[16:17], v[18:19], v[26:27] op_sel:[1,0] op_sel_hi:[0,0]
	v_mov_b32_e32 v29, v3
	v_pk_fma_f32 v[2:3], v[14:15], v[6:7], v[4:5] neg_lo:[0,0,1] neg_hi:[0,0,1]
	v_pk_fma_f32 v[4:5], v[14:15], v[6:7], v[4:5] op_sel_hi:[1,0,1]
	v_mov_b32_e32 v13, v9
	v_pk_fma_f32 v[6:7], v[18:19], v[10:11], v[16:17] neg_lo:[0,0,1] neg_hi:[0,0,1]
	v_pk_fma_f32 v[8:9], v[18:19], v[10:11], v[16:17] op_sel_hi:[1,0,1]
	v_pk_add_f32 v[10:11], v[28:29], 0 op_sel_hi:[1,0]
	v_mov_b32_e32 v3, v5
	v_pk_add_f32 v[2:3], v[10:11], v[2:3]
	v_mov_b32_e32 v7, v9
	v_pk_add_f32 v[2:3], v[2:3], v[12:13]
	s_nop 0
	v_pk_add_f32 v[2:3], v[2:3], v[6:7]
	s_waitcnt vmcnt(0)
	v_pk_add_f32 v[2:3], v[20:21], v[2:3] neg_lo:[0,1] neg_hi:[0,1]
	scratch_store_dwordx2 off, v[2:3], off offset:472
	s_and_saveexec_b64 s[0:1], vcc
	s_cbranch_execz .LBB127_281
; %bb.280:
	scratch_load_dwordx2 v[2:3], off, off offset:464
	v_mov_b32_e32 v4, 0
	v_mov_b32_e32 v5, v4
	scratch_store_dwordx2 off, v[4:5], off offset:464
	s_waitcnt vmcnt(1)
	ds_write_b64 v1, v[2:3]
.LBB127_281:
	s_or_b64 exec, exec, s[0:1]
	s_waitcnt lgkmcnt(0)
	; wave barrier
	scratch_load_dwordx4 v[4:7], off, off offset:472
	scratch_load_dwordx4 v[8:11], off, off offset:488
	scratch_load_dwordx2 v[20:21], off, off offset:504
	scratch_load_dwordx2 v[22:23], off, off offset:464
	v_mov_b32_e32 v2, 0
	ds_read2_b64 v[12:15], v2 offset0:123 offset1:124
	ds_read2_b64 v[16:19], v2 offset0:125 offset1:126
	ds_read_b64 v[24:25], v2 offset:1016
	v_cmp_lt_u32_e32 vcc, 57, v0
	s_waitcnt vmcnt(3) lgkmcnt(2)
	v_pk_mul_f32 v[26:27], v[12:13], v[4:5] op_sel:[1,1] op_sel_hi:[0,1]
	v_mov_b32_e32 v28, v7
	v_pk_fma_f32 v[36:37], v[12:13], v[4:5], v[26:27] neg_lo:[0,0,1] neg_hi:[0,0,1]
	v_pk_fma_f32 v[4:5], v[12:13], v[4:5], v[26:27] op_sel_hi:[1,0,1]
	v_pk_mul_f32 v[12:13], v[14:15], v[28:29] op_sel:[1,0] op_sel_hi:[0,0]
	s_waitcnt vmcnt(2) lgkmcnt(1)
	v_pk_mul_f32 v[30:31], v[16:17], v[8:9] op_sel:[1,1] op_sel_hi:[0,1]
	v_mov_b32_e32 v32, v11
	v_mov_b32_e32 v37, v5
	v_pk_fma_f32 v[4:5], v[14:15], v[6:7], v[12:13] neg_lo:[0,0,1] neg_hi:[0,0,1]
	v_pk_fma_f32 v[6:7], v[14:15], v[6:7], v[12:13] op_sel_hi:[1,0,1]
	v_pk_fma_f32 v[26:27], v[16:17], v[8:9], v[30:31] neg_lo:[0,0,1] neg_hi:[0,0,1]
	v_pk_fma_f32 v[8:9], v[16:17], v[8:9], v[30:31] op_sel_hi:[1,0,1]
	v_pk_mul_f32 v[16:17], v[18:19], v[32:33] op_sel:[1,0] op_sel_hi:[0,0]
	v_pk_add_f32 v[12:13], v[36:37], 0 op_sel_hi:[1,0]
	v_mov_b32_e32 v5, v7
	s_waitcnt vmcnt(1) lgkmcnt(0)
	v_pk_mul_f32 v[34:35], v[24:25], v[20:21] op_sel:[1,1] op_sel_hi:[0,1]
	v_mov_b32_e32 v27, v9
	v_pk_fma_f32 v[8:9], v[18:19], v[10:11], v[16:17] neg_lo:[0,0,1] neg_hi:[0,0,1]
	v_pk_fma_f32 v[10:11], v[18:19], v[10:11], v[16:17] op_sel_hi:[1,0,1]
	v_pk_add_f32 v[4:5], v[12:13], v[4:5]
	v_pk_fma_f32 v[28:29], v[24:25], v[20:21], v[34:35] neg_lo:[0,0,1] neg_hi:[0,0,1]
	v_pk_fma_f32 v[20:21], v[24:25], v[20:21], v[34:35] op_sel_hi:[1,0,1]
	v_mov_b32_e32 v9, v11
	v_pk_add_f32 v[4:5], v[4:5], v[26:27]
	v_mov_b32_e32 v29, v21
	v_pk_add_f32 v[4:5], v[4:5], v[8:9]
	s_nop 0
	v_pk_add_f32 v[4:5], v[4:5], v[28:29]
	s_waitcnt vmcnt(0)
	v_pk_add_f32 v[4:5], v[22:23], v[4:5] neg_lo:[0,1] neg_hi:[0,1]
	scratch_store_dwordx2 off, v[4:5], off offset:464
	s_and_saveexec_b64 s[0:1], vcc
	s_cbranch_execz .LBB127_283
; %bb.282:
	scratch_load_dwordx2 v[4:5], off, off offset:456
	v_mov_b32_e32 v3, v2
	scratch_store_dwordx2 off, v[2:3], off offset:456
	s_waitcnt vmcnt(1)
	ds_write_b64 v1, v[4:5]
.LBB127_283:
	s_or_b64 exec, exec, s[0:1]
	s_waitcnt lgkmcnt(0)
	; wave barrier
	scratch_load_dwordx4 v[4:7], off, off offset:464
	scratch_load_dwordx4 v[8:11], off, off offset:480
	scratch_load_dwordx4 v[12:15], off, off offset:496
	scratch_load_dwordx2 v[28:29], off, off offset:456
	ds_read_b128 v[16:19], v2 offset:976
	ds_read_b128 v[20:23], v2 offset:992
	;; [unrolled: 1-line block ×3, first 2 shown]
	v_cmp_lt_u32_e32 vcc, 56, v0
	s_waitcnt vmcnt(3) lgkmcnt(2)
	v_pk_mul_f32 v[2:3], v[16:17], v[4:5] op_sel:[1,1] op_sel_hi:[0,1]
	v_mov_b32_e32 v30, v7
	s_waitcnt vmcnt(2) lgkmcnt(1)
	v_pk_mul_f32 v[32:33], v[20:21], v[8:9] op_sel:[1,1] op_sel_hi:[0,1]
	v_mov_b32_e32 v34, v11
	;; [unrolled: 3-line block ×3, first 2 shown]
	v_pk_fma_f32 v[40:41], v[16:17], v[4:5], v[2:3] neg_lo:[0,0,1] neg_hi:[0,0,1]
	v_pk_fma_f32 v[2:3], v[16:17], v[4:5], v[2:3] op_sel_hi:[1,0,1]
	v_pk_mul_f32 v[4:5], v[18:19], v[30:31] op_sel:[1,0] op_sel_hi:[0,0]
	v_pk_fma_f32 v[16:17], v[20:21], v[8:9], v[32:33] neg_lo:[0,0,1] neg_hi:[0,0,1]
	v_pk_fma_f32 v[8:9], v[20:21], v[8:9], v[32:33] op_sel_hi:[1,0,1]
	v_pk_mul_f32 v[20:21], v[22:23], v[34:35] op_sel:[1,0] op_sel_hi:[0,0]
	;; [unrolled: 3-line block ×3, first 2 shown]
	v_mov_b32_e32 v41, v3
	v_pk_fma_f32 v[2:3], v[18:19], v[6:7], v[4:5] neg_lo:[0,0,1] neg_hi:[0,0,1]
	v_pk_fma_f32 v[4:5], v[18:19], v[6:7], v[4:5] op_sel_hi:[1,0,1]
	v_mov_b32_e32 v17, v9
	v_pk_fma_f32 v[6:7], v[22:23], v[10:11], v[20:21] neg_lo:[0,0,1] neg_hi:[0,0,1]
	v_pk_fma_f32 v[8:9], v[22:23], v[10:11], v[20:21] op_sel_hi:[1,0,1]
	;; [unrolled: 3-line block ×3, first 2 shown]
	v_pk_add_f32 v[14:15], v[40:41], 0 op_sel_hi:[1,0]
	v_mov_b32_e32 v3, v5
	v_pk_add_f32 v[2:3], v[14:15], v[2:3]
	v_mov_b32_e32 v7, v9
	v_pk_add_f32 v[2:3], v[2:3], v[16:17]
	;; [unrolled: 2-line block ×3, first 2 shown]
	s_nop 0
	v_pk_add_f32 v[2:3], v[2:3], v[30:31]
	s_nop 0
	v_pk_add_f32 v[2:3], v[2:3], v[10:11]
	s_waitcnt vmcnt(0)
	v_pk_add_f32 v[2:3], v[28:29], v[2:3] neg_lo:[0,1] neg_hi:[0,1]
	scratch_store_dwordx2 off, v[2:3], off offset:456
	s_and_saveexec_b64 s[0:1], vcc
	s_cbranch_execz .LBB127_285
; %bb.284:
	scratch_load_dwordx2 v[2:3], off, off offset:448
	v_mov_b32_e32 v4, 0
	v_mov_b32_e32 v5, v4
	scratch_store_dwordx2 off, v[4:5], off offset:448
	s_waitcnt vmcnt(1)
	ds_write_b64 v1, v[2:3]
.LBB127_285:
	s_or_b64 exec, exec, s[0:1]
	s_waitcnt lgkmcnt(0)
	; wave barrier
	scratch_load_dwordx4 v[4:7], off, off offset:456
	scratch_load_dwordx4 v[8:11], off, off offset:472
	;; [unrolled: 1-line block ×3, first 2 shown]
	scratch_load_dwordx2 v[28:29], off, off offset:504
	v_mov_b32_e32 v2, 0
	ds_read2_b64 v[16:19], v2 offset0:121 offset1:122
	ds_read2_b64 v[20:23], v2 offset0:123 offset1:124
	;; [unrolled: 1-line block ×3, first 2 shown]
	ds_read_b64 v[30:31], v2 offset:1016
	v_cmp_lt_u32_e32 vcc, 55, v0
	s_waitcnt vmcnt(3) lgkmcnt(3)
	v_pk_mul_f32 v[32:33], v[16:17], v[4:5] op_sel:[1,1] op_sel_hi:[0,1]
	v_pk_fma_f32 v[34:35], v[16:17], v[4:5], v[32:33] neg_lo:[0,0,1] neg_hi:[0,0,1]
	v_pk_fma_f32 v[4:5], v[16:17], v[4:5], v[32:33] op_sel_hi:[1,0,1]
	v_mov_b32_e32 v16, v7
	v_pk_mul_f32 v[16:17], v[18:19], v[16:17] op_sel:[1,0] op_sel_hi:[0,0]
	v_pk_fma_f32 v[32:33], v[18:19], v[6:7], v[16:17] neg_lo:[0,0,1] neg_hi:[0,0,1]
	v_pk_fma_f32 v[6:7], v[18:19], v[6:7], v[16:17] op_sel_hi:[1,0,1]
	v_mov_b32_e32 v35, v5
	v_mov_b32_e32 v33, v7
	s_waitcnt vmcnt(2) lgkmcnt(2)
	v_pk_mul_f32 v[6:7], v[20:21], v[8:9] op_sel:[1,1] op_sel_hi:[0,1]
	v_pk_fma_f32 v[16:17], v[20:21], v[8:9], v[6:7] neg_lo:[0,0,1] neg_hi:[0,0,1]
	v_pk_fma_f32 v[6:7], v[20:21], v[8:9], v[6:7] op_sel_hi:[1,0,1]
	v_pk_add_f32 v[4:5], v[34:35], 0 op_sel_hi:[1,0]
	v_mov_b32_e32 v6, v11
	v_mov_b32_e32 v17, v7
	v_pk_mul_f32 v[6:7], v[22:23], v[6:7] op_sel:[1,0] op_sel_hi:[0,0]
	v_pk_add_f32 v[4:5], v[4:5], v[32:33]
	v_pk_fma_f32 v[8:9], v[22:23], v[10:11], v[6:7] neg_lo:[0,0,1] neg_hi:[0,0,1]
	v_pk_fma_f32 v[6:7], v[22:23], v[10:11], v[6:7] op_sel_hi:[1,0,1]
	v_pk_add_f32 v[4:5], v[4:5], v[16:17]
	v_mov_b32_e32 v9, v7
	s_waitcnt vmcnt(1) lgkmcnt(1)
	v_pk_mul_f32 v[6:7], v[24:25], v[12:13] op_sel:[1,1] op_sel_hi:[0,1]
	v_pk_add_f32 v[4:5], v[4:5], v[8:9]
	v_pk_fma_f32 v[8:9], v[24:25], v[12:13], v[6:7] neg_lo:[0,0,1] neg_hi:[0,0,1]
	v_pk_fma_f32 v[6:7], v[24:25], v[12:13], v[6:7] op_sel_hi:[1,0,1]
	s_nop 0
	v_mov_b32_e32 v6, v15
	v_mov_b32_e32 v9, v7
	v_pk_mul_f32 v[6:7], v[26:27], v[6:7] op_sel:[1,0] op_sel_hi:[0,0]
	v_pk_add_f32 v[4:5], v[4:5], v[8:9]
	v_pk_fma_f32 v[8:9], v[26:27], v[14:15], v[6:7] neg_lo:[0,0,1] neg_hi:[0,0,1]
	v_pk_fma_f32 v[6:7], v[26:27], v[14:15], v[6:7] op_sel_hi:[1,0,1]
	s_nop 0
	v_mov_b32_e32 v9, v7
	s_waitcnt vmcnt(0) lgkmcnt(0)
	v_pk_mul_f32 v[6:7], v[30:31], v[28:29] op_sel:[1,1] op_sel_hi:[0,1]
	v_pk_add_f32 v[4:5], v[4:5], v[8:9]
	v_pk_fma_f32 v[8:9], v[30:31], v[28:29], v[6:7] neg_lo:[0,0,1] neg_hi:[0,0,1]
	v_pk_fma_f32 v[6:7], v[30:31], v[28:29], v[6:7] op_sel_hi:[1,0,1]
	s_nop 0
	v_mov_b32_e32 v9, v7
	scratch_load_dwordx2 v[6:7], off, off offset:448
	v_pk_add_f32 v[4:5], v[4:5], v[8:9]
	s_waitcnt vmcnt(0)
	v_pk_add_f32 v[4:5], v[6:7], v[4:5] neg_lo:[0,1] neg_hi:[0,1]
	scratch_store_dwordx2 off, v[4:5], off offset:448
	s_and_saveexec_b64 s[0:1], vcc
	s_cbranch_execz .LBB127_287
; %bb.286:
	scratch_load_dwordx2 v[4:5], off, off offset:440
	v_mov_b32_e32 v3, v2
	scratch_store_dwordx2 off, v[2:3], off offset:440
	s_waitcnt vmcnt(1)
	ds_write_b64 v1, v[4:5]
.LBB127_287:
	s_or_b64 exec, exec, s[0:1]
	s_waitcnt lgkmcnt(0)
	; wave barrier
	scratch_load_dwordx4 v[4:7], off, off offset:448
	scratch_load_dwordx4 v[8:11], off, off offset:464
	;; [unrolled: 1-line block ×4, first 2 shown]
	ds_read_b128 v[20:23], v2 offset:960
	ds_read_b128 v[24:27], v2 offset:976
	;; [unrolled: 1-line block ×4, first 2 shown]
	v_cmp_lt_u32_e32 vcc, 54, v0
	s_waitcnt vmcnt(3) lgkmcnt(3)
	v_pk_mul_f32 v[2:3], v[20:21], v[4:5] op_sel:[1,1] op_sel_hi:[0,1]
	v_pk_fma_f32 v[36:37], v[20:21], v[4:5], v[2:3] neg_lo:[0,0,1] neg_hi:[0,0,1]
	v_pk_fma_f32 v[2:3], v[20:21], v[4:5], v[2:3] op_sel_hi:[1,0,1]
	v_mov_b32_e32 v4, v7
	v_pk_mul_f32 v[4:5], v[22:23], v[4:5] op_sel:[1,0] op_sel_hi:[0,0]
	v_pk_fma_f32 v[20:21], v[22:23], v[6:7], v[4:5] neg_lo:[0,0,1] neg_hi:[0,0,1]
	v_pk_fma_f32 v[4:5], v[22:23], v[6:7], v[4:5] op_sel_hi:[1,0,1]
	v_mov_b32_e32 v37, v3
	v_mov_b32_e32 v21, v5
	s_waitcnt vmcnt(2) lgkmcnt(2)
	v_pk_mul_f32 v[4:5], v[24:25], v[8:9] op_sel:[1,1] op_sel_hi:[0,1]
	v_pk_fma_f32 v[6:7], v[24:25], v[8:9], v[4:5] neg_lo:[0,0,1] neg_hi:[0,0,1]
	v_pk_fma_f32 v[4:5], v[24:25], v[8:9], v[4:5] op_sel_hi:[1,0,1]
	v_pk_add_f32 v[2:3], v[36:37], 0 op_sel_hi:[1,0]
	v_mov_b32_e32 v4, v11
	v_pk_add_f32 v[2:3], v[2:3], v[20:21]
	v_mov_b32_e32 v7, v5
	v_pk_mul_f32 v[4:5], v[26:27], v[4:5] op_sel:[1,0] op_sel_hi:[0,0]
	v_pk_add_f32 v[2:3], v[2:3], v[6:7]
	v_pk_fma_f32 v[6:7], v[26:27], v[10:11], v[4:5] neg_lo:[0,0,1] neg_hi:[0,0,1]
	v_pk_fma_f32 v[4:5], v[26:27], v[10:11], v[4:5] op_sel_hi:[1,0,1]
	s_nop 0
	v_mov_b32_e32 v7, v5
	s_waitcnt vmcnt(1) lgkmcnt(1)
	v_pk_mul_f32 v[4:5], v[28:29], v[12:13] op_sel:[1,1] op_sel_hi:[0,1]
	v_pk_add_f32 v[2:3], v[2:3], v[6:7]
	v_pk_fma_f32 v[6:7], v[28:29], v[12:13], v[4:5] neg_lo:[0,0,1] neg_hi:[0,0,1]
	v_pk_fma_f32 v[4:5], v[28:29], v[12:13], v[4:5] op_sel_hi:[1,0,1]
	s_nop 0
	v_mov_b32_e32 v4, v15
	v_mov_b32_e32 v7, v5
	v_pk_mul_f32 v[4:5], v[30:31], v[4:5] op_sel:[1,0] op_sel_hi:[0,0]
	v_pk_add_f32 v[2:3], v[2:3], v[6:7]
	v_pk_fma_f32 v[6:7], v[30:31], v[14:15], v[4:5] neg_lo:[0,0,1] neg_hi:[0,0,1]
	v_pk_fma_f32 v[4:5], v[30:31], v[14:15], v[4:5] op_sel_hi:[1,0,1]
	s_nop 0
	v_mov_b32_e32 v7, v5
	s_waitcnt vmcnt(0) lgkmcnt(0)
	v_pk_mul_f32 v[4:5], v[32:33], v[16:17] op_sel:[1,1] op_sel_hi:[0,1]
	v_pk_add_f32 v[2:3], v[2:3], v[6:7]
	v_pk_fma_f32 v[6:7], v[32:33], v[16:17], v[4:5] neg_lo:[0,0,1] neg_hi:[0,0,1]
	v_pk_fma_f32 v[4:5], v[32:33], v[16:17], v[4:5] op_sel_hi:[1,0,1]
	s_nop 0
	v_mov_b32_e32 v4, v19
	v_mov_b32_e32 v7, v5
	v_pk_mul_f32 v[4:5], v[34:35], v[4:5] op_sel:[1,0] op_sel_hi:[0,0]
	v_pk_add_f32 v[2:3], v[2:3], v[6:7]
	v_pk_fma_f32 v[6:7], v[34:35], v[18:19], v[4:5] neg_lo:[0,0,1] neg_hi:[0,0,1]
	v_pk_fma_f32 v[4:5], v[34:35], v[18:19], v[4:5] op_sel_hi:[1,0,1]
	s_nop 0
	v_mov_b32_e32 v7, v5
	scratch_load_dwordx2 v[4:5], off, off offset:440
	v_pk_add_f32 v[2:3], v[2:3], v[6:7]
	s_waitcnt vmcnt(0)
	v_pk_add_f32 v[2:3], v[4:5], v[2:3] neg_lo:[0,1] neg_hi:[0,1]
	scratch_store_dwordx2 off, v[2:3], off offset:440
	s_and_saveexec_b64 s[0:1], vcc
	s_cbranch_execz .LBB127_289
; %bb.288:
	scratch_load_dwordx2 v[2:3], off, off offset:432
	v_mov_b32_e32 v4, 0
	v_mov_b32_e32 v5, v4
	scratch_store_dwordx2 off, v[4:5], off offset:432
	s_waitcnt vmcnt(1)
	ds_write_b64 v1, v[2:3]
.LBB127_289:
	s_or_b64 exec, exec, s[0:1]
	s_waitcnt lgkmcnt(0)
	; wave barrier
	scratch_load_dwordx4 v[4:7], off, off offset:440
	scratch_load_dwordx4 v[8:11], off, off offset:456
	;; [unrolled: 1-line block ×4, first 2 shown]
	scratch_load_dwordx2 v[36:37], off, off offset:504
	scratch_load_dwordx2 v[38:39], off, off offset:432
	v_mov_b32_e32 v2, 0
	ds_read2_b64 v[20:23], v2 offset0:119 offset1:120
	ds_read2_b64 v[24:27], v2 offset0:121 offset1:122
	;; [unrolled: 1-line block ×4, first 2 shown]
	ds_read_b64 v[40:41], v2 offset:1016
	v_cmp_lt_u32_e32 vcc, 53, v0
	s_waitcnt vmcnt(5) lgkmcnt(4)
	v_mul_f32_e32 v43, v20, v5
	v_mul_f32_e32 v3, v21, v5
	v_mov_b32_e32 v44, v7
	s_waitcnt vmcnt(4) lgkmcnt(3)
	v_pk_mul_f32 v[46:47], v[24:25], v[8:9] op_sel:[1,1] op_sel_hi:[0,1]
	v_mov_b32_e32 v48, v11
	s_waitcnt vmcnt(1) lgkmcnt(0)
	v_pk_mul_f32 v[58:59], v[40:41], v[36:37] op_sel:[1,1] op_sel_hi:[0,1]
	v_fmac_f32_e32 v43, v21, v4
	v_fma_f32 v42, v20, v4, -v3
	v_pk_mul_f32 v[4:5], v[22:23], v[44:45] op_sel:[1,0] op_sel_hi:[0,0]
	v_pk_fma_f32 v[20:21], v[24:25], v[8:9], v[46:47] neg_lo:[0,0,1] neg_hi:[0,0,1]
	v_pk_fma_f32 v[8:9], v[24:25], v[8:9], v[46:47] op_sel_hi:[1,0,1]
	v_pk_mul_f32 v[24:25], v[26:27], v[48:49] op_sel:[1,0] op_sel_hi:[0,0]
	v_pk_fma_f32 v[48:49], v[40:41], v[36:37], v[58:59] neg_lo:[0,0,1] neg_hi:[0,0,1]
	v_pk_fma_f32 v[36:37], v[40:41], v[36:37], v[58:59] op_sel_hi:[1,0,1]
	v_pk_add_f32 v[40:41], v[42:43], 0 op_sel_hi:[1,0]
	v_pk_fma_f32 v[42:43], v[22:23], v[6:7], v[4:5] neg_lo:[0,0,1] neg_hi:[0,0,1]
	v_pk_fma_f32 v[4:5], v[22:23], v[6:7], v[4:5] op_sel_hi:[1,0,1]
	v_pk_mul_f32 v[50:51], v[28:29], v[12:13] op_sel:[1,1] op_sel_hi:[0,1]
	v_mov_b32_e32 v43, v5
	v_mov_b32_e32 v52, v15
	v_mov_b32_e32 v21, v9
	v_pk_fma_f32 v[6:7], v[26:27], v[10:11], v[24:25] neg_lo:[0,0,1] neg_hi:[0,0,1]
	v_pk_fma_f32 v[8:9], v[26:27], v[10:11], v[24:25] op_sel_hi:[1,0,1]
	v_pk_add_f32 v[4:5], v[40:41], v[42:43]
	v_pk_fma_f32 v[44:45], v[28:29], v[12:13], v[50:51] neg_lo:[0,0,1] neg_hi:[0,0,1]
	v_pk_fma_f32 v[12:13], v[28:29], v[12:13], v[50:51] op_sel_hi:[1,0,1]
	v_pk_mul_f32 v[28:29], v[30:31], v[52:53] op_sel:[1,0] op_sel_hi:[0,0]
	v_mov_b32_e32 v7, v9
	v_pk_add_f32 v[4:5], v[4:5], v[20:21]
	v_pk_mul_f32 v[54:55], v[32:33], v[16:17] op_sel:[1,1] op_sel_hi:[0,1]
	v_mov_b32_e32 v56, v19
	v_mov_b32_e32 v45, v13
	v_pk_fma_f32 v[10:11], v[30:31], v[14:15], v[28:29] neg_lo:[0,0,1] neg_hi:[0,0,1]
	v_pk_fma_f32 v[12:13], v[30:31], v[14:15], v[28:29] op_sel_hi:[1,0,1]
	v_pk_add_f32 v[4:5], v[4:5], v[6:7]
	v_pk_fma_f32 v[46:47], v[32:33], v[16:17], v[54:55] neg_lo:[0,0,1] neg_hi:[0,0,1]
	v_pk_fma_f32 v[16:17], v[32:33], v[16:17], v[54:55] op_sel_hi:[1,0,1]
	v_pk_mul_f32 v[32:33], v[34:35], v[56:57] op_sel:[1,0] op_sel_hi:[0,0]
	v_mov_b32_e32 v11, v13
	v_pk_add_f32 v[4:5], v[4:5], v[44:45]
	v_mov_b32_e32 v47, v17
	v_pk_fma_f32 v[14:15], v[34:35], v[18:19], v[32:33] neg_lo:[0,0,1] neg_hi:[0,0,1]
	v_pk_fma_f32 v[16:17], v[34:35], v[18:19], v[32:33] op_sel_hi:[1,0,1]
	v_pk_add_f32 v[4:5], v[4:5], v[10:11]
	v_mov_b32_e32 v15, v17
	v_pk_add_f32 v[4:5], v[4:5], v[46:47]
	v_mov_b32_e32 v49, v37
	v_pk_add_f32 v[4:5], v[4:5], v[14:15]
	s_nop 0
	v_pk_add_f32 v[4:5], v[4:5], v[48:49]
	s_waitcnt vmcnt(0)
	v_pk_add_f32 v[4:5], v[38:39], v[4:5] neg_lo:[0,1] neg_hi:[0,1]
	scratch_store_dwordx2 off, v[4:5], off offset:432
	s_and_saveexec_b64 s[0:1], vcc
	s_cbranch_execz .LBB127_291
; %bb.290:
	scratch_load_dwordx2 v[4:5], off, off offset:424
	v_mov_b32_e32 v3, v2
	scratch_store_dwordx2 off, v[2:3], off offset:424
	s_waitcnt vmcnt(1)
	ds_write_b64 v1, v[4:5]
.LBB127_291:
	s_or_b64 exec, exec, s[0:1]
	s_waitcnt lgkmcnt(0)
	; wave barrier
	scratch_load_dwordx4 v[4:7], off, off offset:432
	scratch_load_dwordx4 v[8:11], off, off offset:448
	;; [unrolled: 1-line block ×5, first 2 shown]
	scratch_load_dwordx2 v[44:45], off, off offset:424
	ds_read_b128 v[24:27], v2 offset:944
	ds_read_b128 v[28:31], v2 offset:960
	;; [unrolled: 1-line block ×5, first 2 shown]
	v_cmp_lt_u32_e32 vcc, 52, v0
	s_waitcnt vmcnt(5) lgkmcnt(4)
	v_mul_f32_e32 v3, v24, v5
	v_mul_f32_e32 v2, v25, v5
	;; [unrolled: 1-line block ×4, first 2 shown]
	s_waitcnt vmcnt(4) lgkmcnt(3)
	v_pk_mul_f32 v[48:49], v[28:29], v[8:9] op_sel:[1,1] op_sel_hi:[0,1]
	v_mov_b32_e32 v50, v11
	v_fmac_f32_e32 v3, v25, v4
	v_fma_f32 v2, v24, v4, -v2
	v_fmac_f32_e32 v47, v27, v6
	v_fma_f32 v46, v26, v6, -v5
	v_pk_fma_f32 v[4:5], v[28:29], v[8:9], v[48:49] neg_lo:[0,0,1] neg_hi:[0,0,1]
	v_pk_fma_f32 v[6:7], v[28:29], v[8:9], v[48:49] op_sel_hi:[1,0,1]
	v_pk_mul_f32 v[8:9], v[30:31], v[50:51] op_sel:[1,0] op_sel_hi:[0,0]
	v_pk_add_f32 v[2:3], v[2:3], 0 op_sel_hi:[1,0]
	s_waitcnt vmcnt(3) lgkmcnt(2)
	v_pk_mul_f32 v[52:53], v[32:33], v[12:13] op_sel:[1,1] op_sel_hi:[0,1]
	v_mov_b32_e32 v54, v15
	v_mov_b32_e32 v5, v7
	v_pk_fma_f32 v[6:7], v[30:31], v[10:11], v[8:9] neg_lo:[0,0,1] neg_hi:[0,0,1]
	v_pk_fma_f32 v[8:9], v[30:31], v[10:11], v[8:9] op_sel_hi:[1,0,1]
	v_pk_add_f32 v[2:3], v[2:3], v[46:47]
	v_pk_fma_f32 v[24:25], v[32:33], v[12:13], v[52:53] neg_lo:[0,0,1] neg_hi:[0,0,1]
	v_pk_fma_f32 v[12:13], v[32:33], v[12:13], v[52:53] op_sel_hi:[1,0,1]
	v_pk_mul_f32 v[26:27], v[34:35], v[54:55] op_sel:[1,0] op_sel_hi:[0,0]
	v_mov_b32_e32 v7, v9
	v_pk_add_f32 v[2:3], v[2:3], v[4:5]
	s_waitcnt vmcnt(2) lgkmcnt(1)
	v_pk_mul_f32 v[56:57], v[36:37], v[16:17] op_sel:[1,1] op_sel_hi:[0,1]
	v_mov_b32_e32 v58, v19
	v_mov_b32_e32 v25, v13
	v_pk_fma_f32 v[10:11], v[34:35], v[14:15], v[26:27] neg_lo:[0,0,1] neg_hi:[0,0,1]
	v_pk_fma_f32 v[12:13], v[34:35], v[14:15], v[26:27] op_sel_hi:[1,0,1]
	v_pk_add_f32 v[2:3], v[2:3], v[6:7]
	v_pk_fma_f32 v[28:29], v[36:37], v[16:17], v[56:57] neg_lo:[0,0,1] neg_hi:[0,0,1]
	v_pk_fma_f32 v[16:17], v[36:37], v[16:17], v[56:57] op_sel_hi:[1,0,1]
	v_pk_mul_f32 v[32:33], v[38:39], v[58:59] op_sel:[1,0] op_sel_hi:[0,0]
	v_mov_b32_e32 v11, v13
	v_pk_add_f32 v[2:3], v[2:3], v[24:25]
	;; [unrolled: 12-line block ×3, first 2 shown]
	v_mov_b32_e32 v37, v21
	v_pk_fma_f32 v[18:19], v[42:43], v[22:23], v[40:41] neg_lo:[0,0,1] neg_hi:[0,0,1]
	v_pk_fma_f32 v[20:21], v[42:43], v[22:23], v[40:41] op_sel_hi:[1,0,1]
	v_pk_add_f32 v[2:3], v[2:3], v[14:15]
	v_mov_b32_e32 v19, v21
	v_pk_add_f32 v[2:3], v[2:3], v[36:37]
	s_nop 0
	v_pk_add_f32 v[2:3], v[2:3], v[18:19]
	s_waitcnt vmcnt(0)
	v_pk_add_f32 v[2:3], v[44:45], v[2:3] neg_lo:[0,1] neg_hi:[0,1]
	scratch_store_dwordx2 off, v[2:3], off offset:424
	s_and_saveexec_b64 s[0:1], vcc
	s_cbranch_execz .LBB127_293
; %bb.292:
	scratch_load_dwordx2 v[2:3], off, off offset:416
	v_mov_b32_e32 v4, 0
	v_mov_b32_e32 v5, v4
	scratch_store_dwordx2 off, v[4:5], off offset:416
	s_waitcnt vmcnt(1)
	ds_write_b64 v1, v[2:3]
.LBB127_293:
	s_or_b64 exec, exec, s[0:1]
	s_waitcnt lgkmcnt(0)
	; wave barrier
	scratch_load_dwordx4 v[4:7], off, off offset:424
	scratch_load_dwordx4 v[8:11], off, off offset:440
	scratch_load_dwordx4 v[12:15], off, off offset:456
	scratch_load_dwordx4 v[16:19], off, off offset:472
	scratch_load_dwordx4 v[20:23], off, off offset:488
	scratch_load_dwordx2 v[44:45], off, off offset:504
	scratch_load_dwordx2 v[46:47], off, off offset:416
	v_mov_b32_e32 v2, 0
	ds_read2_b64 v[24:27], v2 offset0:117 offset1:118
	ds_read2_b64 v[28:31], v2 offset0:119 offset1:120
	ds_read2_b64 v[32:35], v2 offset0:121 offset1:122
	ds_read2_b64 v[36:39], v2 offset0:123 offset1:124
	ds_read2_b64 v[40:43], v2 offset0:125 offset1:126
	ds_read_b64 v[48:49], v2 offset:1016
	v_cmp_lt_u32_e32 vcc, 51, v0
	s_waitcnt vmcnt(6) lgkmcnt(5)
	v_mul_f32_e32 v3, v24, v5
	v_mul_f32_e32 v5, v25, v5
	;; [unrolled: 1-line block ×3, first 2 shown]
	s_waitcnt vmcnt(5) lgkmcnt(4)
	v_mul_f32_e32 v53, v28, v9
	v_mul_f32_e32 v7, v27, v7
	;; [unrolled: 1-line block ×3, first 2 shown]
	v_mov_b32_e32 v54, v11
	s_waitcnt vmcnt(3) lgkmcnt(2)
	v_pk_mul_f32 v[60:61], v[36:37], v[16:17] op_sel:[1,1] op_sel_hi:[0,1]
	s_waitcnt vmcnt(2) lgkmcnt(1)
	v_pk_mul_f32 v[64:65], v[40:41], v[20:21] op_sel:[1,1] op_sel_hi:[0,1]
	;; [unrolled: 2-line block ×3, first 2 shown]
	v_fmac_f32_e32 v3, v25, v4
	v_fma_f32 v55, v24, v4, -v5
	v_fmac_f32_e32 v51, v27, v6
	v_fmac_f32_e32 v53, v29, v8
	v_fma_f32 v50, v26, v6, -v7
	v_fma_f32 v52, v28, v8, -v9
	v_pk_mul_f32 v[4:5], v[30:31], v[54:55] op_sel:[1,0] op_sel_hi:[0,0]
	v_pk_fma_f32 v[24:25], v[36:37], v[16:17], v[60:61] neg_lo:[0,0,1] neg_hi:[0,0,1]
	v_pk_fma_f32 v[16:17], v[36:37], v[16:17], v[60:61] op_sel_hi:[1,0,1]
	v_pk_fma_f32 v[28:29], v[40:41], v[20:21], v[64:65] neg_lo:[0,0,1] neg_hi:[0,0,1]
	v_pk_fma_f32 v[20:21], v[40:41], v[20:21], v[64:65] op_sel_hi:[1,0,1]
	;; [unrolled: 2-line block ×3, first 2 shown]
	v_add_f32_e32 v45, 0, v3
	v_add_f32_e32 v44, 0, v55
	v_pk_mul_f32 v[56:57], v[32:33], v[12:13] op_sel:[1,1] op_sel_hi:[0,1]
	v_mov_b32_e32 v58, v15
	v_pk_fma_f32 v[48:49], v[30:31], v[10:11], v[4:5] neg_lo:[0,0,1] neg_hi:[0,0,1]
	v_pk_fma_f32 v[4:5], v[30:31], v[10:11], v[4:5] op_sel_hi:[1,0,1]
	v_mov_b32_e32 v29, v21
	v_pk_add_f32 v[20:21], v[44:45], v[50:51]
	v_pk_fma_f32 v[6:7], v[32:33], v[12:13], v[56:57] neg_lo:[0,0,1] neg_hi:[0,0,1]
	v_pk_fma_f32 v[8:9], v[32:33], v[12:13], v[56:57] op_sel_hi:[1,0,1]
	v_pk_mul_f32 v[12:13], v[34:35], v[58:59] op_sel:[1,0] op_sel_hi:[0,0]
	v_mov_b32_e32 v49, v5
	v_pk_add_f32 v[4:5], v[20:21], v[52:53]
	v_mov_b32_e32 v62, v19
	v_mov_b32_e32 v7, v9
	v_pk_fma_f32 v[8:9], v[34:35], v[14:15], v[12:13] neg_lo:[0,0,1] neg_hi:[0,0,1]
	v_pk_fma_f32 v[10:11], v[34:35], v[14:15], v[12:13] op_sel_hi:[1,0,1]
	v_pk_add_f32 v[4:5], v[4:5], v[48:49]
	v_pk_mul_f32 v[26:27], v[38:39], v[62:63] op_sel:[1,0] op_sel_hi:[0,0]
	v_mov_b32_e32 v9, v11
	v_pk_add_f32 v[4:5], v[4:5], v[6:7]
	v_mov_b32_e32 v66, v23
	v_mov_b32_e32 v25, v17
	v_pk_fma_f32 v[12:13], v[38:39], v[18:19], v[26:27] neg_lo:[0,0,1] neg_hi:[0,0,1]
	v_pk_fma_f32 v[14:15], v[38:39], v[18:19], v[26:27] op_sel_hi:[1,0,1]
	v_pk_add_f32 v[4:5], v[4:5], v[8:9]
	v_pk_mul_f32 v[32:33], v[42:43], v[66:67] op_sel:[1,0] op_sel_hi:[0,0]
	v_mov_b32_e32 v13, v15
	v_pk_add_f32 v[4:5], v[4:5], v[24:25]
	v_pk_fma_f32 v[16:17], v[42:43], v[22:23], v[32:33] neg_lo:[0,0,1] neg_hi:[0,0,1]
	v_pk_fma_f32 v[18:19], v[42:43], v[22:23], v[32:33] op_sel_hi:[1,0,1]
	v_pk_add_f32 v[4:5], v[4:5], v[12:13]
	v_mov_b32_e32 v17, v19
	v_pk_add_f32 v[4:5], v[4:5], v[28:29]
	v_mov_b32_e32 v37, v41
	v_pk_add_f32 v[4:5], v[4:5], v[16:17]
	s_nop 0
	v_pk_add_f32 v[4:5], v[4:5], v[36:37]
	s_waitcnt vmcnt(0)
	v_pk_add_f32 v[4:5], v[46:47], v[4:5] neg_lo:[0,1] neg_hi:[0,1]
	scratch_store_dwordx2 off, v[4:5], off offset:416
	s_and_saveexec_b64 s[0:1], vcc
	s_cbranch_execz .LBB127_295
; %bb.294:
	scratch_load_dwordx2 v[4:5], off, off offset:408
	v_mov_b32_e32 v3, v2
	scratch_store_dwordx2 off, v[2:3], off offset:408
	s_waitcnt vmcnt(1)
	ds_write_b64 v1, v[4:5]
.LBB127_295:
	s_or_b64 exec, exec, s[0:1]
	s_waitcnt lgkmcnt(0)
	; wave barrier
	scratch_load_dwordx4 v[4:7], off, off offset:416
	scratch_load_dwordx4 v[8:11], off, off offset:432
	;; [unrolled: 1-line block ×6, first 2 shown]
	scratch_load_dwordx2 v[52:53], off, off offset:408
	ds_read_b128 v[28:31], v2 offset:928
	ds_read_b128 v[32:35], v2 offset:944
	;; [unrolled: 1-line block ×6, first 2 shown]
	v_cmp_lt_u32_e32 vcc, 50, v0
	s_waitcnt vmcnt(6) lgkmcnt(5)
	v_mul_f32_e32 v59, v28, v5
	v_mul_f32_e32 v63, v30, v7
	s_waitcnt vmcnt(5) lgkmcnt(4)
	v_mul_f32_e32 v3, v32, v9
	v_mul_f32_e32 v2, v29, v5
	;; [unrolled: 1-line block ×4, first 2 shown]
	s_waitcnt vmcnt(1) lgkmcnt(0)
	v_pk_mul_f32 v[68:69], v[48:49], v[24:25] op_sel:[1,1] op_sel_hi:[0,1]
	v_pk_mul_f32 v[56:57], v[36:37], v[12:13] op_sel:[1,1] op_sel_hi:[0,1]
	v_fmac_f32_e32 v59, v29, v4
	v_fmac_f32_e32 v3, v33, v8
	v_fma_f32 v67, v28, v4, -v2
	v_fma_f32 v2, v32, v8, -v7
	v_pk_fma_f32 v[32:33], v[48:49], v[24:25], v[68:69] neg_lo:[0,0,1] neg_hi:[0,0,1]
	v_pk_fma_f32 v[24:25], v[48:49], v[24:25], v[68:69] op_sel_hi:[1,0,1]
	v_fmac_f32_e32 v63, v31, v6
	v_fma_f32 v71, v30, v6, -v5
	v_pk_fma_f32 v[4:5], v[36:37], v[12:13], v[56:57] neg_lo:[0,0,1] neg_hi:[0,0,1]
	v_pk_fma_f32 v[6:7], v[36:37], v[12:13], v[56:57] op_sel_hi:[1,0,1]
	v_add_f32_e32 v24, 0, v59
	v_add_f32_e32 v36, 0, v67
	v_mul_f32_e32 v55, v34, v11
	v_mul_f32_e32 v9, v35, v11
	v_mov_b32_e32 v58, v15
	v_mov_b32_e32 v33, v25
	v_add_f32_e32 v25, v24, v63
	v_add_f32_e32 v24, v36, v71
	v_fmac_f32_e32 v55, v35, v10
	v_fma_f32 v54, v34, v10, -v9
	v_pk_mul_f32 v[8:9], v[38:39], v[58:59] op_sel:[1,0] op_sel_hi:[0,0]
	v_pk_add_f32 v[2:3], v[24:25], v[2:3]
	v_pk_mul_f32 v[60:61], v[40:41], v[16:17] op_sel:[1,1] op_sel_hi:[0,1]
	v_mov_b32_e32 v62, v19
	v_mov_b32_e32 v5, v7
	v_pk_fma_f32 v[6:7], v[38:39], v[14:15], v[8:9] neg_lo:[0,0,1] neg_hi:[0,0,1]
	v_pk_fma_f32 v[8:9], v[38:39], v[14:15], v[8:9] op_sel_hi:[1,0,1]
	v_pk_add_f32 v[2:3], v[2:3], v[54:55]
	v_pk_fma_f32 v[10:11], v[40:41], v[16:17], v[60:61] neg_lo:[0,0,1] neg_hi:[0,0,1]
	v_pk_fma_f32 v[12:13], v[40:41], v[16:17], v[60:61] op_sel_hi:[1,0,1]
	v_pk_mul_f32 v[16:17], v[42:43], v[62:63] op_sel:[1,0] op_sel_hi:[0,0]
	v_mov_b32_e32 v7, v9
	v_pk_add_f32 v[2:3], v[2:3], v[4:5]
	v_pk_mul_f32 v[64:65], v[44:45], v[20:21] op_sel:[1,1] op_sel_hi:[0,1]
	v_mov_b32_e32 v66, v23
	v_mov_b32_e32 v11, v13
	v_pk_fma_f32 v[12:13], v[42:43], v[18:19], v[16:17] neg_lo:[0,0,1] neg_hi:[0,0,1]
	v_pk_fma_f32 v[14:15], v[42:43], v[18:19], v[16:17] op_sel_hi:[1,0,1]
	v_pk_add_f32 v[2:3], v[2:3], v[6:7]
	v_pk_fma_f32 v[28:29], v[44:45], v[20:21], v[64:65] neg_lo:[0,0,1] neg_hi:[0,0,1]
	v_pk_fma_f32 v[20:21], v[44:45], v[20:21], v[64:65] op_sel_hi:[1,0,1]
	v_pk_mul_f32 v[30:31], v[46:47], v[66:67] op_sel:[1,0] op_sel_hi:[0,0]
	v_mov_b32_e32 v13, v15
	v_pk_add_f32 v[2:3], v[2:3], v[10:11]
	v_mov_b32_e32 v70, v27
	v_mov_b32_e32 v29, v21
	v_pk_fma_f32 v[16:17], v[46:47], v[22:23], v[30:31] neg_lo:[0,0,1] neg_hi:[0,0,1]
	v_pk_fma_f32 v[18:19], v[46:47], v[22:23], v[30:31] op_sel_hi:[1,0,1]
	v_pk_add_f32 v[2:3], v[2:3], v[12:13]
	v_pk_mul_f32 v[34:35], v[50:51], v[70:71] op_sel:[1,0] op_sel_hi:[0,0]
	v_mov_b32_e32 v17, v19
	v_pk_add_f32 v[2:3], v[2:3], v[28:29]
	v_pk_fma_f32 v[20:21], v[50:51], v[26:27], v[34:35] neg_lo:[0,0,1] neg_hi:[0,0,1]
	v_pk_fma_f32 v[22:23], v[50:51], v[26:27], v[34:35] op_sel_hi:[1,0,1]
	v_pk_add_f32 v[2:3], v[2:3], v[16:17]
	v_mov_b32_e32 v21, v23
	v_pk_add_f32 v[2:3], v[2:3], v[32:33]
	s_nop 0
	v_pk_add_f32 v[2:3], v[2:3], v[20:21]
	s_waitcnt vmcnt(0)
	v_pk_add_f32 v[2:3], v[52:53], v[2:3] neg_lo:[0,1] neg_hi:[0,1]
	scratch_store_dwordx2 off, v[2:3], off offset:408
	s_and_saveexec_b64 s[0:1], vcc
	s_cbranch_execz .LBB127_297
; %bb.296:
	scratch_load_dwordx2 v[2:3], off, off offset:400
	v_mov_b32_e32 v4, 0
	v_mov_b32_e32 v5, v4
	scratch_store_dwordx2 off, v[4:5], off offset:400
	s_waitcnt vmcnt(1)
	ds_write_b64 v1, v[2:3]
.LBB127_297:
	s_or_b64 exec, exec, s[0:1]
	s_waitcnt lgkmcnt(0)
	; wave barrier
	scratch_load_dwordx4 v[4:7], off, off offset:408
	scratch_load_dwordx4 v[8:11], off, off offset:424
	;; [unrolled: 1-line block ×6, first 2 shown]
	scratch_load_dwordx2 v[52:53], off, off offset:504
	scratch_load_dwordx2 v[54:55], off, off offset:400
	v_mov_b32_e32 v2, 0
	ds_read2_b64 v[28:31], v2 offset0:115 offset1:116
	ds_read2_b64 v[32:35], v2 offset0:117 offset1:118
	;; [unrolled: 1-line block ×6, first 2 shown]
	ds_read_b64 v[56:57], v2 offset:1016
	v_cmp_lt_u32_e32 vcc, 49, v0
	s_waitcnt vmcnt(7) lgkmcnt(6)
	v_mul_f32_e32 v63, v30, v7
	v_mul_f32_e32 v3, v28, v5
	s_waitcnt vmcnt(5) lgkmcnt(4)
	v_mul_f32_e32 v61, v36, v13
	v_mul_f32_e32 v5, v29, v5
	v_mov_b32_e32 v62, v15
	s_waitcnt vmcnt(2) lgkmcnt(1)
	v_pk_mul_f32 v[72:73], v[48:49], v[24:25] op_sel:[1,1] op_sel_hi:[0,1]
	v_fmac_f32_e32 v63, v31, v6
	v_mul_f32_e32 v7, v31, v7
	v_mul_f32_e32 v13, v37, v13
	v_fmac_f32_e32 v3, v29, v4
	v_fmac_f32_e32 v61, v37, v12
	v_fma_f32 v37, v28, v4, -v5
	v_pk_mul_f32 v[4:5], v[38:39], v[62:63] op_sel:[1,0] op_sel_hi:[0,0]
	v_pk_fma_f32 v[28:29], v[48:49], v[24:25], v[72:73] neg_lo:[0,0,1] neg_hi:[0,0,1]
	v_pk_fma_f32 v[24:25], v[48:49], v[24:25], v[72:73] op_sel_hi:[1,0,1]
	v_mul_f32_e32 v67, v32, v9
	v_mul_f32_e32 v9, v33, v9
	v_fma_f32 v71, v30, v6, -v7
	v_fma_f32 v60, v36, v12, -v13
	v_add_f32_e32 v3, 0, v3
	v_add_f32_e32 v24, 0, v37
	v_pk_fma_f32 v[36:37], v[38:39], v[14:15], v[4:5] neg_lo:[0,0,1] neg_hi:[0,0,1]
	v_pk_fma_f32 v[4:5], v[38:39], v[14:15], v[4:5] op_sel_hi:[1,0,1]
	v_mul_f32_e32 v59, v34, v11
	v_mul_f32_e32 v11, v35, v11
	v_fmac_f32_e32 v67, v33, v8
	v_fma_f32 v75, v32, v8, -v9
	v_add_f32_e32 v3, v3, v63
	v_add_f32_e32 v4, v24, v71
	v_fmac_f32_e32 v59, v35, v10
	v_fma_f32 v58, v34, v10, -v11
	v_mov_b32_e32 v37, v5
	v_add_f32_e32 v5, v3, v67
	v_add_f32_e32 v4, v4, v75
	v_pk_mul_f32 v[64:65], v[40:41], v[16:17] op_sel:[1,1] op_sel_hi:[0,1]
	v_mov_b32_e32 v66, v19
	v_pk_add_f32 v[4:5], v[4:5], v[58:59]
	v_pk_fma_f32 v[6:7], v[40:41], v[16:17], v[64:65] neg_lo:[0,0,1] neg_hi:[0,0,1]
	v_pk_fma_f32 v[8:9], v[40:41], v[16:17], v[64:65] op_sel_hi:[1,0,1]
	v_pk_mul_f32 v[10:11], v[42:43], v[66:67] op_sel:[1,0] op_sel_hi:[0,0]
	v_pk_add_f32 v[4:5], v[4:5], v[60:61]
	v_pk_mul_f32 v[68:69], v[44:45], v[20:21] op_sel:[1,1] op_sel_hi:[0,1]
	v_mov_b32_e32 v70, v23
	v_mov_b32_e32 v7, v9
	v_pk_fma_f32 v[8:9], v[42:43], v[18:19], v[10:11] neg_lo:[0,0,1] neg_hi:[0,0,1]
	v_pk_fma_f32 v[10:11], v[42:43], v[18:19], v[10:11] op_sel_hi:[1,0,1]
	v_pk_add_f32 v[4:5], v[4:5], v[36:37]
	v_pk_fma_f32 v[12:13], v[44:45], v[20:21], v[68:69] neg_lo:[0,0,1] neg_hi:[0,0,1]
	v_pk_fma_f32 v[16:17], v[44:45], v[20:21], v[68:69] op_sel_hi:[1,0,1]
	v_pk_mul_f32 v[20:21], v[46:47], v[70:71] op_sel:[1,0] op_sel_hi:[0,0]
	v_mov_b32_e32 v9, v11
	v_pk_add_f32 v[4:5], v[4:5], v[6:7]
	v_mov_b32_e32 v74, v27
	v_mov_b32_e32 v13, v17
	v_pk_fma_f32 v[14:15], v[46:47], v[22:23], v[20:21] neg_lo:[0,0,1] neg_hi:[0,0,1]
	v_pk_fma_f32 v[16:17], v[46:47], v[22:23], v[20:21] op_sel_hi:[1,0,1]
	v_pk_add_f32 v[4:5], v[4:5], v[8:9]
	v_pk_mul_f32 v[30:31], v[50:51], v[74:75] op_sel:[1,0] op_sel_hi:[0,0]
	v_mov_b32_e32 v15, v17
	v_pk_add_f32 v[4:5], v[4:5], v[12:13]
	s_waitcnt vmcnt(1) lgkmcnt(0)
	v_pk_mul_f32 v[76:77], v[56:57], v[52:53] op_sel:[1,1] op_sel_hi:[0,1]
	v_mov_b32_e32 v29, v25
	v_pk_fma_f32 v[18:19], v[50:51], v[26:27], v[30:31] neg_lo:[0,0,1] neg_hi:[0,0,1]
	v_pk_fma_f32 v[20:21], v[50:51], v[26:27], v[30:31] op_sel_hi:[1,0,1]
	v_pk_add_f32 v[4:5], v[4:5], v[14:15]
	v_pk_fma_f32 v[32:33], v[56:57], v[52:53], v[76:77] neg_lo:[0,0,1] neg_hi:[0,0,1]
	v_pk_fma_f32 v[34:35], v[56:57], v[52:53], v[76:77] op_sel_hi:[1,0,1]
	v_mov_b32_e32 v19, v21
	v_pk_add_f32 v[4:5], v[4:5], v[28:29]
	v_mov_b32_e32 v33, v35
	v_pk_add_f32 v[4:5], v[4:5], v[18:19]
	s_nop 0
	v_pk_add_f32 v[4:5], v[4:5], v[32:33]
	s_waitcnt vmcnt(0)
	v_pk_add_f32 v[4:5], v[54:55], v[4:5] neg_lo:[0,1] neg_hi:[0,1]
	scratch_store_dwordx2 off, v[4:5], off offset:400
	s_and_saveexec_b64 s[0:1], vcc
	s_cbranch_execz .LBB127_299
; %bb.298:
	scratch_load_dwordx2 v[4:5], off, off offset:392
	v_mov_b32_e32 v3, v2
	scratch_store_dwordx2 off, v[2:3], off offset:392
	s_waitcnt vmcnt(1)
	ds_write_b64 v1, v[4:5]
.LBB127_299:
	s_or_b64 exec, exec, s[0:1]
	s_waitcnt lgkmcnt(0)
	; wave barrier
	scratch_load_dwordx4 v[4:7], off, off offset:400
	scratch_load_dwordx4 v[8:11], off, off offset:416
	;; [unrolled: 1-line block ×7, first 2 shown]
	ds_read_b128 v[32:35], v2 offset:912
	ds_read_b128 v[36:39], v2 offset:928
	;; [unrolled: 1-line block ×6, first 2 shown]
	scratch_load_dwordx2 v[60:61], off, off offset:392
	ds_read_b128 v[56:59], v2 offset:1008
	v_cmp_lt_u32_e32 vcc, 48, v0
	s_waitcnt vmcnt(7) lgkmcnt(6)
	v_mul_f32_e32 v67, v32, v5
	v_mul_f32_e32 v71, v34, v7
	s_waitcnt vmcnt(6) lgkmcnt(5)
	v_mul_f32_e32 v75, v36, v9
	v_mul_f32_e32 v79, v38, v11
	;; [unrolled: 3-line block ×3, first 2 shown]
	v_mul_f32_e32 v2, v33, v5
	v_mul_f32_e32 v5, v35, v7
	v_mul_f32_e32 v7, v37, v9
	v_mul_f32_e32 v9, v39, v11
	v_mul_f32_e32 v11, v41, v13
	v_mul_f32_e32 v13, v43, v15
	s_waitcnt vmcnt(4) lgkmcnt(3)
	v_pk_mul_f32 v[64:65], v[44:45], v[16:17] op_sel:[1,1] op_sel_hi:[0,1]
	v_mov_b32_e32 v66, v19
	s_waitcnt vmcnt(3) lgkmcnt(2)
	v_pk_mul_f32 v[68:69], v[48:49], v[20:21] op_sel:[1,1] op_sel_hi:[0,1]
	v_mov_b32_e32 v70, v23
	s_waitcnt vmcnt(1) lgkmcnt(0)
	v_pk_mul_f32 v[76:77], v[56:57], v[28:29] op_sel:[1,1] op_sel_hi:[0,1]
	v_fmac_f32_e32 v67, v33, v4
	v_fmac_f32_e32 v71, v35, v6
	;; [unrolled: 1-line block ×6, first 2 shown]
	v_fma_f32 v37, v32, v4, -v2
	v_fma_f32 v39, v34, v6, -v5
	v_fma_f32 v36, v36, v8, -v7
	v_fma_f32 v38, v38, v10, -v9
	v_fma_f32 v2, v40, v12, -v11
	v_fma_f32 v62, v42, v14, -v13
	v_pk_fma_f32 v[4:5], v[44:45], v[16:17], v[64:65] neg_lo:[0,0,1] neg_hi:[0,0,1]
	v_pk_fma_f32 v[6:7], v[44:45], v[16:17], v[64:65] op_sel_hi:[1,0,1]
	v_pk_mul_f32 v[8:9], v[46:47], v[66:67] op_sel:[1,0] op_sel_hi:[0,0]
	v_pk_fma_f32 v[10:11], v[48:49], v[20:21], v[68:69] neg_lo:[0,0,1] neg_hi:[0,0,1]
	v_pk_fma_f32 v[12:13], v[48:49], v[20:21], v[68:69] op_sel_hi:[1,0,1]
	v_pk_mul_f32 v[14:15], v[50:51], v[70:71] op_sel:[1,0] op_sel_hi:[0,0]
	v_pk_fma_f32 v[32:33], v[56:57], v[28:29], v[76:77] neg_lo:[0,0,1] neg_hi:[0,0,1]
	v_pk_fma_f32 v[28:29], v[56:57], v[28:29], v[76:77] op_sel_hi:[1,0,1]
	v_add_f32_e32 v37, 0, v37
	v_add_f32_e32 v28, 0, v67
	v_mov_b32_e32 v5, v7
	v_pk_fma_f32 v[6:7], v[46:47], v[18:19], v[8:9] neg_lo:[0,0,1] neg_hi:[0,0,1]
	v_pk_fma_f32 v[8:9], v[46:47], v[18:19], v[8:9] op_sel_hi:[1,0,1]
	v_mov_b32_e32 v11, v13
	v_pk_fma_f32 v[12:13], v[50:51], v[22:23], v[14:15] neg_lo:[0,0,1] neg_hi:[0,0,1]
	v_pk_fma_f32 v[14:15], v[50:51], v[22:23], v[14:15] op_sel_hi:[1,0,1]
	v_add_f32_e32 v8, v28, v71
	v_add_f32_e32 v14, v37, v39
	;; [unrolled: 1-line block ×4, first 2 shown]
	v_mov_b32_e32 v7, v9
	v_add_f32_e32 v9, v8, v79
	v_add_f32_e32 v8, v14, v38
	v_pk_add_f32 v[2:3], v[8:9], v[2:3]
	v_pk_mul_f32 v[72:73], v[52:53], v[24:25] op_sel:[1,1] op_sel_hi:[0,1]
	v_pk_add_f32 v[2:3], v[2:3], v[62:63]
	v_mov_b32_e32 v74, v27
	v_pk_add_f32 v[2:3], v[2:3], v[4:5]
	v_pk_fma_f32 v[16:17], v[52:53], v[24:25], v[72:73] neg_lo:[0,0,1] neg_hi:[0,0,1]
	v_pk_add_f32 v[2:3], v[2:3], v[6:7]
	v_pk_fma_f32 v[20:21], v[52:53], v[24:25], v[72:73] op_sel_hi:[1,0,1]
	v_pk_mul_f32 v[24:25], v[54:55], v[74:75] op_sel:[1,0] op_sel_hi:[0,0]
	v_mov_b32_e32 v13, v15
	v_pk_add_f32 v[2:3], v[2:3], v[10:11]
	v_mov_b32_e32 v78, v31
	v_mov_b32_e32 v17, v21
	v_pk_fma_f32 v[18:19], v[54:55], v[26:27], v[24:25] neg_lo:[0,0,1] neg_hi:[0,0,1]
	v_pk_fma_f32 v[20:21], v[54:55], v[26:27], v[24:25] op_sel_hi:[1,0,1]
	v_pk_add_f32 v[2:3], v[2:3], v[12:13]
	v_pk_mul_f32 v[34:35], v[58:59], v[78:79] op_sel:[1,0] op_sel_hi:[0,0]
	v_mov_b32_e32 v19, v21
	v_pk_add_f32 v[2:3], v[2:3], v[16:17]
	v_mov_b32_e32 v33, v29
	v_pk_fma_f32 v[22:23], v[58:59], v[30:31], v[34:35] neg_lo:[0,0,1] neg_hi:[0,0,1]
	v_pk_fma_f32 v[24:25], v[58:59], v[30:31], v[34:35] op_sel_hi:[1,0,1]
	v_pk_add_f32 v[2:3], v[2:3], v[18:19]
	v_mov_b32_e32 v23, v25
	v_pk_add_f32 v[2:3], v[2:3], v[32:33]
	s_nop 0
	v_pk_add_f32 v[2:3], v[2:3], v[22:23]
	s_waitcnt vmcnt(0)
	v_pk_add_f32 v[2:3], v[60:61], v[2:3] neg_lo:[0,1] neg_hi:[0,1]
	scratch_store_dwordx2 off, v[2:3], off offset:392
	s_and_saveexec_b64 s[0:1], vcc
	s_cbranch_execz .LBB127_301
; %bb.300:
	scratch_load_dwordx2 v[2:3], off, off offset:384
	v_mov_b32_e32 v4, 0
	v_mov_b32_e32 v5, v4
	scratch_store_dwordx2 off, v[4:5], off offset:384
	s_waitcnt vmcnt(1)
	ds_write_b64 v1, v[2:3]
.LBB127_301:
	s_or_b64 exec, exec, s[0:1]
	s_waitcnt lgkmcnt(0)
	; wave barrier
	scratch_load_dwordx4 v[4:7], off, off offset:392
	scratch_load_dwordx4 v[8:11], off, off offset:408
	;; [unrolled: 1-line block ×7, first 2 shown]
	scratch_load_dwordx2 v[60:61], off, off offset:504
	scratch_load_dwordx2 v[62:63], off, off offset:384
	v_mov_b32_e32 v2, 0
	ds_read2_b64 v[32:35], v2 offset0:113 offset1:114
	ds_read2_b64 v[36:39], v2 offset0:115 offset1:116
	ds_read2_b64 v[40:43], v2 offset0:117 offset1:118
	ds_read2_b64 v[44:47], v2 offset0:119 offset1:120
	ds_read2_b64 v[48:51], v2 offset0:121 offset1:122
	ds_read2_b64 v[52:55], v2 offset0:123 offset1:124
	ds_read2_b64 v[56:59], v2 offset0:125 offset1:126
	ds_read_b64 v[64:65], v2 offset:1016
	v_cmp_lt_u32_e32 vcc, 47, v0
	s_waitcnt vmcnt(8) lgkmcnt(7)
	v_mul_f32_e32 v71, v34, v7
	v_mul_f32_e32 v3, v32, v5
	s_waitcnt vmcnt(7) lgkmcnt(6)
	v_mul_f32_e32 v75, v36, v9
	s_waitcnt vmcnt(6) lgkmcnt(5)
	v_mul_f32_e32 v83, v40, v13
	v_mul_f32_e32 v67, v42, v15
	;; [unrolled: 1-line block ×5, first 2 shown]
	s_waitcnt vmcnt(5)
	v_mov_b32_e32 v70, v19
	s_waitcnt vmcnt(3) lgkmcnt(2)
	v_pk_mul_f32 v[76:77], v[52:53], v[24:25] op_sel:[1,1] op_sel_hi:[0,1]
	s_waitcnt vmcnt(2) lgkmcnt(1)
	v_pk_mul_f32 v[80:81], v[56:57], v[28:29] op_sel:[1,1] op_sel_hi:[0,1]
	v_fmac_f32_e32 v71, v35, v6
	v_mul_f32_e32 v7, v35, v7
	v_mul_f32_e32 v9, v37, v9
	v_fmac_f32_e32 v3, v33, v4
	v_fmac_f32_e32 v75, v37, v8
	;; [unrolled: 1-line block ×4, first 2 shown]
	v_fma_f32 v32, v32, v4, -v5
	v_fma_f32 v37, v40, v12, -v13
	;; [unrolled: 1-line block ×3, first 2 shown]
	v_pk_mul_f32 v[4:5], v[46:47], v[70:71] op_sel:[1,0] op_sel_hi:[0,0]
	v_pk_fma_f32 v[12:13], v[52:53], v[24:25], v[76:77] neg_lo:[0,0,1] neg_hi:[0,0,1]
	v_pk_fma_f32 v[14:15], v[52:53], v[24:25], v[76:77] op_sel_hi:[1,0,1]
	v_pk_fma_f32 v[24:25], v[56:57], v[28:29], v[80:81] op_sel_hi:[1,0,1]
	v_fma_f32 v34, v34, v6, -v7
	v_add_f32_e32 v3, 0, v3
	v_add_f32_e32 v24, 0, v32
	v_pk_fma_f32 v[32:33], v[46:47], v[18:19], v[4:5] neg_lo:[0,0,1] neg_hi:[0,0,1]
	v_pk_fma_f32 v[4:5], v[46:47], v[18:19], v[4:5] op_sel_hi:[1,0,1]
	v_mul_f32_e32 v79, v38, v11
	v_mul_f32_e32 v11, v39, v11
	v_fma_f32 v35, v36, v8, -v9
	v_add_f32_e32 v3, v3, v71
	v_add_f32_e32 v4, v24, v34
	v_fmac_f32_e32 v79, v39, v10
	v_fma_f32 v36, v38, v10, -v11
	v_add_f32_e32 v3, v3, v75
	v_add_f32_e32 v4, v4, v35
	;; [unrolled: 1-line block ×4, first 2 shown]
	v_mul_f32_e32 v69, v44, v17
	v_mul_f32_e32 v17, v45, v17
	v_mov_b32_e32 v33, v5
	v_add_f32_e32 v5, v3, v83
	v_add_f32_e32 v4, v4, v37
	v_pk_mul_f32 v[72:73], v[48:49], v[20:21] op_sel:[1,1] op_sel_hi:[0,1]
	v_mov_b32_e32 v74, v23
	v_fmac_f32_e32 v69, v45, v16
	v_fma_f32 v68, v44, v16, -v17
	v_pk_add_f32 v[4:5], v[4:5], v[66:67]
	v_pk_fma_f32 v[6:7], v[48:49], v[20:21], v[72:73] neg_lo:[0,0,1] neg_hi:[0,0,1]
	v_pk_fma_f32 v[8:9], v[48:49], v[20:21], v[72:73] op_sel_hi:[1,0,1]
	v_pk_mul_f32 v[10:11], v[50:51], v[74:75] op_sel:[1,0] op_sel_hi:[0,0]
	v_pk_add_f32 v[4:5], v[4:5], v[68:69]
	v_mov_b32_e32 v78, v27
	v_mov_b32_e32 v7, v9
	v_pk_fma_f32 v[8:9], v[50:51], v[22:23], v[10:11] neg_lo:[0,0,1] neg_hi:[0,0,1]
	v_pk_fma_f32 v[10:11], v[50:51], v[22:23], v[10:11] op_sel_hi:[1,0,1]
	v_pk_add_f32 v[4:5], v[4:5], v[32:33]
	v_pk_mul_f32 v[16:17], v[54:55], v[78:79] op_sel:[1,0] op_sel_hi:[0,0]
	v_mov_b32_e32 v9, v11
	v_pk_add_f32 v[4:5], v[4:5], v[6:7]
	v_mov_b32_e32 v82, v31
	v_mov_b32_e32 v13, v15
	v_pk_fma_f32 v[14:15], v[54:55], v[26:27], v[16:17] neg_lo:[0,0,1] neg_hi:[0,0,1]
	v_pk_fma_f32 v[16:17], v[54:55], v[26:27], v[16:17] op_sel_hi:[1,0,1]
	v_pk_add_f32 v[4:5], v[4:5], v[8:9]
	v_pk_fma_f32 v[20:21], v[56:57], v[28:29], v[80:81] neg_lo:[0,0,1] neg_hi:[0,0,1]
	v_pk_mul_f32 v[28:29], v[58:59], v[82:83] op_sel:[1,0] op_sel_hi:[0,0]
	v_mov_b32_e32 v15, v17
	v_pk_add_f32 v[4:5], v[4:5], v[12:13]
	v_mov_b32_e32 v21, v25
	v_pk_add_f32 v[4:5], v[4:5], v[14:15]
	v_pk_fma_f32 v[6:7], v[58:59], v[30:31], v[28:29] neg_lo:[0,0,1] neg_hi:[0,0,1]
	v_pk_fma_f32 v[8:9], v[58:59], v[30:31], v[28:29] op_sel_hi:[1,0,1]
	v_pk_add_f32 v[4:5], v[4:5], v[20:21]
	v_mov_b32_e32 v7, v9
	v_pk_add_f32 v[4:5], v[4:5], v[6:7]
	s_waitcnt vmcnt(1) lgkmcnt(0)
	v_pk_mul_f32 v[6:7], v[64:65], v[60:61] op_sel:[1,1] op_sel_hi:[0,1]
	v_pk_fma_f32 v[8:9], v[64:65], v[60:61], v[6:7] neg_lo:[0,0,1] neg_hi:[0,0,1]
	v_pk_fma_f32 v[6:7], v[64:65], v[60:61], v[6:7] op_sel_hi:[1,0,1]
	s_nop 0
	v_mov_b32_e32 v9, v7
	v_pk_add_f32 v[4:5], v[4:5], v[8:9]
	s_waitcnt vmcnt(0)
	v_pk_add_f32 v[4:5], v[62:63], v[4:5] neg_lo:[0,1] neg_hi:[0,1]
	scratch_store_dwordx2 off, v[4:5], off offset:384
	s_and_saveexec_b64 s[0:1], vcc
	s_cbranch_execz .LBB127_303
; %bb.302:
	scratch_load_dwordx2 v[4:5], off, off offset:376
	v_mov_b32_e32 v3, v2
	scratch_store_dwordx2 off, v[2:3], off offset:376
	s_waitcnt vmcnt(1)
	ds_write_b64 v1, v[4:5]
.LBB127_303:
	s_or_b64 exec, exec, s[0:1]
	s_waitcnt lgkmcnt(0)
	; wave barrier
	scratch_load_dwordx4 v[4:7], off, off offset:384
	scratch_load_dwordx4 v[8:11], off, off offset:400
	;; [unrolled: 1-line block ×7, first 2 shown]
	ds_read_b128 v[32:35], v2 offset:896
	ds_read_b128 v[36:39], v2 offset:912
	ds_read_b128 v[40:43], v2 offset:928
	ds_read_b128 v[44:47], v2 offset:944
	scratch_load_dwordx4 v[48:51], off, off offset:496
	ds_read_b128 v[52:55], v2 offset:960
	ds_read_b128 v[56:59], v2 offset:976
	;; [unrolled: 1-line block ×4, first 2 shown]
	scratch_load_dwordx2 v[2:3], off, off offset:376
	v_cmp_lt_u32_e32 vcc, 46, v0
	s_waitcnt vmcnt(8) lgkmcnt(7)
	v_mul_f32_e32 v75, v32, v5
	v_mul_f32_e32 v79, v34, v7
	s_waitcnt vmcnt(7) lgkmcnt(6)
	v_mul_f32_e32 v83, v36, v9
	v_mul_f32_e32 v84, v38, v11
	;; [unrolled: 3-line block ×3, first 2 shown]
	v_mul_f32_e32 v5, v33, v5
	v_mul_f32_e32 v7, v35, v7
	;; [unrolled: 1-line block ×6, first 2 shown]
	s_waitcnt vmcnt(4) lgkmcnt(3)
	v_pk_mul_f32 v[72:73], v[52:53], v[20:21] op_sel:[1,1] op_sel_hi:[0,1]
	v_mov_b32_e32 v74, v23
	s_waitcnt vmcnt(3) lgkmcnt(2)
	v_pk_mul_f32 v[76:77], v[56:57], v[24:25] op_sel:[1,1] op_sel_hi:[0,1]
	v_mov_b32_e32 v78, v27
	v_fmac_f32_e32 v75, v33, v4
	v_fmac_f32_e32 v79, v35, v6
	;; [unrolled: 1-line block ×6, first 2 shown]
	v_fma_f32 v32, v32, v4, -v5
	v_fma_f32 v33, v34, v6, -v7
	;; [unrolled: 1-line block ×6, first 2 shown]
	v_pk_fma_f32 v[4:5], v[52:53], v[20:21], v[72:73] neg_lo:[0,0,1] neg_hi:[0,0,1]
	v_pk_fma_f32 v[6:7], v[52:53], v[20:21], v[72:73] op_sel_hi:[1,0,1]
	v_pk_mul_f32 v[8:9], v[54:55], v[74:75] op_sel:[1,0] op_sel_hi:[0,0]
	v_pk_fma_f32 v[10:11], v[56:57], v[24:25], v[76:77] neg_lo:[0,0,1] neg_hi:[0,0,1]
	v_pk_fma_f32 v[12:13], v[56:57], v[24:25], v[76:77] op_sel_hi:[1,0,1]
	v_pk_mul_f32 v[14:15], v[58:59], v[78:79] op_sel:[1,0] op_sel_hi:[0,0]
	v_add_f32_e32 v24, 0, v75
	v_add_f32_e32 v25, 0, v32
	v_mov_b32_e32 v5, v7
	v_pk_fma_f32 v[6:7], v[54:55], v[22:23], v[8:9] neg_lo:[0,0,1] neg_hi:[0,0,1]
	v_pk_fma_f32 v[8:9], v[54:55], v[22:23], v[8:9] op_sel_hi:[1,0,1]
	v_mov_b32_e32 v11, v13
	v_pk_fma_f32 v[12:13], v[58:59], v[26:27], v[14:15] neg_lo:[0,0,1] neg_hi:[0,0,1]
	v_pk_fma_f32 v[14:15], v[58:59], v[26:27], v[14:15] op_sel_hi:[1,0,1]
	v_add_f32_e32 v8, v24, v79
	v_add_f32_e32 v14, v25, v33
	v_mov_b32_e32 v7, v9
	v_add_f32_e32 v8, v8, v83
	v_add_f32_e32 v9, v14, v34
	;; [unrolled: 1-line block ×4, first 2 shown]
	v_mul_f32_e32 v69, v44, v17
	v_mul_f32_e32 v17, v45, v17
	v_add_f32_e32 v8, v8, v85
	v_add_f32_e32 v14, v9, v36
	v_mul_f32_e32 v71, v46, v19
	v_mul_f32_e32 v19, v47, v19
	v_fmac_f32_e32 v69, v45, v16
	v_fma_f32 v68, v44, v16, -v17
	v_add_f32_e32 v9, v8, v86
	v_add_f32_e32 v8, v14, v37
	v_fmac_f32_e32 v71, v47, v18
	v_fma_f32 v70, v46, v18, -v19
	v_pk_add_f32 v[8:9], v[8:9], v[68:69]
	s_waitcnt vmcnt(2) lgkmcnt(1)
	v_pk_mul_f32 v[80:81], v[60:61], v[28:29] op_sel:[1,1] op_sel_hi:[0,1]
	v_mov_b32_e32 v82, v31
	v_pk_add_f32 v[8:9], v[8:9], v[70:71]
	v_pk_fma_f32 v[16:17], v[60:61], v[28:29], v[80:81] neg_lo:[0,0,1] neg_hi:[0,0,1]
	v_pk_fma_f32 v[18:19], v[60:61], v[28:29], v[80:81] op_sel_hi:[1,0,1]
	v_pk_mul_f32 v[20:21], v[62:63], v[82:83] op_sel:[1,0] op_sel_hi:[0,0]
	v_pk_add_f32 v[4:5], v[8:9], v[4:5]
	v_mov_b32_e32 v17, v19
	v_pk_fma_f32 v[18:19], v[62:63], v[30:31], v[20:21] neg_lo:[0,0,1] neg_hi:[0,0,1]
	v_pk_add_f32 v[4:5], v[4:5], v[6:7]
	v_pk_fma_f32 v[6:7], v[62:63], v[30:31], v[20:21] op_sel_hi:[1,0,1]
	v_mov_b32_e32 v13, v15
	v_pk_add_f32 v[4:5], v[4:5], v[10:11]
	v_mov_b32_e32 v19, v7
	s_waitcnt vmcnt(1) lgkmcnt(0)
	v_pk_mul_f32 v[6:7], v[64:65], v[48:49] op_sel:[1,1] op_sel_hi:[0,1]
	v_pk_add_f32 v[4:5], v[4:5], v[12:13]
	v_pk_fma_f32 v[8:9], v[64:65], v[48:49], v[6:7] neg_lo:[0,0,1] neg_hi:[0,0,1]
	v_pk_fma_f32 v[6:7], v[64:65], v[48:49], v[6:7] op_sel_hi:[1,0,1]
	v_pk_add_f32 v[4:5], v[4:5], v[16:17]
	v_mov_b32_e32 v6, v51
	v_pk_add_f32 v[4:5], v[4:5], v[18:19]
	v_mov_b32_e32 v9, v7
	v_pk_mul_f32 v[6:7], v[66:67], v[6:7] op_sel:[1,0] op_sel_hi:[0,0]
	v_pk_add_f32 v[4:5], v[4:5], v[8:9]
	v_pk_fma_f32 v[8:9], v[66:67], v[50:51], v[6:7] neg_lo:[0,0,1] neg_hi:[0,0,1]
	v_pk_fma_f32 v[6:7], v[66:67], v[50:51], v[6:7] op_sel_hi:[1,0,1]
	s_nop 0
	v_mov_b32_e32 v9, v7
	v_pk_add_f32 v[4:5], v[4:5], v[8:9]
	s_waitcnt vmcnt(0)
	v_pk_add_f32 v[2:3], v[2:3], v[4:5] neg_lo:[0,1] neg_hi:[0,1]
	scratch_store_dwordx2 off, v[2:3], off offset:376
	s_and_saveexec_b64 s[0:1], vcc
	s_cbranch_execz .LBB127_305
; %bb.304:
	scratch_load_dwordx2 v[2:3], off, off offset:368
	v_mov_b32_e32 v4, 0
	v_mov_b32_e32 v5, v4
	scratch_store_dwordx2 off, v[4:5], off offset:368
	s_waitcnt vmcnt(1)
	ds_write_b64 v1, v[2:3]
.LBB127_305:
	s_or_b64 exec, exec, s[0:1]
	s_waitcnt lgkmcnt(0)
	; wave barrier
	scratch_load_dwordx4 v[4:7], off, off offset:376
	scratch_load_dwordx4 v[8:11], off, off offset:392
	scratch_load_dwordx4 v[12:15], off, off offset:408
	scratch_load_dwordx4 v[16:19], off, off offset:424
	scratch_load_dwordx4 v[20:23], off, off offset:440
	scratch_load_dwordx4 v[24:27], off, off offset:456
	scratch_load_dwordx4 v[28:31], off, off offset:472
	scratch_load_dwordx4 v[32:35], off, off offset:488
	scratch_load_dwordx2 v[68:69], off, off offset:504
	scratch_load_dwordx2 v[70:71], off, off offset:368
	v_mov_b32_e32 v2, 0
	ds_read2_b64 v[36:39], v2 offset0:111 offset1:112
	ds_read2_b64 v[40:43], v2 offset0:113 offset1:114
	ds_read2_b64 v[44:47], v2 offset0:115 offset1:116
	ds_read2_b64 v[48:51], v2 offset0:117 offset1:118
	ds_read2_b64 v[52:55], v2 offset0:119 offset1:120
	ds_read2_b64 v[56:59], v2 offset0:121 offset1:122
	ds_read2_b64 v[60:63], v2 offset0:123 offset1:124
	ds_read2_b64 v[64:67], v2 offset0:125 offset1:126
	ds_read_b64 v[72:73], v2 offset:1016
	v_cmp_lt_u32_e32 vcc, 45, v0
	s_waitcnt vmcnt(9) lgkmcnt(8)
	v_mul_f32_e32 v79, v38, v7
	v_mul_f32_e32 v3, v36, v5
	s_waitcnt vmcnt(8) lgkmcnt(7)
	v_mul_f32_e32 v83, v40, v9
	s_waitcnt vmcnt(7) lgkmcnt(6)
	v_mul_f32_e32 v87, v44, v13
	v_mul_f32_e32 v5, v37, v5
	;; [unrolled: 1-line block ×5, first 2 shown]
	s_waitcnt vmcnt(5)
	v_mov_b32_e32 v78, v23
	s_waitcnt vmcnt(3) lgkmcnt(2)
	v_pk_mul_f32 v[84:85], v[60:61], v[28:29] op_sel:[1,1] op_sel_hi:[0,1]
	v_fmac_f32_e32 v79, v39, v6
	v_mul_f32_e32 v86, v42, v11
	v_mul_f32_e32 v89, v48, v17
	;; [unrolled: 1-line block ×4, first 2 shown]
	v_fmac_f32_e32 v3, v37, v4
	v_fmac_f32_e32 v87, v45, v12
	v_fma_f32 v36, v36, v4, -v5
	v_fma_f32 v37, v38, v6, -v7
	;; [unrolled: 1-line block ×4, first 2 shown]
	v_pk_mul_f32 v[4:5], v[54:55], v[78:79] op_sel:[1,0] op_sel_hi:[0,0]
	v_pk_fma_f32 v[12:13], v[60:61], v[28:29], v[84:85] neg_lo:[0,0,1] neg_hi:[0,0,1]
	v_fmac_f32_e32 v89, v49, v16
	v_fma_f32 v39, v42, v10, -v11
	v_fma_f32 v42, v48, v16, -v17
	v_add_f32_e32 v3, 0, v3
	v_add_f32_e32 v13, 0, v36
	v_pk_fma_f32 v[16:17], v[54:55], v[22:23], v[4:5] neg_lo:[0,0,1] neg_hi:[0,0,1]
	v_pk_fma_f32 v[4:5], v[54:55], v[22:23], v[4:5] op_sel_hi:[1,0,1]
	v_fmac_f32_e32 v83, v41, v8
	v_add_f32_e32 v3, v3, v79
	v_add_f32_e32 v4, v13, v37
	v_fmac_f32_e32 v86, v43, v10
	v_add_f32_e32 v3, v3, v83
	v_add_f32_e32 v4, v4, v38
	v_mul_f32_e32 v88, v46, v15
	v_mul_f32_e32 v15, v47, v15
	v_add_f32_e32 v3, v3, v86
	v_add_f32_e32 v4, v4, v39
	v_fmac_f32_e32 v88, v47, v14
	v_fma_f32 v41, v46, v14, -v15
	v_add_f32_e32 v3, v3, v87
	v_add_f32_e32 v4, v4, v40
	v_mul_f32_e32 v75, v50, v19
	v_mul_f32_e32 v19, v51, v19
	v_add_f32_e32 v3, v3, v88
	v_add_f32_e32 v4, v4, v41
	v_mul_f32_e32 v77, v52, v21
	v_mul_f32_e32 v21, v53, v21
	v_fmac_f32_e32 v75, v51, v18
	v_fma_f32 v74, v50, v18, -v19
	v_mov_b32_e32 v17, v5
	v_add_f32_e32 v5, v3, v89
	v_add_f32_e32 v4, v4, v42
	v_pk_mul_f32 v[80:81], v[56:57], v[24:25] op_sel:[1,1] op_sel_hi:[0,1]
	v_fmac_f32_e32 v77, v53, v20
	v_fma_f32 v76, v52, v20, -v21
	v_pk_add_f32 v[4:5], v[4:5], v[74:75]
	v_mov_b32_e32 v82, v27
	v_pk_fma_f32 v[6:7], v[56:57], v[24:25], v[80:81] neg_lo:[0,0,1] neg_hi:[0,0,1]
	v_pk_fma_f32 v[8:9], v[56:57], v[24:25], v[80:81] op_sel_hi:[1,0,1]
	v_pk_add_f32 v[4:5], v[4:5], v[76:77]
	v_pk_mul_f32 v[10:11], v[58:59], v[82:83] op_sel:[1,0] op_sel_hi:[0,0]
	v_mov_b32_e32 v7, v9
	v_pk_add_f32 v[4:5], v[4:5], v[16:17]
	v_pk_fma_f32 v[8:9], v[58:59], v[26:27], v[10:11] neg_lo:[0,0,1] neg_hi:[0,0,1]
	v_pk_fma_f32 v[10:11], v[58:59], v[26:27], v[10:11] op_sel_hi:[1,0,1]
	v_pk_add_f32 v[4:5], v[4:5], v[6:7]
	v_mov_b32_e32 v6, v31
	v_pk_fma_f32 v[14:15], v[60:61], v[28:29], v[84:85] op_sel_hi:[1,0,1]
	v_mov_b32_e32 v9, v11
	v_pk_mul_f32 v[6:7], v[62:63], v[6:7] op_sel:[1,0] op_sel_hi:[0,0]
	v_pk_add_f32 v[4:5], v[4:5], v[8:9]
	v_mov_b32_e32 v13, v15
	v_pk_fma_f32 v[8:9], v[62:63], v[30:31], v[6:7] neg_lo:[0,0,1] neg_hi:[0,0,1]
	v_pk_fma_f32 v[6:7], v[62:63], v[30:31], v[6:7] op_sel_hi:[1,0,1]
	v_pk_add_f32 v[4:5], v[4:5], v[12:13]
	v_mov_b32_e32 v9, v7
	s_waitcnt vmcnt(2) lgkmcnt(1)
	v_pk_mul_f32 v[6:7], v[64:65], v[32:33] op_sel:[1,1] op_sel_hi:[0,1]
	v_pk_add_f32 v[4:5], v[4:5], v[8:9]
	v_pk_fma_f32 v[8:9], v[64:65], v[32:33], v[6:7] neg_lo:[0,0,1] neg_hi:[0,0,1]
	v_pk_fma_f32 v[6:7], v[64:65], v[32:33], v[6:7] op_sel_hi:[1,0,1]
	s_nop 0
	v_mov_b32_e32 v6, v35
	v_mov_b32_e32 v9, v7
	v_pk_mul_f32 v[6:7], v[66:67], v[6:7] op_sel:[1,0] op_sel_hi:[0,0]
	v_pk_add_f32 v[4:5], v[4:5], v[8:9]
	v_pk_fma_f32 v[8:9], v[66:67], v[34:35], v[6:7] neg_lo:[0,0,1] neg_hi:[0,0,1]
	v_pk_fma_f32 v[6:7], v[66:67], v[34:35], v[6:7] op_sel_hi:[1,0,1]
	s_nop 0
	v_mov_b32_e32 v9, v7
	s_waitcnt vmcnt(1) lgkmcnt(0)
	v_pk_mul_f32 v[6:7], v[72:73], v[68:69] op_sel:[1,1] op_sel_hi:[0,1]
	v_pk_add_f32 v[4:5], v[4:5], v[8:9]
	v_pk_fma_f32 v[8:9], v[72:73], v[68:69], v[6:7] neg_lo:[0,0,1] neg_hi:[0,0,1]
	v_pk_fma_f32 v[6:7], v[72:73], v[68:69], v[6:7] op_sel_hi:[1,0,1]
	s_nop 0
	v_mov_b32_e32 v9, v7
	v_pk_add_f32 v[4:5], v[4:5], v[8:9]
	s_waitcnt vmcnt(0)
	v_pk_add_f32 v[4:5], v[70:71], v[4:5] neg_lo:[0,1] neg_hi:[0,1]
	scratch_store_dwordx2 off, v[4:5], off offset:368
	s_and_saveexec_b64 s[0:1], vcc
	s_cbranch_execz .LBB127_307
; %bb.306:
	scratch_load_dwordx2 v[4:5], off, off offset:360
	v_mov_b32_e32 v3, v2
	scratch_store_dwordx2 off, v[2:3], off offset:360
	s_waitcnt vmcnt(1)
	ds_write_b64 v1, v[4:5]
.LBB127_307:
	s_or_b64 exec, exec, s[0:1]
	s_waitcnt lgkmcnt(0)
	; wave barrier
	scratch_load_dwordx4 v[4:7], off, off offset:368
	scratch_load_dwordx4 v[8:11], off, off offset:384
	;; [unrolled: 1-line block ×7, first 2 shown]
	ds_read_b128 v[32:35], v2 offset:880
	ds_read_b128 v[36:39], v2 offset:896
	;; [unrolled: 1-line block ×4, first 2 shown]
	scratch_load_dwordx4 v[48:51], off, off offset:480
	scratch_load_dwordx4 v[52:55], off, off offset:496
	ds_read_b128 v[56:59], v2 offset:944
	ds_read_b128 v[60:63], v2 offset:960
	;; [unrolled: 1-line block ×5, first 2 shown]
	scratch_load_dwordx2 v[2:3], off, off offset:360
	v_cmp_lt_u32_e32 vcc, 44, v0
	s_waitcnt vmcnt(9) lgkmcnt(8)
	v_mul_f32_e32 v83, v32, v5
	v_mul_f32_e32 v86, v34, v7
	s_waitcnt vmcnt(8) lgkmcnt(7)
	v_mul_f32_e32 v87, v36, v9
	s_waitcnt vmcnt(7) lgkmcnt(6)
	v_mul_f32_e32 v89, v40, v13
	v_mul_f32_e32 v5, v33, v5
	;; [unrolled: 1-line block ×5, first 2 shown]
	s_waitcnt vmcnt(4) lgkmcnt(3)
	v_pk_mul_f32 v[80:81], v[60:61], v[24:25] op_sel:[1,1] op_sel_hi:[0,1]
	v_mov_b32_e32 v82, v27
	s_waitcnt vmcnt(3) lgkmcnt(2)
	v_pk_mul_f32 v[84:85], v[64:65], v[28:29] op_sel:[1,1] op_sel_hi:[0,1]
	v_fmac_f32_e32 v83, v33, v4
	v_mul_f32_e32 v90, v42, v15
	v_mul_f32_e32 v91, v44, v17
	;; [unrolled: 1-line block ×4, first 2 shown]
	v_fmac_f32_e32 v86, v35, v6
	v_fmac_f32_e32 v87, v37, v8
	;; [unrolled: 1-line block ×3, first 2 shown]
	v_fma_f32 v32, v32, v4, -v5
	v_fma_f32 v33, v34, v6, -v7
	;; [unrolled: 1-line block ×4, first 2 shown]
	v_pk_fma_f32 v[4:5], v[60:61], v[24:25], v[80:81] neg_lo:[0,0,1] neg_hi:[0,0,1]
	v_pk_fma_f32 v[6:7], v[60:61], v[24:25], v[80:81] op_sel_hi:[1,0,1]
	v_pk_mul_f32 v[8:9], v[62:63], v[82:83] op_sel:[1,0] op_sel_hi:[0,0]
	v_pk_fma_f32 v[12:13], v[64:65], v[28:29], v[84:85] op_sel_hi:[1,0,1]
	v_fmac_f32_e32 v90, v43, v14
	v_fma_f32 v14, v42, v14, -v15
	v_fma_f32 v15, v44, v16, -v17
	v_add_f32_e32 v12, 0, v83
	v_add_f32_e32 v17, 0, v32
	v_mov_b32_e32 v5, v7
	v_pk_fma_f32 v[6:7], v[62:63], v[26:27], v[8:9] neg_lo:[0,0,1] neg_hi:[0,0,1]
	v_pk_fma_f32 v[8:9], v[62:63], v[26:27], v[8:9] op_sel_hi:[1,0,1]
	v_mul_f32_e32 v88, v38, v11
	v_mul_f32_e32 v11, v39, v11
	v_add_f32_e32 v8, v12, v86
	v_add_f32_e32 v12, v17, v33
	v_fmac_f32_e32 v88, v39, v10
	v_fma_f32 v35, v38, v10, -v11
	v_mov_b32_e32 v7, v9
	v_add_f32_e32 v8, v8, v87
	v_add_f32_e32 v9, v12, v34
	;; [unrolled: 1-line block ×6, first 2 shown]
	v_mul_f32_e32 v92, v46, v19
	v_mul_f32_e32 v19, v47, v19
	v_fmac_f32_e32 v91, v45, v16
	v_add_f32_e32 v8, v8, v90
	v_add_f32_e32 v9, v9, v14
	v_mul_f32_e32 v77, v56, v21
	v_mul_f32_e32 v21, v57, v21
	v_fmac_f32_e32 v92, v47, v18
	v_fma_f32 v16, v46, v18, -v19
	v_add_f32_e32 v8, v8, v91
	v_add_f32_e32 v12, v9, v15
	v_mul_f32_e32 v79, v58, v23
	v_mul_f32_e32 v23, v59, v23
	v_fmac_f32_e32 v77, v57, v20
	v_fma_f32 v76, v56, v20, -v21
	v_add_f32_e32 v9, v8, v92
	v_add_f32_e32 v8, v12, v16
	v_fmac_f32_e32 v79, v59, v22
	v_fma_f32 v78, v58, v22, -v23
	v_pk_add_f32 v[8:9], v[8:9], v[76:77]
	v_pk_fma_f32 v[10:11], v[64:65], v[28:29], v[84:85] neg_lo:[0,0,1] neg_hi:[0,0,1]
	v_pk_add_f32 v[8:9], v[8:9], v[78:79]
	v_mov_b32_e32 v11, v13
	v_pk_add_f32 v[4:5], v[8:9], v[4:5]
	s_nop 0
	v_pk_add_f32 v[4:5], v[4:5], v[6:7]
	v_mov_b32_e32 v6, v31
	v_pk_mul_f32 v[6:7], v[66:67], v[6:7] op_sel:[1,0] op_sel_hi:[0,0]
	v_pk_fma_f32 v[8:9], v[66:67], v[30:31], v[6:7] neg_lo:[0,0,1] neg_hi:[0,0,1]
	v_pk_fma_f32 v[6:7], v[66:67], v[30:31], v[6:7] op_sel_hi:[1,0,1]
	v_pk_add_f32 v[4:5], v[4:5], v[10:11]
	v_mov_b32_e32 v9, v7
	s_waitcnt vmcnt(2) lgkmcnt(1)
	v_pk_mul_f32 v[6:7], v[68:69], v[48:49] op_sel:[1,1] op_sel_hi:[0,1]
	v_pk_add_f32 v[4:5], v[4:5], v[8:9]
	v_pk_fma_f32 v[8:9], v[68:69], v[48:49], v[6:7] neg_lo:[0,0,1] neg_hi:[0,0,1]
	v_pk_fma_f32 v[6:7], v[68:69], v[48:49], v[6:7] op_sel_hi:[1,0,1]
	s_nop 0
	v_mov_b32_e32 v6, v51
	v_mov_b32_e32 v9, v7
	v_pk_mul_f32 v[6:7], v[70:71], v[6:7] op_sel:[1,0] op_sel_hi:[0,0]
	v_pk_add_f32 v[4:5], v[4:5], v[8:9]
	v_pk_fma_f32 v[8:9], v[70:71], v[50:51], v[6:7] neg_lo:[0,0,1] neg_hi:[0,0,1]
	v_pk_fma_f32 v[6:7], v[70:71], v[50:51], v[6:7] op_sel_hi:[1,0,1]
	s_nop 0
	v_mov_b32_e32 v9, v7
	s_waitcnt vmcnt(1) lgkmcnt(0)
	v_pk_mul_f32 v[6:7], v[72:73], v[52:53] op_sel:[1,1] op_sel_hi:[0,1]
	v_pk_add_f32 v[4:5], v[4:5], v[8:9]
	v_pk_fma_f32 v[8:9], v[72:73], v[52:53], v[6:7] neg_lo:[0,0,1] neg_hi:[0,0,1]
	v_pk_fma_f32 v[6:7], v[72:73], v[52:53], v[6:7] op_sel_hi:[1,0,1]
	s_nop 0
	v_mov_b32_e32 v6, v55
	v_mov_b32_e32 v9, v7
	v_pk_mul_f32 v[6:7], v[74:75], v[6:7] op_sel:[1,0] op_sel_hi:[0,0]
	v_pk_add_f32 v[4:5], v[4:5], v[8:9]
	v_pk_fma_f32 v[8:9], v[74:75], v[54:55], v[6:7] neg_lo:[0,0,1] neg_hi:[0,0,1]
	v_pk_fma_f32 v[6:7], v[74:75], v[54:55], v[6:7] op_sel_hi:[1,0,1]
	s_nop 0
	v_mov_b32_e32 v9, v7
	v_pk_add_f32 v[4:5], v[4:5], v[8:9]
	s_waitcnt vmcnt(0)
	v_pk_add_f32 v[2:3], v[2:3], v[4:5] neg_lo:[0,1] neg_hi:[0,1]
	scratch_store_dwordx2 off, v[2:3], off offset:360
	s_and_saveexec_b64 s[0:1], vcc
	s_cbranch_execz .LBB127_309
; %bb.308:
	scratch_load_dwordx2 v[2:3], off, off offset:352
	v_mov_b32_e32 v4, 0
	v_mov_b32_e32 v5, v4
	scratch_store_dwordx2 off, v[4:5], off offset:352
	s_waitcnt vmcnt(1)
	ds_write_b64 v1, v[2:3]
.LBB127_309:
	s_or_b64 exec, exec, s[0:1]
	s_waitcnt lgkmcnt(0)
	; wave barrier
	scratch_load_dwordx4 v[4:7], off, off offset:360
	scratch_load_dwordx4 v[8:11], off, off offset:376
	;; [unrolled: 1-line block ×9, first 2 shown]
	scratch_load_dwordx2 v[76:77], off, off offset:504
	scratch_load_dwordx2 v[78:79], off, off offset:352
	v_mov_b32_e32 v2, 0
	ds_read2_b64 v[40:43], v2 offset0:109 offset1:110
	ds_read2_b64 v[44:47], v2 offset0:111 offset1:112
	;; [unrolled: 1-line block ×9, first 2 shown]
	ds_read_b64 v[80:81], v2 offset:1016
	v_cmp_lt_u32_e32 vcc, 43, v0
	s_waitcnt vmcnt(10) lgkmcnt(9)
	v_mul_f32_e32 v87, v42, v7
	v_mul_f32_e32 v3, v40, v5
	;; [unrolled: 1-line block ×3, first 2 shown]
	v_fmac_f32_e32 v87, v43, v6
	s_waitcnt vmcnt(9) lgkmcnt(8)
	v_mul_f32_e32 v88, v44, v9
	s_waitcnt vmcnt(5)
	v_mov_b32_e32 v86, v27
	v_mul_f32_e32 v89, v46, v11
	s_waitcnt lgkmcnt(7)
	v_mul_f32_e32 v91, v50, v15
	v_mul_f32_e32 v7, v43, v7
	;; [unrolled: 1-line block ×5, first 2 shown]
	v_fmac_f32_e32 v3, v41, v4
	v_fma_f32 v40, v40, v4, -v5
	s_waitcnt lgkmcnt(4)
	v_pk_mul_f32 v[4:5], v[62:63], v[86:87] op_sel:[1,0] op_sel_hi:[0,0]
	v_fmac_f32_e32 v88, v45, v8
	v_fma_f32 v41, v42, v6, -v7
	v_fma_f32 v8, v44, v8, -v9
	;; [unrolled: 1-line block ×4, first 2 shown]
	v_add_f32_e32 v3, 0, v3
	v_add_f32_e32 v15, 0, v40
	v_pk_fma_f32 v[6:7], v[62:63], v[26:27], v[4:5] neg_lo:[0,0,1] neg_hi:[0,0,1]
	v_pk_fma_f32 v[4:5], v[62:63], v[26:27], v[4:5] op_sel_hi:[1,0,1]
	v_add_f32_e32 v3, v3, v87
	v_add_f32_e32 v4, v15, v41
	v_mul_f32_e32 v90, v48, v13
	v_mul_f32_e32 v13, v49, v13
	v_fmac_f32_e32 v89, v47, v10
	v_add_f32_e32 v3, v3, v88
	v_add_f32_e32 v4, v4, v8
	v_fmac_f32_e32 v90, v49, v12
	v_fma_f32 v10, v48, v12, -v13
	v_add_f32_e32 v3, v3, v89
	v_add_f32_e32 v4, v4, v9
	v_mul_f32_e32 v92, v52, v17
	v_mul_f32_e32 v17, v53, v17
	v_fmac_f32_e32 v91, v51, v14
	v_add_f32_e32 v3, v3, v90
	v_add_f32_e32 v4, v4, v10
	v_mul_f32_e32 v93, v54, v19
	v_mul_f32_e32 v19, v55, v19
	v_fmac_f32_e32 v92, v53, v16
	v_fma_f32 v12, v52, v16, -v17
	v_add_f32_e32 v3, v3, v91
	v_add_f32_e32 v4, v4, v11
	v_mul_f32_e32 v94, v56, v21
	v_mul_f32_e32 v21, v57, v21
	v_fmac_f32_e32 v93, v55, v18
	v_fma_f32 v13, v54, v18, -v19
	;; [unrolled: 6-line block ×4, first 2 shown]
	v_mov_b32_e32 v7, v5
	v_add_f32_e32 v5, v3, v94
	v_add_f32_e32 v4, v4, v14
	v_fmac_f32_e32 v85, v61, v24
	v_fma_f32 v84, v60, v24, -v25
	v_pk_add_f32 v[4:5], v[4:5], v[82:83]
	s_nop 0
	v_pk_add_f32 v[4:5], v[4:5], v[84:85]
	s_nop 0
	v_pk_add_f32 v[4:5], v[4:5], v[6:7]
	s_waitcnt vmcnt(4) lgkmcnt(3)
	v_pk_mul_f32 v[6:7], v[64:65], v[28:29] op_sel:[1,1] op_sel_hi:[0,1]
	v_pk_fma_f32 v[8:9], v[64:65], v[28:29], v[6:7] neg_lo:[0,0,1] neg_hi:[0,0,1]
	v_pk_fma_f32 v[6:7], v[64:65], v[28:29], v[6:7] op_sel_hi:[1,0,1]
	s_nop 0
	v_mov_b32_e32 v6, v31
	v_mov_b32_e32 v9, v7
	v_pk_mul_f32 v[6:7], v[66:67], v[6:7] op_sel:[1,0] op_sel_hi:[0,0]
	v_pk_add_f32 v[4:5], v[4:5], v[8:9]
	v_pk_fma_f32 v[8:9], v[66:67], v[30:31], v[6:7] neg_lo:[0,0,1] neg_hi:[0,0,1]
	v_pk_fma_f32 v[6:7], v[66:67], v[30:31], v[6:7] op_sel_hi:[1,0,1]
	s_nop 0
	v_mov_b32_e32 v9, v7
	s_waitcnt vmcnt(3) lgkmcnt(2)
	v_pk_mul_f32 v[6:7], v[68:69], v[32:33] op_sel:[1,1] op_sel_hi:[0,1]
	v_pk_add_f32 v[4:5], v[4:5], v[8:9]
	v_pk_fma_f32 v[8:9], v[68:69], v[32:33], v[6:7] neg_lo:[0,0,1] neg_hi:[0,0,1]
	v_pk_fma_f32 v[6:7], v[68:69], v[32:33], v[6:7] op_sel_hi:[1,0,1]
	s_nop 0
	v_mov_b32_e32 v6, v35
	v_mov_b32_e32 v9, v7
	v_pk_mul_f32 v[6:7], v[70:71], v[6:7] op_sel:[1,0] op_sel_hi:[0,0]
	v_pk_add_f32 v[4:5], v[4:5], v[8:9]
	v_pk_fma_f32 v[8:9], v[70:71], v[34:35], v[6:7] neg_lo:[0,0,1] neg_hi:[0,0,1]
	v_pk_fma_f32 v[6:7], v[70:71], v[34:35], v[6:7] op_sel_hi:[1,0,1]
	s_nop 0
	v_mov_b32_e32 v9, v7
	s_waitcnt vmcnt(2) lgkmcnt(1)
	v_pk_mul_f32 v[6:7], v[72:73], v[36:37] op_sel:[1,1] op_sel_hi:[0,1]
	v_pk_add_f32 v[4:5], v[4:5], v[8:9]
	v_pk_fma_f32 v[8:9], v[72:73], v[36:37], v[6:7] neg_lo:[0,0,1] neg_hi:[0,0,1]
	v_pk_fma_f32 v[6:7], v[72:73], v[36:37], v[6:7] op_sel_hi:[1,0,1]
	s_nop 0
	v_mov_b32_e32 v6, v39
	v_mov_b32_e32 v9, v7
	v_pk_mul_f32 v[6:7], v[74:75], v[6:7] op_sel:[1,0] op_sel_hi:[0,0]
	v_pk_add_f32 v[4:5], v[4:5], v[8:9]
	v_pk_fma_f32 v[8:9], v[74:75], v[38:39], v[6:7] neg_lo:[0,0,1] neg_hi:[0,0,1]
	v_pk_fma_f32 v[6:7], v[74:75], v[38:39], v[6:7] op_sel_hi:[1,0,1]
	s_nop 0
	v_mov_b32_e32 v9, v7
	s_waitcnt vmcnt(1) lgkmcnt(0)
	v_pk_mul_f32 v[6:7], v[80:81], v[76:77] op_sel:[1,1] op_sel_hi:[0,1]
	v_pk_add_f32 v[4:5], v[4:5], v[8:9]
	v_pk_fma_f32 v[8:9], v[80:81], v[76:77], v[6:7] neg_lo:[0,0,1] neg_hi:[0,0,1]
	v_pk_fma_f32 v[6:7], v[80:81], v[76:77], v[6:7] op_sel_hi:[1,0,1]
	s_nop 0
	v_mov_b32_e32 v9, v7
	v_pk_add_f32 v[4:5], v[4:5], v[8:9]
	s_waitcnt vmcnt(0)
	v_pk_add_f32 v[4:5], v[78:79], v[4:5] neg_lo:[0,1] neg_hi:[0,1]
	scratch_store_dwordx2 off, v[4:5], off offset:352
	s_and_saveexec_b64 s[0:1], vcc
	s_cbranch_execz .LBB127_311
; %bb.310:
	scratch_load_dwordx2 v[4:5], off, off offset:344
	v_mov_b32_e32 v3, v2
	scratch_store_dwordx2 off, v[2:3], off offset:344
	s_waitcnt vmcnt(1)
	ds_write_b64 v1, v[4:5]
.LBB127_311:
	s_or_b64 exec, exec, s[0:1]
	s_waitcnt lgkmcnt(0)
	; wave barrier
	scratch_load_dwordx4 v[4:7], off, off offset:352
	scratch_load_dwordx4 v[8:11], off, off offset:368
	;; [unrolled: 1-line block ×7, first 2 shown]
	ds_read_b128 v[32:35], v2 offset:864
	ds_read_b128 v[36:39], v2 offset:880
	;; [unrolled: 1-line block ×6, first 2 shown]
	scratch_load_dwordx4 v[56:59], off, off offset:464
	scratch_load_dwordx4 v[60:63], off, off offset:480
	;; [unrolled: 1-line block ×3, first 2 shown]
	ds_read_b128 v[68:71], v2 offset:960
	ds_read_b128 v[72:75], v2 offset:976
	;; [unrolled: 1-line block ×4, first 2 shown]
	scratch_load_dwordx2 v[2:3], off, off offset:344
	v_cmp_lt_u32_e32 vcc, 42, v0
	s_waitcnt vmcnt(10) lgkmcnt(9)
	v_mul_f32_e32 v90, v32, v5
	v_mul_f32_e32 v5, v33, v5
	;; [unrolled: 1-line block ×3, first 2 shown]
	s_waitcnt vmcnt(9) lgkmcnt(8)
	v_mul_f32_e32 v92, v36, v9
	s_waitcnt vmcnt(8) lgkmcnt(7)
	v_mul_f32_e32 v95, v42, v15
	v_mul_f32_e32 v7, v35, v7
	;; [unrolled: 1-line block ×4, first 2 shown]
	v_fmac_f32_e32 v90, v33, v4
	v_fma_f32 v4, v32, v4, -v5
	v_fmac_f32_e32 v91, v35, v6
	v_fmac_f32_e32 v95, v43, v14
	v_fma_f32 v5, v34, v6, -v7
	v_fma_f32 v6, v36, v8, -v9
	;; [unrolled: 1-line block ×3, first 2 shown]
	v_add_f32_e32 v14, 0, v90
	v_add_f32_e32 v4, 0, v4
	v_mul_f32_e32 v93, v38, v11
	v_mul_f32_e32 v11, v39, v11
	v_fmac_f32_e32 v92, v37, v8
	v_add_f32_e32 v14, v14, v91
	v_add_f32_e32 v4, v4, v5
	v_mul_f32_e32 v94, v40, v13
	v_mul_f32_e32 v13, v41, v13
	v_fmac_f32_e32 v93, v39, v10
	v_fma_f32 v7, v38, v10, -v11
	v_add_f32_e32 v5, v14, v92
	v_add_f32_e32 v4, v4, v6
	v_fmac_f32_e32 v94, v41, v12
	v_fma_f32 v8, v40, v12, -v13
	v_add_f32_e32 v5, v5, v93
	v_add_f32_e32 v4, v4, v7
	s_waitcnt vmcnt(7) lgkmcnt(6)
	v_mul_f32_e32 v96, v44, v17
	v_mul_f32_e32 v17, v45, v17
	v_add_f32_e32 v5, v5, v94
	v_add_f32_e32 v4, v4, v8
	v_mul_f32_e32 v97, v46, v19
	v_mul_f32_e32 v19, v47, v19
	v_fmac_f32_e32 v96, v45, v16
	v_fma_f32 v10, v44, v16, -v17
	v_add_f32_e32 v5, v5, v95
	v_add_f32_e32 v4, v4, v9
	s_waitcnt vmcnt(6) lgkmcnt(5)
	v_mul_f32_e32 v98, v48, v21
	v_mul_f32_e32 v21, v49, v21
	v_fmac_f32_e32 v97, v47, v18
	v_fma_f32 v11, v46, v18, -v19
	v_add_f32_e32 v5, v5, v96
	v_add_f32_e32 v4, v4, v10
	v_mul_f32_e32 v99, v50, v23
	v_mul_f32_e32 v23, v51, v23
	v_fmac_f32_e32 v98, v49, v20
	v_fma_f32 v12, v48, v20, -v21
	v_add_f32_e32 v5, v5, v97
	v_add_f32_e32 v4, v4, v11
	s_waitcnt vmcnt(5) lgkmcnt(4)
	v_mul_f32_e32 v85, v52, v25
	v_mul_f32_e32 v25, v53, v25
	v_fmac_f32_e32 v99, v51, v22
	v_fma_f32 v13, v50, v22, -v23
	v_add_f32_e32 v5, v5, v98
	v_add_f32_e32 v4, v4, v12
	v_mul_f32_e32 v87, v54, v27
	v_mul_f32_e32 v27, v55, v27
	s_waitcnt vmcnt(4) lgkmcnt(3)
	v_pk_mul_f32 v[88:89], v[68:69], v[28:29] op_sel:[1,1] op_sel_hi:[0,1]
	v_fmac_f32_e32 v85, v53, v24
	v_fma_f32 v84, v52, v24, -v25
	v_add_f32_e32 v5, v5, v99
	v_add_f32_e32 v4, v4, v13
	v_fmac_f32_e32 v87, v55, v26
	v_fma_f32 v86, v54, v26, -v27
	v_pk_add_f32 v[4:5], v[4:5], v[84:85]
	v_pk_fma_f32 v[6:7], v[68:69], v[28:29], v[88:89] neg_lo:[0,0,1] neg_hi:[0,0,1]
	v_pk_fma_f32 v[8:9], v[68:69], v[28:29], v[88:89] op_sel_hi:[1,0,1]
	v_pk_add_f32 v[4:5], v[4:5], v[86:87]
	v_mov_b32_e32 v7, v9
	v_pk_add_f32 v[4:5], v[4:5], v[6:7]
	v_mov_b32_e32 v6, v31
	v_pk_mul_f32 v[6:7], v[70:71], v[6:7] op_sel:[1,0] op_sel_hi:[0,0]
	v_pk_fma_f32 v[8:9], v[70:71], v[30:31], v[6:7] neg_lo:[0,0,1] neg_hi:[0,0,1]
	v_pk_fma_f32 v[6:7], v[70:71], v[30:31], v[6:7] op_sel_hi:[1,0,1]
	s_nop 0
	v_mov_b32_e32 v9, v7
	s_waitcnt vmcnt(3) lgkmcnt(2)
	v_pk_mul_f32 v[6:7], v[72:73], v[56:57] op_sel:[1,1] op_sel_hi:[0,1]
	v_pk_add_f32 v[4:5], v[4:5], v[8:9]
	v_pk_fma_f32 v[8:9], v[72:73], v[56:57], v[6:7] neg_lo:[0,0,1] neg_hi:[0,0,1]
	v_pk_fma_f32 v[6:7], v[72:73], v[56:57], v[6:7] op_sel_hi:[1,0,1]
	s_nop 0
	v_mov_b32_e32 v6, v59
	v_mov_b32_e32 v9, v7
	v_pk_mul_f32 v[6:7], v[74:75], v[6:7] op_sel:[1,0] op_sel_hi:[0,0]
	v_pk_add_f32 v[4:5], v[4:5], v[8:9]
	v_pk_fma_f32 v[8:9], v[74:75], v[58:59], v[6:7] neg_lo:[0,0,1] neg_hi:[0,0,1]
	v_pk_fma_f32 v[6:7], v[74:75], v[58:59], v[6:7] op_sel_hi:[1,0,1]
	s_nop 0
	v_mov_b32_e32 v9, v7
	s_waitcnt vmcnt(2) lgkmcnt(1)
	v_pk_mul_f32 v[6:7], v[76:77], v[60:61] op_sel:[1,1] op_sel_hi:[0,1]
	v_pk_add_f32 v[4:5], v[4:5], v[8:9]
	v_pk_fma_f32 v[8:9], v[76:77], v[60:61], v[6:7] neg_lo:[0,0,1] neg_hi:[0,0,1]
	v_pk_fma_f32 v[6:7], v[76:77], v[60:61], v[6:7] op_sel_hi:[1,0,1]
	s_nop 0
	v_mov_b32_e32 v6, v63
	v_mov_b32_e32 v9, v7
	v_pk_mul_f32 v[6:7], v[78:79], v[6:7] op_sel:[1,0] op_sel_hi:[0,0]
	v_pk_add_f32 v[4:5], v[4:5], v[8:9]
	;; [unrolled: 14-line block ×3, first 2 shown]
	v_pk_fma_f32 v[8:9], v[82:83], v[66:67], v[6:7] neg_lo:[0,0,1] neg_hi:[0,0,1]
	v_pk_fma_f32 v[6:7], v[82:83], v[66:67], v[6:7] op_sel_hi:[1,0,1]
	s_nop 0
	v_mov_b32_e32 v9, v7
	v_pk_add_f32 v[4:5], v[4:5], v[8:9]
	s_waitcnt vmcnt(0)
	v_pk_add_f32 v[2:3], v[2:3], v[4:5] neg_lo:[0,1] neg_hi:[0,1]
	scratch_store_dwordx2 off, v[2:3], off offset:344
	s_and_saveexec_b64 s[0:1], vcc
	s_cbranch_execz .LBB127_313
; %bb.312:
	scratch_load_dwordx2 v[2:3], off, off offset:336
	v_mov_b32_e32 v4, 0
	v_mov_b32_e32 v5, v4
	scratch_store_dwordx2 off, v[4:5], off offset:336
	s_waitcnt vmcnt(1)
	ds_write_b64 v1, v[2:3]
.LBB127_313:
	s_or_b64 exec, exec, s[0:1]
	s_waitcnt lgkmcnt(0)
	; wave barrier
	scratch_load_dwordx4 v[2:5], off, off offset:344
	scratch_load_dwordx4 v[8:11], off, off offset:360
	scratch_load_dwordx4 v[12:15], off, off offset:376
	scratch_load_dwordx4 v[16:19], off, off offset:392
	scratch_load_dwordx4 v[20:23], off, off offset:408
	scratch_load_dwordx4 v[24:27], off, off offset:424
	scratch_load_dwordx4 v[28:31], off, off offset:440
	scratch_load_dwordx4 v[32:35], off, off offset:456
	scratch_load_dwordx4 v[36:39], off, off offset:472
	scratch_load_dwordx4 v[40:43], off, off offset:488
	scratch_load_dwordx2 v[76:77], off, off offset:504
	scratch_load_dwordx2 v[78:79], off, off offset:336
	v_mov_b32_e32 v6, 0
	ds_read2_b64 v[44:47], v6 offset0:107 offset1:108
	ds_read2_b64 v[48:51], v6 offset0:109 offset1:110
	;; [unrolled: 1-line block ×8, first 2 shown]
	v_cmp_lt_u32_e32 vcc, 41, v0
	s_waitcnt vmcnt(11) lgkmcnt(7)
	v_mul_f32_e32 v7, v44, v3
	v_mul_f32_e32 v3, v45, v3
	v_mul_f32_e32 v80, v46, v5
	v_mul_f32_e32 v5, v47, v5
	v_fmac_f32_e32 v7, v45, v2
	v_fma_f32 v2, v44, v2, -v3
	s_waitcnt vmcnt(10) lgkmcnt(6)
	v_mul_f32_e32 v82, v48, v9
	v_mul_f32_e32 v9, v49, v9
	v_fma_f32 v3, v46, v4, -v5
	v_add_f32_e32 v2, 0, v2
	v_mul_f32_e32 v84, v50, v11
	v_mul_f32_e32 v11, v51, v11
	v_fmac_f32_e32 v80, v47, v4
	v_fma_f32 v4, v48, v8, -v9
	v_add_f32_e32 v7, 0, v7
	v_add_f32_e32 v2, v2, v3
	s_waitcnt vmcnt(9) lgkmcnt(5)
	v_mul_f32_e32 v85, v52, v13
	v_mul_f32_e32 v13, v53, v13
	v_fmac_f32_e32 v82, v49, v8
	v_fma_f32 v5, v50, v10, -v11
	v_add_f32_e32 v7, v7, v80
	v_add_f32_e32 v2, v2, v4
	v_mul_f32_e32 v86, v54, v15
	v_mul_f32_e32 v15, v55, v15
	v_fmac_f32_e32 v84, v51, v10
	v_fma_f32 v8, v52, v12, -v13
	v_add_f32_e32 v3, v7, v82
	v_add_f32_e32 v2, v2, v5
	s_waitcnt vmcnt(8) lgkmcnt(4)
	v_mul_f32_e32 v87, v56, v17
	v_mul_f32_e32 v17, v57, v17
	v_fmac_f32_e32 v85, v53, v12
	v_fma_f32 v9, v54, v14, -v15
	v_add_f32_e32 v3, v3, v84
	;; [unrolled: 13-line block ×4, first 2 shown]
	v_add_f32_e32 v2, v2, v12
	v_fmac_f32_e32 v90, v63, v22
	v_fma_f32 v14, v64, v24, -v25
	v_add_f32_e32 v3, v3, v89
	v_add_f32_e32 v2, v2, v13
	v_mul_f32_e32 v81, v66, v27
	v_fmac_f32_e32 v91, v65, v24
	v_add_f32_e32 v3, v3, v90
	v_add_f32_e32 v12, v2, v14
	v_mul_f32_e32 v2, v67, v27
	s_waitcnt vmcnt(5)
	v_mov_b32_e32 v16, v31
	s_waitcnt lgkmcnt(1)
	v_mul_f32_e32 v83, v68, v29
	v_fmac_f32_e32 v81, v67, v26
	v_add_f32_e32 v13, v3, v91
	v_fma_f32 v80, v66, v26, -v2
	v_mul_f32_e32 v2, v69, v29
	v_pk_mul_f32 v[16:17], v[70:71], v[16:17] op_sel:[1,0] op_sel_hi:[0,0]
	v_fmac_f32_e32 v83, v69, v28
	v_fma_f32 v82, v68, v28, -v2
	v_pk_add_f32 v[12:13], v[12:13], v[80:81]
	v_pk_fma_f32 v[18:19], v[70:71], v[30:31], v[16:17] neg_lo:[0,0,1] neg_hi:[0,0,1]
	v_pk_fma_f32 v[16:17], v[70:71], v[30:31], v[16:17] op_sel_hi:[1,0,1]
	v_pk_add_f32 v[12:13], v[12:13], v[82:83]
	v_mov_b32_e32 v19, v17
	s_waitcnt vmcnt(4) lgkmcnt(0)
	v_pk_mul_f32 v[16:17], v[72:73], v[32:33] op_sel:[1,1] op_sel_hi:[0,1]
	v_pk_add_f32 v[12:13], v[12:13], v[18:19]
	v_pk_fma_f32 v[18:19], v[72:73], v[32:33], v[16:17] neg_lo:[0,0,1] neg_hi:[0,0,1]
	v_pk_fma_f32 v[16:17], v[72:73], v[32:33], v[16:17] op_sel_hi:[1,0,1]
	ds_read2_b64 v[2:5], v6 offset0:123 offset1:124
	ds_read2_b64 v[8:11], v6 offset0:125 offset1:126
	ds_read_b64 v[14:15], v6 offset:1016
	v_mov_b32_e32 v16, v35
	v_mov_b32_e32 v19, v17
	v_pk_mul_f32 v[16:17], v[74:75], v[16:17] op_sel:[1,0] op_sel_hi:[0,0]
	v_pk_add_f32 v[12:13], v[12:13], v[18:19]
	v_pk_fma_f32 v[18:19], v[74:75], v[34:35], v[16:17] neg_lo:[0,0,1] neg_hi:[0,0,1]
	v_pk_fma_f32 v[16:17], v[74:75], v[34:35], v[16:17] op_sel_hi:[1,0,1]
	s_nop 0
	v_mov_b32_e32 v19, v17
	s_waitcnt vmcnt(3) lgkmcnt(2)
	v_pk_mul_f32 v[16:17], v[2:3], v[36:37] op_sel:[1,1] op_sel_hi:[0,1]
	v_pk_add_f32 v[12:13], v[12:13], v[18:19]
	v_pk_fma_f32 v[18:19], v[2:3], v[36:37], v[16:17] neg_lo:[0,0,1] neg_hi:[0,0,1]
	v_pk_fma_f32 v[2:3], v[2:3], v[36:37], v[16:17] op_sel_hi:[1,0,1]
	s_nop 0
	v_mov_b32_e32 v19, v3
	v_pk_add_f32 v[2:3], v[12:13], v[18:19]
	v_mov_b32_e32 v12, v39
	v_pk_mul_f32 v[12:13], v[4:5], v[12:13] op_sel:[1,0] op_sel_hi:[0,0]
	v_pk_fma_f32 v[16:17], v[4:5], v[38:39], v[12:13] neg_lo:[0,0,1] neg_hi:[0,0,1]
	v_pk_fma_f32 v[4:5], v[4:5], v[38:39], v[12:13] op_sel_hi:[1,0,1]
	s_nop 0
	v_mov_b32_e32 v17, v5
	s_waitcnt vmcnt(2) lgkmcnt(1)
	v_pk_mul_f32 v[4:5], v[8:9], v[40:41] op_sel:[1,1] op_sel_hi:[0,1]
	v_pk_fma_f32 v[12:13], v[8:9], v[40:41], v[4:5] neg_lo:[0,0,1] neg_hi:[0,0,1]
	v_pk_fma_f32 v[4:5], v[8:9], v[40:41], v[4:5] op_sel_hi:[1,0,1]
	v_pk_add_f32 v[2:3], v[2:3], v[16:17]
	v_mov_b32_e32 v4, v43
	v_mov_b32_e32 v13, v5
	v_pk_mul_f32 v[4:5], v[10:11], v[4:5] op_sel:[1,0] op_sel_hi:[0,0]
	v_pk_fma_f32 v[8:9], v[10:11], v[42:43], v[4:5] neg_lo:[0,0,1] neg_hi:[0,0,1]
	v_pk_fma_f32 v[4:5], v[10:11], v[42:43], v[4:5] op_sel_hi:[1,0,1]
	v_pk_add_f32 v[2:3], v[2:3], v[12:13]
	v_mov_b32_e32 v9, v5
	s_waitcnt vmcnt(1) lgkmcnt(0)
	v_pk_mul_f32 v[4:5], v[14:15], v[76:77] op_sel:[1,1] op_sel_hi:[0,1]
	v_pk_add_f32 v[2:3], v[2:3], v[8:9]
	v_pk_fma_f32 v[8:9], v[14:15], v[76:77], v[4:5] neg_lo:[0,0,1] neg_hi:[0,0,1]
	v_pk_fma_f32 v[4:5], v[14:15], v[76:77], v[4:5] op_sel_hi:[1,0,1]
	s_nop 0
	v_mov_b32_e32 v9, v5
	v_pk_add_f32 v[2:3], v[2:3], v[8:9]
	s_waitcnt vmcnt(0)
	v_pk_add_f32 v[2:3], v[78:79], v[2:3] neg_lo:[0,1] neg_hi:[0,1]
	scratch_store_dwordx2 off, v[2:3], off offset:336
	s_and_saveexec_b64 s[0:1], vcc
	s_cbranch_execz .LBB127_315
; %bb.314:
	scratch_load_dwordx2 v[2:3], off, off offset:328
	v_mov_b32_e32 v7, v6
	scratch_store_dwordx2 off, v[6:7], off offset:328
	s_waitcnt vmcnt(1)
	ds_write_b64 v1, v[2:3]
.LBB127_315:
	s_or_b64 exec, exec, s[0:1]
	s_waitcnt lgkmcnt(0)
	; wave barrier
	scratch_load_dwordx4 v[8:11], off, off offset:336
	scratch_load_dwordx4 v[12:15], off, off offset:352
	scratch_load_dwordx4 v[16:19], off, off offset:368
	scratch_load_dwordx4 v[20:23], off, off offset:384
	scratch_load_dwordx4 v[24:27], off, off offset:400
	scratch_load_dwordx4 v[28:31], off, off offset:416
	scratch_load_dwordx4 v[32:35], off, off offset:432
	ds_read_b128 v[36:39], v6 offset:848
	ds_read_b128 v[40:43], v6 offset:864
	;; [unrolled: 1-line block ×6, first 2 shown]
	scratch_load_dwordx4 v[60:63], off, off offset:448
	scratch_load_dwordx4 v[64:67], off, off offset:464
	;; [unrolled: 1-line block ×4, first 2 shown]
	ds_read_b128 v[72:75], v6 offset:944
	ds_read_b128 v[76:79], v6 offset:960
	scratch_load_dwordx2 v[80:81], off, off offset:328
	v_cmp_lt_u32_e32 vcc, 40, v0
	s_waitcnt vmcnt(11) lgkmcnt(7)
	v_mul_f32_e32 v7, v36, v9
	v_mul_f32_e32 v82, v38, v11
	;; [unrolled: 1-line block ×3, first 2 shown]
	v_fmac_f32_e32 v7, v37, v8
	s_waitcnt vmcnt(10) lgkmcnt(6)
	v_mul_f32_e32 v84, v40, v13
	v_mul_f32_e32 v11, v39, v11
	v_fmac_f32_e32 v82, v39, v10
	v_fma_f32 v8, v36, v8, -v9
	v_add_f32_e32 v7, 0, v7
	v_mul_f32_e32 v86, v42, v15
	v_mul_f32_e32 v13, v41, v13
	v_fmac_f32_e32 v84, v41, v12
	v_fma_f32 v9, v38, v10, -v11
	v_add_f32_e32 v8, 0, v8
	v_add_f32_e32 v7, v7, v82
	s_waitcnt vmcnt(9) lgkmcnt(5)
	v_mul_f32_e32 v87, v44, v17
	v_mul_f32_e32 v15, v43, v15
	v_fmac_f32_e32 v86, v43, v14
	v_fma_f32 v10, v40, v12, -v13
	v_add_f32_e32 v8, v8, v9
	v_add_f32_e32 v7, v7, v84
	v_mul_f32_e32 v88, v46, v19
	v_mul_f32_e32 v17, v45, v17
	v_fmac_f32_e32 v87, v45, v16
	v_fma_f32 v11, v42, v14, -v15
	v_add_f32_e32 v8, v8, v10
	v_add_f32_e32 v7, v7, v86
	s_waitcnt vmcnt(8) lgkmcnt(4)
	v_mul_f32_e32 v89, v48, v21
	v_mul_f32_e32 v19, v47, v19
	v_fmac_f32_e32 v88, v47, v18
	v_fma_f32 v12, v44, v16, -v17
	v_add_f32_e32 v8, v8, v11
	;; [unrolled: 13-line block ×4, first 2 shown]
	v_add_f32_e32 v7, v7, v91
	v_mul_f32_e32 v94, v58, v31
	v_mul_f32_e32 v29, v57, v29
	v_fmac_f32_e32 v93, v57, v28
	v_fma_f32 v17, v54, v26, -v27
	v_add_f32_e32 v8, v8, v16
	v_add_f32_e32 v7, v7, v92
	v_fmac_f32_e32 v94, v59, v30
	v_fma_f32 v18, v56, v28, -v29
	v_add_f32_e32 v8, v8, v17
	v_add_f32_e32 v7, v7, v93
	v_add_f32_e32 v21, v7, v94
	v_add_f32_e32 v7, v8, v18
	v_mul_f32_e32 v8, v59, v31
	v_fma_f32 v8, v58, v30, -v8
	s_waitcnt vmcnt(5) lgkmcnt(1)
	v_mul_f32_e32 v83, v72, v33
	v_add_f32_e32 v20, v7, v8
	v_mul_f32_e32 v7, v73, v33
	v_fmac_f32_e32 v83, v73, v32
	v_fma_f32 v82, v72, v32, -v7
	v_mul_f32_e32 v7, v75, v35
	v_fma_f32 v84, v74, v34, -v7
	ds_read_b128 v[8:11], v6 offset:976
	ds_read_b128 v[12:15], v6 offset:992
	;; [unrolled: 1-line block ×3, first 2 shown]
	v_pk_add_f32 v[6:7], v[20:21], v[82:83]
	s_waitcnt vmcnt(4) lgkmcnt(3)
	v_pk_mul_f32 v[20:21], v[76:77], v[60:61] op_sel:[1,1] op_sel_hi:[0,1]
	v_mul_f32_e32 v85, v74, v35
	v_pk_fma_f32 v[22:23], v[76:77], v[60:61], v[20:21] neg_lo:[0,0,1] neg_hi:[0,0,1]
	v_pk_fma_f32 v[20:21], v[76:77], v[60:61], v[20:21] op_sel_hi:[1,0,1]
	v_fmac_f32_e32 v85, v75, v34
	v_mov_b32_e32 v20, v63
	v_pk_add_f32 v[6:7], v[6:7], v[84:85]
	v_mov_b32_e32 v23, v21
	v_pk_mul_f32 v[20:21], v[78:79], v[20:21] op_sel:[1,0] op_sel_hi:[0,0]
	v_pk_add_f32 v[6:7], v[6:7], v[22:23]
	v_pk_fma_f32 v[22:23], v[78:79], v[62:63], v[20:21] neg_lo:[0,0,1] neg_hi:[0,0,1]
	v_pk_fma_f32 v[20:21], v[78:79], v[62:63], v[20:21] op_sel_hi:[1,0,1]
	s_nop 0
	v_mov_b32_e32 v23, v21
	s_waitcnt vmcnt(3) lgkmcnt(2)
	v_pk_mul_f32 v[20:21], v[8:9], v[64:65] op_sel:[1,1] op_sel_hi:[0,1]
	v_pk_add_f32 v[6:7], v[6:7], v[22:23]
	v_pk_fma_f32 v[22:23], v[8:9], v[64:65], v[20:21] neg_lo:[0,0,1] neg_hi:[0,0,1]
	v_pk_fma_f32 v[8:9], v[8:9], v[64:65], v[20:21] op_sel_hi:[1,0,1]
	s_nop 0
	v_mov_b32_e32 v8, v67
	v_mov_b32_e32 v23, v9
	v_pk_mul_f32 v[8:9], v[10:11], v[8:9] op_sel:[1,0] op_sel_hi:[0,0]
	v_pk_fma_f32 v[20:21], v[10:11], v[66:67], v[8:9] neg_lo:[0,0,1] neg_hi:[0,0,1]
	v_pk_fma_f32 v[8:9], v[10:11], v[66:67], v[8:9] op_sel_hi:[1,0,1]
	v_pk_add_f32 v[6:7], v[6:7], v[22:23]
	v_mov_b32_e32 v21, v9
	s_waitcnt vmcnt(2) lgkmcnt(1)
	v_pk_mul_f32 v[8:9], v[12:13], v[68:69] op_sel:[1,1] op_sel_hi:[0,1]
	v_pk_fma_f32 v[10:11], v[12:13], v[68:69], v[8:9] neg_lo:[0,0,1] neg_hi:[0,0,1]
	v_pk_fma_f32 v[8:9], v[12:13], v[68:69], v[8:9] op_sel_hi:[1,0,1]
	v_pk_add_f32 v[6:7], v[6:7], v[20:21]
	v_mov_b32_e32 v8, v71
	v_mov_b32_e32 v11, v9
	v_pk_mul_f32 v[8:9], v[14:15], v[8:9] op_sel:[1,0] op_sel_hi:[0,0]
	v_pk_add_f32 v[6:7], v[6:7], v[10:11]
	v_pk_fma_f32 v[10:11], v[14:15], v[70:71], v[8:9] neg_lo:[0,0,1] neg_hi:[0,0,1]
	v_pk_fma_f32 v[8:9], v[14:15], v[70:71], v[8:9] op_sel_hi:[1,0,1]
	s_nop 0
	v_mov_b32_e32 v11, v9
	s_waitcnt vmcnt(1) lgkmcnt(0)
	v_pk_mul_f32 v[8:9], v[16:17], v[2:3] op_sel:[1,1] op_sel_hi:[0,1]
	v_pk_add_f32 v[6:7], v[6:7], v[10:11]
	v_pk_fma_f32 v[10:11], v[16:17], v[2:3], v[8:9] neg_lo:[0,0,1] neg_hi:[0,0,1]
	v_pk_fma_f32 v[2:3], v[16:17], v[2:3], v[8:9] op_sel_hi:[1,0,1]
	s_nop 0
	v_mov_b32_e32 v11, v3
	v_pk_add_f32 v[2:3], v[6:7], v[10:11]
	v_mov_b32_e32 v6, v5
	v_pk_mul_f32 v[6:7], v[18:19], v[6:7] op_sel:[1,0] op_sel_hi:[0,0]
	v_pk_fma_f32 v[8:9], v[18:19], v[4:5], v[6:7] neg_lo:[0,0,1] neg_hi:[0,0,1]
	v_pk_fma_f32 v[4:5], v[18:19], v[4:5], v[6:7] op_sel_hi:[1,0,1]
	s_nop 0
	v_mov_b32_e32 v9, v5
	v_pk_add_f32 v[2:3], v[2:3], v[8:9]
	s_waitcnt vmcnt(0)
	v_pk_add_f32 v[2:3], v[80:81], v[2:3] neg_lo:[0,1] neg_hi:[0,1]
	scratch_store_dwordx2 off, v[2:3], off offset:328
	s_and_saveexec_b64 s[0:1], vcc
	s_cbranch_execz .LBB127_317
; %bb.316:
	scratch_load_dwordx2 v[2:3], off, off offset:320
	v_mov_b32_e32 v4, 0
	v_mov_b32_e32 v5, v4
	scratch_store_dwordx2 off, v[4:5], off offset:320
	s_waitcnt vmcnt(1)
	ds_write_b64 v1, v[2:3]
.LBB127_317:
	s_or_b64 exec, exec, s[0:1]
	s_waitcnt lgkmcnt(0)
	; wave barrier
	scratch_load_dwordx4 v[2:5], off, off offset:328
	scratch_load_dwordx4 v[14:17], off, off offset:344
	;; [unrolled: 1-line block ×11, first 2 shown]
	scratch_load_dwordx2 v[22:23], off, off offset:504
	scratch_load_dwordx2 v[36:37], off, off offset:320
	v_mov_b32_e32 v38, 0
	ds_read2_b64 v[52:55], v38 offset0:105 offset1:106
	ds_read2_b64 v[56:59], v38 offset0:107 offset1:108
	;; [unrolled: 1-line block ×8, first 2 shown]
	v_cmp_lt_u32_e32 vcc, 39, v0
	s_waitcnt vmcnt(12) lgkmcnt(7)
	v_mul_f32_e32 v39, v52, v3
	v_mul_f32_e32 v84, v54, v5
	;; [unrolled: 1-line block ×3, first 2 shown]
	v_fmac_f32_e32 v39, v53, v2
	s_waitcnt vmcnt(8) lgkmcnt(3)
	v_mul_f32_e32 v93, v68, v19
	v_mul_f32_e32 v19, v69, v19
	;; [unrolled: 1-line block ×4, first 2 shown]
	v_fmac_f32_e32 v84, v55, v4
	v_fmac_f32_e32 v93, v69, v18
	v_fma_f32 v2, v52, v2, -v3
	v_fma_f32 v18, v68, v18, -v19
	v_add_f32_e32 v19, 0, v39
	v_mul_f32_e32 v88, v58, v17
	v_fmac_f32_e32 v86, v57, v14
	v_fma_f32 v3, v54, v4, -v5
	v_add_f32_e32 v2, 0, v2
	v_add_f32_e32 v19, v19, v84
	v_mul_f32_e32 v89, v60, v25
	v_fmac_f32_e32 v88, v59, v16
	v_add_f32_e32 v2, v2, v3
	v_add_f32_e32 v3, v19, v86
	v_mul_f32_e32 v90, v62, v27
	v_fmac_f32_e32 v89, v61, v24
	v_add_f32_e32 v3, v3, v88
	v_mul_f32_e32 v91, v64, v29
	v_mul_f32_e32 v15, v57, v15
	v_fmac_f32_e32 v90, v63, v26
	v_add_f32_e32 v3, v3, v89
	v_mul_f32_e32 v92, v66, v31
	v_mul_f32_e32 v17, v59, v17
	v_fmac_f32_e32 v91, v65, v28
	v_fma_f32 v4, v56, v14, -v15
	v_add_f32_e32 v3, v3, v90
	v_mul_f32_e32 v25, v61, v25
	v_fmac_f32_e32 v92, v67, v30
	v_fma_f32 v5, v58, v16, -v17
	v_add_f32_e32 v2, v2, v4
	v_add_f32_e32 v3, v3, v91
	v_mul_f32_e32 v94, v70, v21
	v_mul_f32_e32 v27, v63, v27
	v_fma_f32 v14, v60, v24, -v25
	v_add_f32_e32 v2, v2, v5
	v_add_f32_e32 v3, v3, v92
	s_waitcnt vmcnt(7) lgkmcnt(2)
	v_mul_f32_e32 v95, v72, v33
	v_mul_f32_e32 v29, v65, v29
	v_fmac_f32_e32 v94, v71, v20
	v_fma_f32 v15, v62, v26, -v27
	v_add_f32_e32 v2, v2, v14
	v_add_f32_e32 v3, v3, v93
	v_mul_f32_e32 v96, v74, v35
	v_mul_f32_e32 v31, v67, v31
	v_fmac_f32_e32 v95, v73, v32
	v_fma_f32 v16, v64, v28, -v29
	v_add_f32_e32 v2, v2, v15
	v_add_f32_e32 v3, v3, v94
	s_waitcnt vmcnt(6) lgkmcnt(1)
	v_mul_f32_e32 v97, v76, v41
	v_fmac_f32_e32 v96, v75, v34
	v_fma_f32 v17, v66, v30, -v31
	v_add_f32_e32 v2, v2, v16
	v_add_f32_e32 v3, v3, v95
	v_mul_f32_e32 v21, v71, v21
	v_fmac_f32_e32 v97, v77, v40
	v_add_f32_e32 v2, v2, v17
	v_add_f32_e32 v3, v3, v96
	;; [unrolled: 1-line block ×4, first 2 shown]
	v_fma_f32 v3, v70, v20, -v21
	v_add_f32_e32 v2, v2, v3
	v_mul_f32_e32 v3, v73, v33
	v_fma_f32 v3, v72, v32, -v3
	v_add_f32_e32 v2, v2, v3
	v_mul_f32_e32 v3, v75, v35
	v_fma_f32 v3, v74, v34, -v3
	v_add_f32_e32 v2, v2, v3
	v_mul_f32_e32 v3, v77, v41
	v_fma_f32 v3, v76, v40, -v3
	v_add_f32_e32 v24, v2, v3
	v_mul_f32_e32 v2, v79, v43
	v_mul_f32_e32 v85, v78, v43
	v_fma_f32 v84, v78, v42, -v2
	s_waitcnt vmcnt(5) lgkmcnt(0)
	v_mul_f32_e32 v2, v81, v45
	v_mov_b32_e32 v28, v47
	v_mul_f32_e32 v87, v80, v45
	v_fmac_f32_e32 v85, v79, v42
	v_fma_f32 v86, v80, v44, -v2
	ds_read2_b64 v[2:5], v38 offset0:121 offset1:122
	ds_read2_b64 v[14:17], v38 offset0:123 offset1:124
	;; [unrolled: 1-line block ×3, first 2 shown]
	ds_read_b64 v[26:27], v38 offset:1016
	v_pk_mul_f32 v[28:29], v[82:83], v[28:29] op_sel:[1,0] op_sel_hi:[0,0]
	v_fmac_f32_e32 v87, v81, v44
	v_pk_add_f32 v[24:25], v[24:25], v[84:85]
	v_pk_fma_f32 v[30:31], v[82:83], v[46:47], v[28:29] neg_lo:[0,0,1] neg_hi:[0,0,1]
	v_pk_fma_f32 v[28:29], v[82:83], v[46:47], v[28:29] op_sel_hi:[1,0,1]
	v_pk_add_f32 v[24:25], v[24:25], v[86:87]
	v_mov_b32_e32 v31, v29
	s_waitcnt vmcnt(4) lgkmcnt(3)
	v_pk_mul_f32 v[28:29], v[2:3], v[48:49] op_sel:[1,1] op_sel_hi:[0,1]
	v_pk_add_f32 v[24:25], v[24:25], v[30:31]
	v_pk_fma_f32 v[30:31], v[2:3], v[48:49], v[28:29] neg_lo:[0,0,1] neg_hi:[0,0,1]
	v_pk_fma_f32 v[2:3], v[2:3], v[48:49], v[28:29] op_sel_hi:[1,0,1]
	s_nop 0
	v_mov_b32_e32 v31, v3
	v_pk_add_f32 v[2:3], v[24:25], v[30:31]
	v_mov_b32_e32 v24, v51
	v_pk_mul_f32 v[24:25], v[4:5], v[24:25] op_sel:[1,0] op_sel_hi:[0,0]
	v_pk_fma_f32 v[28:29], v[4:5], v[50:51], v[24:25] neg_lo:[0,0,1] neg_hi:[0,0,1]
	v_pk_fma_f32 v[4:5], v[4:5], v[50:51], v[24:25] op_sel_hi:[1,0,1]
	s_nop 0
	v_mov_b32_e32 v29, v5
	s_waitcnt vmcnt(3) lgkmcnt(2)
	v_pk_mul_f32 v[4:5], v[14:15], v[10:11] op_sel:[1,1] op_sel_hi:[0,1]
	v_pk_fma_f32 v[24:25], v[14:15], v[10:11], v[4:5] neg_lo:[0,0,1] neg_hi:[0,0,1]
	v_pk_fma_f32 v[4:5], v[14:15], v[10:11], v[4:5] op_sel_hi:[1,0,1]
	v_pk_add_f32 v[2:3], v[2:3], v[28:29]
	v_mov_b32_e32 v4, v13
	v_mov_b32_e32 v25, v5
	v_pk_mul_f32 v[4:5], v[16:17], v[4:5] op_sel:[1,0] op_sel_hi:[0,0]
	v_pk_fma_f32 v[10:11], v[16:17], v[12:13], v[4:5] neg_lo:[0,0,1] neg_hi:[0,0,1]
	v_pk_fma_f32 v[4:5], v[16:17], v[12:13], v[4:5] op_sel_hi:[1,0,1]
	v_pk_add_f32 v[2:3], v[2:3], v[24:25]
	v_mov_b32_e32 v11, v5
	s_waitcnt vmcnt(2) lgkmcnt(1)
	v_pk_mul_f32 v[4:5], v[18:19], v[6:7] op_sel:[1,1] op_sel_hi:[0,1]
	v_pk_add_f32 v[2:3], v[2:3], v[10:11]
	v_pk_fma_f32 v[10:11], v[18:19], v[6:7], v[4:5] neg_lo:[0,0,1] neg_hi:[0,0,1]
	v_pk_fma_f32 v[4:5], v[18:19], v[6:7], v[4:5] op_sel_hi:[1,0,1]
	s_nop 0
	v_mov_b32_e32 v4, v9
	v_mov_b32_e32 v11, v5
	v_pk_mul_f32 v[4:5], v[20:21], v[4:5] op_sel:[1,0] op_sel_hi:[0,0]
	v_pk_fma_f32 v[6:7], v[20:21], v[8:9], v[4:5] neg_lo:[0,0,1] neg_hi:[0,0,1]
	v_pk_fma_f32 v[4:5], v[20:21], v[8:9], v[4:5] op_sel_hi:[1,0,1]
	v_pk_add_f32 v[2:3], v[2:3], v[10:11]
	v_mov_b32_e32 v7, v5
	s_waitcnt vmcnt(1) lgkmcnt(0)
	v_pk_mul_f32 v[4:5], v[26:27], v[22:23] op_sel:[1,1] op_sel_hi:[0,1]
	v_pk_add_f32 v[2:3], v[2:3], v[6:7]
	v_pk_fma_f32 v[6:7], v[26:27], v[22:23], v[4:5] neg_lo:[0,0,1] neg_hi:[0,0,1]
	v_pk_fma_f32 v[4:5], v[26:27], v[22:23], v[4:5] op_sel_hi:[1,0,1]
	s_nop 0
	v_mov_b32_e32 v7, v5
	v_pk_add_f32 v[2:3], v[2:3], v[6:7]
	s_waitcnt vmcnt(0)
	v_pk_add_f32 v[2:3], v[36:37], v[2:3] neg_lo:[0,1] neg_hi:[0,1]
	scratch_store_dwordx2 off, v[2:3], off offset:320
	s_and_saveexec_b64 s[0:1], vcc
	s_cbranch_execz .LBB127_319
; %bb.318:
	scratch_load_dwordx2 v[2:3], off, off offset:312
	v_mov_b32_e32 v39, v38
	scratch_store_dwordx2 off, v[38:39], off offset:312
	s_waitcnt vmcnt(1)
	ds_write_b64 v1, v[2:3]
.LBB127_319:
	s_or_b64 exec, exec, s[0:1]
	s_waitcnt lgkmcnt(0)
	; wave barrier
	scratch_load_dwordx4 v[6:9], off, off offset:320
	scratch_load_dwordx4 v[18:21], off, off offset:336
	;; [unrolled: 1-line block ×8, first 2 shown]
	ds_read_b128 v[48:51], v38 offset:832
	ds_read_b128 v[52:55], v38 offset:848
	;; [unrolled: 1-line block ×8, first 2 shown]
	scratch_load_dwordx4 v[80:83], off, off offset:448
	scratch_load_dwordx4 v[26:29], off, off offset:464
	;; [unrolled: 1-line block ×4, first 2 shown]
	scratch_load_dwordx2 v[84:85], off, off offset:312
	v_cmp_lt_u32_e32 vcc, 38, v0
	s_waitcnt vmcnt(12) lgkmcnt(7)
	v_mul_f32_e32 v39, v48, v7
	v_mul_f32_e32 v86, v50, v9
	;; [unrolled: 1-line block ×3, first 2 shown]
	v_fmac_f32_e32 v39, v49, v6
	s_waitcnt vmcnt(8) lgkmcnt(3)
	v_mul_f32_e32 v95, v64, v15
	v_mul_f32_e32 v15, v65, v15
	;; [unrolled: 1-line block ×4, first 2 shown]
	v_fmac_f32_e32 v86, v51, v8
	v_fmac_f32_e32 v95, v65, v14
	v_fma_f32 v6, v48, v6, -v7
	v_fma_f32 v14, v64, v14, -v15
	v_add_f32_e32 v15, 0, v39
	v_mul_f32_e32 v90, v54, v21
	v_fmac_f32_e32 v88, v53, v18
	v_fma_f32 v7, v50, v8, -v9
	v_add_f32_e32 v6, 0, v6
	v_add_f32_e32 v15, v15, v86
	v_mul_f32_e32 v91, v56, v35
	v_fmac_f32_e32 v90, v55, v20
	v_add_f32_e32 v6, v6, v7
	v_add_f32_e32 v7, v15, v88
	v_mul_f32_e32 v92, v58, v37
	v_fmac_f32_e32 v91, v57, v34
	v_add_f32_e32 v7, v7, v90
	v_mul_f32_e32 v93, v60, v41
	v_fmac_f32_e32 v92, v59, v36
	;; [unrolled: 3-line block ×4, first 2 shown]
	v_add_f32_e32 v7, v7, v93
	v_mul_f32_e32 v96, v66, v17
	v_mul_f32_e32 v21, v55, v21
	v_fma_f32 v8, v52, v18, -v19
	v_add_f32_e32 v7, v7, v94
	s_waitcnt vmcnt(7) lgkmcnt(2)
	v_mul_f32_e32 v97, v68, v23
	v_mul_f32_e32 v35, v57, v35
	v_fmac_f32_e32 v96, v67, v16
	v_fma_f32 v9, v54, v20, -v21
	v_add_f32_e32 v6, v6, v8
	v_add_f32_e32 v7, v7, v95
	v_mul_f32_e32 v98, v70, v25
	v_mul_f32_e32 v37, v59, v37
	v_fmac_f32_e32 v97, v69, v22
	v_fma_f32 v18, v56, v34, -v35
	v_add_f32_e32 v6, v6, v9
	v_add_f32_e32 v7, v7, v96
	s_waitcnt vmcnt(6) lgkmcnt(1)
	v_mul_f32_e32 v99, v72, v31
	v_mul_f32_e32 v41, v61, v41
	v_fmac_f32_e32 v98, v71, v24
	v_fma_f32 v19, v58, v36, -v37
	v_add_f32_e32 v6, v6, v18
	v_add_f32_e32 v7, v7, v97
	v_mul_f32_e32 v100, v74, v33
	v_mul_f32_e32 v43, v63, v43
	v_fmac_f32_e32 v99, v73, v30
	v_fma_f32 v20, v60, v40, -v41
	v_add_f32_e32 v6, v6, v19
	v_add_f32_e32 v7, v7, v98
	v_fmac_f32_e32 v100, v75, v32
	v_fma_f32 v21, v62, v42, -v43
	v_add_f32_e32 v6, v6, v20
	v_add_f32_e32 v7, v7, v99
	;; [unrolled: 1-line block ×4, first 2 shown]
	v_mul_f32_e32 v7, v67, v17
	v_add_f32_e32 v6, v6, v14
	v_fma_f32 v7, v66, v16, -v7
	v_add_f32_e32 v6, v6, v7
	v_mul_f32_e32 v7, v69, v23
	v_fma_f32 v7, v68, v22, -v7
	v_add_f32_e32 v6, v6, v7
	v_mul_f32_e32 v7, v71, v25
	;; [unrolled: 3-line block ×4, first 2 shown]
	v_fma_f32 v7, v74, v32, -v7
	v_add_f32_e32 v34, v6, v7
	s_waitcnt vmcnt(5) lgkmcnt(0)
	v_mul_f32_e32 v6, v77, v45
	v_fma_f32 v86, v76, v44, -v6
	v_mul_f32_e32 v6, v79, v47
	v_fma_f32 v88, v78, v46, -v6
	ds_read_b128 v[6:9], v38 offset:960
	ds_read_b128 v[14:17], v38 offset:976
	;; [unrolled: 1-line block ×4, first 2 shown]
	v_mul_f32_e32 v87, v76, v45
	v_mul_f32_e32 v89, v78, v47
	v_fmac_f32_e32 v87, v77, v44
	s_waitcnt vmcnt(4) lgkmcnt(3)
	v_pk_mul_f32 v[32:33], v[6:7], v[80:81] op_sel:[1,1] op_sel_hi:[0,1]
	v_fmac_f32_e32 v89, v79, v46
	v_pk_add_f32 v[30:31], v[34:35], v[86:87]
	v_pk_fma_f32 v[34:35], v[6:7], v[80:81], v[32:33] neg_lo:[0,0,1] neg_hi:[0,0,1]
	v_pk_fma_f32 v[6:7], v[6:7], v[80:81], v[32:33] op_sel_hi:[1,0,1]
	v_pk_add_f32 v[30:31], v[30:31], v[88:89]
	v_mov_b32_e32 v35, v7
	v_pk_add_f32 v[6:7], v[30:31], v[34:35]
	v_mov_b32_e32 v30, v83
	v_pk_mul_f32 v[30:31], v[8:9], v[30:31] op_sel:[1,0] op_sel_hi:[0,0]
	v_pk_fma_f32 v[32:33], v[8:9], v[82:83], v[30:31] neg_lo:[0,0,1] neg_hi:[0,0,1]
	v_pk_fma_f32 v[8:9], v[8:9], v[82:83], v[30:31] op_sel_hi:[1,0,1]
	s_nop 0
	v_mov_b32_e32 v33, v9
	s_waitcnt vmcnt(3) lgkmcnt(2)
	v_pk_mul_f32 v[8:9], v[14:15], v[26:27] op_sel:[1,1] op_sel_hi:[0,1]
	v_pk_fma_f32 v[30:31], v[14:15], v[26:27], v[8:9] neg_lo:[0,0,1] neg_hi:[0,0,1]
	v_pk_fma_f32 v[8:9], v[14:15], v[26:27], v[8:9] op_sel_hi:[1,0,1]
	v_pk_add_f32 v[6:7], v[6:7], v[32:33]
	v_mov_b32_e32 v8, v29
	v_mov_b32_e32 v31, v9
	v_pk_mul_f32 v[8:9], v[16:17], v[8:9] op_sel:[1,0] op_sel_hi:[0,0]
	v_pk_fma_f32 v[14:15], v[16:17], v[28:29], v[8:9] neg_lo:[0,0,1] neg_hi:[0,0,1]
	v_pk_fma_f32 v[8:9], v[16:17], v[28:29], v[8:9] op_sel_hi:[1,0,1]
	v_pk_add_f32 v[6:7], v[6:7], v[30:31]
	v_mov_b32_e32 v15, v9
	s_waitcnt vmcnt(2) lgkmcnt(1)
	v_pk_mul_f32 v[8:9], v[18:19], v[10:11] op_sel:[1,1] op_sel_hi:[0,1]
	v_pk_add_f32 v[6:7], v[6:7], v[14:15]
	v_pk_fma_f32 v[14:15], v[18:19], v[10:11], v[8:9] neg_lo:[0,0,1] neg_hi:[0,0,1]
	v_pk_fma_f32 v[8:9], v[18:19], v[10:11], v[8:9] op_sel_hi:[1,0,1]
	s_nop 0
	v_mov_b32_e32 v8, v13
	v_mov_b32_e32 v15, v9
	v_pk_mul_f32 v[8:9], v[20:21], v[8:9] op_sel:[1,0] op_sel_hi:[0,0]
	v_pk_fma_f32 v[10:11], v[20:21], v[12:13], v[8:9] neg_lo:[0,0,1] neg_hi:[0,0,1]
	v_pk_fma_f32 v[8:9], v[20:21], v[12:13], v[8:9] op_sel_hi:[1,0,1]
	v_pk_add_f32 v[6:7], v[6:7], v[14:15]
	v_mov_b32_e32 v11, v9
	s_waitcnt vmcnt(1) lgkmcnt(0)
	v_pk_mul_f32 v[8:9], v[22:23], v[2:3] op_sel:[1,1] op_sel_hi:[0,1]
	v_pk_add_f32 v[6:7], v[6:7], v[10:11]
	v_pk_fma_f32 v[10:11], v[22:23], v[2:3], v[8:9] neg_lo:[0,0,1] neg_hi:[0,0,1]
	v_pk_fma_f32 v[2:3], v[22:23], v[2:3], v[8:9] op_sel_hi:[1,0,1]
	s_nop 0
	v_mov_b32_e32 v11, v3
	v_pk_add_f32 v[2:3], v[6:7], v[10:11]
	v_mov_b32_e32 v6, v5
	v_pk_mul_f32 v[6:7], v[24:25], v[6:7] op_sel:[1,0] op_sel_hi:[0,0]
	v_pk_fma_f32 v[8:9], v[24:25], v[4:5], v[6:7] neg_lo:[0,0,1] neg_hi:[0,0,1]
	v_pk_fma_f32 v[4:5], v[24:25], v[4:5], v[6:7] op_sel_hi:[1,0,1]
	s_nop 0
	v_mov_b32_e32 v9, v5
	v_pk_add_f32 v[2:3], v[2:3], v[8:9]
	s_waitcnt vmcnt(0)
	v_pk_add_f32 v[2:3], v[84:85], v[2:3] neg_lo:[0,1] neg_hi:[0,1]
	scratch_store_dwordx2 off, v[2:3], off offset:312
	s_and_saveexec_b64 s[0:1], vcc
	s_cbranch_execz .LBB127_321
; %bb.320:
	scratch_load_dwordx2 v[2:3], off, off offset:304
	v_mov_b32_e32 v4, 0
	v_mov_b32_e32 v5, v4
	scratch_store_dwordx2 off, v[4:5], off offset:304
	s_waitcnt vmcnt(1)
	ds_write_b64 v1, v[2:3]
.LBB127_321:
	s_or_b64 exec, exec, s[0:1]
	s_waitcnt lgkmcnt(0)
	; wave barrier
	scratch_load_dwordx4 v[2:5], off, off offset:312
	scratch_load_dwordx4 v[22:25], off, off offset:328
	;; [unrolled: 1-line block ×12, first 2 shown]
	scratch_load_dwordx2 v[50:51], off, off offset:504
	scratch_load_dwordx2 v[56:57], off, off offset:304
	v_mov_b32_e32 v58, 0
	ds_read2_b64 v[52:55], v58 offset0:103 offset1:104
	ds_read2_b64 v[60:63], v58 offset0:105 offset1:106
	;; [unrolled: 1-line block ×10, first 2 shown]
	v_cmp_lt_u32_e32 vcc, 37, v0
	s_waitcnt vmcnt(13) lgkmcnt(9)
	v_mul_f32_e32 v59, v52, v3
	v_mul_f32_e32 v96, v54, v5
	;; [unrolled: 1-line block ×3, first 2 shown]
	s_waitcnt vmcnt(10) lgkmcnt(6)
	v_mul_f32_e32 v103, v68, v11
	v_mul_f32_e32 v11, v69, v11
	v_fmac_f32_e32 v59, v53, v2
	v_mul_f32_e32 v98, v60, v23
	v_mul_f32_e32 v5, v55, v5
	v_fmac_f32_e32 v96, v55, v4
	v_fmac_f32_e32 v103, v69, v10
	v_fma_f32 v2, v52, v2, -v3
	v_fma_f32 v10, v68, v10, -v11
	v_add_f32_e32 v11, 0, v59
	v_mul_f32_e32 v100, v62, v25
	v_fmac_f32_e32 v98, v61, v22
	v_fma_f32 v3, v54, v4, -v5
	v_add_f32_e32 v2, 0, v2
	v_add_f32_e32 v11, v11, v96
	v_mul_f32_e32 v101, v64, v39
	v_fmac_f32_e32 v100, v63, v24
	v_add_f32_e32 v2, v2, v3
	v_add_f32_e32 v3, v11, v98
	v_mul_f32_e32 v102, v66, v41
	v_fmac_f32_e32 v101, v65, v38
	v_add_f32_e32 v3, v3, v100
	v_fmac_f32_e32 v102, v67, v40
	v_add_f32_e32 v3, v3, v101
	v_mul_f32_e32 v104, v70, v13
	v_add_f32_e32 v3, v3, v102
	s_waitcnt vmcnt(9) lgkmcnt(5)
	v_mul_f32_e32 v105, v72, v15
	v_fmac_f32_e32 v104, v71, v12
	v_add_f32_e32 v3, v3, v103
	v_mul_f32_e32 v106, v74, v17
	v_fmac_f32_e32 v105, v73, v14
	v_add_f32_e32 v3, v3, v104
	s_waitcnt vmcnt(8) lgkmcnt(4)
	v_mul_f32_e32 v107, v76, v27
	v_fmac_f32_e32 v106, v75, v16
	v_add_f32_e32 v3, v3, v105
	v_mul_f32_e32 v108, v78, v29
	v_mul_f32_e32 v23, v61, v23
	v_fmac_f32_e32 v107, v77, v26
	v_add_f32_e32 v3, v3, v106
	s_waitcnt vmcnt(7) lgkmcnt(3)
	v_mul_f32_e32 v109, v80, v31
	v_mul_f32_e32 v25, v63, v25
	v_fmac_f32_e32 v108, v79, v28
	v_fma_f32 v4, v60, v22, -v23
	v_add_f32_e32 v3, v3, v107
	v_mul_f32_e32 v110, v82, v33
	v_mul_f32_e32 v39, v65, v39
	v_fmac_f32_e32 v109, v81, v30
	v_fma_f32 v5, v62, v24, -v25
	v_add_f32_e32 v2, v2, v4
	v_add_f32_e32 v3, v3, v108
	s_waitcnt vmcnt(6) lgkmcnt(2)
	v_mul_f32_e32 v111, v84, v43
	v_mul_f32_e32 v41, v67, v41
	v_fmac_f32_e32 v110, v83, v32
	v_fma_f32 v22, v64, v38, -v39
	v_add_f32_e32 v2, v2, v5
	v_add_f32_e32 v3, v3, v109
	v_fmac_f32_e32 v111, v85, v42
	v_fma_f32 v23, v66, v40, -v41
	v_add_f32_e32 v2, v2, v22
	v_add_f32_e32 v3, v3, v110
	;; [unrolled: 1-line block ×4, first 2 shown]
	v_mul_f32_e32 v3, v71, v13
	v_add_f32_e32 v2, v2, v10
	v_fma_f32 v3, v70, v12, -v3
	v_add_f32_e32 v2, v2, v3
	v_mul_f32_e32 v3, v73, v15
	v_fma_f32 v3, v72, v14, -v3
	v_add_f32_e32 v2, v2, v3
	v_mul_f32_e32 v3, v75, v17
	;; [unrolled: 3-line block ×7, first 2 shown]
	v_fma_f32 v3, v84, v42, -v3
	v_mul_f32_e32 v97, v86, v45
	v_add_f32_e32 v22, v2, v3
	v_mul_f32_e32 v2, v87, v45
	v_fmac_f32_e32 v97, v87, v44
	v_fma_f32 v96, v86, v44, -v2
	v_pk_add_f32 v[16:17], v[22:23], v[96:97]
	s_waitcnt vmcnt(5)
	v_mov_b32_e32 v22, v49
	s_waitcnt lgkmcnt(1)
	v_mul_f32_e32 v99, v88, v47
	v_mul_f32_e32 v2, v89, v47
	v_pk_mul_f32 v[22:23], v[90:91], v[22:23] op_sel:[1,0] op_sel_hi:[0,0]
	v_fmac_f32_e32 v99, v89, v46
	v_fma_f32 v98, v88, v46, -v2
	v_pk_fma_f32 v[24:25], v[90:91], v[48:49], v[22:23] neg_lo:[0,0,1] neg_hi:[0,0,1]
	v_pk_fma_f32 v[22:23], v[90:91], v[48:49], v[22:23] op_sel_hi:[1,0,1]
	v_pk_add_f32 v[16:17], v[16:17], v[98:99]
	v_mov_b32_e32 v25, v23
	s_waitcnt vmcnt(4) lgkmcnt(0)
	v_pk_mul_f32 v[22:23], v[92:93], v[34:35] op_sel:[1,1] op_sel_hi:[0,1]
	v_pk_add_f32 v[16:17], v[16:17], v[24:25]
	v_pk_fma_f32 v[24:25], v[92:93], v[34:35], v[22:23] neg_lo:[0,0,1] neg_hi:[0,0,1]
	v_pk_fma_f32 v[22:23], v[92:93], v[34:35], v[22:23] op_sel_hi:[1,0,1]
	ds_read2_b64 v[2:5], v58 offset0:123 offset1:124
	ds_read2_b64 v[10:13], v58 offset0:125 offset1:126
	ds_read_b64 v[14:15], v58 offset:1016
	v_mov_b32_e32 v22, v37
	v_mov_b32_e32 v25, v23
	v_pk_mul_f32 v[22:23], v[94:95], v[22:23] op_sel:[1,0] op_sel_hi:[0,0]
	v_pk_add_f32 v[16:17], v[16:17], v[24:25]
	v_pk_fma_f32 v[24:25], v[94:95], v[36:37], v[22:23] neg_lo:[0,0,1] neg_hi:[0,0,1]
	v_pk_fma_f32 v[22:23], v[94:95], v[36:37], v[22:23] op_sel_hi:[1,0,1]
	s_nop 0
	v_mov_b32_e32 v25, v23
	s_waitcnt vmcnt(3) lgkmcnt(2)
	v_pk_mul_f32 v[22:23], v[2:3], v[18:19] op_sel:[1,1] op_sel_hi:[0,1]
	v_pk_add_f32 v[16:17], v[16:17], v[24:25]
	v_pk_fma_f32 v[24:25], v[2:3], v[18:19], v[22:23] neg_lo:[0,0,1] neg_hi:[0,0,1]
	v_pk_fma_f32 v[2:3], v[2:3], v[18:19], v[22:23] op_sel_hi:[1,0,1]
	s_nop 0
	v_mov_b32_e32 v25, v3
	v_pk_add_f32 v[2:3], v[16:17], v[24:25]
	v_mov_b32_e32 v16, v21
	v_pk_mul_f32 v[16:17], v[4:5], v[16:17] op_sel:[1,0] op_sel_hi:[0,0]
	v_pk_fma_f32 v[18:19], v[4:5], v[20:21], v[16:17] neg_lo:[0,0,1] neg_hi:[0,0,1]
	v_pk_fma_f32 v[4:5], v[4:5], v[20:21], v[16:17] op_sel_hi:[1,0,1]
	s_nop 0
	v_mov_b32_e32 v19, v5
	s_waitcnt vmcnt(2) lgkmcnt(1)
	v_pk_mul_f32 v[4:5], v[10:11], v[6:7] op_sel:[1,1] op_sel_hi:[0,1]
	v_pk_fma_f32 v[16:17], v[10:11], v[6:7], v[4:5] neg_lo:[0,0,1] neg_hi:[0,0,1]
	v_pk_fma_f32 v[4:5], v[10:11], v[6:7], v[4:5] op_sel_hi:[1,0,1]
	v_pk_add_f32 v[2:3], v[2:3], v[18:19]
	v_mov_b32_e32 v4, v9
	v_mov_b32_e32 v17, v5
	v_pk_mul_f32 v[4:5], v[12:13], v[4:5] op_sel:[1,0] op_sel_hi:[0,0]
	v_pk_fma_f32 v[6:7], v[12:13], v[8:9], v[4:5] neg_lo:[0,0,1] neg_hi:[0,0,1]
	v_pk_fma_f32 v[4:5], v[12:13], v[8:9], v[4:5] op_sel_hi:[1,0,1]
	v_pk_add_f32 v[2:3], v[2:3], v[16:17]
	v_mov_b32_e32 v7, v5
	s_waitcnt vmcnt(1) lgkmcnt(0)
	v_pk_mul_f32 v[4:5], v[14:15], v[50:51] op_sel:[1,1] op_sel_hi:[0,1]
	v_pk_add_f32 v[2:3], v[2:3], v[6:7]
	v_pk_fma_f32 v[6:7], v[14:15], v[50:51], v[4:5] neg_lo:[0,0,1] neg_hi:[0,0,1]
	v_pk_fma_f32 v[4:5], v[14:15], v[50:51], v[4:5] op_sel_hi:[1,0,1]
	s_nop 0
	v_mov_b32_e32 v7, v5
	v_pk_add_f32 v[2:3], v[2:3], v[6:7]
	s_waitcnt vmcnt(0)
	v_pk_add_f32 v[2:3], v[56:57], v[2:3] neg_lo:[0,1] neg_hi:[0,1]
	scratch_store_dwordx2 off, v[2:3], off offset:304
	s_and_saveexec_b64 s[0:1], vcc
	s_cbranch_execz .LBB127_323
; %bb.322:
	scratch_load_dwordx2 v[2:3], off, off offset:296
	v_mov_b32_e32 v59, v58
	scratch_store_dwordx2 off, v[58:59], off offset:296
	s_waitcnt vmcnt(1)
	ds_write_b64 v1, v[2:3]
.LBB127_323:
	s_or_b64 exec, exec, s[0:1]
	s_waitcnt lgkmcnt(0)
	; wave barrier
	scratch_load_dwordx4 v[10:13], off, off offset:304
	scratch_load_dwordx4 v[26:29], off, off offset:320
	;; [unrolled: 1-line block ×9, first 2 shown]
	ds_read_b128 v[60:63], v58 offset:816
	ds_read_b128 v[64:67], v58 offset:832
	ds_read_b128 v[68:71], v58 offset:848
	ds_read_b128 v[72:75], v58 offset:864
	ds_read_b128 v[76:79], v58 offset:880
	ds_read_b128 v[80:83], v58 offset:896
	ds_read_b128 v[84:87], v58 offset:912
	ds_read_b128 v[54:57], v58 offset:928
	scratch_load_dwordx4 v[50:53], off, off offset:448
	scratch_load_dwordx4 v[34:37], off, off offset:464
	;; [unrolled: 1-line block ×4, first 2 shown]
	ds_read_b128 v[88:91], v58 offset:944
	ds_read_b128 v[92:95], v58 offset:960
	scratch_load_dwordx2 v[96:97], off, off offset:296
	v_cmp_lt_u32_e32 vcc, 36, v0
	s_waitcnt vmcnt(13) lgkmcnt(9)
	v_mul_f32_e32 v59, v60, v11
	v_mul_f32_e32 v98, v62, v13
	v_fmac_f32_e32 v59, v61, v10
	s_waitcnt vmcnt(10) lgkmcnt(6)
	v_mul_f32_e32 v105, v72, v3
	v_mul_f32_e32 v3, v73, v3
	;; [unrolled: 1-line block ×3, first 2 shown]
	v_fmac_f32_e32 v98, v63, v12
	v_fmac_f32_e32 v105, v73, v2
	v_fma_f32 v2, v72, v2, -v3
	v_add_f32_e32 v3, 0, v59
	v_mul_f32_e32 v102, v66, v29
	v_fmac_f32_e32 v100, v65, v26
	v_add_f32_e32 v3, v3, v98
	v_mul_f32_e32 v103, v68, v43
	v_fmac_f32_e32 v102, v67, v28
	;; [unrolled: 3-line block ×3, first 2 shown]
	v_add_f32_e32 v3, v3, v102
	v_fmac_f32_e32 v104, v71, v44
	v_add_f32_e32 v3, v3, v103
	v_mul_f32_e32 v106, v74, v5
	v_add_f32_e32 v3, v3, v104
	s_waitcnt vmcnt(9) lgkmcnt(5)
	v_mul_f32_e32 v107, v76, v15
	v_fmac_f32_e32 v106, v75, v4
	v_add_f32_e32 v3, v3, v105
	v_mul_f32_e32 v108, v78, v17
	v_fmac_f32_e32 v107, v77, v14
	v_add_f32_e32 v3, v3, v106
	s_waitcnt vmcnt(8) lgkmcnt(4)
	v_mul_f32_e32 v109, v80, v19
	v_mul_f32_e32 v11, v61, v11
	v_fmac_f32_e32 v108, v79, v16
	v_add_f32_e32 v3, v3, v107
	v_mul_f32_e32 v110, v82, v21
	v_mul_f32_e32 v13, v63, v13
	v_fmac_f32_e32 v109, v81, v18
	v_fma_f32 v10, v60, v10, -v11
	v_add_f32_e32 v3, v3, v108
	s_waitcnt vmcnt(7) lgkmcnt(3)
	v_mul_f32_e32 v111, v84, v31
	v_mul_f32_e32 v27, v65, v27
	v_fmac_f32_e32 v110, v83, v20
	v_fma_f32 v11, v62, v12, -v13
	v_add_f32_e32 v10, 0, v10
	v_add_f32_e32 v3, v3, v109
	v_mul_f32_e32 v112, v86, v33
	v_mul_f32_e32 v29, v67, v29
	v_fmac_f32_e32 v111, v85, v30
	v_fma_f32 v12, v64, v26, -v27
	v_add_f32_e32 v10, v10, v11
	v_add_f32_e32 v3, v3, v110
	s_waitcnt vmcnt(6) lgkmcnt(2)
	v_mul_f32_e32 v113, v54, v39
	v_mul_f32_e32 v43, v69, v43
	v_fmac_f32_e32 v112, v87, v32
	v_fma_f32 v13, v66, v28, -v29
	v_add_f32_e32 v10, v10, v12
	v_add_f32_e32 v3, v3, v111
	v_mul_f32_e32 v114, v56, v41
	v_mul_f32_e32 v45, v71, v45
	v_fmac_f32_e32 v113, v55, v38
	v_fma_f32 v26, v68, v42, -v43
	v_add_f32_e32 v10, v10, v13
	v_add_f32_e32 v3, v3, v112
	v_fmac_f32_e32 v114, v57, v40
	v_fma_f32 v27, v70, v44, -v45
	v_add_f32_e32 v10, v10, v26
	v_add_f32_e32 v3, v3, v113
	v_add_f32_e32 v10, v10, v27
	v_add_f32_e32 v27, v3, v114
	v_mul_f32_e32 v3, v75, v5
	v_add_f32_e32 v2, v10, v2
	v_fma_f32 v3, v74, v4, -v3
	v_add_f32_e32 v2, v2, v3
	v_mul_f32_e32 v3, v77, v15
	v_fma_f32 v3, v76, v14, -v3
	v_add_f32_e32 v2, v2, v3
	v_mul_f32_e32 v3, v79, v17
	;; [unrolled: 3-line block ×8, first 2 shown]
	v_fma_f32 v3, v56, v40, -v3
	s_waitcnt vmcnt(5) lgkmcnt(1)
	v_mul_f32_e32 v99, v88, v47
	v_add_f32_e32 v26, v2, v3
	v_mul_f32_e32 v2, v89, v47
	v_fmac_f32_e32 v99, v89, v46
	v_fma_f32 v98, v88, v46, -v2
	s_waitcnt vmcnt(4) lgkmcnt(0)
	v_pk_mul_f32 v[20:21], v[92:93], v[50:51] op_sel:[1,1] op_sel_hi:[0,1]
	v_mul_f32_e32 v101, v90, v49
	v_mul_f32_e32 v2, v91, v49
	v_pk_add_f32 v[18:19], v[26:27], v[98:99]
	v_pk_fma_f32 v[26:27], v[92:93], v[50:51], v[20:21] neg_lo:[0,0,1] neg_hi:[0,0,1]
	v_pk_fma_f32 v[20:21], v[92:93], v[50:51], v[20:21] op_sel_hi:[1,0,1]
	v_fmac_f32_e32 v101, v91, v48
	v_fma_f32 v100, v90, v48, -v2
	ds_read_b128 v[2:5], v58 offset:976
	ds_read_b128 v[10:13], v58 offset:992
	;; [unrolled: 1-line block ×3, first 2 shown]
	v_mov_b32_e32 v20, v53
	v_pk_add_f32 v[18:19], v[18:19], v[100:101]
	v_mov_b32_e32 v27, v21
	v_pk_mul_f32 v[20:21], v[94:95], v[20:21] op_sel:[1,0] op_sel_hi:[0,0]
	v_pk_add_f32 v[18:19], v[18:19], v[26:27]
	v_pk_fma_f32 v[26:27], v[94:95], v[52:53], v[20:21] neg_lo:[0,0,1] neg_hi:[0,0,1]
	v_pk_fma_f32 v[20:21], v[94:95], v[52:53], v[20:21] op_sel_hi:[1,0,1]
	s_nop 0
	v_mov_b32_e32 v27, v21
	s_waitcnt vmcnt(3) lgkmcnt(2)
	v_pk_mul_f32 v[20:21], v[2:3], v[34:35] op_sel:[1,1] op_sel_hi:[0,1]
	v_pk_add_f32 v[18:19], v[18:19], v[26:27]
	v_pk_fma_f32 v[26:27], v[2:3], v[34:35], v[20:21] neg_lo:[0,0,1] neg_hi:[0,0,1]
	v_pk_fma_f32 v[2:3], v[2:3], v[34:35], v[20:21] op_sel_hi:[1,0,1]
	s_nop 0
	v_mov_b32_e32 v27, v3
	v_pk_add_f32 v[2:3], v[18:19], v[26:27]
	v_mov_b32_e32 v18, v37
	v_pk_mul_f32 v[18:19], v[4:5], v[18:19] op_sel:[1,0] op_sel_hi:[0,0]
	v_pk_fma_f32 v[20:21], v[4:5], v[36:37], v[18:19] neg_lo:[0,0,1] neg_hi:[0,0,1]
	v_pk_fma_f32 v[4:5], v[4:5], v[36:37], v[18:19] op_sel_hi:[1,0,1]
	s_nop 0
	v_mov_b32_e32 v21, v5
	s_waitcnt vmcnt(2) lgkmcnt(1)
	v_pk_mul_f32 v[4:5], v[10:11], v[22:23] op_sel:[1,1] op_sel_hi:[0,1]
	v_pk_fma_f32 v[18:19], v[10:11], v[22:23], v[4:5] neg_lo:[0,0,1] neg_hi:[0,0,1]
	v_pk_fma_f32 v[4:5], v[10:11], v[22:23], v[4:5] op_sel_hi:[1,0,1]
	v_pk_add_f32 v[2:3], v[2:3], v[20:21]
	v_mov_b32_e32 v4, v25
	v_mov_b32_e32 v19, v5
	v_pk_mul_f32 v[4:5], v[12:13], v[4:5] op_sel:[1,0] op_sel_hi:[0,0]
	v_pk_fma_f32 v[10:11], v[12:13], v[24:25], v[4:5] neg_lo:[0,0,1] neg_hi:[0,0,1]
	v_pk_fma_f32 v[4:5], v[12:13], v[24:25], v[4:5] op_sel_hi:[1,0,1]
	v_pk_add_f32 v[2:3], v[2:3], v[18:19]
	v_mov_b32_e32 v11, v5
	s_waitcnt vmcnt(1) lgkmcnt(0)
	v_pk_mul_f32 v[4:5], v[14:15], v[6:7] op_sel:[1,1] op_sel_hi:[0,1]
	v_pk_add_f32 v[2:3], v[2:3], v[10:11]
	v_pk_fma_f32 v[10:11], v[14:15], v[6:7], v[4:5] neg_lo:[0,0,1] neg_hi:[0,0,1]
	v_pk_fma_f32 v[4:5], v[14:15], v[6:7], v[4:5] op_sel_hi:[1,0,1]
	s_nop 0
	v_mov_b32_e32 v4, v9
	v_mov_b32_e32 v11, v5
	v_pk_mul_f32 v[4:5], v[16:17], v[4:5] op_sel:[1,0] op_sel_hi:[0,0]
	v_pk_fma_f32 v[6:7], v[16:17], v[8:9], v[4:5] neg_lo:[0,0,1] neg_hi:[0,0,1]
	v_pk_fma_f32 v[4:5], v[16:17], v[8:9], v[4:5] op_sel_hi:[1,0,1]
	v_pk_add_f32 v[2:3], v[2:3], v[10:11]
	v_mov_b32_e32 v7, v5
	v_pk_add_f32 v[2:3], v[2:3], v[6:7]
	s_waitcnt vmcnt(0)
	v_pk_add_f32 v[2:3], v[96:97], v[2:3] neg_lo:[0,1] neg_hi:[0,1]
	scratch_store_dwordx2 off, v[2:3], off offset:296
	s_and_saveexec_b64 s[0:1], vcc
	s_cbranch_execz .LBB127_325
; %bb.324:
	scratch_load_dwordx2 v[2:3], off, off offset:288
	v_mov_b32_e32 v4, 0
	v_mov_b32_e32 v5, v4
	scratch_store_dwordx2 off, v[4:5], off offset:288
	s_waitcnt vmcnt(1)
	ds_write_b64 v1, v[2:3]
.LBB127_325:
	s_or_b64 exec, exec, s[0:1]
	s_waitcnt lgkmcnt(0)
	; wave barrier
	scratch_load_dwordx4 v[10:13], off, off offset:296
	scratch_load_dwordx4 v[30:33], off, off offset:312
	;; [unrolled: 1-line block ×13, first 2 shown]
	scratch_load_dwordx2 v[54:55], off, off offset:504
	scratch_load_dwordx2 v[80:81], off, off offset:288
	v_mov_b32_e32 v82, 0
	ds_read2_b64 v[56:59], v82 offset0:101 offset1:102
	ds_read2_b64 v[60:63], v82 offset0:103 offset1:104
	;; [unrolled: 1-line block ×10, first 2 shown]
	v_cmp_lt_u32_e32 vcc, 35, v0
	s_waitcnt vmcnt(14) lgkmcnt(9)
	v_mul_f32_e32 v83, v56, v11
	v_mul_f32_e32 v100, v58, v13
	s_waitcnt vmcnt(12) lgkmcnt(7)
	v_mul_f32_e32 v105, v64, v3
	v_mul_f32_e32 v3, v65, v3
	v_fmac_f32_e32 v83, v57, v10
	v_mul_f32_e32 v102, v60, v31
	v_fmac_f32_e32 v100, v59, v12
	v_fmac_f32_e32 v105, v65, v2
	v_fma_f32 v2, v64, v2, -v3
	v_add_f32_e32 v3, 0, v83
	v_mul_f32_e32 v104, v62, v33
	v_fmac_f32_e32 v102, v61, v30
	v_add_f32_e32 v3, v3, v100
	v_fmac_f32_e32 v104, v63, v32
	v_add_f32_e32 v3, v3, v102
	v_mul_f32_e32 v106, v66, v5
	v_add_f32_e32 v3, v3, v104
	s_waitcnt vmcnt(11) lgkmcnt(6)
	v_mul_f32_e32 v107, v68, v7
	v_fmac_f32_e32 v106, v67, v4
	v_add_f32_e32 v3, v3, v105
	v_mul_f32_e32 v108, v70, v9
	v_fmac_f32_e32 v107, v69, v6
	v_add_f32_e32 v3, v3, v106
	s_waitcnt vmcnt(10) lgkmcnt(5)
	v_mul_f32_e32 v109, v72, v19
	v_fmac_f32_e32 v108, v71, v8
	v_add_f32_e32 v3, v3, v107
	v_mul_f32_e32 v110, v74, v21
	v_fmac_f32_e32 v109, v73, v18
	;; [unrolled: 7-line block ×3, first 2 shown]
	v_add_f32_e32 v3, v3, v110
	s_waitcnt vmcnt(8) lgkmcnt(3)
	v_mul_f32_e32 v113, v84, v35
	v_mul_f32_e32 v11, v57, v11
	v_fmac_f32_e32 v112, v79, v24
	v_add_f32_e32 v3, v3, v111
	v_mul_f32_e32 v114, v86, v37
	v_mul_f32_e32 v13, v59, v13
	v_fmac_f32_e32 v113, v85, v34
	v_fma_f32 v10, v56, v10, -v11
	v_add_f32_e32 v3, v3, v112
	s_waitcnt vmcnt(7) lgkmcnt(2)
	v_mul_f32_e32 v115, v88, v39
	v_mul_f32_e32 v31, v61, v31
	v_fmac_f32_e32 v114, v87, v36
	v_fma_f32 v11, v58, v12, -v13
	v_add_f32_e32 v10, 0, v10
	v_add_f32_e32 v3, v3, v113
	v_mul_f32_e32 v116, v90, v41
	v_mul_f32_e32 v33, v63, v33
	v_fmac_f32_e32 v115, v89, v38
	v_fma_f32 v12, v60, v30, -v31
	v_add_f32_e32 v10, v10, v11
	v_add_f32_e32 v3, v3, v114
	s_waitcnt vmcnt(6) lgkmcnt(1)
	v_mul_f32_e32 v117, v92, v51
	v_fmac_f32_e32 v116, v91, v40
	v_fma_f32 v13, v62, v32, -v33
	v_add_f32_e32 v10, v10, v12
	v_add_f32_e32 v3, v3, v115
	v_mul_f32_e32 v5, v67, v5
	v_fmac_f32_e32 v117, v93, v50
	v_add_f32_e32 v10, v10, v13
	v_add_f32_e32 v3, v3, v116
	;; [unrolled: 1-line block ×4, first 2 shown]
	v_fma_f32 v3, v66, v4, -v5
	v_add_f32_e32 v2, v2, v3
	v_mul_f32_e32 v3, v69, v7
	v_fma_f32 v3, v68, v6, -v3
	v_add_f32_e32 v2, v2, v3
	v_mul_f32_e32 v3, v71, v9
	v_fma_f32 v3, v70, v8, -v3
	v_add_f32_e32 v2, v2, v3
	v_mul_f32_e32 v3, v73, v19
	v_fma_f32 v3, v72, v18, -v3
	v_add_f32_e32 v2, v2, v3
	v_mul_f32_e32 v3, v75, v21
	v_fma_f32 v3, v74, v20, -v3
	v_add_f32_e32 v2, v2, v3
	v_mul_f32_e32 v3, v77, v23
	v_fma_f32 v3, v76, v22, -v3
	v_add_f32_e32 v2, v2, v3
	v_mul_f32_e32 v3, v79, v25
	v_fma_f32 v3, v78, v24, -v3
	v_add_f32_e32 v2, v2, v3
	v_mul_f32_e32 v3, v85, v35
	v_fma_f32 v3, v84, v34, -v3
	v_add_f32_e32 v2, v2, v3
	v_mul_f32_e32 v3, v87, v37
	v_fma_f32 v3, v86, v36, -v3
	v_add_f32_e32 v2, v2, v3
	v_mul_f32_e32 v3, v89, v39
	v_fma_f32 v3, v88, v38, -v3
	v_add_f32_e32 v2, v2, v3
	v_mul_f32_e32 v3, v91, v41
	v_fma_f32 v3, v90, v40, -v3
	v_add_f32_e32 v2, v2, v3
	v_mul_f32_e32 v3, v93, v51
	v_fma_f32 v3, v92, v50, -v3
	v_add_f32_e32 v30, v2, v3
	v_mul_f32_e32 v2, v95, v53
	v_mul_f32_e32 v101, v94, v53
	v_fma_f32 v100, v94, v52, -v2
	s_waitcnt vmcnt(5) lgkmcnt(0)
	v_mul_f32_e32 v2, v97, v47
	v_mov_b32_e32 v22, v49
	v_mul_f32_e32 v103, v96, v47
	v_fmac_f32_e32 v101, v95, v52
	v_fma_f32 v102, v96, v46, -v2
	ds_read2_b64 v[2:5], v82 offset0:121 offset1:122
	ds_read2_b64 v[6:9], v82 offset0:123 offset1:124
	;; [unrolled: 1-line block ×3, first 2 shown]
	ds_read_b64 v[18:19], v82 offset:1016
	v_pk_mul_f32 v[22:23], v[98:99], v[22:23] op_sel:[1,0] op_sel_hi:[0,0]
	v_fmac_f32_e32 v103, v97, v46
	v_pk_add_f32 v[20:21], v[30:31], v[100:101]
	v_pk_fma_f32 v[24:25], v[98:99], v[48:49], v[22:23] neg_lo:[0,0,1] neg_hi:[0,0,1]
	v_pk_fma_f32 v[22:23], v[98:99], v[48:49], v[22:23] op_sel_hi:[1,0,1]
	v_pk_add_f32 v[20:21], v[20:21], v[102:103]
	v_mov_b32_e32 v25, v23
	s_waitcnt vmcnt(4) lgkmcnt(3)
	v_pk_mul_f32 v[22:23], v[2:3], v[42:43] op_sel:[1,1] op_sel_hi:[0,1]
	v_pk_add_f32 v[20:21], v[20:21], v[24:25]
	v_pk_fma_f32 v[24:25], v[2:3], v[42:43], v[22:23] neg_lo:[0,0,1] neg_hi:[0,0,1]
	v_pk_fma_f32 v[2:3], v[2:3], v[42:43], v[22:23] op_sel_hi:[1,0,1]
	s_nop 0
	v_mov_b32_e32 v25, v3
	v_pk_add_f32 v[2:3], v[20:21], v[24:25]
	v_mov_b32_e32 v20, v45
	v_pk_mul_f32 v[20:21], v[4:5], v[20:21] op_sel:[1,0] op_sel_hi:[0,0]
	v_pk_fma_f32 v[22:23], v[4:5], v[44:45], v[20:21] neg_lo:[0,0,1] neg_hi:[0,0,1]
	v_pk_fma_f32 v[4:5], v[4:5], v[44:45], v[20:21] op_sel_hi:[1,0,1]
	s_nop 0
	v_mov_b32_e32 v23, v5
	s_waitcnt vmcnt(3) lgkmcnt(2)
	v_pk_mul_f32 v[4:5], v[6:7], v[26:27] op_sel:[1,1] op_sel_hi:[0,1]
	v_pk_fma_f32 v[20:21], v[6:7], v[26:27], v[4:5] neg_lo:[0,0,1] neg_hi:[0,0,1]
	v_pk_fma_f32 v[4:5], v[6:7], v[26:27], v[4:5] op_sel_hi:[1,0,1]
	v_pk_add_f32 v[2:3], v[2:3], v[22:23]
	v_mov_b32_e32 v4, v29
	v_mov_b32_e32 v21, v5
	v_pk_mul_f32 v[4:5], v[8:9], v[4:5] op_sel:[1,0] op_sel_hi:[0,0]
	v_pk_fma_f32 v[6:7], v[8:9], v[28:29], v[4:5] neg_lo:[0,0,1] neg_hi:[0,0,1]
	v_pk_fma_f32 v[4:5], v[8:9], v[28:29], v[4:5] op_sel_hi:[1,0,1]
	v_pk_add_f32 v[2:3], v[2:3], v[20:21]
	v_mov_b32_e32 v7, v5
	s_waitcnt vmcnt(2) lgkmcnt(1)
	v_pk_mul_f32 v[4:5], v[10:11], v[14:15] op_sel:[1,1] op_sel_hi:[0,1]
	v_pk_add_f32 v[2:3], v[2:3], v[6:7]
	v_pk_fma_f32 v[6:7], v[10:11], v[14:15], v[4:5] neg_lo:[0,0,1] neg_hi:[0,0,1]
	v_pk_fma_f32 v[4:5], v[10:11], v[14:15], v[4:5] op_sel_hi:[1,0,1]
	s_nop 0
	v_mov_b32_e32 v4, v17
	v_mov_b32_e32 v7, v5
	v_pk_mul_f32 v[4:5], v[12:13], v[4:5] op_sel:[1,0] op_sel_hi:[0,0]
	v_pk_add_f32 v[2:3], v[2:3], v[6:7]
	v_pk_fma_f32 v[6:7], v[12:13], v[16:17], v[4:5] neg_lo:[0,0,1] neg_hi:[0,0,1]
	v_pk_fma_f32 v[4:5], v[12:13], v[16:17], v[4:5] op_sel_hi:[1,0,1]
	s_nop 0
	v_mov_b32_e32 v7, v5
	s_waitcnt vmcnt(1) lgkmcnt(0)
	v_pk_mul_f32 v[4:5], v[18:19], v[54:55] op_sel:[1,1] op_sel_hi:[0,1]
	v_pk_add_f32 v[2:3], v[2:3], v[6:7]
	v_pk_fma_f32 v[6:7], v[18:19], v[54:55], v[4:5] neg_lo:[0,0,1] neg_hi:[0,0,1]
	v_pk_fma_f32 v[4:5], v[18:19], v[54:55], v[4:5] op_sel_hi:[1,0,1]
	s_nop 0
	v_mov_b32_e32 v7, v5
	v_pk_add_f32 v[2:3], v[2:3], v[6:7]
	s_waitcnt vmcnt(0)
	v_pk_add_f32 v[2:3], v[80:81], v[2:3] neg_lo:[0,1] neg_hi:[0,1]
	scratch_store_dwordx2 off, v[2:3], off offset:288
	s_and_saveexec_b64 s[0:1], vcc
	s_cbranch_execz .LBB127_327
; %bb.326:
	scratch_load_dwordx2 v[2:3], off, off offset:280
	v_mov_b32_e32 v83, v82
	scratch_store_dwordx2 off, v[82:83], off offset:280
	s_waitcnt vmcnt(1)
	ds_write_b64 v1, v[2:3]
.LBB127_327:
	s_or_b64 exec, exec, s[0:1]
	s_waitcnt lgkmcnt(0)
	; wave barrier
	scratch_load_dwordx4 v[18:21], off, off offset:288
	scratch_load_dwordx4 v[34:37], off, off offset:304
	;; [unrolled: 1-line block ×10, first 2 shown]
	ds_read_b128 v[84:87], v82 offset:800
	ds_read_b128 v[88:91], v82 offset:816
	;; [unrolled: 1-line block ×10, first 2 shown]
	scratch_load_dwordx4 v[54:57], off, off offset:448
	scratch_load_dwordx4 v[46:49], off, off offset:464
	;; [unrolled: 1-line block ×4, first 2 shown]
	scratch_load_dwordx2 v[100:101], off, off offset:280
	v_cmp_lt_u32_e32 vcc, 34, v0
	s_waitcnt vmcnt(14) lgkmcnt(9)
	v_mul_f32_e32 v83, v84, v19
	v_mul_f32_e32 v102, v86, v21
	s_waitcnt vmcnt(12) lgkmcnt(7)
	v_mul_f32_e32 v107, v92, v3
	v_mul_f32_e32 v3, v93, v3
	v_fmac_f32_e32 v83, v85, v18
	v_mul_f32_e32 v104, v88, v35
	v_fmac_f32_e32 v102, v87, v20
	v_fmac_f32_e32 v107, v93, v2
	v_fma_f32 v2, v92, v2, -v3
	v_add_f32_e32 v3, 0, v83
	v_mul_f32_e32 v106, v90, v37
	v_fmac_f32_e32 v104, v89, v34
	v_add_f32_e32 v3, v3, v102
	v_fmac_f32_e32 v106, v91, v36
	v_add_f32_e32 v3, v3, v104
	v_mul_f32_e32 v108, v94, v5
	v_add_f32_e32 v3, v3, v106
	s_waitcnt vmcnt(11) lgkmcnt(6)
	v_mul_f32_e32 v109, v96, v7
	v_fmac_f32_e32 v108, v95, v4
	v_add_f32_e32 v3, v3, v107
	v_mul_f32_e32 v110, v98, v9
	v_fmac_f32_e32 v109, v97, v6
	v_add_f32_e32 v3, v3, v108
	s_waitcnt vmcnt(10) lgkmcnt(5)
	v_mul_f32_e32 v111, v78, v11
	v_fmac_f32_e32 v110, v99, v8
	v_add_f32_e32 v3, v3, v109
	v_mul_f32_e32 v112, v80, v13
	v_fmac_f32_e32 v111, v79, v10
	;; [unrolled: 7-line block ×4, first 2 shown]
	v_add_f32_e32 v3, v3, v114
	s_waitcnt vmcnt(7) lgkmcnt(2)
	v_mul_f32_e32 v117, v66, v39
	v_mul_f32_e32 v19, v85, v19
	v_fmac_f32_e32 v116, v73, v28
	v_add_f32_e32 v3, v3, v115
	v_mul_f32_e32 v118, v68, v41
	v_mul_f32_e32 v21, v87, v21
	v_fmac_f32_e32 v117, v67, v38
	v_fma_f32 v18, v84, v18, -v19
	v_add_f32_e32 v3, v3, v116
	s_waitcnt vmcnt(6) lgkmcnt(1)
	v_mul_f32_e32 v119, v62, v43
	v_mul_f32_e32 v35, v89, v35
	v_fmac_f32_e32 v118, v69, v40
	v_fma_f32 v19, v86, v20, -v21
	v_add_f32_e32 v18, 0, v18
	v_add_f32_e32 v3, v3, v117
	v_mul_f32_e32 v120, v64, v45
	v_mul_f32_e32 v37, v91, v37
	v_fmac_f32_e32 v119, v63, v42
	v_fma_f32 v20, v88, v34, -v35
	v_add_f32_e32 v18, v18, v19
	v_add_f32_e32 v3, v3, v118
	v_fmac_f32_e32 v120, v65, v44
	v_fma_f32 v21, v90, v36, -v37
	v_add_f32_e32 v18, v18, v20
	v_add_f32_e32 v3, v3, v119
	;; [unrolled: 1-line block ×4, first 2 shown]
	v_mul_f32_e32 v3, v95, v5
	v_add_f32_e32 v2, v18, v2
	v_fma_f32 v3, v94, v4, -v3
	v_add_f32_e32 v2, v2, v3
	v_mul_f32_e32 v3, v97, v7
	v_fma_f32 v3, v96, v6, -v3
	v_add_f32_e32 v2, v2, v3
	v_mul_f32_e32 v3, v99, v9
	;; [unrolled: 3-line block ×12, first 2 shown]
	v_fma_f32 v3, v64, v44, -v3
	v_add_f32_e32 v34, v2, v3
	s_waitcnt vmcnt(5) lgkmcnt(0)
	v_mul_f32_e32 v2, v59, v51
	v_fma_f32 v102, v58, v50, -v2
	v_mul_f32_e32 v2, v61, v53
	v_fma_f32 v104, v60, v52, -v2
	ds_read_b128 v[2:5], v82 offset:960
	ds_read_b128 v[6:9], v82 offset:976
	;; [unrolled: 1-line block ×4, first 2 shown]
	v_mul_f32_e32 v103, v58, v51
	v_mul_f32_e32 v105, v60, v53
	v_fmac_f32_e32 v103, v59, v50
	s_waitcnt vmcnt(4) lgkmcnt(3)
	v_pk_mul_f32 v[24:25], v[2:3], v[54:55] op_sel:[1,1] op_sel_hi:[0,1]
	v_fmac_f32_e32 v105, v61, v52
	v_pk_add_f32 v[22:23], v[34:35], v[102:103]
	v_pk_fma_f32 v[26:27], v[2:3], v[54:55], v[24:25] neg_lo:[0,0,1] neg_hi:[0,0,1]
	v_pk_fma_f32 v[2:3], v[2:3], v[54:55], v[24:25] op_sel_hi:[1,0,1]
	v_pk_add_f32 v[22:23], v[22:23], v[104:105]
	v_mov_b32_e32 v27, v3
	v_pk_add_f32 v[2:3], v[22:23], v[26:27]
	v_mov_b32_e32 v22, v57
	v_pk_mul_f32 v[22:23], v[4:5], v[22:23] op_sel:[1,0] op_sel_hi:[0,0]
	v_pk_fma_f32 v[24:25], v[4:5], v[56:57], v[22:23] neg_lo:[0,0,1] neg_hi:[0,0,1]
	v_pk_fma_f32 v[4:5], v[4:5], v[56:57], v[22:23] op_sel_hi:[1,0,1]
	s_nop 0
	v_mov_b32_e32 v25, v5
	s_waitcnt vmcnt(3) lgkmcnt(2)
	v_pk_mul_f32 v[4:5], v[6:7], v[46:47] op_sel:[1,1] op_sel_hi:[0,1]
	v_pk_fma_f32 v[22:23], v[6:7], v[46:47], v[4:5] neg_lo:[0,0,1] neg_hi:[0,0,1]
	v_pk_fma_f32 v[4:5], v[6:7], v[46:47], v[4:5] op_sel_hi:[1,0,1]
	v_pk_add_f32 v[2:3], v[2:3], v[24:25]
	v_mov_b32_e32 v4, v49
	v_mov_b32_e32 v23, v5
	v_pk_mul_f32 v[4:5], v[8:9], v[4:5] op_sel:[1,0] op_sel_hi:[0,0]
	v_pk_fma_f32 v[6:7], v[8:9], v[48:49], v[4:5] neg_lo:[0,0,1] neg_hi:[0,0,1]
	v_pk_fma_f32 v[4:5], v[8:9], v[48:49], v[4:5] op_sel_hi:[1,0,1]
	v_pk_add_f32 v[2:3], v[2:3], v[22:23]
	v_mov_b32_e32 v7, v5
	s_waitcnt vmcnt(2) lgkmcnt(1)
	v_pk_mul_f32 v[4:5], v[10:11], v[30:31] op_sel:[1,1] op_sel_hi:[0,1]
	v_pk_add_f32 v[2:3], v[2:3], v[6:7]
	v_pk_fma_f32 v[6:7], v[10:11], v[30:31], v[4:5] neg_lo:[0,0,1] neg_hi:[0,0,1]
	v_pk_fma_f32 v[4:5], v[10:11], v[30:31], v[4:5] op_sel_hi:[1,0,1]
	s_nop 0
	v_mov_b32_e32 v4, v33
	v_mov_b32_e32 v7, v5
	v_pk_mul_f32 v[4:5], v[12:13], v[4:5] op_sel:[1,0] op_sel_hi:[0,0]
	v_pk_add_f32 v[2:3], v[2:3], v[6:7]
	v_pk_fma_f32 v[6:7], v[12:13], v[32:33], v[4:5] neg_lo:[0,0,1] neg_hi:[0,0,1]
	v_pk_fma_f32 v[4:5], v[12:13], v[32:33], v[4:5] op_sel_hi:[1,0,1]
	s_nop 0
	v_mov_b32_e32 v7, v5
	s_waitcnt vmcnt(1) lgkmcnt(0)
	v_pk_mul_f32 v[4:5], v[18:19], v[14:15] op_sel:[1,1] op_sel_hi:[0,1]
	v_pk_add_f32 v[2:3], v[2:3], v[6:7]
	v_pk_fma_f32 v[6:7], v[18:19], v[14:15], v[4:5] neg_lo:[0,0,1] neg_hi:[0,0,1]
	v_pk_fma_f32 v[4:5], v[18:19], v[14:15], v[4:5] op_sel_hi:[1,0,1]
	s_nop 0
	v_mov_b32_e32 v4, v17
	v_mov_b32_e32 v7, v5
	v_pk_mul_f32 v[4:5], v[20:21], v[4:5] op_sel:[1,0] op_sel_hi:[0,0]
	v_pk_add_f32 v[2:3], v[2:3], v[6:7]
	v_pk_fma_f32 v[6:7], v[20:21], v[16:17], v[4:5] neg_lo:[0,0,1] neg_hi:[0,0,1]
	v_pk_fma_f32 v[4:5], v[20:21], v[16:17], v[4:5] op_sel_hi:[1,0,1]
	s_nop 0
	v_mov_b32_e32 v7, v5
	v_pk_add_f32 v[2:3], v[2:3], v[6:7]
	s_waitcnt vmcnt(0)
	v_pk_add_f32 v[2:3], v[100:101], v[2:3] neg_lo:[0,1] neg_hi:[0,1]
	scratch_store_dwordx2 off, v[2:3], off offset:280
	s_and_saveexec_b64 s[0:1], vcc
	s_cbranch_execz .LBB127_329
; %bb.328:
	scratch_load_dwordx2 v[2:3], off, off offset:272
	v_mov_b32_e32 v4, 0
	v_mov_b32_e32 v5, v4
	scratch_store_dwordx2 off, v[4:5], off offset:272
	s_waitcnt vmcnt(1)
	ds_write_b64 v1, v[2:3]
.LBB127_329:
	s_or_b64 exec, exec, s[0:1]
	s_waitcnt lgkmcnt(0)
	; wave barrier
	scratch_load_dwordx4 v[70:73], off, off offset:280
	scratch_load_dwordx4 v[74:77], off, off offset:296
	;; [unrolled: 1-line block ×14, first 2 shown]
	scratch_load_dwordx2 v[64:65], off, off offset:504
	v_mov_b32_e32 v62, 0
	ds_read2_b64 v[90:93], v62 offset0:99 offset1:100
	ds_read2_b64 v[94:97], v62 offset0:101 offset1:102
	;; [unrolled: 1-line block ×11, first 2 shown]
	v_cmp_lt_u32_e32 vcc, 33, v0
	s_waitcnt vmcnt(14) lgkmcnt(10)
	v_mul_f32_e32 v63, v90, v71
	v_mul_f32_e32 v66, v92, v73
	v_fmac_f32_e32 v63, v91, v70
	s_waitcnt vmcnt(13) lgkmcnt(9)
	v_mul_f32_e32 v68, v94, v75
	v_fmac_f32_e32 v66, v93, v72
	s_waitcnt vmcnt(9) lgkmcnt(5)
	v_mul_f32_e32 v117, v58, v23
	v_mul_f32_e32 v23, v59, v23
	v_fmac_f32_e32 v117, v59, v22
	v_fma_f32 v58, v58, v22, -v23
	scratch_load_dwordx2 v[22:23], off, off offset:272
	v_add_f32_e32 v63, 0, v63
	v_mul_f32_e32 v110, v96, v77
	v_fmac_f32_e32 v68, v95, v74
	v_add_f32_e32 v63, v63, v66
	v_mul_f32_e32 v111, v98, v79
	v_fmac_f32_e32 v110, v97, v76
	v_add_f32_e32 v63, v63, v68
	v_mul_f32_e32 v112, v100, v81
	v_fmac_f32_e32 v111, v99, v78
	v_add_f32_e32 v63, v63, v110
	v_mul_f32_e32 v113, v102, v83
	v_fmac_f32_e32 v112, v101, v80
	v_add_f32_e32 v63, v63, v111
	v_mul_f32_e32 v114, v104, v85
	v_fmac_f32_e32 v113, v103, v82
	v_add_f32_e32 v63, v63, v112
	v_mul_f32_e32 v115, v106, v87
	v_fmac_f32_e32 v114, v105, v84
	v_add_f32_e32 v63, v63, v113
	v_mul_f32_e32 v116, v108, v89
	v_fmac_f32_e32 v115, v107, v86
	v_add_f32_e32 v63, v63, v114
	v_fmac_f32_e32 v116, v109, v88
	v_add_f32_e32 v63, v63, v115
	v_mul_f32_e32 v118, v60, v25
	v_add_f32_e32 v63, v63, v116
	s_waitcnt vmcnt(9) lgkmcnt(4)
	v_mul_f32_e32 v119, v54, v27
	v_fmac_f32_e32 v118, v61, v24
	v_add_f32_e32 v63, v63, v117
	v_mul_f32_e32 v120, v56, v29
	v_fmac_f32_e32 v119, v55, v26
	v_add_f32_e32 v63, v63, v118
	s_waitcnt vmcnt(8) lgkmcnt(3)
	v_mul_f32_e32 v121, v50, v31
	v_fmac_f32_e32 v120, v57, v28
	v_add_f32_e32 v63, v63, v119
	v_mul_f32_e32 v122, v52, v33
	v_mul_f32_e32 v71, v91, v71
	v_fmac_f32_e32 v121, v51, v30
	v_add_f32_e32 v63, v63, v120
	s_waitcnt vmcnt(7) lgkmcnt(2)
	v_mul_f32_e32 v123, v46, v35
	v_mul_f32_e32 v73, v93, v73
	v_fmac_f32_e32 v122, v53, v32
	v_fma_f32 v70, v90, v70, -v71
	v_add_f32_e32 v63, v63, v121
	v_mul_f32_e32 v124, v48, v37
	v_mul_f32_e32 v75, v95, v75
	v_fmac_f32_e32 v123, v47, v34
	v_fma_f32 v71, v92, v72, -v73
	v_add_f32_e32 v70, 0, v70
	v_add_f32_e32 v63, v63, v122
	s_waitcnt vmcnt(6) lgkmcnt(1)
	v_mul_f32_e32 v125, v42, v39
	v_mul_f32_e32 v77, v97, v77
	v_fmac_f32_e32 v124, v49, v36
	v_fma_f32 v72, v94, v74, -v75
	v_add_f32_e32 v66, v70, v71
	v_add_f32_e32 v63, v63, v123
	v_fmac_f32_e32 v125, v43, v38
	v_fma_f32 v73, v96, v76, -v77
	v_add_f32_e32 v66, v66, v72
	v_add_f32_e32 v63, v63, v124
	;; [unrolled: 1-line block ×4, first 2 shown]
	v_mul_f32_e32 v66, v99, v79
	v_fma_f32 v66, v98, v78, -v66
	v_add_f32_e32 v63, v63, v66
	v_mul_f32_e32 v66, v101, v81
	v_fma_f32 v66, v100, v80, -v66
	v_add_f32_e32 v63, v63, v66
	;; [unrolled: 3-line block ×6, first 2 shown]
	v_mul_f32_e32 v25, v61, v25
	v_add_f32_e32 v58, v63, v58
	v_fma_f32 v24, v60, v24, -v25
	v_mul_f32_e32 v25, v55, v27
	v_add_f32_e32 v24, v58, v24
	v_fma_f32 v25, v54, v26, -v25
	v_add_f32_e32 v24, v24, v25
	v_mul_f32_e32 v25, v57, v29
	v_fma_f32 v25, v56, v28, -v25
	v_add_f32_e32 v24, v24, v25
	v_mul_f32_e32 v25, v51, v31
	;; [unrolled: 3-line block ×6, first 2 shown]
	v_fma_f32 v25, v42, v38, -v25
	v_mul_f32_e32 v69, v44, v41
	v_add_f32_e32 v70, v24, v25
	v_mul_f32_e32 v24, v45, v41
	s_waitcnt vmcnt(5)
	v_mov_b32_e32 v36, v13
	s_waitcnt lgkmcnt(0)
	v_mul_f32_e32 v67, v18, v11
	v_fmac_f32_e32 v69, v45, v40
	v_fma_f32 v68, v44, v40, -v24
	v_mul_f32_e32 v11, v19, v11
	v_pk_mul_f32 v[36:37], v[20:21], v[36:37] op_sel:[1,0] op_sel_hi:[0,0]
	v_fmac_f32_e32 v67, v19, v10
	v_fma_f32 v66, v18, v10, -v11
	ds_read2_b64 v[24:27], v62 offset0:121 offset1:122
	ds_read2_b64 v[28:31], v62 offset0:123 offset1:124
	;; [unrolled: 1-line block ×3, first 2 shown]
	ds_read_b64 v[10:11], v62 offset:1016
	v_pk_add_f32 v[18:19], v[70:71], v[68:69]
	v_pk_fma_f32 v[38:39], v[20:21], v[12:13], v[36:37] neg_lo:[0,0,1] neg_hi:[0,0,1]
	v_pk_fma_f32 v[12:13], v[20:21], v[12:13], v[36:37] op_sel_hi:[1,0,1]
	v_pk_add_f32 v[18:19], v[18:19], v[66:67]
	v_mov_b32_e32 v39, v13
	v_pk_add_f32 v[12:13], v[18:19], v[38:39]
	s_waitcnt vmcnt(4) lgkmcnt(3)
	v_pk_mul_f32 v[18:19], v[24:25], v[14:15] op_sel:[1,1] op_sel_hi:[0,1]
	v_pk_fma_f32 v[20:21], v[24:25], v[14:15], v[18:19] neg_lo:[0,0,1] neg_hi:[0,0,1]
	v_pk_fma_f32 v[14:15], v[24:25], v[14:15], v[18:19] op_sel_hi:[1,0,1]
	s_nop 0
	v_mov_b32_e32 v14, v17
	v_mov_b32_e32 v21, v15
	v_pk_mul_f32 v[14:15], v[26:27], v[14:15] op_sel:[1,0] op_sel_hi:[0,0]
	v_pk_fma_f32 v[18:19], v[26:27], v[16:17], v[14:15] neg_lo:[0,0,1] neg_hi:[0,0,1]
	v_pk_fma_f32 v[14:15], v[26:27], v[16:17], v[14:15] op_sel_hi:[1,0,1]
	v_pk_add_f32 v[12:13], v[12:13], v[20:21]
	v_mov_b32_e32 v19, v15
	s_waitcnt vmcnt(3) lgkmcnt(2)
	v_pk_mul_f32 v[14:15], v[28:29], v[6:7] op_sel:[1,1] op_sel_hi:[0,1]
	v_pk_fma_f32 v[16:17], v[28:29], v[6:7], v[14:15] neg_lo:[0,0,1] neg_hi:[0,0,1]
	v_pk_fma_f32 v[6:7], v[28:29], v[6:7], v[14:15] op_sel_hi:[1,0,1]
	v_pk_add_f32 v[12:13], v[12:13], v[18:19]
	v_mov_b32_e32 v17, v7
	v_pk_add_f32 v[6:7], v[12:13], v[16:17]
	v_mov_b32_e32 v12, v9
	v_pk_mul_f32 v[12:13], v[30:31], v[12:13] op_sel:[1,0] op_sel_hi:[0,0]
	v_pk_fma_f32 v[14:15], v[30:31], v[8:9], v[12:13] neg_lo:[0,0,1] neg_hi:[0,0,1]
	v_pk_fma_f32 v[8:9], v[30:31], v[8:9], v[12:13] op_sel_hi:[1,0,1]
	s_nop 0
	v_mov_b32_e32 v15, v9
	s_waitcnt vmcnt(2) lgkmcnt(1)
	v_pk_mul_f32 v[8:9], v[32:33], v[2:3] op_sel:[1,1] op_sel_hi:[0,1]
	v_pk_fma_f32 v[12:13], v[32:33], v[2:3], v[8:9] neg_lo:[0,0,1] neg_hi:[0,0,1]
	v_pk_fma_f32 v[2:3], v[32:33], v[2:3], v[8:9] op_sel_hi:[1,0,1]
	v_pk_add_f32 v[6:7], v[6:7], v[14:15]
	v_mov_b32_e32 v13, v3
	v_pk_add_f32 v[2:3], v[6:7], v[12:13]
	v_mov_b32_e32 v6, v5
	v_pk_mul_f32 v[6:7], v[34:35], v[6:7] op_sel:[1,0] op_sel_hi:[0,0]
	v_pk_fma_f32 v[8:9], v[34:35], v[4:5], v[6:7] neg_lo:[0,0,1] neg_hi:[0,0,1]
	v_pk_fma_f32 v[4:5], v[34:35], v[4:5], v[6:7] op_sel_hi:[1,0,1]
	s_nop 0
	v_mov_b32_e32 v9, v5
	s_waitcnt vmcnt(1) lgkmcnt(0)
	v_pk_mul_f32 v[4:5], v[10:11], v[64:65] op_sel:[1,1] op_sel_hi:[0,1]
	v_pk_fma_f32 v[6:7], v[10:11], v[64:65], v[4:5] neg_lo:[0,0,1] neg_hi:[0,0,1]
	v_pk_fma_f32 v[4:5], v[10:11], v[64:65], v[4:5] op_sel_hi:[1,0,1]
	v_pk_add_f32 v[2:3], v[2:3], v[8:9]
	v_mov_b32_e32 v7, v5
	v_pk_add_f32 v[2:3], v[2:3], v[6:7]
	s_waitcnt vmcnt(0)
	v_pk_add_f32 v[2:3], v[22:23], v[2:3] neg_lo:[0,1] neg_hi:[0,1]
	scratch_store_dwordx2 off, v[2:3], off offset:272
	s_and_saveexec_b64 s[0:1], vcc
	s_cbranch_execz .LBB127_331
; %bb.330:
	scratch_load_dwordx2 v[2:3], off, off offset:264
	v_mov_b32_e32 v63, v62
	scratch_store_dwordx2 off, v[62:63], off offset:264
	s_waitcnt vmcnt(1)
	ds_write_b64 v1, v[2:3]
.LBB127_331:
	s_or_b64 exec, exec, s[0:1]
	s_waitcnt lgkmcnt(0)
	; wave barrier
	ds_read_b128 v[14:17], v62 offset:784
	ds_read_b128 v[10:13], v62 offset:800
	;; [unrolled: 1-line block ×4, first 2 shown]
	scratch_load_dwordx4 v[18:21], off, off offset:272
	scratch_load_dwordx4 v[38:41], off, off offset:336
	;; [unrolled: 1-line block ×5, first 2 shown]
	ds_read_b128 v[76:79], v62 offset:912
	ds_read_b128 v[84:87], v62 offset:928
	;; [unrolled: 1-line block ×3, first 2 shown]
	v_cmp_lt_u32_e32 vcc, 32, v0
	scratch_load_dwordx4 v[52:55], off, off offset:352
	scratch_load_dwordx4 v[64:67], off, off offset:368
	;; [unrolled: 1-line block ×3, first 2 shown]
	ds_read_b128 v[56:59], v62 offset:880
	ds_read_b128 v[68:71], v62 offset:896
	s_waitcnt vmcnt(7) lgkmcnt(8)
	v_mul_f32_e32 v22, v14, v19
	v_fmac_f32_e32 v22, v15, v18
	v_mul_f32_e32 v23, v16, v21
	v_add_f32_e32 v22, 0, v22
	v_fmac_f32_e32 v23, v17, v20
	v_add_f32_e32 v26, v22, v23
	scratch_load_dwordx4 v[22:25], off, off offset:288
	v_mul_f32_e32 v15, v15, v19
	v_fma_f32 v14, v14, v18, -v15
	v_mul_f32_e32 v15, v17, v21
	v_add_f32_e32 v14, 0, v14
	v_fma_f32 v15, v16, v20, -v15
	v_add_f32_e32 v14, v14, v15
	s_waitcnt vmcnt(4) lgkmcnt(2)
	v_mul_f32_e32 v49, v92, v97
	v_fmac_f32_e32 v49, v93, v96
	v_mul_f32_e32 v51, v94, v99
	v_fmac_f32_e32 v51, v95, v98
	s_waitcnt vmcnt(0)
	v_mul_f32_e32 v27, v10, v23
	v_fmac_f32_e32 v27, v11, v22
	v_add_f32_e32 v26, v26, v27
	v_mul_f32_e32 v27, v12, v25
	v_fmac_f32_e32 v27, v13, v24
	v_add_f32_e32 v30, v26, v27
	scratch_load_dwordx4 v[26:29], off, off offset:304
	v_mul_f32_e32 v11, v11, v23
	v_fma_f32 v10, v10, v22, -v11
	v_mul_f32_e32 v11, v13, v25
	v_add_f32_e32 v10, v14, v10
	v_fma_f32 v11, v12, v24, -v11
	v_add_f32_e32 v10, v10, v11
	s_waitcnt vmcnt(0)
	v_mul_f32_e32 v31, v6, v27
	v_fmac_f32_e32 v31, v7, v26
	v_add_f32_e32 v30, v30, v31
	v_mul_f32_e32 v31, v8, v29
	v_fmac_f32_e32 v31, v9, v28
	v_add_f32_e32 v34, v30, v31
	scratch_load_dwordx4 v[30:33], off, off offset:320
	v_mul_f32_e32 v7, v7, v27
	v_fma_f32 v6, v6, v26, -v7
	v_mul_f32_e32 v7, v9, v29
	v_add_f32_e32 v6, v10, v6
	v_fma_f32 v7, v8, v28, -v7
	v_add_f32_e32 v6, v6, v7
	s_waitcnt vmcnt(0)
	v_mul_f32_e32 v35, v2, v31
	v_fmac_f32_e32 v35, v3, v30
	v_add_f32_e32 v34, v34, v35
	v_mul_f32_e32 v35, v4, v33
	v_fmac_f32_e32 v35, v5, v32
	v_add_f32_e32 v42, v34, v35
	ds_read_b128 v[34:37], v62 offset:848
	v_mul_f32_e32 v3, v3, v31
	v_fma_f32 v2, v2, v30, -v3
	v_mul_f32_e32 v3, v5, v33
	v_add_f32_e32 v2, v6, v2
	s_waitcnt lgkmcnt(0)
	v_mul_f32_e32 v43, v34, v39
	v_fmac_f32_e32 v43, v35, v38
	v_add_f32_e32 v42, v42, v43
	v_mul_f32_e32 v43, v36, v41
	v_fmac_f32_e32 v43, v37, v40
	v_add_f32_e32 v46, v42, v43
	ds_read_b128 v[42:45], v62 offset:864
	scratch_load_dwordx4 v[100:103], off, off offset:448
	scratch_load_dwordx4 v[104:107], off, off offset:464
	;; [unrolled: 1-line block ×4, first 2 shown]
	v_fma_f32 v3, v4, v32, -v3
	v_add_f32_e32 v2, v2, v3
	v_mul_f32_e32 v3, v35, v39
	v_fma_f32 v3, v34, v38, -v3
	v_add_f32_e32 v2, v2, v3
	v_mul_f32_e32 v3, v37, v41
	v_fma_f32 v3, v36, v40, -v3
	s_waitcnt lgkmcnt(0)
	v_mul_f32_e32 v47, v42, v53
	v_add_f32_e32 v2, v2, v3
	v_mul_f32_e32 v3, v43, v53
	v_fmac_f32_e32 v47, v43, v52
	v_fma_f32 v3, v42, v52, -v3
	v_add_f32_e32 v46, v46, v47
	v_mul_f32_e32 v47, v44, v55
	v_add_f32_e32 v2, v2, v3
	v_mul_f32_e32 v3, v45, v55
	v_fmac_f32_e32 v47, v45, v54
	v_fma_f32 v3, v44, v54, -v3
	v_add_f32_e32 v46, v46, v47
	;; [unrolled: 6-line block ×10, first 2 shown]
	v_add_f32_e32 v46, v2, v3
	v_mul_f32_e32 v2, v93, v97
	v_fma_f32 v48, v92, v96, -v2
	v_mul_f32_e32 v2, v95, v99
	v_fma_f32 v50, v94, v98, -v2
	ds_read_b128 v[2:5], v62 offset:960
	ds_read_b128 v[6:9], v62 offset:976
	ds_read_b128 v[10:13], v62 offset:992
	ds_read_b128 v[14:17], v62 offset:1008
	v_pk_add_f32 v[18:19], v[46:47], v[48:49]
	s_waitcnt vmcnt(3) lgkmcnt(3)
	v_pk_mul_f32 v[20:21], v[2:3], v[100:101] op_sel:[1,1] op_sel_hi:[0,1]
	v_pk_fma_f32 v[22:23], v[2:3], v[100:101], v[20:21] neg_lo:[0,0,1] neg_hi:[0,0,1]
	v_pk_fma_f32 v[2:3], v[2:3], v[100:101], v[20:21] op_sel_hi:[1,0,1]
	v_pk_add_f32 v[18:19], v[18:19], v[50:51]
	v_mov_b32_e32 v23, v3
	v_pk_add_f32 v[2:3], v[18:19], v[22:23]
	v_mov_b32_e32 v18, v103
	v_pk_mul_f32 v[18:19], v[4:5], v[18:19] op_sel:[1,0] op_sel_hi:[0,0]
	v_pk_fma_f32 v[20:21], v[4:5], v[102:103], v[18:19] neg_lo:[0,0,1] neg_hi:[0,0,1]
	v_pk_fma_f32 v[4:5], v[4:5], v[102:103], v[18:19] op_sel_hi:[1,0,1]
	s_nop 0
	v_mov_b32_e32 v21, v5
	s_waitcnt vmcnt(2) lgkmcnt(2)
	v_pk_mul_f32 v[4:5], v[6:7], v[104:105] op_sel:[1,1] op_sel_hi:[0,1]
	v_pk_fma_f32 v[18:19], v[6:7], v[104:105], v[4:5] neg_lo:[0,0,1] neg_hi:[0,0,1]
	v_pk_fma_f32 v[4:5], v[6:7], v[104:105], v[4:5] op_sel_hi:[1,0,1]
	v_pk_add_f32 v[2:3], v[2:3], v[20:21]
	v_mov_b32_e32 v4, v107
	v_mov_b32_e32 v19, v5
	v_pk_mul_f32 v[4:5], v[8:9], v[4:5] op_sel:[1,0] op_sel_hi:[0,0]
	v_pk_fma_f32 v[6:7], v[8:9], v[106:107], v[4:5] neg_lo:[0,0,1] neg_hi:[0,0,1]
	v_pk_fma_f32 v[4:5], v[8:9], v[106:107], v[4:5] op_sel_hi:[1,0,1]
	v_pk_add_f32 v[2:3], v[2:3], v[18:19]
	v_mov_b32_e32 v7, v5
	s_waitcnt vmcnt(1) lgkmcnt(1)
	v_pk_mul_f32 v[4:5], v[10:11], v[108:109] op_sel:[1,1] op_sel_hi:[0,1]
	v_pk_add_f32 v[2:3], v[2:3], v[6:7]
	v_pk_fma_f32 v[6:7], v[10:11], v[108:109], v[4:5] neg_lo:[0,0,1] neg_hi:[0,0,1]
	v_pk_fma_f32 v[4:5], v[10:11], v[108:109], v[4:5] op_sel_hi:[1,0,1]
	s_nop 0
	v_mov_b32_e32 v4, v111
	v_mov_b32_e32 v7, v5
	v_pk_mul_f32 v[4:5], v[12:13], v[4:5] op_sel:[1,0] op_sel_hi:[0,0]
	v_pk_add_f32 v[2:3], v[2:3], v[6:7]
	v_pk_fma_f32 v[6:7], v[12:13], v[110:111], v[4:5] neg_lo:[0,0,1] neg_hi:[0,0,1]
	v_pk_fma_f32 v[4:5], v[12:13], v[110:111], v[4:5] op_sel_hi:[1,0,1]
	s_nop 0
	v_mov_b32_e32 v7, v5
	s_waitcnt vmcnt(0) lgkmcnt(0)
	v_pk_mul_f32 v[4:5], v[14:15], v[112:113] op_sel:[1,1] op_sel_hi:[0,1]
	v_pk_add_f32 v[2:3], v[2:3], v[6:7]
	v_pk_fma_f32 v[6:7], v[14:15], v[112:113], v[4:5] neg_lo:[0,0,1] neg_hi:[0,0,1]
	v_pk_fma_f32 v[4:5], v[14:15], v[112:113], v[4:5] op_sel_hi:[1,0,1]
	s_nop 0
	v_mov_b32_e32 v4, v115
	v_mov_b32_e32 v7, v5
	v_pk_mul_f32 v[4:5], v[16:17], v[4:5] op_sel:[1,0] op_sel_hi:[0,0]
	v_pk_add_f32 v[2:3], v[2:3], v[6:7]
	v_pk_fma_f32 v[6:7], v[16:17], v[114:115], v[4:5] neg_lo:[0,0,1] neg_hi:[0,0,1]
	v_pk_fma_f32 v[4:5], v[16:17], v[114:115], v[4:5] op_sel_hi:[1,0,1]
	s_nop 0
	v_mov_b32_e32 v7, v5
	scratch_load_dwordx2 v[4:5], off, off offset:264
	v_pk_add_f32 v[2:3], v[2:3], v[6:7]
	s_waitcnt vmcnt(0)
	v_pk_add_f32 v[2:3], v[4:5], v[2:3] neg_lo:[0,1] neg_hi:[0,1]
	scratch_store_dwordx2 off, v[2:3], off offset:264
	s_and_saveexec_b64 s[0:1], vcc
	s_cbranch_execz .LBB127_333
; %bb.332:
	scratch_load_dwordx2 v[2:3], off, off offset:256
	v_mov_b32_e32 v4, 0
	v_mov_b32_e32 v5, v4
	scratch_store_dwordx2 off, v[4:5], off offset:256
	s_waitcnt vmcnt(1)
	ds_write_b64 v1, v[2:3]
.LBB127_333:
	s_or_b64 exec, exec, s[0:1]
	s_waitcnt lgkmcnt(0)
	; wave barrier
	scratch_load_dwordx4 v[6:9], off, off offset:264
	scratch_load_dwordx4 v[14:17], off, off offset:280
	;; [unrolled: 1-line block ×10, first 2 shown]
	v_mov_b32_e32 v62, 0
	ds_read2_b64 v[2:5], v62 offset0:97 offset1:98
	scratch_load_dwordx4 v[88:91], off, off offset:424
	scratch_load_dwordx4 v[96:99], off, off offset:440
	v_cmp_lt_u32_e32 vcc, 31, v0
	s_waitcnt vmcnt(11) lgkmcnt(0)
	v_mul_f32_e32 v10, v2, v7
	v_fmac_f32_e32 v10, v3, v6
	v_mul_f32_e32 v11, v4, v9
	v_add_f32_e32 v10, 0, v10
	v_fmac_f32_e32 v11, v5, v8
	v_add_f32_e32 v18, v10, v11
	ds_read2_b64 v[10:13], v62 offset0:99 offset1:100
	v_mul_f32_e32 v3, v3, v7
	v_fma_f32 v2, v2, v6, -v3
	v_mul_f32_e32 v3, v5, v9
	v_add_f32_e32 v2, 0, v2
	s_waitcnt vmcnt(10) lgkmcnt(0)
	v_mul_f32_e32 v19, v10, v15
	v_fmac_f32_e32 v19, v11, v14
	v_add_f32_e32 v18, v18, v19
	v_mul_f32_e32 v19, v12, v17
	v_fmac_f32_e32 v19, v13, v16
	v_add_f32_e32 v26, v18, v19
	ds_read2_b64 v[18:21], v62 offset0:101 offset1:102
	v_fma_f32 v3, v4, v8, -v3
	v_add_f32_e32 v2, v2, v3
	v_mul_f32_e32 v3, v11, v15
	v_fma_f32 v3, v10, v14, -v3
	s_waitcnt vmcnt(9) lgkmcnt(0)
	v_mul_f32_e32 v27, v18, v23
	v_fmac_f32_e32 v27, v19, v22
	v_add_f32_e32 v26, v26, v27
	v_mul_f32_e32 v27, v20, v25
	v_fmac_f32_e32 v27, v21, v24
	v_add_f32_e32 v34, v26, v27
	ds_read2_b64 v[26:29], v62 offset0:103 offset1:104
	v_add_f32_e32 v2, v2, v3
	v_mul_f32_e32 v3, v13, v17
	v_fma_f32 v3, v12, v16, -v3
	v_add_f32_e32 v2, v2, v3
	s_waitcnt vmcnt(8) lgkmcnt(0)
	v_mul_f32_e32 v35, v26, v31
	v_fmac_f32_e32 v35, v27, v30
	v_add_f32_e32 v34, v34, v35
	v_mul_f32_e32 v35, v28, v33
	v_fmac_f32_e32 v35, v29, v32
	v_add_f32_e32 v42, v34, v35
	ds_read2_b64 v[34:37], v62 offset0:105 offset1:106
	v_mul_f32_e32 v3, v19, v23
	v_fma_f32 v3, v18, v22, -v3
	v_add_f32_e32 v2, v2, v3
	v_mul_f32_e32 v3, v21, v25
	s_waitcnt vmcnt(7) lgkmcnt(0)
	v_mul_f32_e32 v43, v34, v39
	v_fmac_f32_e32 v43, v35, v38
	v_add_f32_e32 v42, v42, v43
	v_mul_f32_e32 v43, v36, v41
	v_fmac_f32_e32 v43, v37, v40
	v_add_f32_e32 v50, v42, v43
	ds_read2_b64 v[42:45], v62 offset0:107 offset1:108
	v_fma_f32 v3, v20, v24, -v3
	v_add_f32_e32 v2, v2, v3
	v_mul_f32_e32 v3, v27, v31
	v_fma_f32 v3, v26, v30, -v3
	s_waitcnt vmcnt(6) lgkmcnt(0)
	v_mul_f32_e32 v51, v42, v47
	v_fmac_f32_e32 v51, v43, v46
	v_add_f32_e32 v50, v50, v51
	v_mul_f32_e32 v51, v44, v49
	v_fmac_f32_e32 v51, v45, v48
	v_add_f32_e32 v58, v50, v51
	ds_read2_b64 v[50:53], v62 offset0:109 offset1:110
	v_add_f32_e32 v2, v2, v3
	v_mul_f32_e32 v3, v29, v33
	v_fma_f32 v3, v28, v32, -v3
	v_add_f32_e32 v2, v2, v3
	s_waitcnt vmcnt(5) lgkmcnt(0)
	v_mul_f32_e32 v59, v50, v55
	v_fmac_f32_e32 v59, v51, v54
	v_add_f32_e32 v58, v58, v59
	v_mul_f32_e32 v59, v52, v57
	v_fmac_f32_e32 v59, v53, v56
	v_add_f32_e32 v63, v58, v59
	ds_read2_b64 v[58:61], v62 offset0:111 offset1:112
	v_mul_f32_e32 v3, v35, v39
	v_fma_f32 v3, v34, v38, -v3
	v_add_f32_e32 v2, v2, v3
	v_mul_f32_e32 v3, v37, v41
	;; [unrolled: 36-line block ×3, first 2 shown]
	s_waitcnt vmcnt(1) lgkmcnt(0)
	v_mul_f32_e32 v92, v84, v89
	v_fmac_f32_e32 v92, v85, v88
	v_add_f32_e32 v113, v63, v92
	ds_read2_b64 v[92:95], v62 offset0:119 offset1:120
	scratch_load_dwordx4 v[100:103], off, off offset:456
	scratch_load_dwordx4 v[104:107], off, off offset:472
	;; [unrolled: 1-line block ×3, first 2 shown]
	scratch_load_dwordx2 v[118:119], off, off offset:504
	v_fma_f32 v3, v52, v56, -v3
	v_add_f32_e32 v2, v2, v3
	v_mul_f32_e32 v3, v59, v65
	v_fma_f32 v3, v58, v64, -v3
	v_add_f32_e32 v2, v2, v3
	v_mul_f32_e32 v3, v61, v67
	;; [unrolled: 3-line block ×8, first 2 shown]
	v_mul_f32_e32 v115, v86, v91
	v_fma_f32 v114, v86, v90, -v2
	s_waitcnt vmcnt(4) lgkmcnt(0)
	v_mul_f32_e32 v2, v93, v97
	v_mov_b32_e32 v18, v99
	v_fmac_f32_e32 v115, v87, v90
	v_mul_f32_e32 v117, v92, v97
	v_fma_f32 v116, v92, v96, -v2
	ds_read2_b64 v[2:5], v62 offset0:121 offset1:122
	ds_read2_b64 v[6:9], v62 offset0:123 offset1:124
	;; [unrolled: 1-line block ×3, first 2 shown]
	ds_read_b64 v[14:15], v62 offset:1016
	v_pk_mul_f32 v[18:19], v[94:95], v[18:19] op_sel:[1,0] op_sel_hi:[0,0]
	v_fmac_f32_e32 v117, v93, v96
	v_pk_add_f32 v[16:17], v[112:113], v[114:115]
	v_pk_fma_f32 v[20:21], v[94:95], v[98:99], v[18:19] neg_lo:[0,0,1] neg_hi:[0,0,1]
	v_pk_fma_f32 v[18:19], v[94:95], v[98:99], v[18:19] op_sel_hi:[1,0,1]
	v_pk_add_f32 v[16:17], v[16:17], v[116:117]
	v_mov_b32_e32 v21, v19
	v_pk_add_f32 v[16:17], v[16:17], v[20:21]
	s_waitcnt vmcnt(3) lgkmcnt(3)
	v_pk_mul_f32 v[18:19], v[2:3], v[100:101] op_sel:[1,1] op_sel_hi:[0,1]
	v_pk_fma_f32 v[20:21], v[2:3], v[100:101], v[18:19] neg_lo:[0,0,1] neg_hi:[0,0,1]
	v_pk_fma_f32 v[2:3], v[2:3], v[100:101], v[18:19] op_sel_hi:[1,0,1]
	s_nop 0
	v_mov_b32_e32 v21, v3
	v_pk_add_f32 v[2:3], v[16:17], v[20:21]
	v_mov_b32_e32 v16, v103
	v_pk_mul_f32 v[16:17], v[4:5], v[16:17] op_sel:[1,0] op_sel_hi:[0,0]
	v_pk_fma_f32 v[18:19], v[4:5], v[102:103], v[16:17] neg_lo:[0,0,1] neg_hi:[0,0,1]
	v_pk_fma_f32 v[4:5], v[4:5], v[102:103], v[16:17] op_sel_hi:[1,0,1]
	s_nop 0
	v_mov_b32_e32 v19, v5
	s_waitcnt vmcnt(2) lgkmcnt(2)
	v_pk_mul_f32 v[4:5], v[6:7], v[104:105] op_sel:[1,1] op_sel_hi:[0,1]
	v_pk_fma_f32 v[16:17], v[6:7], v[104:105], v[4:5] neg_lo:[0,0,1] neg_hi:[0,0,1]
	v_pk_fma_f32 v[4:5], v[6:7], v[104:105], v[4:5] op_sel_hi:[1,0,1]
	v_pk_add_f32 v[2:3], v[2:3], v[18:19]
	v_mov_b32_e32 v4, v107
	v_mov_b32_e32 v17, v5
	v_pk_mul_f32 v[4:5], v[8:9], v[4:5] op_sel:[1,0] op_sel_hi:[0,0]
	v_pk_fma_f32 v[6:7], v[8:9], v[106:107], v[4:5] neg_lo:[0,0,1] neg_hi:[0,0,1]
	v_pk_fma_f32 v[4:5], v[8:9], v[106:107], v[4:5] op_sel_hi:[1,0,1]
	v_pk_add_f32 v[2:3], v[2:3], v[16:17]
	v_mov_b32_e32 v7, v5
	s_waitcnt vmcnt(1) lgkmcnt(1)
	v_pk_mul_f32 v[4:5], v[10:11], v[108:109] op_sel:[1,1] op_sel_hi:[0,1]
	v_pk_add_f32 v[2:3], v[2:3], v[6:7]
	v_pk_fma_f32 v[6:7], v[10:11], v[108:109], v[4:5] neg_lo:[0,0,1] neg_hi:[0,0,1]
	v_pk_fma_f32 v[4:5], v[10:11], v[108:109], v[4:5] op_sel_hi:[1,0,1]
	s_nop 0
	v_mov_b32_e32 v4, v111
	v_mov_b32_e32 v7, v5
	v_pk_mul_f32 v[4:5], v[12:13], v[4:5] op_sel:[1,0] op_sel_hi:[0,0]
	v_pk_add_f32 v[2:3], v[2:3], v[6:7]
	v_pk_fma_f32 v[6:7], v[12:13], v[110:111], v[4:5] neg_lo:[0,0,1] neg_hi:[0,0,1]
	v_pk_fma_f32 v[4:5], v[12:13], v[110:111], v[4:5] op_sel_hi:[1,0,1]
	s_nop 0
	v_mov_b32_e32 v7, v5
	s_waitcnt vmcnt(0) lgkmcnt(0)
	v_pk_mul_f32 v[4:5], v[14:15], v[118:119] op_sel:[1,1] op_sel_hi:[0,1]
	v_pk_add_f32 v[2:3], v[2:3], v[6:7]
	v_pk_fma_f32 v[6:7], v[14:15], v[118:119], v[4:5] neg_lo:[0,0,1] neg_hi:[0,0,1]
	v_pk_fma_f32 v[4:5], v[14:15], v[118:119], v[4:5] op_sel_hi:[1,0,1]
	s_nop 0
	v_mov_b32_e32 v7, v5
	scratch_load_dwordx2 v[4:5], off, off offset:256
	v_pk_add_f32 v[2:3], v[2:3], v[6:7]
	s_waitcnt vmcnt(0)
	v_pk_add_f32 v[2:3], v[4:5], v[2:3] neg_lo:[0,1] neg_hi:[0,1]
	scratch_store_dwordx2 off, v[2:3], off offset:256
	s_and_saveexec_b64 s[0:1], vcc
	s_cbranch_execz .LBB127_335
; %bb.334:
	scratch_load_dwordx2 v[2:3], off, off offset:248
	v_mov_b32_e32 v63, v62
	scratch_store_dwordx2 off, v[62:63], off offset:248
	s_waitcnt vmcnt(1)
	ds_write_b64 v1, v[2:3]
.LBB127_335:
	s_or_b64 exec, exec, s[0:1]
	s_waitcnt lgkmcnt(0)
	; wave barrier
	ds_read_b128 v[14:17], v62 offset:768
	ds_read_b128 v[10:13], v62 offset:784
	ds_read_b128 v[6:9], v62 offset:800
	ds_read_b128 v[2:5], v62 offset:816
	scratch_load_dwordx4 v[18:21], off, off offset:256
	scratch_load_dwordx4 v[38:41], off, off offset:320
	;; [unrolled: 1-line block ×6, first 2 shown]
	v_cmp_lt_u32_e32 vcc, 30, v0
	scratch_load_dwordx4 v[46:49], off, off offset:336
	scratch_load_dwordx4 v[54:57], off, off offset:352
	;; [unrolled: 1-line block ×3, first 2 shown]
	s_waitcnt vmcnt(8) lgkmcnt(3)
	v_mul_f32_e32 v22, v14, v19
	v_fmac_f32_e32 v22, v15, v18
	v_mul_f32_e32 v23, v16, v21
	v_add_f32_e32 v22, 0, v22
	v_fmac_f32_e32 v23, v17, v20
	v_add_f32_e32 v26, v22, v23
	scratch_load_dwordx4 v[22:25], off, off offset:272
	v_mul_f32_e32 v15, v15, v19
	v_fma_f32 v14, v14, v18, -v15
	v_mul_f32_e32 v15, v17, v21
	v_add_f32_e32 v14, 0, v14
	v_fma_f32 v15, v16, v20, -v15
	v_add_f32_e32 v14, v14, v15
	s_waitcnt vmcnt(0) lgkmcnt(2)
	v_mul_f32_e32 v27, v10, v23
	v_fmac_f32_e32 v27, v11, v22
	v_add_f32_e32 v26, v26, v27
	v_mul_f32_e32 v27, v12, v25
	v_fmac_f32_e32 v27, v13, v24
	v_add_f32_e32 v30, v26, v27
	scratch_load_dwordx4 v[26:29], off, off offset:288
	v_mul_f32_e32 v11, v11, v23
	v_fma_f32 v10, v10, v22, -v11
	v_mul_f32_e32 v11, v13, v25
	v_add_f32_e32 v10, v14, v10
	v_fma_f32 v11, v12, v24, -v11
	v_add_f32_e32 v10, v10, v11
	s_waitcnt vmcnt(0) lgkmcnt(1)
	v_mul_f32_e32 v31, v6, v27
	v_fmac_f32_e32 v31, v7, v26
	v_add_f32_e32 v30, v30, v31
	v_mul_f32_e32 v31, v8, v29
	;; [unrolled: 14-line block ×3, first 2 shown]
	v_fmac_f32_e32 v35, v5, v32
	v_add_f32_e32 v42, v34, v35
	ds_read_b128 v[34:37], v62 offset:832
	v_mul_f32_e32 v3, v3, v31
	v_fma_f32 v2, v2, v30, -v3
	v_mul_f32_e32 v3, v5, v33
	v_add_f32_e32 v2, v6, v2
	s_waitcnt lgkmcnt(0)
	v_mul_f32_e32 v43, v34, v39
	v_fmac_f32_e32 v43, v35, v38
	v_add_f32_e32 v42, v42, v43
	v_mul_f32_e32 v43, v36, v41
	v_fmac_f32_e32 v43, v37, v40
	v_add_f32_e32 v50, v42, v43
	ds_read_b128 v[42:45], v62 offset:848
	v_fma_f32 v3, v4, v32, -v3
	v_add_f32_e32 v2, v2, v3
	v_mul_f32_e32 v3, v35, v39
	v_fma_f32 v3, v34, v38, -v3
	s_waitcnt lgkmcnt(0)
	v_mul_f32_e32 v51, v42, v47
	v_fmac_f32_e32 v51, v43, v46
	v_add_f32_e32 v50, v50, v51
	v_mul_f32_e32 v51, v44, v49
	v_fmac_f32_e32 v51, v45, v48
	v_add_f32_e32 v58, v50, v51
	ds_read_b128 v[50:53], v62 offset:864
	v_add_f32_e32 v2, v2, v3
	v_mul_f32_e32 v3, v37, v41
	v_fma_f32 v3, v36, v40, -v3
	v_add_f32_e32 v2, v2, v3
	s_waitcnt lgkmcnt(0)
	v_mul_f32_e32 v59, v50, v55
	v_fmac_f32_e32 v59, v51, v54
	v_add_f32_e32 v58, v58, v59
	v_mul_f32_e32 v59, v52, v57
	v_fmac_f32_e32 v59, v53, v56
	v_add_f32_e32 v63, v58, v59
	ds_read_b128 v[58:61], v62 offset:880
	v_mul_f32_e32 v3, v43, v47
	v_fma_f32 v3, v42, v46, -v3
	v_add_f32_e32 v2, v2, v3
	v_mul_f32_e32 v3, v45, v49
	s_waitcnt lgkmcnt(0)
	v_mul_f32_e32 v68, v58, v65
	v_fmac_f32_e32 v68, v59, v64
	v_add_f32_e32 v63, v63, v68
	v_mul_f32_e32 v68, v60, v67
	v_fmac_f32_e32 v68, v61, v66
	v_add_f32_e32 v63, v63, v68
	ds_read_b128 v[68:71], v62 offset:896
	v_fma_f32 v3, v44, v48, -v3
	v_add_f32_e32 v2, v2, v3
	v_mul_f32_e32 v3, v51, v55
	v_fma_f32 v3, v50, v54, -v3
	s_waitcnt lgkmcnt(0)
	v_mul_f32_e32 v76, v68, v73
	v_fmac_f32_e32 v76, v69, v72
	v_add_f32_e32 v63, v63, v76
	v_mul_f32_e32 v76, v70, v75
	v_fmac_f32_e32 v76, v71, v74
	v_add_f32_e32 v63, v63, v76
	ds_read_b128 v[76:79], v62 offset:912
	v_add_f32_e32 v2, v2, v3
	v_mul_f32_e32 v3, v53, v57
	v_fma_f32 v3, v52, v56, -v3
	v_add_f32_e32 v2, v2, v3
	s_waitcnt lgkmcnt(0)
	v_mul_f32_e32 v84, v76, v81
	v_fmac_f32_e32 v84, v77, v80
	v_add_f32_e32 v63, v63, v84
	v_mul_f32_e32 v84, v78, v83
	v_fmac_f32_e32 v84, v79, v82
	v_add_f32_e32 v63, v63, v84
	ds_read_b128 v[84:87], v62 offset:928
	v_mul_f32_e32 v3, v59, v65
	v_fma_f32 v3, v58, v64, -v3
	v_add_f32_e32 v2, v2, v3
	v_mul_f32_e32 v3, v61, v67
	s_waitcnt lgkmcnt(0)
	v_mul_f32_e32 v92, v84, v89
	v_fmac_f32_e32 v92, v85, v88
	v_add_f32_e32 v63, v63, v92
	v_mul_f32_e32 v92, v86, v91
	v_fmac_f32_e32 v92, v87, v90
	v_add_f32_e32 v117, v63, v92
	ds_read_b128 v[92:95], v62 offset:944
	scratch_load_dwordx4 v[100:103], off, off offset:448
	scratch_load_dwordx4 v[104:107], off, off offset:464
	;; [unrolled: 1-line block ×4, first 2 shown]
	v_fma_f32 v3, v60, v66, -v3
	v_add_f32_e32 v2, v2, v3
	v_mul_f32_e32 v3, v69, v73
	v_fma_f32 v3, v68, v72, -v3
	v_add_f32_e32 v2, v2, v3
	v_mul_f32_e32 v3, v71, v75
	;; [unrolled: 3-line block ×6, first 2 shown]
	v_fma_f32 v3, v86, v90, -v3
	v_add_f32_e32 v116, v2, v3
	s_waitcnt lgkmcnt(0)
	v_mul_f32_e32 v2, v93, v97
	v_fma_f32 v118, v92, v96, -v2
	v_mul_f32_e32 v2, v95, v99
	v_fma_f32 v120, v94, v98, -v2
	ds_read_b128 v[2:5], v62 offset:960
	ds_read_b128 v[6:9], v62 offset:976
	ds_read_b128 v[10:13], v62 offset:992
	ds_read_b128 v[14:17], v62 offset:1008
	v_mul_f32_e32 v119, v92, v97
	v_fmac_f32_e32 v119, v93, v96
	v_mul_f32_e32 v121, v94, v99
	v_fmac_f32_e32 v121, v95, v98
	v_pk_add_f32 v[18:19], v[116:117], v[118:119]
	s_waitcnt vmcnt(3) lgkmcnt(3)
	v_pk_mul_f32 v[20:21], v[2:3], v[100:101] op_sel:[1,1] op_sel_hi:[0,1]
	v_pk_fma_f32 v[22:23], v[2:3], v[100:101], v[20:21] neg_lo:[0,0,1] neg_hi:[0,0,1]
	v_pk_fma_f32 v[2:3], v[2:3], v[100:101], v[20:21] op_sel_hi:[1,0,1]
	v_pk_add_f32 v[18:19], v[18:19], v[120:121]
	v_mov_b32_e32 v23, v3
	v_pk_add_f32 v[2:3], v[18:19], v[22:23]
	v_mov_b32_e32 v18, v103
	v_pk_mul_f32 v[18:19], v[4:5], v[18:19] op_sel:[1,0] op_sel_hi:[0,0]
	v_pk_fma_f32 v[20:21], v[4:5], v[102:103], v[18:19] neg_lo:[0,0,1] neg_hi:[0,0,1]
	v_pk_fma_f32 v[4:5], v[4:5], v[102:103], v[18:19] op_sel_hi:[1,0,1]
	s_nop 0
	v_mov_b32_e32 v21, v5
	s_waitcnt vmcnt(2) lgkmcnt(2)
	v_pk_mul_f32 v[4:5], v[6:7], v[104:105] op_sel:[1,1] op_sel_hi:[0,1]
	v_pk_fma_f32 v[18:19], v[6:7], v[104:105], v[4:5] neg_lo:[0,0,1] neg_hi:[0,0,1]
	v_pk_fma_f32 v[4:5], v[6:7], v[104:105], v[4:5] op_sel_hi:[1,0,1]
	v_pk_add_f32 v[2:3], v[2:3], v[20:21]
	v_mov_b32_e32 v4, v107
	v_mov_b32_e32 v19, v5
	v_pk_mul_f32 v[4:5], v[8:9], v[4:5] op_sel:[1,0] op_sel_hi:[0,0]
	v_pk_fma_f32 v[6:7], v[8:9], v[106:107], v[4:5] neg_lo:[0,0,1] neg_hi:[0,0,1]
	v_pk_fma_f32 v[4:5], v[8:9], v[106:107], v[4:5] op_sel_hi:[1,0,1]
	v_pk_add_f32 v[2:3], v[2:3], v[18:19]
	v_mov_b32_e32 v7, v5
	s_waitcnt vmcnt(1) lgkmcnt(1)
	v_pk_mul_f32 v[4:5], v[10:11], v[108:109] op_sel:[1,1] op_sel_hi:[0,1]
	v_pk_add_f32 v[2:3], v[2:3], v[6:7]
	v_pk_fma_f32 v[6:7], v[10:11], v[108:109], v[4:5] neg_lo:[0,0,1] neg_hi:[0,0,1]
	v_pk_fma_f32 v[4:5], v[10:11], v[108:109], v[4:5] op_sel_hi:[1,0,1]
	s_nop 0
	v_mov_b32_e32 v4, v111
	v_mov_b32_e32 v7, v5
	v_pk_mul_f32 v[4:5], v[12:13], v[4:5] op_sel:[1,0] op_sel_hi:[0,0]
	v_pk_add_f32 v[2:3], v[2:3], v[6:7]
	v_pk_fma_f32 v[6:7], v[12:13], v[110:111], v[4:5] neg_lo:[0,0,1] neg_hi:[0,0,1]
	v_pk_fma_f32 v[4:5], v[12:13], v[110:111], v[4:5] op_sel_hi:[1,0,1]
	s_nop 0
	v_mov_b32_e32 v7, v5
	s_waitcnt vmcnt(0) lgkmcnt(0)
	v_pk_mul_f32 v[4:5], v[14:15], v[112:113] op_sel:[1,1] op_sel_hi:[0,1]
	v_pk_add_f32 v[2:3], v[2:3], v[6:7]
	v_pk_fma_f32 v[6:7], v[14:15], v[112:113], v[4:5] neg_lo:[0,0,1] neg_hi:[0,0,1]
	v_pk_fma_f32 v[4:5], v[14:15], v[112:113], v[4:5] op_sel_hi:[1,0,1]
	s_nop 0
	v_mov_b32_e32 v4, v115
	v_mov_b32_e32 v7, v5
	v_pk_mul_f32 v[4:5], v[16:17], v[4:5] op_sel:[1,0] op_sel_hi:[0,0]
	v_pk_add_f32 v[2:3], v[2:3], v[6:7]
	v_pk_fma_f32 v[6:7], v[16:17], v[114:115], v[4:5] neg_lo:[0,0,1] neg_hi:[0,0,1]
	v_pk_fma_f32 v[4:5], v[16:17], v[114:115], v[4:5] op_sel_hi:[1,0,1]
	s_nop 0
	v_mov_b32_e32 v7, v5
	scratch_load_dwordx2 v[4:5], off, off offset:248
	v_pk_add_f32 v[2:3], v[2:3], v[6:7]
	s_waitcnt vmcnt(0)
	v_pk_add_f32 v[2:3], v[4:5], v[2:3] neg_lo:[0,1] neg_hi:[0,1]
	scratch_store_dwordx2 off, v[2:3], off offset:248
	s_and_saveexec_b64 s[0:1], vcc
	s_cbranch_execz .LBB127_337
; %bb.336:
	scratch_load_dwordx2 v[2:3], off, off offset:240
	v_mov_b32_e32 v4, 0
	v_mov_b32_e32 v5, v4
	scratch_store_dwordx2 off, v[4:5], off offset:240
	s_waitcnt vmcnt(1)
	ds_write_b64 v1, v[2:3]
.LBB127_337:
	s_or_b64 exec, exec, s[0:1]
	s_waitcnt lgkmcnt(0)
	; wave barrier
	scratch_load_dwordx4 v[6:9], off, off offset:248
	scratch_load_dwordx4 v[14:17], off, off offset:264
	;; [unrolled: 1-line block ×10, first 2 shown]
	v_mov_b32_e32 v70, 0
	ds_read2_b64 v[2:5], v70 offset0:95 offset1:96
	scratch_load_dwordx4 v[88:91], off, off offset:408
	scratch_load_dwordx4 v[96:99], off, off offset:424
	;; [unrolled: 1-line block ×3, first 2 shown]
	v_cmp_lt_u32_e32 vcc, 29, v0
	s_waitcnt vmcnt(12) lgkmcnt(0)
	v_mul_f32_e32 v10, v2, v7
	v_fmac_f32_e32 v10, v3, v6
	v_mul_f32_e32 v11, v4, v9
	v_add_f32_e32 v10, 0, v10
	v_fmac_f32_e32 v11, v5, v8
	v_add_f32_e32 v18, v10, v11
	ds_read2_b64 v[10:13], v70 offset0:97 offset1:98
	v_mul_f32_e32 v3, v3, v7
	v_fma_f32 v2, v2, v6, -v3
	v_mul_f32_e32 v3, v5, v9
	v_add_f32_e32 v2, 0, v2
	s_waitcnt vmcnt(11) lgkmcnt(0)
	v_mul_f32_e32 v19, v10, v15
	v_fmac_f32_e32 v19, v11, v14
	v_add_f32_e32 v18, v18, v19
	v_mul_f32_e32 v19, v12, v17
	v_fmac_f32_e32 v19, v13, v16
	v_add_f32_e32 v26, v18, v19
	ds_read2_b64 v[18:21], v70 offset0:99 offset1:100
	v_fma_f32 v3, v4, v8, -v3
	v_add_f32_e32 v2, v2, v3
	v_mul_f32_e32 v3, v11, v15
	v_fma_f32 v3, v10, v14, -v3
	s_waitcnt vmcnt(10) lgkmcnt(0)
	v_mul_f32_e32 v27, v18, v23
	v_fmac_f32_e32 v27, v19, v22
	v_add_f32_e32 v26, v26, v27
	v_mul_f32_e32 v27, v20, v25
	v_fmac_f32_e32 v27, v21, v24
	v_add_f32_e32 v34, v26, v27
	ds_read2_b64 v[26:29], v70 offset0:101 offset1:102
	v_add_f32_e32 v2, v2, v3
	v_mul_f32_e32 v3, v13, v17
	v_fma_f32 v3, v12, v16, -v3
	v_add_f32_e32 v2, v2, v3
	s_waitcnt vmcnt(9) lgkmcnt(0)
	v_mul_f32_e32 v35, v26, v31
	v_fmac_f32_e32 v35, v27, v30
	v_add_f32_e32 v34, v34, v35
	v_mul_f32_e32 v35, v28, v33
	v_fmac_f32_e32 v35, v29, v32
	v_add_f32_e32 v42, v34, v35
	ds_read2_b64 v[34:37], v70 offset0:103 offset1:104
	v_mul_f32_e32 v3, v19, v23
	v_fma_f32 v3, v18, v22, -v3
	v_add_f32_e32 v2, v2, v3
	v_mul_f32_e32 v3, v21, v25
	s_waitcnt vmcnt(8) lgkmcnt(0)
	v_mul_f32_e32 v43, v34, v39
	v_fmac_f32_e32 v43, v35, v38
	v_add_f32_e32 v42, v42, v43
	v_mul_f32_e32 v43, v36, v41
	v_fmac_f32_e32 v43, v37, v40
	v_add_f32_e32 v50, v42, v43
	ds_read2_b64 v[42:45], v70 offset0:105 offset1:106
	v_fma_f32 v3, v20, v24, -v3
	v_add_f32_e32 v2, v2, v3
	v_mul_f32_e32 v3, v27, v31
	v_fma_f32 v3, v26, v30, -v3
	s_waitcnt vmcnt(7) lgkmcnt(0)
	v_mul_f32_e32 v51, v42, v47
	v_fmac_f32_e32 v51, v43, v46
	v_add_f32_e32 v50, v50, v51
	v_mul_f32_e32 v51, v44, v49
	v_fmac_f32_e32 v51, v45, v48
	v_add_f32_e32 v58, v50, v51
	ds_read2_b64 v[50:53], v70 offset0:107 offset1:108
	v_add_f32_e32 v2, v2, v3
	v_mul_f32_e32 v3, v29, v33
	v_fma_f32 v3, v28, v32, -v3
	v_add_f32_e32 v2, v2, v3
	s_waitcnt vmcnt(6) lgkmcnt(0)
	v_mul_f32_e32 v59, v50, v55
	v_fmac_f32_e32 v59, v51, v54
	v_add_f32_e32 v58, v58, v59
	v_mul_f32_e32 v59, v52, v57
	v_fmac_f32_e32 v59, v53, v56
	v_add_f32_e32 v66, v58, v59
	ds_read2_b64 v[58:61], v70 offset0:109 offset1:110
	v_mul_f32_e32 v3, v35, v39
	v_fma_f32 v3, v34, v38, -v3
	v_add_f32_e32 v2, v2, v3
	v_mul_f32_e32 v3, v37, v41
	;; [unrolled: 36-line block ×3, first 2 shown]
	s_waitcnt vmcnt(2) lgkmcnt(0)
	v_mul_f32_e32 v92, v84, v89
	v_fmac_f32_e32 v92, v85, v88
	v_add_f32_e32 v71, v71, v92
	v_mul_f32_e32 v92, v86, v91
	v_fmac_f32_e32 v92, v87, v90
	v_add_f32_e32 v71, v71, v92
	ds_read2_b64 v[92:95], v70 offset0:117 offset1:118
	v_fma_f32 v3, v52, v56, -v3
	v_add_f32_e32 v2, v2, v3
	v_mul_f32_e32 v3, v59, v63
	v_fma_f32 v3, v58, v62, -v3
	s_waitcnt vmcnt(1) lgkmcnt(0)
	v_mul_f32_e32 v100, v92, v97
	v_fmac_f32_e32 v100, v93, v96
	v_add_f32_e32 v121, v71, v100
	ds_read2_b64 v[100:103], v70 offset0:119 offset1:120
	scratch_load_dwordx4 v[108:111], off, off offset:456
	scratch_load_dwordx4 v[112:115], off, off offset:472
	;; [unrolled: 1-line block ×3, first 2 shown]
	scratch_load_dwordx2 v[126:127], off, off offset:504
	v_add_f32_e32 v2, v2, v3
	v_mul_f32_e32 v3, v61, v65
	v_fma_f32 v3, v60, v64, -v3
	v_add_f32_e32 v2, v2, v3
	v_mul_f32_e32 v3, v67, v73
	v_fma_f32 v3, v66, v72, -v3
	;; [unrolled: 3-line block ×8, first 2 shown]
	v_add_f32_e32 v120, v2, v3
	v_mul_f32_e32 v2, v95, v99
	v_mul_f32_e32 v123, v94, v99
	v_fma_f32 v122, v94, v98, -v2
	s_waitcnt vmcnt(4) lgkmcnt(0)
	v_mul_f32_e32 v2, v101, v105
	v_mov_b32_e32 v18, v107
	v_fmac_f32_e32 v123, v95, v98
	v_mul_f32_e32 v125, v100, v105
	v_fma_f32 v124, v100, v104, -v2
	ds_read2_b64 v[2:5], v70 offset0:121 offset1:122
	ds_read2_b64 v[6:9], v70 offset0:123 offset1:124
	ds_read2_b64 v[10:13], v70 offset0:125 offset1:126
	ds_read_b64 v[14:15], v70 offset:1016
	v_pk_mul_f32 v[18:19], v[102:103], v[18:19] op_sel:[1,0] op_sel_hi:[0,0]
	v_fmac_f32_e32 v125, v101, v104
	v_pk_add_f32 v[16:17], v[120:121], v[122:123]
	v_pk_fma_f32 v[20:21], v[102:103], v[106:107], v[18:19] neg_lo:[0,0,1] neg_hi:[0,0,1]
	v_pk_fma_f32 v[18:19], v[102:103], v[106:107], v[18:19] op_sel_hi:[1,0,1]
	v_pk_add_f32 v[16:17], v[16:17], v[124:125]
	v_mov_b32_e32 v21, v19
	v_pk_add_f32 v[16:17], v[16:17], v[20:21]
	s_waitcnt vmcnt(3) lgkmcnt(3)
	v_pk_mul_f32 v[18:19], v[2:3], v[108:109] op_sel:[1,1] op_sel_hi:[0,1]
	v_pk_fma_f32 v[20:21], v[2:3], v[108:109], v[18:19] neg_lo:[0,0,1] neg_hi:[0,0,1]
	v_pk_fma_f32 v[2:3], v[2:3], v[108:109], v[18:19] op_sel_hi:[1,0,1]
	s_nop 0
	v_mov_b32_e32 v21, v3
	v_pk_add_f32 v[2:3], v[16:17], v[20:21]
	v_mov_b32_e32 v16, v111
	v_pk_mul_f32 v[16:17], v[4:5], v[16:17] op_sel:[1,0] op_sel_hi:[0,0]
	v_pk_fma_f32 v[18:19], v[4:5], v[110:111], v[16:17] neg_lo:[0,0,1] neg_hi:[0,0,1]
	v_pk_fma_f32 v[4:5], v[4:5], v[110:111], v[16:17] op_sel_hi:[1,0,1]
	s_nop 0
	v_mov_b32_e32 v19, v5
	s_waitcnt vmcnt(2) lgkmcnt(2)
	v_pk_mul_f32 v[4:5], v[6:7], v[112:113] op_sel:[1,1] op_sel_hi:[0,1]
	v_pk_fma_f32 v[16:17], v[6:7], v[112:113], v[4:5] neg_lo:[0,0,1] neg_hi:[0,0,1]
	v_pk_fma_f32 v[4:5], v[6:7], v[112:113], v[4:5] op_sel_hi:[1,0,1]
	v_pk_add_f32 v[2:3], v[2:3], v[18:19]
	v_mov_b32_e32 v4, v115
	v_mov_b32_e32 v17, v5
	v_pk_mul_f32 v[4:5], v[8:9], v[4:5] op_sel:[1,0] op_sel_hi:[0,0]
	v_pk_fma_f32 v[6:7], v[8:9], v[114:115], v[4:5] neg_lo:[0,0,1] neg_hi:[0,0,1]
	v_pk_fma_f32 v[4:5], v[8:9], v[114:115], v[4:5] op_sel_hi:[1,0,1]
	v_pk_add_f32 v[2:3], v[2:3], v[16:17]
	v_mov_b32_e32 v7, v5
	s_waitcnt vmcnt(1) lgkmcnt(1)
	v_pk_mul_f32 v[4:5], v[10:11], v[116:117] op_sel:[1,1] op_sel_hi:[0,1]
	v_pk_add_f32 v[2:3], v[2:3], v[6:7]
	v_pk_fma_f32 v[6:7], v[10:11], v[116:117], v[4:5] neg_lo:[0,0,1] neg_hi:[0,0,1]
	v_pk_fma_f32 v[4:5], v[10:11], v[116:117], v[4:5] op_sel_hi:[1,0,1]
	s_nop 0
	v_mov_b32_e32 v4, v119
	v_mov_b32_e32 v7, v5
	v_pk_mul_f32 v[4:5], v[12:13], v[4:5] op_sel:[1,0] op_sel_hi:[0,0]
	v_pk_add_f32 v[2:3], v[2:3], v[6:7]
	v_pk_fma_f32 v[6:7], v[12:13], v[118:119], v[4:5] neg_lo:[0,0,1] neg_hi:[0,0,1]
	v_pk_fma_f32 v[4:5], v[12:13], v[118:119], v[4:5] op_sel_hi:[1,0,1]
	s_nop 0
	v_mov_b32_e32 v7, v5
	s_waitcnt vmcnt(0) lgkmcnt(0)
	v_pk_mul_f32 v[4:5], v[14:15], v[126:127] op_sel:[1,1] op_sel_hi:[0,1]
	v_pk_add_f32 v[2:3], v[2:3], v[6:7]
	v_pk_fma_f32 v[6:7], v[14:15], v[126:127], v[4:5] neg_lo:[0,0,1] neg_hi:[0,0,1]
	v_pk_fma_f32 v[4:5], v[14:15], v[126:127], v[4:5] op_sel_hi:[1,0,1]
	s_nop 0
	v_mov_b32_e32 v7, v5
	scratch_load_dwordx2 v[4:5], off, off offset:240
	v_pk_add_f32 v[2:3], v[2:3], v[6:7]
	s_waitcnt vmcnt(0)
	v_pk_add_f32 v[2:3], v[4:5], v[2:3] neg_lo:[0,1] neg_hi:[0,1]
	scratch_store_dwordx2 off, v[2:3], off offset:240
	s_and_saveexec_b64 s[0:1], vcc
	s_cbranch_execz .LBB127_339
; %bb.338:
	scratch_load_dwordx2 v[2:3], off, off offset:232
	v_mov_b32_e32 v71, v70
	scratch_store_dwordx2 off, v[70:71], off offset:232
	s_waitcnt vmcnt(1)
	ds_write_b64 v1, v[2:3]
.LBB127_339:
	s_or_b64 exec, exec, s[0:1]
	s_waitcnt lgkmcnt(0)
	; wave barrier
	ds_read_b128 v[14:17], v70 offset:752
	ds_read_b128 v[10:13], v70 offset:768
	;; [unrolled: 1-line block ×4, first 2 shown]
	scratch_load_dwordx4 v[18:21], off, off offset:240
	scratch_load_dwordx4 v[34:37], off, off offset:288
	;; [unrolled: 1-line block ×8, first 2 shown]
	ds_read_b128 v[38:41], v70 offset:816
	ds_read_b128 v[54:57], v70 offset:832
	;; [unrolled: 1-line block ×8, first 2 shown]
	scratch_load_dwordx4 v[126:129], off, off offset:432
	ds_read_b128 v[122:125], v70 offset:944
	v_cmp_lt_u32_e32 vcc, 28, v0
	scratch_load_dwordx4 v[50:53], off, off offset:304
	scratch_load_dwordx4 v[62:65], off, off offset:320
	s_waitcnt vmcnt(10) lgkmcnt(12)
	v_mul_f32_e32 v22, v14, v19
	v_fmac_f32_e32 v22, v15, v18
	v_mul_f32_e32 v23, v16, v21
	v_add_f32_e32 v22, 0, v22
	v_fmac_f32_e32 v23, v17, v20
	v_add_f32_e32 v26, v22, v23
	scratch_load_dwordx4 v[22:25], off, off offset:256
	v_mul_f32_e32 v15, v15, v19
	v_fma_f32 v14, v14, v18, -v15
	v_mul_f32_e32 v15, v17, v21
	v_add_f32_e32 v14, 0, v14
	v_fma_f32 v15, v16, v20, -v15
	v_add_f32_e32 v14, v14, v15
	s_waitcnt vmcnt(3) lgkmcnt(0)
	v_mul_f32_e32 v75, v122, v127
	v_fmac_f32_e32 v75, v123, v126
	v_mul_f32_e32 v77, v124, v129
	v_fmac_f32_e32 v77, v125, v128
	s_waitcnt vmcnt(0)
	v_mul_f32_e32 v27, v10, v23
	v_fmac_f32_e32 v27, v11, v22
	v_add_f32_e32 v26, v26, v27
	v_mul_f32_e32 v27, v12, v25
	v_fmac_f32_e32 v27, v13, v24
	v_add_f32_e32 v30, v26, v27
	scratch_load_dwordx4 v[26:29], off, off offset:272
	v_mul_f32_e32 v11, v11, v23
	v_fma_f32 v10, v10, v22, -v11
	v_mul_f32_e32 v11, v13, v25
	v_add_f32_e32 v10, v14, v10
	v_fma_f32 v11, v12, v24, -v11
	v_add_f32_e32 v10, v10, v11
	s_waitcnt vmcnt(0)
	v_mul_f32_e32 v31, v6, v27
	v_fmac_f32_e32 v31, v7, v26
	v_add_f32_e32 v30, v30, v31
	v_mul_f32_e32 v31, v8, v29
	v_fmac_f32_e32 v31, v9, v28
	v_add_f32_e32 v30, v30, v31
	v_mul_f32_e32 v31, v2, v35
	v_fmac_f32_e32 v31, v3, v34
	v_add_f32_e32 v30, v30, v31
	v_mul_f32_e32 v31, v4, v37
	v_fmac_f32_e32 v31, v5, v36
	v_add_f32_e32 v30, v30, v31
	v_mul_f32_e32 v31, v38, v51
	v_fmac_f32_e32 v31, v39, v50
	v_add_f32_e32 v30, v30, v31
	v_mul_f32_e32 v31, v40, v53
	v_fmac_f32_e32 v31, v41, v52
	v_add_f32_e32 v30, v30, v31
	v_mul_f32_e32 v31, v54, v63
	v_fmac_f32_e32 v31, v55, v62
	v_add_f32_e32 v30, v30, v31
	v_mul_f32_e32 v31, v56, v65
	v_fmac_f32_e32 v31, v57, v64
	v_add_f32_e32 v30, v30, v31
	v_mul_f32_e32 v31, v66, v79
	v_fmac_f32_e32 v31, v67, v78
	v_add_f32_e32 v30, v30, v31
	v_mul_f32_e32 v31, v68, v81
	v_fmac_f32_e32 v31, v69, v80
	v_add_f32_e32 v30, v30, v31
	v_mul_f32_e32 v31, v82, v87
	v_fmac_f32_e32 v31, v83, v86
	v_add_f32_e32 v30, v30, v31
	v_mul_f32_e32 v31, v84, v89
	v_fmac_f32_e32 v31, v85, v88
	v_add_f32_e32 v30, v30, v31
	v_mul_f32_e32 v31, v90, v95
	v_fmac_f32_e32 v31, v91, v94
	v_add_f32_e32 v30, v30, v31
	v_mul_f32_e32 v31, v92, v97
	v_fmac_f32_e32 v31, v93, v96
	v_add_f32_e32 v30, v30, v31
	v_mul_f32_e32 v31, v98, v103
	v_fmac_f32_e32 v31, v99, v102
	v_add_f32_e32 v30, v30, v31
	v_mul_f32_e32 v31, v100, v105
	v_fmac_f32_e32 v31, v101, v104
	v_add_f32_e32 v30, v30, v31
	v_mul_f32_e32 v31, v106, v111
	v_fmac_f32_e32 v31, v107, v110
	v_add_f32_e32 v30, v30, v31
	v_mul_f32_e32 v31, v108, v113
	v_fmac_f32_e32 v31, v109, v112
	v_add_f32_e32 v30, v30, v31
	v_mul_f32_e32 v31, v114, v119
	v_fmac_f32_e32 v31, v115, v118
	v_add_f32_e32 v30, v30, v31
	v_mul_f32_e32 v31, v116, v121
	v_fmac_f32_e32 v31, v117, v120
	v_add_f32_e32 v73, v30, v31
	scratch_load_dwordx4 v[58:61], off, off offset:448
	scratch_load_dwordx4 v[46:49], off, off offset:464
	;; [unrolled: 1-line block ×4, first 2 shown]
	v_mul_f32_e32 v7, v7, v27
	v_fma_f32 v6, v6, v26, -v7
	v_mul_f32_e32 v7, v9, v29
	v_add_f32_e32 v6, v10, v6
	v_fma_f32 v7, v8, v28, -v7
	v_mul_f32_e32 v3, v3, v35
	v_add_f32_e32 v6, v6, v7
	;; [unrolled: 3-line block ×3, first 2 shown]
	v_fma_f32 v3, v4, v36, -v3
	v_add_f32_e32 v2, v2, v3
	v_mul_f32_e32 v3, v39, v51
	v_fma_f32 v3, v38, v50, -v3
	v_add_f32_e32 v2, v2, v3
	v_mul_f32_e32 v3, v41, v53
	v_fma_f32 v3, v40, v52, -v3
	v_add_f32_e32 v2, v2, v3
	v_mul_f32_e32 v3, v55, v63
	v_fma_f32 v3, v54, v62, -v3
	v_add_f32_e32 v2, v2, v3
	v_mul_f32_e32 v3, v57, v65
	v_fma_f32 v3, v56, v64, -v3
	v_add_f32_e32 v2, v2, v3
	v_mul_f32_e32 v3, v67, v79
	v_fma_f32 v3, v66, v78, -v3
	v_add_f32_e32 v2, v2, v3
	v_mul_f32_e32 v3, v69, v81
	v_fma_f32 v3, v68, v80, -v3
	v_add_f32_e32 v2, v2, v3
	v_mul_f32_e32 v3, v83, v87
	v_fma_f32 v3, v82, v86, -v3
	v_add_f32_e32 v2, v2, v3
	v_mul_f32_e32 v3, v85, v89
	v_fma_f32 v3, v84, v88, -v3
	v_add_f32_e32 v2, v2, v3
	v_mul_f32_e32 v3, v91, v95
	v_fma_f32 v3, v90, v94, -v3
	v_add_f32_e32 v2, v2, v3
	v_mul_f32_e32 v3, v93, v97
	v_fma_f32 v3, v92, v96, -v3
	v_add_f32_e32 v2, v2, v3
	v_mul_f32_e32 v3, v99, v103
	v_fma_f32 v3, v98, v102, -v3
	v_add_f32_e32 v2, v2, v3
	v_mul_f32_e32 v3, v101, v105
	v_fma_f32 v3, v100, v104, -v3
	v_add_f32_e32 v2, v2, v3
	v_mul_f32_e32 v3, v107, v111
	v_fma_f32 v3, v106, v110, -v3
	v_add_f32_e32 v2, v2, v3
	v_mul_f32_e32 v3, v109, v113
	v_fma_f32 v3, v108, v112, -v3
	v_add_f32_e32 v2, v2, v3
	v_mul_f32_e32 v3, v115, v119
	v_fma_f32 v3, v114, v118, -v3
	v_add_f32_e32 v2, v2, v3
	v_mul_f32_e32 v3, v117, v121
	v_fma_f32 v3, v116, v120, -v3
	v_add_f32_e32 v72, v2, v3
	v_mul_f32_e32 v2, v123, v127
	v_fma_f32 v74, v122, v126, -v2
	v_mul_f32_e32 v2, v125, v129
	v_fma_f32 v76, v124, v128, -v2
	ds_read_b128 v[2:5], v70 offset:960
	ds_read_b128 v[6:9], v70 offset:976
	ds_read_b128 v[10:13], v70 offset:992
	ds_read_b128 v[14:17], v70 offset:1008
	v_pk_add_f32 v[18:19], v[72:73], v[74:75]
	s_waitcnt vmcnt(3) lgkmcnt(3)
	v_pk_mul_f32 v[20:21], v[2:3], v[58:59] op_sel:[1,1] op_sel_hi:[0,1]
	v_pk_fma_f32 v[22:23], v[2:3], v[58:59], v[20:21] neg_lo:[0,0,1] neg_hi:[0,0,1]
	v_pk_fma_f32 v[2:3], v[2:3], v[58:59], v[20:21] op_sel_hi:[1,0,1]
	v_pk_add_f32 v[18:19], v[18:19], v[76:77]
	v_mov_b32_e32 v23, v3
	v_pk_add_f32 v[2:3], v[18:19], v[22:23]
	v_mov_b32_e32 v18, v61
	v_pk_mul_f32 v[18:19], v[4:5], v[18:19] op_sel:[1,0] op_sel_hi:[0,0]
	v_pk_fma_f32 v[20:21], v[4:5], v[60:61], v[18:19] neg_lo:[0,0,1] neg_hi:[0,0,1]
	v_pk_fma_f32 v[4:5], v[4:5], v[60:61], v[18:19] op_sel_hi:[1,0,1]
	s_nop 0
	v_mov_b32_e32 v21, v5
	s_waitcnt vmcnt(2) lgkmcnt(2)
	v_pk_mul_f32 v[4:5], v[6:7], v[46:47] op_sel:[1,1] op_sel_hi:[0,1]
	v_pk_fma_f32 v[18:19], v[6:7], v[46:47], v[4:5] neg_lo:[0,0,1] neg_hi:[0,0,1]
	v_pk_fma_f32 v[4:5], v[6:7], v[46:47], v[4:5] op_sel_hi:[1,0,1]
	v_pk_add_f32 v[2:3], v[2:3], v[20:21]
	v_mov_b32_e32 v4, v49
	v_mov_b32_e32 v19, v5
	v_pk_mul_f32 v[4:5], v[8:9], v[4:5] op_sel:[1,0] op_sel_hi:[0,0]
	v_pk_fma_f32 v[6:7], v[8:9], v[48:49], v[4:5] neg_lo:[0,0,1] neg_hi:[0,0,1]
	v_pk_fma_f32 v[4:5], v[8:9], v[48:49], v[4:5] op_sel_hi:[1,0,1]
	v_pk_add_f32 v[2:3], v[2:3], v[18:19]
	v_mov_b32_e32 v7, v5
	s_waitcnt vmcnt(1) lgkmcnt(1)
	v_pk_mul_f32 v[4:5], v[10:11], v[42:43] op_sel:[1,1] op_sel_hi:[0,1]
	v_pk_add_f32 v[2:3], v[2:3], v[6:7]
	v_pk_fma_f32 v[6:7], v[10:11], v[42:43], v[4:5] neg_lo:[0,0,1] neg_hi:[0,0,1]
	v_pk_fma_f32 v[4:5], v[10:11], v[42:43], v[4:5] op_sel_hi:[1,0,1]
	s_nop 0
	v_mov_b32_e32 v4, v45
	v_mov_b32_e32 v7, v5
	v_pk_mul_f32 v[4:5], v[12:13], v[4:5] op_sel:[1,0] op_sel_hi:[0,0]
	v_pk_add_f32 v[2:3], v[2:3], v[6:7]
	v_pk_fma_f32 v[6:7], v[12:13], v[44:45], v[4:5] neg_lo:[0,0,1] neg_hi:[0,0,1]
	v_pk_fma_f32 v[4:5], v[12:13], v[44:45], v[4:5] op_sel_hi:[1,0,1]
	s_nop 0
	v_mov_b32_e32 v7, v5
	s_waitcnt vmcnt(0) lgkmcnt(0)
	v_pk_mul_f32 v[4:5], v[14:15], v[30:31] op_sel:[1,1] op_sel_hi:[0,1]
	v_pk_add_f32 v[2:3], v[2:3], v[6:7]
	v_pk_fma_f32 v[6:7], v[14:15], v[30:31], v[4:5] neg_lo:[0,0,1] neg_hi:[0,0,1]
	v_pk_fma_f32 v[4:5], v[14:15], v[30:31], v[4:5] op_sel_hi:[1,0,1]
	s_nop 0
	v_mov_b32_e32 v4, v33
	v_mov_b32_e32 v7, v5
	v_pk_mul_f32 v[4:5], v[16:17], v[4:5] op_sel:[1,0] op_sel_hi:[0,0]
	v_pk_add_f32 v[2:3], v[2:3], v[6:7]
	v_pk_fma_f32 v[6:7], v[16:17], v[32:33], v[4:5] neg_lo:[0,0,1] neg_hi:[0,0,1]
	v_pk_fma_f32 v[4:5], v[16:17], v[32:33], v[4:5] op_sel_hi:[1,0,1]
	s_nop 0
	v_mov_b32_e32 v7, v5
	scratch_load_dwordx2 v[4:5], off, off offset:232
	v_pk_add_f32 v[2:3], v[2:3], v[6:7]
	s_waitcnt vmcnt(0)
	v_pk_add_f32 v[2:3], v[4:5], v[2:3] neg_lo:[0,1] neg_hi:[0,1]
	scratch_store_dwordx2 off, v[2:3], off offset:232
	s_and_saveexec_b64 s[0:1], vcc
	s_cbranch_execz .LBB127_341
; %bb.340:
	scratch_load_dwordx2 v[2:3], off, off offset:224
	v_mov_b32_e32 v4, 0
	v_mov_b32_e32 v5, v4
	scratch_store_dwordx2 off, v[4:5], off offset:224
	s_waitcnt vmcnt(1)
	ds_write_b64 v1, v[2:3]
.LBB127_341:
	s_or_b64 exec, exec, s[0:1]
	s_waitcnt lgkmcnt(0)
	; wave barrier
	scratch_load_dwordx4 v[6:9], off, off offset:232
	scratch_load_dwordx4 v[14:17], off, off offset:248
	scratch_load_dwordx4 v[22:25], off, off offset:264
	scratch_load_dwordx4 v[30:33], off, off offset:280
	scratch_load_dwordx4 v[38:41], off, off offset:296
	scratch_load_dwordx4 v[46:49], off, off offset:312
	scratch_load_dwordx4 v[54:57], off, off offset:328
	scratch_load_dwordx4 v[62:65], off, off offset:344
	scratch_load_dwordx4 v[72:75], off, off offset:360
	scratch_load_dwordx4 v[80:83], off, off offset:376
	v_mov_b32_e32 v70, 0
	ds_read2_b64 v[2:5], v70 offset0:93 offset1:94
	scratch_load_dwordx4 v[88:91], off, off offset:392
	scratch_load_dwordx4 v[96:99], off, off offset:408
	;; [unrolled: 1-line block ×4, first 2 shown]
	v_cmp_lt_u32_e32 vcc, 27, v0
	s_waitcnt vmcnt(13) lgkmcnt(0)
	v_mul_f32_e32 v10, v2, v7
	v_fmac_f32_e32 v10, v3, v6
	v_mul_f32_e32 v11, v4, v9
	v_add_f32_e32 v10, 0, v10
	v_fmac_f32_e32 v11, v5, v8
	v_add_f32_e32 v18, v10, v11
	ds_read2_b64 v[10:13], v70 offset0:95 offset1:96
	v_mul_f32_e32 v3, v3, v7
	v_fma_f32 v2, v2, v6, -v3
	v_mul_f32_e32 v3, v5, v9
	v_add_f32_e32 v2, 0, v2
	s_waitcnt vmcnt(12) lgkmcnt(0)
	v_mul_f32_e32 v19, v10, v15
	v_fmac_f32_e32 v19, v11, v14
	v_add_f32_e32 v18, v18, v19
	v_mul_f32_e32 v19, v12, v17
	v_fmac_f32_e32 v19, v13, v16
	v_add_f32_e32 v26, v18, v19
	ds_read2_b64 v[18:21], v70 offset0:97 offset1:98
	v_fma_f32 v3, v4, v8, -v3
	v_add_f32_e32 v2, v2, v3
	v_mul_f32_e32 v3, v11, v15
	v_fma_f32 v3, v10, v14, -v3
	s_waitcnt vmcnt(11) lgkmcnt(0)
	v_mul_f32_e32 v27, v18, v23
	v_fmac_f32_e32 v27, v19, v22
	v_add_f32_e32 v26, v26, v27
	v_mul_f32_e32 v27, v20, v25
	v_fmac_f32_e32 v27, v21, v24
	v_add_f32_e32 v34, v26, v27
	ds_read2_b64 v[26:29], v70 offset0:99 offset1:100
	v_add_f32_e32 v2, v2, v3
	v_mul_f32_e32 v3, v13, v17
	v_fma_f32 v3, v12, v16, -v3
	v_add_f32_e32 v2, v2, v3
	s_waitcnt vmcnt(10) lgkmcnt(0)
	v_mul_f32_e32 v35, v26, v31
	v_fmac_f32_e32 v35, v27, v30
	v_add_f32_e32 v34, v34, v35
	v_mul_f32_e32 v35, v28, v33
	v_fmac_f32_e32 v35, v29, v32
	v_add_f32_e32 v42, v34, v35
	ds_read2_b64 v[34:37], v70 offset0:101 offset1:102
	v_mul_f32_e32 v3, v19, v23
	v_fma_f32 v3, v18, v22, -v3
	v_add_f32_e32 v2, v2, v3
	v_mul_f32_e32 v3, v21, v25
	s_waitcnt vmcnt(9) lgkmcnt(0)
	v_mul_f32_e32 v43, v34, v39
	v_fmac_f32_e32 v43, v35, v38
	v_add_f32_e32 v42, v42, v43
	v_mul_f32_e32 v43, v36, v41
	v_fmac_f32_e32 v43, v37, v40
	v_add_f32_e32 v50, v42, v43
	ds_read2_b64 v[42:45], v70 offset0:103 offset1:104
	v_fma_f32 v3, v20, v24, -v3
	v_add_f32_e32 v2, v2, v3
	v_mul_f32_e32 v3, v27, v31
	v_fma_f32 v3, v26, v30, -v3
	s_waitcnt vmcnt(8) lgkmcnt(0)
	v_mul_f32_e32 v51, v42, v47
	v_fmac_f32_e32 v51, v43, v46
	v_add_f32_e32 v50, v50, v51
	v_mul_f32_e32 v51, v44, v49
	v_fmac_f32_e32 v51, v45, v48
	v_add_f32_e32 v58, v50, v51
	ds_read2_b64 v[50:53], v70 offset0:105 offset1:106
	v_add_f32_e32 v2, v2, v3
	v_mul_f32_e32 v3, v29, v33
	v_fma_f32 v3, v28, v32, -v3
	v_add_f32_e32 v2, v2, v3
	s_waitcnt vmcnt(7) lgkmcnt(0)
	v_mul_f32_e32 v59, v50, v55
	v_fmac_f32_e32 v59, v51, v54
	v_add_f32_e32 v58, v58, v59
	v_mul_f32_e32 v59, v52, v57
	v_fmac_f32_e32 v59, v53, v56
	v_add_f32_e32 v66, v58, v59
	ds_read2_b64 v[58:61], v70 offset0:107 offset1:108
	v_mul_f32_e32 v3, v35, v39
	v_fma_f32 v3, v34, v38, -v3
	v_add_f32_e32 v2, v2, v3
	v_mul_f32_e32 v3, v37, v41
	;; [unrolled: 36-line block ×3, first 2 shown]
	s_waitcnt vmcnt(3) lgkmcnt(0)
	v_mul_f32_e32 v92, v84, v89
	v_fmac_f32_e32 v92, v85, v88
	v_add_f32_e32 v71, v71, v92
	v_mul_f32_e32 v92, v86, v91
	v_fmac_f32_e32 v92, v87, v90
	v_add_f32_e32 v71, v71, v92
	ds_read2_b64 v[92:95], v70 offset0:115 offset1:116
	v_fma_f32 v3, v52, v56, -v3
	v_add_f32_e32 v2, v2, v3
	v_mul_f32_e32 v3, v59, v63
	v_fma_f32 v3, v58, v62, -v3
	s_waitcnt vmcnt(2) lgkmcnt(0)
	v_mul_f32_e32 v100, v92, v97
	v_fmac_f32_e32 v100, v93, v96
	v_add_f32_e32 v71, v71, v100
	v_mul_f32_e32 v100, v94, v99
	v_fmac_f32_e32 v100, v95, v98
	v_add_f32_e32 v71, v71, v100
	ds_read2_b64 v[100:103], v70 offset0:117 offset1:118
	v_add_f32_e32 v2, v2, v3
	v_mul_f32_e32 v3, v61, v65
	v_fma_f32 v3, v60, v64, -v3
	v_add_f32_e32 v2, v2, v3
	s_waitcnt vmcnt(1) lgkmcnt(0)
	v_mul_f32_e32 v108, v100, v105
	v_fmac_f32_e32 v108, v101, v104
	v_add_f32_e32 v129, v71, v108
	ds_read2_b64 v[108:111], v70 offset0:119 offset1:120
	scratch_load_dwordx4 v[116:119], off, off offset:456
	scratch_load_dwordx4 v[120:123], off, off offset:472
	;; [unrolled: 1-line block ×3, first 2 shown]
	scratch_load_dwordx2 v[134:135], off, off offset:504
	v_mul_f32_e32 v3, v67, v73
	v_fma_f32 v3, v66, v72, -v3
	v_add_f32_e32 v2, v2, v3
	v_mul_f32_e32 v3, v69, v75
	v_fma_f32 v3, v68, v74, -v3
	v_add_f32_e32 v2, v2, v3
	;; [unrolled: 3-line block ×9, first 2 shown]
	v_mul_f32_e32 v2, v103, v107
	v_mul_f32_e32 v131, v102, v107
	v_fma_f32 v130, v102, v106, -v2
	s_waitcnt vmcnt(4) lgkmcnt(0)
	v_mul_f32_e32 v2, v109, v113
	v_mov_b32_e32 v18, v115
	v_fmac_f32_e32 v131, v103, v106
	v_mul_f32_e32 v133, v108, v113
	v_fma_f32 v132, v108, v112, -v2
	ds_read2_b64 v[2:5], v70 offset0:121 offset1:122
	ds_read2_b64 v[6:9], v70 offset0:123 offset1:124
	ds_read2_b64 v[10:13], v70 offset0:125 offset1:126
	ds_read_b64 v[14:15], v70 offset:1016
	v_pk_mul_f32 v[18:19], v[110:111], v[18:19] op_sel:[1,0] op_sel_hi:[0,0]
	v_fmac_f32_e32 v133, v109, v112
	v_pk_add_f32 v[16:17], v[128:129], v[130:131]
	v_pk_fma_f32 v[20:21], v[110:111], v[114:115], v[18:19] neg_lo:[0,0,1] neg_hi:[0,0,1]
	v_pk_fma_f32 v[18:19], v[110:111], v[114:115], v[18:19] op_sel_hi:[1,0,1]
	v_pk_add_f32 v[16:17], v[16:17], v[132:133]
	v_mov_b32_e32 v21, v19
	v_pk_add_f32 v[16:17], v[16:17], v[20:21]
	s_waitcnt vmcnt(3) lgkmcnt(3)
	v_pk_mul_f32 v[18:19], v[2:3], v[116:117] op_sel:[1,1] op_sel_hi:[0,1]
	v_pk_fma_f32 v[20:21], v[2:3], v[116:117], v[18:19] neg_lo:[0,0,1] neg_hi:[0,0,1]
	v_pk_fma_f32 v[2:3], v[2:3], v[116:117], v[18:19] op_sel_hi:[1,0,1]
	s_nop 0
	v_mov_b32_e32 v21, v3
	v_pk_add_f32 v[2:3], v[16:17], v[20:21]
	v_mov_b32_e32 v16, v119
	v_pk_mul_f32 v[16:17], v[4:5], v[16:17] op_sel:[1,0] op_sel_hi:[0,0]
	v_pk_fma_f32 v[18:19], v[4:5], v[118:119], v[16:17] neg_lo:[0,0,1] neg_hi:[0,0,1]
	v_pk_fma_f32 v[4:5], v[4:5], v[118:119], v[16:17] op_sel_hi:[1,0,1]
	s_nop 0
	v_mov_b32_e32 v19, v5
	s_waitcnt vmcnt(2) lgkmcnt(2)
	v_pk_mul_f32 v[4:5], v[6:7], v[120:121] op_sel:[1,1] op_sel_hi:[0,1]
	v_pk_fma_f32 v[16:17], v[6:7], v[120:121], v[4:5] neg_lo:[0,0,1] neg_hi:[0,0,1]
	v_pk_fma_f32 v[4:5], v[6:7], v[120:121], v[4:5] op_sel_hi:[1,0,1]
	v_pk_add_f32 v[2:3], v[2:3], v[18:19]
	v_mov_b32_e32 v4, v123
	v_mov_b32_e32 v17, v5
	v_pk_mul_f32 v[4:5], v[8:9], v[4:5] op_sel:[1,0] op_sel_hi:[0,0]
	v_pk_fma_f32 v[6:7], v[8:9], v[122:123], v[4:5] neg_lo:[0,0,1] neg_hi:[0,0,1]
	v_pk_fma_f32 v[4:5], v[8:9], v[122:123], v[4:5] op_sel_hi:[1,0,1]
	v_pk_add_f32 v[2:3], v[2:3], v[16:17]
	v_mov_b32_e32 v7, v5
	s_waitcnt vmcnt(1) lgkmcnt(1)
	v_pk_mul_f32 v[4:5], v[10:11], v[124:125] op_sel:[1,1] op_sel_hi:[0,1]
	v_pk_add_f32 v[2:3], v[2:3], v[6:7]
	v_pk_fma_f32 v[6:7], v[10:11], v[124:125], v[4:5] neg_lo:[0,0,1] neg_hi:[0,0,1]
	v_pk_fma_f32 v[4:5], v[10:11], v[124:125], v[4:5] op_sel_hi:[1,0,1]
	s_nop 0
	v_mov_b32_e32 v4, v127
	v_mov_b32_e32 v7, v5
	v_pk_mul_f32 v[4:5], v[12:13], v[4:5] op_sel:[1,0] op_sel_hi:[0,0]
	v_pk_add_f32 v[2:3], v[2:3], v[6:7]
	v_pk_fma_f32 v[6:7], v[12:13], v[126:127], v[4:5] neg_lo:[0,0,1] neg_hi:[0,0,1]
	v_pk_fma_f32 v[4:5], v[12:13], v[126:127], v[4:5] op_sel_hi:[1,0,1]
	s_nop 0
	v_mov_b32_e32 v7, v5
	s_waitcnt vmcnt(0) lgkmcnt(0)
	v_pk_mul_f32 v[4:5], v[14:15], v[134:135] op_sel:[1,1] op_sel_hi:[0,1]
	v_pk_add_f32 v[2:3], v[2:3], v[6:7]
	v_pk_fma_f32 v[6:7], v[14:15], v[134:135], v[4:5] neg_lo:[0,0,1] neg_hi:[0,0,1]
	v_pk_fma_f32 v[4:5], v[14:15], v[134:135], v[4:5] op_sel_hi:[1,0,1]
	s_nop 0
	v_mov_b32_e32 v7, v5
	scratch_load_dwordx2 v[4:5], off, off offset:224
	v_pk_add_f32 v[2:3], v[2:3], v[6:7]
	s_waitcnt vmcnt(0)
	v_pk_add_f32 v[2:3], v[4:5], v[2:3] neg_lo:[0,1] neg_hi:[0,1]
	scratch_store_dwordx2 off, v[2:3], off offset:224
	s_and_saveexec_b64 s[0:1], vcc
	s_cbranch_execz .LBB127_343
; %bb.342:
	scratch_load_dwordx2 v[2:3], off, off offset:216
	v_mov_b32_e32 v71, v70
	scratch_store_dwordx2 off, v[70:71], off offset:216
	s_waitcnt vmcnt(1)
	ds_write_b64 v1, v[2:3]
.LBB127_343:
	s_or_b64 exec, exec, s[0:1]
	s_waitcnt lgkmcnt(0)
	; wave barrier
	ds_read_b128 v[14:17], v70 offset:736
	ds_read_b128 v[10:13], v70 offset:752
	;; [unrolled: 1-line block ×4, first 2 shown]
	scratch_load_dwordx4 v[18:21], off, off offset:224
	scratch_load_dwordx4 v[38:41], off, off offset:288
	;; [unrolled: 1-line block ×8, first 2 shown]
	v_cmp_lt_u32_e32 vcc, 26, v0
	scratch_load_dwordx4 v[46:49], off, off offset:304
	scratch_load_dwordx4 v[54:57], off, off offset:320
	;; [unrolled: 1-line block ×3, first 2 shown]
	s_waitcnt vmcnt(10) lgkmcnt(3)
	v_mul_f32_e32 v22, v14, v19
	v_fmac_f32_e32 v22, v15, v18
	v_mul_f32_e32 v23, v16, v21
	v_add_f32_e32 v22, 0, v22
	v_fmac_f32_e32 v23, v17, v20
	v_add_f32_e32 v26, v22, v23
	scratch_load_dwordx4 v[22:25], off, off offset:240
	v_mul_f32_e32 v15, v15, v19
	v_fma_f32 v14, v14, v18, -v15
	v_mul_f32_e32 v15, v17, v21
	v_add_f32_e32 v14, 0, v14
	v_fma_f32 v15, v16, v20, -v15
	v_add_f32_e32 v14, v14, v15
	s_waitcnt vmcnt(0) lgkmcnt(2)
	v_mul_f32_e32 v27, v10, v23
	v_fmac_f32_e32 v27, v11, v22
	v_add_f32_e32 v26, v26, v27
	v_mul_f32_e32 v27, v12, v25
	v_fmac_f32_e32 v27, v13, v24
	v_add_f32_e32 v30, v26, v27
	scratch_load_dwordx4 v[26:29], off, off offset:256
	v_mul_f32_e32 v11, v11, v23
	v_fma_f32 v10, v10, v22, -v11
	v_mul_f32_e32 v11, v13, v25
	v_add_f32_e32 v10, v14, v10
	v_fma_f32 v11, v12, v24, -v11
	v_add_f32_e32 v10, v10, v11
	s_waitcnt vmcnt(0) lgkmcnt(1)
	v_mul_f32_e32 v31, v6, v27
	v_fmac_f32_e32 v31, v7, v26
	v_add_f32_e32 v30, v30, v31
	v_mul_f32_e32 v31, v8, v29
	;; [unrolled: 14-line block ×3, first 2 shown]
	v_fmac_f32_e32 v35, v5, v32
	v_add_f32_e32 v42, v34, v35
	ds_read_b128 v[34:37], v70 offset:800
	v_mul_f32_e32 v3, v3, v31
	v_fma_f32 v2, v2, v30, -v3
	v_mul_f32_e32 v3, v5, v33
	v_add_f32_e32 v2, v6, v2
	s_waitcnt lgkmcnt(0)
	v_mul_f32_e32 v43, v34, v39
	v_fmac_f32_e32 v43, v35, v38
	v_add_f32_e32 v42, v42, v43
	v_mul_f32_e32 v43, v36, v41
	v_fmac_f32_e32 v43, v37, v40
	v_add_f32_e32 v50, v42, v43
	ds_read_b128 v[42:45], v70 offset:816
	v_fma_f32 v3, v4, v32, -v3
	v_add_f32_e32 v2, v2, v3
	v_mul_f32_e32 v3, v35, v39
	v_fma_f32 v3, v34, v38, -v3
	s_waitcnt lgkmcnt(0)
	v_mul_f32_e32 v51, v42, v47
	v_fmac_f32_e32 v51, v43, v46
	v_add_f32_e32 v50, v50, v51
	v_mul_f32_e32 v51, v44, v49
	v_fmac_f32_e32 v51, v45, v48
	v_add_f32_e32 v58, v50, v51
	ds_read_b128 v[50:53], v70 offset:832
	v_add_f32_e32 v2, v2, v3
	v_mul_f32_e32 v3, v37, v41
	v_fma_f32 v3, v36, v40, -v3
	v_add_f32_e32 v2, v2, v3
	s_waitcnt lgkmcnt(0)
	v_mul_f32_e32 v59, v50, v55
	v_fmac_f32_e32 v59, v51, v54
	v_add_f32_e32 v58, v58, v59
	v_mul_f32_e32 v59, v52, v57
	v_fmac_f32_e32 v59, v53, v56
	v_add_f32_e32 v66, v58, v59
	ds_read_b128 v[58:61], v70 offset:848
	v_mul_f32_e32 v3, v43, v47
	v_fma_f32 v3, v42, v46, -v3
	v_add_f32_e32 v2, v2, v3
	v_mul_f32_e32 v3, v45, v49
	s_waitcnt lgkmcnt(0)
	v_mul_f32_e32 v67, v58, v63
	v_fmac_f32_e32 v67, v59, v62
	v_add_f32_e32 v66, v66, v67
	v_mul_f32_e32 v67, v60, v65
	v_fmac_f32_e32 v67, v61, v64
	v_add_f32_e32 v71, v66, v67
	ds_read_b128 v[66:69], v70 offset:864
	v_fma_f32 v3, v44, v48, -v3
	v_add_f32_e32 v2, v2, v3
	v_mul_f32_e32 v3, v51, v55
	v_fma_f32 v3, v50, v54, -v3
	s_waitcnt lgkmcnt(0)
	v_mul_f32_e32 v76, v66, v73
	v_fmac_f32_e32 v76, v67, v72
	v_add_f32_e32 v71, v71, v76
	v_mul_f32_e32 v76, v68, v75
	v_fmac_f32_e32 v76, v69, v74
	v_add_f32_e32 v71, v71, v76
	ds_read_b128 v[76:79], v70 offset:880
	v_add_f32_e32 v2, v2, v3
	v_mul_f32_e32 v3, v53, v57
	v_fma_f32 v3, v52, v56, -v3
	v_add_f32_e32 v2, v2, v3
	s_waitcnt lgkmcnt(0)
	v_mul_f32_e32 v84, v76, v81
	v_fmac_f32_e32 v84, v77, v80
	v_add_f32_e32 v71, v71, v84
	v_mul_f32_e32 v84, v78, v83
	v_fmac_f32_e32 v84, v79, v82
	v_add_f32_e32 v71, v71, v84
	ds_read_b128 v[84:87], v70 offset:896
	v_mul_f32_e32 v3, v59, v63
	v_fma_f32 v3, v58, v62, -v3
	v_add_f32_e32 v2, v2, v3
	v_mul_f32_e32 v3, v61, v65
	s_waitcnt lgkmcnt(0)
	v_mul_f32_e32 v92, v84, v89
	v_fmac_f32_e32 v92, v85, v88
	v_add_f32_e32 v71, v71, v92
	v_mul_f32_e32 v92, v86, v91
	v_fmac_f32_e32 v92, v87, v90
	v_add_f32_e32 v71, v71, v92
	ds_read_b128 v[92:95], v70 offset:912
	v_fma_f32 v3, v60, v64, -v3
	v_add_f32_e32 v2, v2, v3
	v_mul_f32_e32 v3, v67, v73
	v_fma_f32 v3, v66, v72, -v3
	s_waitcnt lgkmcnt(0)
	v_mul_f32_e32 v100, v92, v97
	v_fmac_f32_e32 v100, v93, v96
	v_add_f32_e32 v71, v71, v100
	v_mul_f32_e32 v100, v94, v99
	v_fmac_f32_e32 v100, v95, v98
	v_add_f32_e32 v71, v71, v100
	ds_read_b128 v[100:103], v70 offset:928
	v_add_f32_e32 v2, v2, v3
	v_mul_f32_e32 v3, v69, v75
	v_fma_f32 v3, v68, v74, -v3
	v_add_f32_e32 v2, v2, v3
	s_waitcnt lgkmcnt(0)
	v_mul_f32_e32 v108, v100, v105
	v_fmac_f32_e32 v108, v101, v104
	v_add_f32_e32 v71, v71, v108
	v_mul_f32_e32 v108, v102, v107
	v_fmac_f32_e32 v108, v103, v106
	v_add_f32_e32 v133, v71, v108
	ds_read_b128 v[108:111], v70 offset:944
	scratch_load_dwordx4 v[116:119], off, off offset:448
	scratch_load_dwordx4 v[120:123], off, off offset:464
	;; [unrolled: 1-line block ×4, first 2 shown]
	v_mul_f32_e32 v3, v77, v81
	v_fma_f32 v3, v76, v80, -v3
	v_add_f32_e32 v2, v2, v3
	v_mul_f32_e32 v3, v79, v83
	v_fma_f32 v3, v78, v82, -v3
	v_add_f32_e32 v2, v2, v3
	;; [unrolled: 3-line block ×8, first 2 shown]
	s_waitcnt lgkmcnt(0)
	v_mul_f32_e32 v2, v109, v113
	v_fma_f32 v134, v108, v112, -v2
	v_mul_f32_e32 v2, v111, v115
	v_fma_f32 v136, v110, v114, -v2
	ds_read_b128 v[2:5], v70 offset:960
	ds_read_b128 v[6:9], v70 offset:976
	;; [unrolled: 1-line block ×4, first 2 shown]
	v_mul_f32_e32 v135, v108, v113
	v_fmac_f32_e32 v135, v109, v112
	v_mul_f32_e32 v137, v110, v115
	v_fmac_f32_e32 v137, v111, v114
	v_pk_add_f32 v[18:19], v[132:133], v[134:135]
	s_waitcnt vmcnt(3) lgkmcnt(3)
	v_pk_mul_f32 v[20:21], v[2:3], v[116:117] op_sel:[1,1] op_sel_hi:[0,1]
	v_pk_fma_f32 v[22:23], v[2:3], v[116:117], v[20:21] neg_lo:[0,0,1] neg_hi:[0,0,1]
	v_pk_fma_f32 v[2:3], v[2:3], v[116:117], v[20:21] op_sel_hi:[1,0,1]
	v_pk_add_f32 v[18:19], v[18:19], v[136:137]
	v_mov_b32_e32 v23, v3
	v_pk_add_f32 v[2:3], v[18:19], v[22:23]
	v_mov_b32_e32 v18, v119
	v_pk_mul_f32 v[18:19], v[4:5], v[18:19] op_sel:[1,0] op_sel_hi:[0,0]
	v_pk_fma_f32 v[20:21], v[4:5], v[118:119], v[18:19] neg_lo:[0,0,1] neg_hi:[0,0,1]
	v_pk_fma_f32 v[4:5], v[4:5], v[118:119], v[18:19] op_sel_hi:[1,0,1]
	s_nop 0
	v_mov_b32_e32 v21, v5
	s_waitcnt vmcnt(2) lgkmcnt(2)
	v_pk_mul_f32 v[4:5], v[6:7], v[120:121] op_sel:[1,1] op_sel_hi:[0,1]
	v_pk_fma_f32 v[18:19], v[6:7], v[120:121], v[4:5] neg_lo:[0,0,1] neg_hi:[0,0,1]
	v_pk_fma_f32 v[4:5], v[6:7], v[120:121], v[4:5] op_sel_hi:[1,0,1]
	v_pk_add_f32 v[2:3], v[2:3], v[20:21]
	v_mov_b32_e32 v4, v123
	v_mov_b32_e32 v19, v5
	v_pk_mul_f32 v[4:5], v[8:9], v[4:5] op_sel:[1,0] op_sel_hi:[0,0]
	v_pk_fma_f32 v[6:7], v[8:9], v[122:123], v[4:5] neg_lo:[0,0,1] neg_hi:[0,0,1]
	v_pk_fma_f32 v[4:5], v[8:9], v[122:123], v[4:5] op_sel_hi:[1,0,1]
	v_pk_add_f32 v[2:3], v[2:3], v[18:19]
	v_mov_b32_e32 v7, v5
	s_waitcnt vmcnt(1) lgkmcnt(1)
	v_pk_mul_f32 v[4:5], v[10:11], v[124:125] op_sel:[1,1] op_sel_hi:[0,1]
	v_pk_add_f32 v[2:3], v[2:3], v[6:7]
	v_pk_fma_f32 v[6:7], v[10:11], v[124:125], v[4:5] neg_lo:[0,0,1] neg_hi:[0,0,1]
	v_pk_fma_f32 v[4:5], v[10:11], v[124:125], v[4:5] op_sel_hi:[1,0,1]
	s_nop 0
	v_mov_b32_e32 v4, v127
	v_mov_b32_e32 v7, v5
	v_pk_mul_f32 v[4:5], v[12:13], v[4:5] op_sel:[1,0] op_sel_hi:[0,0]
	v_pk_add_f32 v[2:3], v[2:3], v[6:7]
	v_pk_fma_f32 v[6:7], v[12:13], v[126:127], v[4:5] neg_lo:[0,0,1] neg_hi:[0,0,1]
	v_pk_fma_f32 v[4:5], v[12:13], v[126:127], v[4:5] op_sel_hi:[1,0,1]
	s_nop 0
	v_mov_b32_e32 v7, v5
	s_waitcnt vmcnt(0) lgkmcnt(0)
	v_pk_mul_f32 v[4:5], v[14:15], v[128:129] op_sel:[1,1] op_sel_hi:[0,1]
	v_pk_add_f32 v[2:3], v[2:3], v[6:7]
	v_pk_fma_f32 v[6:7], v[14:15], v[128:129], v[4:5] neg_lo:[0,0,1] neg_hi:[0,0,1]
	v_pk_fma_f32 v[4:5], v[14:15], v[128:129], v[4:5] op_sel_hi:[1,0,1]
	s_nop 0
	v_mov_b32_e32 v4, v131
	v_mov_b32_e32 v7, v5
	v_pk_mul_f32 v[4:5], v[16:17], v[4:5] op_sel:[1,0] op_sel_hi:[0,0]
	v_pk_add_f32 v[2:3], v[2:3], v[6:7]
	v_pk_fma_f32 v[6:7], v[16:17], v[130:131], v[4:5] neg_lo:[0,0,1] neg_hi:[0,0,1]
	v_pk_fma_f32 v[4:5], v[16:17], v[130:131], v[4:5] op_sel_hi:[1,0,1]
	s_nop 0
	v_mov_b32_e32 v7, v5
	scratch_load_dwordx2 v[4:5], off, off offset:216
	v_pk_add_f32 v[2:3], v[2:3], v[6:7]
	s_waitcnt vmcnt(0)
	v_pk_add_f32 v[2:3], v[4:5], v[2:3] neg_lo:[0,1] neg_hi:[0,1]
	scratch_store_dwordx2 off, v[2:3], off offset:216
	s_and_saveexec_b64 s[0:1], vcc
	s_cbranch_execz .LBB127_345
; %bb.344:
	scratch_load_dwordx2 v[2:3], off, off offset:208
	v_mov_b32_e32 v4, 0
	v_mov_b32_e32 v5, v4
	scratch_store_dwordx2 off, v[4:5], off offset:208
	s_waitcnt vmcnt(1)
	ds_write_b64 v1, v[2:3]
.LBB127_345:
	s_or_b64 exec, exec, s[0:1]
	s_waitcnt lgkmcnt(0)
	; wave barrier
	scratch_load_dwordx4 v[6:9], off, off offset:216
	scratch_load_dwordx4 v[14:17], off, off offset:232
	scratch_load_dwordx4 v[22:25], off, off offset:248
	scratch_load_dwordx4 v[30:33], off, off offset:264
	scratch_load_dwordx4 v[38:41], off, off offset:280
	scratch_load_dwordx4 v[46:49], off, off offset:296
	scratch_load_dwordx4 v[54:57], off, off offset:312
	scratch_load_dwordx4 v[62:65], off, off offset:328
	scratch_load_dwordx4 v[70:73], off, off offset:344
	scratch_load_dwordx4 v[78:81], off, off offset:360
	v_mov_b32_e32 v86, 0
	ds_read2_b64 v[2:5], v86 offset0:91 offset1:92
	scratch_load_dwordx4 v[88:91], off, off offset:376
	scratch_load_dwordx4 v[96:99], off, off offset:392
	;; [unrolled: 1-line block ×5, first 2 shown]
	v_cmp_lt_u32_e32 vcc, 25, v0
	s_waitcnt vmcnt(14) lgkmcnt(0)
	v_mul_f32_e32 v10, v2, v7
	v_fmac_f32_e32 v10, v3, v6
	v_mul_f32_e32 v11, v4, v9
	v_add_f32_e32 v10, 0, v10
	v_fmac_f32_e32 v11, v5, v8
	v_add_f32_e32 v18, v10, v11
	ds_read2_b64 v[10:13], v86 offset0:93 offset1:94
	v_mul_f32_e32 v3, v3, v7
	v_fma_f32 v2, v2, v6, -v3
	v_mul_f32_e32 v3, v5, v9
	v_add_f32_e32 v2, 0, v2
	s_waitcnt vmcnt(13) lgkmcnt(0)
	v_mul_f32_e32 v19, v10, v15
	v_fmac_f32_e32 v19, v11, v14
	v_add_f32_e32 v18, v18, v19
	v_mul_f32_e32 v19, v12, v17
	v_fmac_f32_e32 v19, v13, v16
	v_add_f32_e32 v26, v18, v19
	ds_read2_b64 v[18:21], v86 offset0:95 offset1:96
	v_fma_f32 v3, v4, v8, -v3
	v_add_f32_e32 v2, v2, v3
	v_mul_f32_e32 v3, v11, v15
	v_fma_f32 v3, v10, v14, -v3
	s_waitcnt vmcnt(12) lgkmcnt(0)
	v_mul_f32_e32 v27, v18, v23
	v_fmac_f32_e32 v27, v19, v22
	v_add_f32_e32 v26, v26, v27
	v_mul_f32_e32 v27, v20, v25
	v_fmac_f32_e32 v27, v21, v24
	v_add_f32_e32 v34, v26, v27
	ds_read2_b64 v[26:29], v86 offset0:97 offset1:98
	v_add_f32_e32 v2, v2, v3
	v_mul_f32_e32 v3, v13, v17
	v_fma_f32 v3, v12, v16, -v3
	v_add_f32_e32 v2, v2, v3
	s_waitcnt vmcnt(11) lgkmcnt(0)
	v_mul_f32_e32 v35, v26, v31
	v_fmac_f32_e32 v35, v27, v30
	v_add_f32_e32 v34, v34, v35
	v_mul_f32_e32 v35, v28, v33
	v_fmac_f32_e32 v35, v29, v32
	v_add_f32_e32 v42, v34, v35
	ds_read2_b64 v[34:37], v86 offset0:99 offset1:100
	v_mul_f32_e32 v3, v19, v23
	v_fma_f32 v3, v18, v22, -v3
	v_add_f32_e32 v2, v2, v3
	v_mul_f32_e32 v3, v21, v25
	s_waitcnt vmcnt(10) lgkmcnt(0)
	v_mul_f32_e32 v43, v34, v39
	v_fmac_f32_e32 v43, v35, v38
	v_add_f32_e32 v42, v42, v43
	v_mul_f32_e32 v43, v36, v41
	v_fmac_f32_e32 v43, v37, v40
	v_add_f32_e32 v50, v42, v43
	ds_read2_b64 v[42:45], v86 offset0:101 offset1:102
	v_fma_f32 v3, v20, v24, -v3
	v_add_f32_e32 v2, v2, v3
	v_mul_f32_e32 v3, v27, v31
	v_fma_f32 v3, v26, v30, -v3
	s_waitcnt vmcnt(9) lgkmcnt(0)
	v_mul_f32_e32 v51, v42, v47
	v_fmac_f32_e32 v51, v43, v46
	v_add_f32_e32 v50, v50, v51
	v_mul_f32_e32 v51, v44, v49
	v_fmac_f32_e32 v51, v45, v48
	v_add_f32_e32 v58, v50, v51
	ds_read2_b64 v[50:53], v86 offset0:103 offset1:104
	v_add_f32_e32 v2, v2, v3
	v_mul_f32_e32 v3, v29, v33
	v_fma_f32 v3, v28, v32, -v3
	v_add_f32_e32 v2, v2, v3
	s_waitcnt vmcnt(8) lgkmcnt(0)
	v_mul_f32_e32 v59, v50, v55
	v_fmac_f32_e32 v59, v51, v54
	v_add_f32_e32 v58, v58, v59
	v_mul_f32_e32 v59, v52, v57
	v_fmac_f32_e32 v59, v53, v56
	v_add_f32_e32 v66, v58, v59
	ds_read2_b64 v[58:61], v86 offset0:105 offset1:106
	v_mul_f32_e32 v3, v35, v39
	v_fma_f32 v3, v34, v38, -v3
	v_add_f32_e32 v2, v2, v3
	v_mul_f32_e32 v3, v37, v41
	;; [unrolled: 36-line block ×4, first 2 shown]
	s_waitcnt vmcnt(1) lgkmcnt(0)
	v_mul_f32_e32 v116, v108, v113
	v_fmac_f32_e32 v116, v109, v112
	v_add_f32_e32 v137, v87, v116
	ds_read2_b64 v[116:119], v86 offset0:119 offset1:120
	scratch_load_dwordx4 v[124:127], off, off offset:456
	scratch_load_dwordx4 v[128:131], off, off offset:472
	;; [unrolled: 1-line block ×3, first 2 shown]
	scratch_load_dwordx2 v[142:143], off, off offset:504
	v_fma_f32 v3, v68, v72, -v3
	v_add_f32_e32 v2, v2, v3
	v_mul_f32_e32 v3, v75, v79
	v_fma_f32 v3, v74, v78, -v3
	v_add_f32_e32 v2, v2, v3
	v_mul_f32_e32 v3, v77, v81
	;; [unrolled: 3-line block ×10, first 2 shown]
	v_mul_f32_e32 v139, v110, v115
	v_fma_f32 v138, v110, v114, -v2
	s_waitcnt vmcnt(4) lgkmcnt(0)
	v_mul_f32_e32 v2, v117, v121
	v_mov_b32_e32 v18, v123
	v_fmac_f32_e32 v139, v111, v114
	v_mul_f32_e32 v141, v116, v121
	v_fma_f32 v140, v116, v120, -v2
	ds_read2_b64 v[2:5], v86 offset0:121 offset1:122
	ds_read2_b64 v[6:9], v86 offset0:123 offset1:124
	;; [unrolled: 1-line block ×3, first 2 shown]
	ds_read_b64 v[14:15], v86 offset:1016
	v_pk_mul_f32 v[18:19], v[118:119], v[18:19] op_sel:[1,0] op_sel_hi:[0,0]
	v_fmac_f32_e32 v141, v117, v120
	v_pk_add_f32 v[16:17], v[136:137], v[138:139]
	v_pk_fma_f32 v[20:21], v[118:119], v[122:123], v[18:19] neg_lo:[0,0,1] neg_hi:[0,0,1]
	v_pk_fma_f32 v[18:19], v[118:119], v[122:123], v[18:19] op_sel_hi:[1,0,1]
	v_pk_add_f32 v[16:17], v[16:17], v[140:141]
	v_mov_b32_e32 v21, v19
	v_pk_add_f32 v[16:17], v[16:17], v[20:21]
	s_waitcnt vmcnt(3) lgkmcnt(3)
	v_pk_mul_f32 v[18:19], v[2:3], v[124:125] op_sel:[1,1] op_sel_hi:[0,1]
	v_pk_fma_f32 v[20:21], v[2:3], v[124:125], v[18:19] neg_lo:[0,0,1] neg_hi:[0,0,1]
	v_pk_fma_f32 v[2:3], v[2:3], v[124:125], v[18:19] op_sel_hi:[1,0,1]
	s_nop 0
	v_mov_b32_e32 v21, v3
	v_pk_add_f32 v[2:3], v[16:17], v[20:21]
	v_mov_b32_e32 v16, v127
	v_pk_mul_f32 v[16:17], v[4:5], v[16:17] op_sel:[1,0] op_sel_hi:[0,0]
	v_pk_fma_f32 v[18:19], v[4:5], v[126:127], v[16:17] neg_lo:[0,0,1] neg_hi:[0,0,1]
	v_pk_fma_f32 v[4:5], v[4:5], v[126:127], v[16:17] op_sel_hi:[1,0,1]
	s_nop 0
	v_mov_b32_e32 v19, v5
	s_waitcnt vmcnt(2) lgkmcnt(2)
	v_pk_mul_f32 v[4:5], v[6:7], v[128:129] op_sel:[1,1] op_sel_hi:[0,1]
	v_pk_fma_f32 v[16:17], v[6:7], v[128:129], v[4:5] neg_lo:[0,0,1] neg_hi:[0,0,1]
	v_pk_fma_f32 v[4:5], v[6:7], v[128:129], v[4:5] op_sel_hi:[1,0,1]
	v_pk_add_f32 v[2:3], v[2:3], v[18:19]
	v_mov_b32_e32 v4, v131
	v_mov_b32_e32 v17, v5
	v_pk_mul_f32 v[4:5], v[8:9], v[4:5] op_sel:[1,0] op_sel_hi:[0,0]
	v_pk_fma_f32 v[6:7], v[8:9], v[130:131], v[4:5] neg_lo:[0,0,1] neg_hi:[0,0,1]
	v_pk_fma_f32 v[4:5], v[8:9], v[130:131], v[4:5] op_sel_hi:[1,0,1]
	v_pk_add_f32 v[2:3], v[2:3], v[16:17]
	v_mov_b32_e32 v7, v5
	s_waitcnt vmcnt(1) lgkmcnt(1)
	v_pk_mul_f32 v[4:5], v[10:11], v[132:133] op_sel:[1,1] op_sel_hi:[0,1]
	v_pk_add_f32 v[2:3], v[2:3], v[6:7]
	v_pk_fma_f32 v[6:7], v[10:11], v[132:133], v[4:5] neg_lo:[0,0,1] neg_hi:[0,0,1]
	v_pk_fma_f32 v[4:5], v[10:11], v[132:133], v[4:5] op_sel_hi:[1,0,1]
	s_nop 0
	v_mov_b32_e32 v4, v135
	v_mov_b32_e32 v7, v5
	v_pk_mul_f32 v[4:5], v[12:13], v[4:5] op_sel:[1,0] op_sel_hi:[0,0]
	v_pk_add_f32 v[2:3], v[2:3], v[6:7]
	v_pk_fma_f32 v[6:7], v[12:13], v[134:135], v[4:5] neg_lo:[0,0,1] neg_hi:[0,0,1]
	v_pk_fma_f32 v[4:5], v[12:13], v[134:135], v[4:5] op_sel_hi:[1,0,1]
	s_nop 0
	v_mov_b32_e32 v7, v5
	s_waitcnt vmcnt(0) lgkmcnt(0)
	v_pk_mul_f32 v[4:5], v[14:15], v[142:143] op_sel:[1,1] op_sel_hi:[0,1]
	v_pk_add_f32 v[2:3], v[2:3], v[6:7]
	v_pk_fma_f32 v[6:7], v[14:15], v[142:143], v[4:5] neg_lo:[0,0,1] neg_hi:[0,0,1]
	v_pk_fma_f32 v[4:5], v[14:15], v[142:143], v[4:5] op_sel_hi:[1,0,1]
	s_nop 0
	v_mov_b32_e32 v7, v5
	scratch_load_dwordx2 v[4:5], off, off offset:208
	v_pk_add_f32 v[2:3], v[2:3], v[6:7]
	s_waitcnt vmcnt(0)
	v_pk_add_f32 v[2:3], v[4:5], v[2:3] neg_lo:[0,1] neg_hi:[0,1]
	scratch_store_dwordx2 off, v[2:3], off offset:208
	s_and_saveexec_b64 s[0:1], vcc
	s_cbranch_execz .LBB127_347
; %bb.346:
	scratch_load_dwordx2 v[2:3], off, off offset:200
	v_mov_b32_e32 v87, v86
	scratch_store_dwordx2 off, v[86:87], off offset:200
	s_waitcnt vmcnt(1)
	ds_write_b64 v1, v[2:3]
.LBB127_347:
	s_or_b64 exec, exec, s[0:1]
	s_waitcnt lgkmcnt(0)
	; wave barrier
	ds_read_b128 v[14:17], v86 offset:720
	ds_read_b128 v[10:13], v86 offset:736
	;; [unrolled: 1-line block ×4, first 2 shown]
	scratch_load_dwordx4 v[18:21], off, off offset:208
	scratch_load_dwordx4 v[38:41], off, off offset:272
	;; [unrolled: 1-line block ×9, first 2 shown]
	v_cmp_lt_u32_e32 vcc, 24, v0
	scratch_load_dwordx4 v[46:49], off, off offset:288
	scratch_load_dwordx4 v[54:57], off, off offset:304
	;; [unrolled: 1-line block ×3, first 2 shown]
	s_waitcnt vmcnt(11) lgkmcnt(3)
	v_mul_f32_e32 v22, v14, v19
	v_fmac_f32_e32 v22, v15, v18
	v_mul_f32_e32 v23, v16, v21
	v_add_f32_e32 v22, 0, v22
	v_fmac_f32_e32 v23, v17, v20
	v_add_f32_e32 v26, v22, v23
	scratch_load_dwordx4 v[22:25], off, off offset:224
	v_mul_f32_e32 v15, v15, v19
	v_fma_f32 v14, v14, v18, -v15
	v_mul_f32_e32 v15, v17, v21
	v_add_f32_e32 v14, 0, v14
	v_fma_f32 v15, v16, v20, -v15
	v_add_f32_e32 v14, v14, v15
	s_waitcnt vmcnt(0) lgkmcnt(2)
	v_mul_f32_e32 v27, v10, v23
	v_fmac_f32_e32 v27, v11, v22
	v_add_f32_e32 v26, v26, v27
	v_mul_f32_e32 v27, v12, v25
	v_fmac_f32_e32 v27, v13, v24
	v_add_f32_e32 v30, v26, v27
	scratch_load_dwordx4 v[26:29], off, off offset:240
	v_mul_f32_e32 v11, v11, v23
	v_fma_f32 v10, v10, v22, -v11
	v_mul_f32_e32 v11, v13, v25
	v_add_f32_e32 v10, v14, v10
	v_fma_f32 v11, v12, v24, -v11
	v_add_f32_e32 v10, v10, v11
	s_waitcnt vmcnt(0) lgkmcnt(1)
	v_mul_f32_e32 v31, v6, v27
	v_fmac_f32_e32 v31, v7, v26
	v_add_f32_e32 v30, v30, v31
	v_mul_f32_e32 v31, v8, v29
	;; [unrolled: 14-line block ×3, first 2 shown]
	v_fmac_f32_e32 v35, v5, v32
	v_add_f32_e32 v42, v34, v35
	ds_read_b128 v[34:37], v86 offset:784
	v_mul_f32_e32 v3, v3, v31
	v_fma_f32 v2, v2, v30, -v3
	v_mul_f32_e32 v3, v5, v33
	v_add_f32_e32 v2, v6, v2
	s_waitcnt lgkmcnt(0)
	v_mul_f32_e32 v43, v34, v39
	v_fmac_f32_e32 v43, v35, v38
	v_add_f32_e32 v42, v42, v43
	v_mul_f32_e32 v43, v36, v41
	v_fmac_f32_e32 v43, v37, v40
	v_add_f32_e32 v50, v42, v43
	ds_read_b128 v[42:45], v86 offset:800
	v_fma_f32 v3, v4, v32, -v3
	v_add_f32_e32 v2, v2, v3
	v_mul_f32_e32 v3, v35, v39
	v_fma_f32 v3, v34, v38, -v3
	s_waitcnt lgkmcnt(0)
	v_mul_f32_e32 v51, v42, v47
	v_fmac_f32_e32 v51, v43, v46
	v_add_f32_e32 v50, v50, v51
	v_mul_f32_e32 v51, v44, v49
	v_fmac_f32_e32 v51, v45, v48
	v_add_f32_e32 v58, v50, v51
	ds_read_b128 v[50:53], v86 offset:816
	v_add_f32_e32 v2, v2, v3
	v_mul_f32_e32 v3, v37, v41
	v_fma_f32 v3, v36, v40, -v3
	v_add_f32_e32 v2, v2, v3
	s_waitcnt lgkmcnt(0)
	v_mul_f32_e32 v59, v50, v55
	v_fmac_f32_e32 v59, v51, v54
	v_add_f32_e32 v58, v58, v59
	v_mul_f32_e32 v59, v52, v57
	v_fmac_f32_e32 v59, v53, v56
	v_add_f32_e32 v66, v58, v59
	ds_read_b128 v[58:61], v86 offset:832
	v_mul_f32_e32 v3, v43, v47
	v_fma_f32 v3, v42, v46, -v3
	v_add_f32_e32 v2, v2, v3
	v_mul_f32_e32 v3, v45, v49
	s_waitcnt lgkmcnt(0)
	v_mul_f32_e32 v67, v58, v63
	v_fmac_f32_e32 v67, v59, v62
	v_add_f32_e32 v66, v66, v67
	v_mul_f32_e32 v67, v60, v65
	v_fmac_f32_e32 v67, v61, v64
	v_add_f32_e32 v74, v66, v67
	ds_read_b128 v[66:69], v86 offset:848
	v_fma_f32 v3, v44, v48, -v3
	v_add_f32_e32 v2, v2, v3
	v_mul_f32_e32 v3, v51, v55
	v_fma_f32 v3, v50, v54, -v3
	s_waitcnt lgkmcnt(0)
	v_mul_f32_e32 v75, v66, v71
	v_fmac_f32_e32 v75, v67, v70
	v_add_f32_e32 v74, v74, v75
	v_mul_f32_e32 v75, v68, v73
	v_fmac_f32_e32 v75, v69, v72
	v_add_f32_e32 v82, v74, v75
	ds_read_b128 v[74:77], v86 offset:864
	v_add_f32_e32 v2, v2, v3
	v_mul_f32_e32 v3, v53, v57
	v_fma_f32 v3, v52, v56, -v3
	v_add_f32_e32 v2, v2, v3
	s_waitcnt lgkmcnt(0)
	v_mul_f32_e32 v83, v74, v79
	v_fmac_f32_e32 v83, v75, v78
	v_add_f32_e32 v82, v82, v83
	v_mul_f32_e32 v83, v76, v81
	v_fmac_f32_e32 v83, v77, v80
	v_add_f32_e32 v87, v82, v83
	ds_read_b128 v[82:85], v86 offset:880
	v_mul_f32_e32 v3, v59, v63
	v_fma_f32 v3, v58, v62, -v3
	v_add_f32_e32 v2, v2, v3
	v_mul_f32_e32 v3, v61, v65
	;; [unrolled: 36-line block ×3, first 2 shown]
	s_waitcnt lgkmcnt(0)
	v_mul_f32_e32 v116, v108, v113
	v_fmac_f32_e32 v116, v109, v112
	v_add_f32_e32 v87, v87, v116
	v_mul_f32_e32 v116, v110, v115
	v_fmac_f32_e32 v116, v111, v114
	v_add_f32_e32 v141, v87, v116
	ds_read_b128 v[116:119], v86 offset:944
	scratch_load_dwordx4 v[124:127], off, off offset:448
	scratch_load_dwordx4 v[128:131], off, off offset:464
	;; [unrolled: 1-line block ×4, first 2 shown]
	v_fma_f32 v3, v76, v80, -v3
	v_add_f32_e32 v2, v2, v3
	v_mul_f32_e32 v3, v83, v89
	v_fma_f32 v3, v82, v88, -v3
	v_add_f32_e32 v2, v2, v3
	v_mul_f32_e32 v3, v85, v91
	;; [unrolled: 3-line block ×8, first 2 shown]
	v_fma_f32 v3, v110, v114, -v3
	v_add_f32_e32 v140, v2, v3
	s_waitcnt lgkmcnt(0)
	v_mul_f32_e32 v2, v117, v121
	v_fma_f32 v142, v116, v120, -v2
	v_mul_f32_e32 v2, v119, v123
	v_fma_f32 v144, v118, v122, -v2
	ds_read_b128 v[2:5], v86 offset:960
	ds_read_b128 v[6:9], v86 offset:976
	;; [unrolled: 1-line block ×4, first 2 shown]
	v_mul_f32_e32 v143, v116, v121
	v_fmac_f32_e32 v143, v117, v120
	v_mul_f32_e32 v145, v118, v123
	v_fmac_f32_e32 v145, v119, v122
	v_pk_add_f32 v[18:19], v[140:141], v[142:143]
	s_waitcnt vmcnt(3) lgkmcnt(3)
	v_pk_mul_f32 v[20:21], v[2:3], v[124:125] op_sel:[1,1] op_sel_hi:[0,1]
	v_pk_fma_f32 v[22:23], v[2:3], v[124:125], v[20:21] neg_lo:[0,0,1] neg_hi:[0,0,1]
	v_pk_fma_f32 v[2:3], v[2:3], v[124:125], v[20:21] op_sel_hi:[1,0,1]
	v_pk_add_f32 v[18:19], v[18:19], v[144:145]
	v_mov_b32_e32 v23, v3
	v_pk_add_f32 v[2:3], v[18:19], v[22:23]
	v_mov_b32_e32 v18, v127
	v_pk_mul_f32 v[18:19], v[4:5], v[18:19] op_sel:[1,0] op_sel_hi:[0,0]
	v_pk_fma_f32 v[20:21], v[4:5], v[126:127], v[18:19] neg_lo:[0,0,1] neg_hi:[0,0,1]
	v_pk_fma_f32 v[4:5], v[4:5], v[126:127], v[18:19] op_sel_hi:[1,0,1]
	s_nop 0
	v_mov_b32_e32 v21, v5
	s_waitcnt vmcnt(2) lgkmcnt(2)
	v_pk_mul_f32 v[4:5], v[6:7], v[128:129] op_sel:[1,1] op_sel_hi:[0,1]
	v_pk_fma_f32 v[18:19], v[6:7], v[128:129], v[4:5] neg_lo:[0,0,1] neg_hi:[0,0,1]
	v_pk_fma_f32 v[4:5], v[6:7], v[128:129], v[4:5] op_sel_hi:[1,0,1]
	v_pk_add_f32 v[2:3], v[2:3], v[20:21]
	v_mov_b32_e32 v4, v131
	v_mov_b32_e32 v19, v5
	v_pk_mul_f32 v[4:5], v[8:9], v[4:5] op_sel:[1,0] op_sel_hi:[0,0]
	v_pk_fma_f32 v[6:7], v[8:9], v[130:131], v[4:5] neg_lo:[0,0,1] neg_hi:[0,0,1]
	v_pk_fma_f32 v[4:5], v[8:9], v[130:131], v[4:5] op_sel_hi:[1,0,1]
	v_pk_add_f32 v[2:3], v[2:3], v[18:19]
	v_mov_b32_e32 v7, v5
	s_waitcnt vmcnt(1) lgkmcnt(1)
	v_pk_mul_f32 v[4:5], v[10:11], v[132:133] op_sel:[1,1] op_sel_hi:[0,1]
	v_pk_add_f32 v[2:3], v[2:3], v[6:7]
	v_pk_fma_f32 v[6:7], v[10:11], v[132:133], v[4:5] neg_lo:[0,0,1] neg_hi:[0,0,1]
	v_pk_fma_f32 v[4:5], v[10:11], v[132:133], v[4:5] op_sel_hi:[1,0,1]
	s_nop 0
	v_mov_b32_e32 v4, v135
	v_mov_b32_e32 v7, v5
	v_pk_mul_f32 v[4:5], v[12:13], v[4:5] op_sel:[1,0] op_sel_hi:[0,0]
	v_pk_add_f32 v[2:3], v[2:3], v[6:7]
	v_pk_fma_f32 v[6:7], v[12:13], v[134:135], v[4:5] neg_lo:[0,0,1] neg_hi:[0,0,1]
	v_pk_fma_f32 v[4:5], v[12:13], v[134:135], v[4:5] op_sel_hi:[1,0,1]
	s_nop 0
	v_mov_b32_e32 v7, v5
	s_waitcnt vmcnt(0) lgkmcnt(0)
	v_pk_mul_f32 v[4:5], v[14:15], v[136:137] op_sel:[1,1] op_sel_hi:[0,1]
	v_pk_add_f32 v[2:3], v[2:3], v[6:7]
	v_pk_fma_f32 v[6:7], v[14:15], v[136:137], v[4:5] neg_lo:[0,0,1] neg_hi:[0,0,1]
	v_pk_fma_f32 v[4:5], v[14:15], v[136:137], v[4:5] op_sel_hi:[1,0,1]
	s_nop 0
	v_mov_b32_e32 v4, v139
	v_mov_b32_e32 v7, v5
	v_pk_mul_f32 v[4:5], v[16:17], v[4:5] op_sel:[1,0] op_sel_hi:[0,0]
	v_pk_add_f32 v[2:3], v[2:3], v[6:7]
	v_pk_fma_f32 v[6:7], v[16:17], v[138:139], v[4:5] neg_lo:[0,0,1] neg_hi:[0,0,1]
	v_pk_fma_f32 v[4:5], v[16:17], v[138:139], v[4:5] op_sel_hi:[1,0,1]
	s_nop 0
	v_mov_b32_e32 v7, v5
	scratch_load_dwordx2 v[4:5], off, off offset:200
	v_pk_add_f32 v[2:3], v[2:3], v[6:7]
	s_waitcnt vmcnt(0)
	v_pk_add_f32 v[2:3], v[4:5], v[2:3] neg_lo:[0,1] neg_hi:[0,1]
	scratch_store_dwordx2 off, v[2:3], off offset:200
	s_and_saveexec_b64 s[0:1], vcc
	s_cbranch_execz .LBB127_349
; %bb.348:
	scratch_load_dwordx2 v[2:3], off, off offset:192
	v_mov_b32_e32 v4, 0
	v_mov_b32_e32 v5, v4
	scratch_store_dwordx2 off, v[4:5], off offset:192
	s_waitcnt vmcnt(1)
	ds_write_b64 v1, v[2:3]
.LBB127_349:
	s_or_b64 exec, exec, s[0:1]
	s_waitcnt lgkmcnt(0)
	; wave barrier
	scratch_load_dwordx4 v[6:9], off, off offset:200
	scratch_load_dwordx4 v[14:17], off, off offset:216
	;; [unrolled: 1-line block ×10, first 2 shown]
	v_mov_b32_e32 v94, 0
	ds_read2_b64 v[2:5], v94 offset0:89 offset1:90
	scratch_load_dwordx4 v[86:89], off, off offset:360
	scratch_load_dwordx4 v[96:99], off, off offset:376
	;; [unrolled: 1-line block ×6, first 2 shown]
	v_cmp_lt_u32_e32 vcc, 23, v0
	s_waitcnt vmcnt(15) lgkmcnt(0)
	v_mul_f32_e32 v10, v2, v7
	v_fmac_f32_e32 v10, v3, v6
	v_mul_f32_e32 v11, v4, v9
	v_add_f32_e32 v10, 0, v10
	v_fmac_f32_e32 v11, v5, v8
	v_add_f32_e32 v18, v10, v11
	ds_read2_b64 v[10:13], v94 offset0:91 offset1:92
	v_mul_f32_e32 v3, v3, v7
	v_fma_f32 v2, v2, v6, -v3
	v_mul_f32_e32 v3, v5, v9
	v_add_f32_e32 v2, 0, v2
	s_waitcnt vmcnt(14) lgkmcnt(0)
	v_mul_f32_e32 v19, v10, v15
	v_fmac_f32_e32 v19, v11, v14
	v_add_f32_e32 v18, v18, v19
	v_mul_f32_e32 v19, v12, v17
	v_fmac_f32_e32 v19, v13, v16
	v_add_f32_e32 v26, v18, v19
	ds_read2_b64 v[18:21], v94 offset0:93 offset1:94
	v_fma_f32 v3, v4, v8, -v3
	v_add_f32_e32 v2, v2, v3
	v_mul_f32_e32 v3, v11, v15
	v_fma_f32 v3, v10, v14, -v3
	s_waitcnt vmcnt(13) lgkmcnt(0)
	v_mul_f32_e32 v27, v18, v23
	v_fmac_f32_e32 v27, v19, v22
	v_add_f32_e32 v26, v26, v27
	v_mul_f32_e32 v27, v20, v25
	v_fmac_f32_e32 v27, v21, v24
	v_add_f32_e32 v34, v26, v27
	ds_read2_b64 v[26:29], v94 offset0:95 offset1:96
	v_add_f32_e32 v2, v2, v3
	v_mul_f32_e32 v3, v13, v17
	v_fma_f32 v3, v12, v16, -v3
	v_add_f32_e32 v2, v2, v3
	s_waitcnt vmcnt(12) lgkmcnt(0)
	v_mul_f32_e32 v35, v26, v31
	v_fmac_f32_e32 v35, v27, v30
	v_add_f32_e32 v34, v34, v35
	v_mul_f32_e32 v35, v28, v33
	v_fmac_f32_e32 v35, v29, v32
	v_add_f32_e32 v42, v34, v35
	ds_read2_b64 v[34:37], v94 offset0:97 offset1:98
	v_mul_f32_e32 v3, v19, v23
	v_fma_f32 v3, v18, v22, -v3
	v_add_f32_e32 v2, v2, v3
	v_mul_f32_e32 v3, v21, v25
	s_waitcnt vmcnt(11) lgkmcnt(0)
	v_mul_f32_e32 v43, v34, v39
	v_fmac_f32_e32 v43, v35, v38
	v_add_f32_e32 v42, v42, v43
	v_mul_f32_e32 v43, v36, v41
	v_fmac_f32_e32 v43, v37, v40
	v_add_f32_e32 v50, v42, v43
	ds_read2_b64 v[42:45], v94 offset0:99 offset1:100
	v_fma_f32 v3, v20, v24, -v3
	v_add_f32_e32 v2, v2, v3
	v_mul_f32_e32 v3, v27, v31
	v_fma_f32 v3, v26, v30, -v3
	s_waitcnt vmcnt(10) lgkmcnt(0)
	v_mul_f32_e32 v51, v42, v47
	v_fmac_f32_e32 v51, v43, v46
	v_add_f32_e32 v50, v50, v51
	v_mul_f32_e32 v51, v44, v49
	v_fmac_f32_e32 v51, v45, v48
	v_add_f32_e32 v58, v50, v51
	ds_read2_b64 v[50:53], v94 offset0:101 offset1:102
	v_add_f32_e32 v2, v2, v3
	v_mul_f32_e32 v3, v29, v33
	v_fma_f32 v3, v28, v32, -v3
	v_add_f32_e32 v2, v2, v3
	s_waitcnt vmcnt(9) lgkmcnt(0)
	v_mul_f32_e32 v59, v50, v55
	v_fmac_f32_e32 v59, v51, v54
	v_add_f32_e32 v58, v58, v59
	v_mul_f32_e32 v59, v52, v57
	v_fmac_f32_e32 v59, v53, v56
	v_add_f32_e32 v66, v58, v59
	ds_read2_b64 v[58:61], v94 offset0:103 offset1:104
	v_mul_f32_e32 v3, v35, v39
	v_fma_f32 v3, v34, v38, -v3
	v_add_f32_e32 v2, v2, v3
	v_mul_f32_e32 v3, v37, v41
	;; [unrolled: 36-line block ×4, first 2 shown]
	s_waitcnt vmcnt(2) lgkmcnt(0)
	v_mul_f32_e32 v116, v108, v113
	v_fmac_f32_e32 v116, v109, v112
	v_add_f32_e32 v95, v95, v116
	v_mul_f32_e32 v116, v110, v115
	v_fmac_f32_e32 v116, v111, v114
	v_add_f32_e32 v95, v95, v116
	ds_read2_b64 v[116:119], v94 offset0:117 offset1:118
	v_fma_f32 v3, v68, v72, -v3
	v_add_f32_e32 v2, v2, v3
	v_mul_f32_e32 v3, v75, v79
	v_fma_f32 v3, v74, v78, -v3
	s_waitcnt vmcnt(1) lgkmcnt(0)
	v_mul_f32_e32 v124, v116, v121
	v_fmac_f32_e32 v124, v117, v120
	v_add_f32_e32 v145, v95, v124
	ds_read2_b64 v[124:127], v94 offset0:119 offset1:120
	scratch_load_dwordx4 v[132:135], off, off offset:456
	scratch_load_dwordx4 v[136:139], off, off offset:472
	;; [unrolled: 1-line block ×3, first 2 shown]
	scratch_load_dwordx2 v[150:151], off, off offset:504
	v_add_f32_e32 v2, v2, v3
	v_mul_f32_e32 v3, v77, v81
	v_fma_f32 v3, v76, v80, -v3
	v_add_f32_e32 v2, v2, v3
	v_mul_f32_e32 v3, v83, v87
	v_fma_f32 v3, v82, v86, -v3
	;; [unrolled: 3-line block ×10, first 2 shown]
	v_add_f32_e32 v144, v2, v3
	v_mul_f32_e32 v2, v119, v123
	v_mul_f32_e32 v147, v118, v123
	v_fma_f32 v146, v118, v122, -v2
	s_waitcnt vmcnt(4) lgkmcnt(0)
	v_mul_f32_e32 v2, v125, v129
	v_mov_b32_e32 v18, v131
	v_fmac_f32_e32 v147, v119, v122
	v_mul_f32_e32 v149, v124, v129
	v_fma_f32 v148, v124, v128, -v2
	ds_read2_b64 v[2:5], v94 offset0:121 offset1:122
	ds_read2_b64 v[6:9], v94 offset0:123 offset1:124
	;; [unrolled: 1-line block ×3, first 2 shown]
	ds_read_b64 v[14:15], v94 offset:1016
	v_pk_mul_f32 v[18:19], v[126:127], v[18:19] op_sel:[1,0] op_sel_hi:[0,0]
	v_fmac_f32_e32 v149, v125, v128
	v_pk_add_f32 v[16:17], v[144:145], v[146:147]
	v_pk_fma_f32 v[20:21], v[126:127], v[130:131], v[18:19] neg_lo:[0,0,1] neg_hi:[0,0,1]
	v_pk_fma_f32 v[18:19], v[126:127], v[130:131], v[18:19] op_sel_hi:[1,0,1]
	v_pk_add_f32 v[16:17], v[16:17], v[148:149]
	v_mov_b32_e32 v21, v19
	v_pk_add_f32 v[16:17], v[16:17], v[20:21]
	s_waitcnt vmcnt(3) lgkmcnt(3)
	v_pk_mul_f32 v[18:19], v[2:3], v[132:133] op_sel:[1,1] op_sel_hi:[0,1]
	v_pk_fma_f32 v[20:21], v[2:3], v[132:133], v[18:19] neg_lo:[0,0,1] neg_hi:[0,0,1]
	v_pk_fma_f32 v[2:3], v[2:3], v[132:133], v[18:19] op_sel_hi:[1,0,1]
	s_nop 0
	v_mov_b32_e32 v21, v3
	v_pk_add_f32 v[2:3], v[16:17], v[20:21]
	v_mov_b32_e32 v16, v135
	v_pk_mul_f32 v[16:17], v[4:5], v[16:17] op_sel:[1,0] op_sel_hi:[0,0]
	v_pk_fma_f32 v[18:19], v[4:5], v[134:135], v[16:17] neg_lo:[0,0,1] neg_hi:[0,0,1]
	v_pk_fma_f32 v[4:5], v[4:5], v[134:135], v[16:17] op_sel_hi:[1,0,1]
	s_nop 0
	v_mov_b32_e32 v19, v5
	s_waitcnt vmcnt(2) lgkmcnt(2)
	v_pk_mul_f32 v[4:5], v[6:7], v[136:137] op_sel:[1,1] op_sel_hi:[0,1]
	v_pk_fma_f32 v[16:17], v[6:7], v[136:137], v[4:5] neg_lo:[0,0,1] neg_hi:[0,0,1]
	v_pk_fma_f32 v[4:5], v[6:7], v[136:137], v[4:5] op_sel_hi:[1,0,1]
	v_pk_add_f32 v[2:3], v[2:3], v[18:19]
	v_mov_b32_e32 v4, v139
	v_mov_b32_e32 v17, v5
	v_pk_mul_f32 v[4:5], v[8:9], v[4:5] op_sel:[1,0] op_sel_hi:[0,0]
	v_pk_fma_f32 v[6:7], v[8:9], v[138:139], v[4:5] neg_lo:[0,0,1] neg_hi:[0,0,1]
	v_pk_fma_f32 v[4:5], v[8:9], v[138:139], v[4:5] op_sel_hi:[1,0,1]
	v_pk_add_f32 v[2:3], v[2:3], v[16:17]
	v_mov_b32_e32 v7, v5
	s_waitcnt vmcnt(1) lgkmcnt(1)
	v_pk_mul_f32 v[4:5], v[10:11], v[140:141] op_sel:[1,1] op_sel_hi:[0,1]
	v_pk_add_f32 v[2:3], v[2:3], v[6:7]
	v_pk_fma_f32 v[6:7], v[10:11], v[140:141], v[4:5] neg_lo:[0,0,1] neg_hi:[0,0,1]
	v_pk_fma_f32 v[4:5], v[10:11], v[140:141], v[4:5] op_sel_hi:[1,0,1]
	s_nop 0
	v_mov_b32_e32 v4, v143
	v_mov_b32_e32 v7, v5
	v_pk_mul_f32 v[4:5], v[12:13], v[4:5] op_sel:[1,0] op_sel_hi:[0,0]
	v_pk_add_f32 v[2:3], v[2:3], v[6:7]
	v_pk_fma_f32 v[6:7], v[12:13], v[142:143], v[4:5] neg_lo:[0,0,1] neg_hi:[0,0,1]
	v_pk_fma_f32 v[4:5], v[12:13], v[142:143], v[4:5] op_sel_hi:[1,0,1]
	s_nop 0
	v_mov_b32_e32 v7, v5
	s_waitcnt vmcnt(0) lgkmcnt(0)
	v_pk_mul_f32 v[4:5], v[14:15], v[150:151] op_sel:[1,1] op_sel_hi:[0,1]
	v_pk_add_f32 v[2:3], v[2:3], v[6:7]
	v_pk_fma_f32 v[6:7], v[14:15], v[150:151], v[4:5] neg_lo:[0,0,1] neg_hi:[0,0,1]
	v_pk_fma_f32 v[4:5], v[14:15], v[150:151], v[4:5] op_sel_hi:[1,0,1]
	s_nop 0
	v_mov_b32_e32 v7, v5
	scratch_load_dwordx2 v[4:5], off, off offset:192
	v_pk_add_f32 v[2:3], v[2:3], v[6:7]
	s_waitcnt vmcnt(0)
	v_pk_add_f32 v[2:3], v[4:5], v[2:3] neg_lo:[0,1] neg_hi:[0,1]
	scratch_store_dwordx2 off, v[2:3], off offset:192
	s_and_saveexec_b64 s[0:1], vcc
	s_cbranch_execz .LBB127_351
; %bb.350:
	scratch_load_dwordx2 v[2:3], off, off offset:184
	v_mov_b32_e32 v95, v94
	scratch_store_dwordx2 off, v[94:95], off offset:184
	s_waitcnt vmcnt(1)
	ds_write_b64 v1, v[2:3]
.LBB127_351:
	s_or_b64 exec, exec, s[0:1]
	s_waitcnt lgkmcnt(0)
	; wave barrier
	ds_read_b128 v[14:17], v94 offset:704
	ds_read_b128 v[10:13], v94 offset:720
	ds_read_b128 v[6:9], v94 offset:736
	ds_read_b128 v[2:5], v94 offset:752
	scratch_load_dwordx4 v[18:21], off, off offset:192
	scratch_load_dwordx4 v[38:41], off, off offset:256
	;; [unrolled: 1-line block ×10, first 2 shown]
	v_cmp_lt_u32_e32 vcc, 22, v0
	scratch_load_dwordx4 v[46:49], off, off offset:272
	scratch_load_dwordx4 v[54:57], off, off offset:288
	;; [unrolled: 1-line block ×3, first 2 shown]
	s_waitcnt vmcnt(12) lgkmcnt(3)
	v_mul_f32_e32 v22, v14, v19
	v_fmac_f32_e32 v22, v15, v18
	v_mul_f32_e32 v23, v16, v21
	v_add_f32_e32 v22, 0, v22
	v_fmac_f32_e32 v23, v17, v20
	v_add_f32_e32 v26, v22, v23
	scratch_load_dwordx4 v[22:25], off, off offset:208
	v_mul_f32_e32 v15, v15, v19
	v_fma_f32 v14, v14, v18, -v15
	v_mul_f32_e32 v15, v17, v21
	v_add_f32_e32 v14, 0, v14
	v_fma_f32 v15, v16, v20, -v15
	v_add_f32_e32 v14, v14, v15
	s_waitcnt vmcnt(0) lgkmcnt(2)
	v_mul_f32_e32 v27, v10, v23
	v_fmac_f32_e32 v27, v11, v22
	v_add_f32_e32 v26, v26, v27
	v_mul_f32_e32 v27, v12, v25
	v_fmac_f32_e32 v27, v13, v24
	v_add_f32_e32 v30, v26, v27
	scratch_load_dwordx4 v[26:29], off, off offset:224
	v_mul_f32_e32 v11, v11, v23
	v_fma_f32 v10, v10, v22, -v11
	v_mul_f32_e32 v11, v13, v25
	v_add_f32_e32 v10, v14, v10
	v_fma_f32 v11, v12, v24, -v11
	v_add_f32_e32 v10, v10, v11
	s_waitcnt vmcnt(0) lgkmcnt(1)
	v_mul_f32_e32 v31, v6, v27
	v_fmac_f32_e32 v31, v7, v26
	v_add_f32_e32 v30, v30, v31
	v_mul_f32_e32 v31, v8, v29
	;; [unrolled: 14-line block ×3, first 2 shown]
	v_fmac_f32_e32 v35, v5, v32
	v_add_f32_e32 v42, v34, v35
	ds_read_b128 v[34:37], v94 offset:768
	v_mul_f32_e32 v3, v3, v31
	v_fma_f32 v2, v2, v30, -v3
	v_mul_f32_e32 v3, v5, v33
	v_add_f32_e32 v2, v6, v2
	s_waitcnt lgkmcnt(0)
	v_mul_f32_e32 v43, v34, v39
	v_fmac_f32_e32 v43, v35, v38
	v_add_f32_e32 v42, v42, v43
	v_mul_f32_e32 v43, v36, v41
	v_fmac_f32_e32 v43, v37, v40
	v_add_f32_e32 v50, v42, v43
	ds_read_b128 v[42:45], v94 offset:784
	v_fma_f32 v3, v4, v32, -v3
	v_add_f32_e32 v2, v2, v3
	v_mul_f32_e32 v3, v35, v39
	v_fma_f32 v3, v34, v38, -v3
	s_waitcnt lgkmcnt(0)
	v_mul_f32_e32 v51, v42, v47
	v_fmac_f32_e32 v51, v43, v46
	v_add_f32_e32 v50, v50, v51
	v_mul_f32_e32 v51, v44, v49
	v_fmac_f32_e32 v51, v45, v48
	v_add_f32_e32 v58, v50, v51
	ds_read_b128 v[50:53], v94 offset:800
	v_add_f32_e32 v2, v2, v3
	v_mul_f32_e32 v3, v37, v41
	v_fma_f32 v3, v36, v40, -v3
	v_add_f32_e32 v2, v2, v3
	s_waitcnt lgkmcnt(0)
	v_mul_f32_e32 v59, v50, v55
	v_fmac_f32_e32 v59, v51, v54
	v_add_f32_e32 v58, v58, v59
	v_mul_f32_e32 v59, v52, v57
	v_fmac_f32_e32 v59, v53, v56
	v_add_f32_e32 v66, v58, v59
	ds_read_b128 v[58:61], v94 offset:816
	v_mul_f32_e32 v3, v43, v47
	v_fma_f32 v3, v42, v46, -v3
	v_add_f32_e32 v2, v2, v3
	v_mul_f32_e32 v3, v45, v49
	s_waitcnt lgkmcnt(0)
	v_mul_f32_e32 v67, v58, v63
	v_fmac_f32_e32 v67, v59, v62
	v_add_f32_e32 v66, v66, v67
	v_mul_f32_e32 v67, v60, v65
	v_fmac_f32_e32 v67, v61, v64
	v_add_f32_e32 v74, v66, v67
	ds_read_b128 v[66:69], v94 offset:832
	v_fma_f32 v3, v44, v48, -v3
	v_add_f32_e32 v2, v2, v3
	v_mul_f32_e32 v3, v51, v55
	v_fma_f32 v3, v50, v54, -v3
	s_waitcnt lgkmcnt(0)
	v_mul_f32_e32 v75, v66, v71
	v_fmac_f32_e32 v75, v67, v70
	v_add_f32_e32 v74, v74, v75
	v_mul_f32_e32 v75, v68, v73
	v_fmac_f32_e32 v75, v69, v72
	v_add_f32_e32 v82, v74, v75
	ds_read_b128 v[74:77], v94 offset:848
	v_add_f32_e32 v2, v2, v3
	v_mul_f32_e32 v3, v53, v57
	v_fma_f32 v3, v52, v56, -v3
	v_add_f32_e32 v2, v2, v3
	s_waitcnt lgkmcnt(0)
	v_mul_f32_e32 v83, v74, v79
	v_fmac_f32_e32 v83, v75, v78
	v_add_f32_e32 v82, v82, v83
	v_mul_f32_e32 v83, v76, v81
	v_fmac_f32_e32 v83, v77, v80
	v_add_f32_e32 v90, v82, v83
	ds_read_b128 v[82:85], v94 offset:864
	v_mul_f32_e32 v3, v59, v63
	v_fma_f32 v3, v58, v62, -v3
	v_add_f32_e32 v2, v2, v3
	v_mul_f32_e32 v3, v61, v65
	;; [unrolled: 36-line block ×3, first 2 shown]
	s_waitcnt lgkmcnt(0)
	v_mul_f32_e32 v116, v108, v113
	v_fmac_f32_e32 v116, v109, v112
	v_add_f32_e32 v95, v95, v116
	v_mul_f32_e32 v116, v110, v115
	v_fmac_f32_e32 v116, v111, v114
	v_add_f32_e32 v95, v95, v116
	ds_read_b128 v[116:119], v94 offset:928
	v_fma_f32 v3, v76, v80, -v3
	v_add_f32_e32 v2, v2, v3
	v_mul_f32_e32 v3, v83, v87
	v_fma_f32 v3, v82, v86, -v3
	s_waitcnt lgkmcnt(0)
	v_mul_f32_e32 v124, v116, v121
	v_fmac_f32_e32 v124, v117, v120
	v_add_f32_e32 v95, v95, v124
	v_mul_f32_e32 v124, v118, v123
	v_fmac_f32_e32 v124, v119, v122
	v_add_f32_e32 v149, v95, v124
	ds_read_b128 v[124:127], v94 offset:944
	scratch_load_dwordx4 v[132:135], off, off offset:448
	scratch_load_dwordx4 v[136:139], off, off offset:464
	;; [unrolled: 1-line block ×4, first 2 shown]
	v_add_f32_e32 v2, v2, v3
	v_mul_f32_e32 v3, v85, v89
	v_fma_f32 v3, v84, v88, -v3
	v_add_f32_e32 v2, v2, v3
	v_mul_f32_e32 v3, v91, v97
	v_fma_f32 v3, v90, v96, -v3
	;; [unrolled: 3-line block ×9, first 2 shown]
	v_add_f32_e32 v148, v2, v3
	s_waitcnt lgkmcnt(0)
	v_mul_f32_e32 v2, v125, v129
	v_fma_f32 v150, v124, v128, -v2
	v_mul_f32_e32 v2, v127, v131
	v_fma_f32 v152, v126, v130, -v2
	ds_read_b128 v[2:5], v94 offset:960
	ds_read_b128 v[6:9], v94 offset:976
	;; [unrolled: 1-line block ×4, first 2 shown]
	v_mul_f32_e32 v151, v124, v129
	v_fmac_f32_e32 v151, v125, v128
	v_mul_f32_e32 v153, v126, v131
	v_fmac_f32_e32 v153, v127, v130
	v_pk_add_f32 v[18:19], v[148:149], v[150:151]
	s_waitcnt vmcnt(3) lgkmcnt(3)
	v_pk_mul_f32 v[20:21], v[2:3], v[132:133] op_sel:[1,1] op_sel_hi:[0,1]
	v_pk_fma_f32 v[22:23], v[2:3], v[132:133], v[20:21] neg_lo:[0,0,1] neg_hi:[0,0,1]
	v_pk_fma_f32 v[2:3], v[2:3], v[132:133], v[20:21] op_sel_hi:[1,0,1]
	v_pk_add_f32 v[18:19], v[18:19], v[152:153]
	v_mov_b32_e32 v23, v3
	v_pk_add_f32 v[2:3], v[18:19], v[22:23]
	v_mov_b32_e32 v18, v135
	v_pk_mul_f32 v[18:19], v[4:5], v[18:19] op_sel:[1,0] op_sel_hi:[0,0]
	v_pk_fma_f32 v[20:21], v[4:5], v[134:135], v[18:19] neg_lo:[0,0,1] neg_hi:[0,0,1]
	v_pk_fma_f32 v[4:5], v[4:5], v[134:135], v[18:19] op_sel_hi:[1,0,1]
	s_nop 0
	v_mov_b32_e32 v21, v5
	s_waitcnt vmcnt(2) lgkmcnt(2)
	v_pk_mul_f32 v[4:5], v[6:7], v[136:137] op_sel:[1,1] op_sel_hi:[0,1]
	v_pk_fma_f32 v[18:19], v[6:7], v[136:137], v[4:5] neg_lo:[0,0,1] neg_hi:[0,0,1]
	v_pk_fma_f32 v[4:5], v[6:7], v[136:137], v[4:5] op_sel_hi:[1,0,1]
	v_pk_add_f32 v[2:3], v[2:3], v[20:21]
	v_mov_b32_e32 v4, v139
	v_mov_b32_e32 v19, v5
	v_pk_mul_f32 v[4:5], v[8:9], v[4:5] op_sel:[1,0] op_sel_hi:[0,0]
	v_pk_fma_f32 v[6:7], v[8:9], v[138:139], v[4:5] neg_lo:[0,0,1] neg_hi:[0,0,1]
	v_pk_fma_f32 v[4:5], v[8:9], v[138:139], v[4:5] op_sel_hi:[1,0,1]
	v_pk_add_f32 v[2:3], v[2:3], v[18:19]
	v_mov_b32_e32 v7, v5
	s_waitcnt vmcnt(1) lgkmcnt(1)
	v_pk_mul_f32 v[4:5], v[10:11], v[140:141] op_sel:[1,1] op_sel_hi:[0,1]
	v_pk_add_f32 v[2:3], v[2:3], v[6:7]
	v_pk_fma_f32 v[6:7], v[10:11], v[140:141], v[4:5] neg_lo:[0,0,1] neg_hi:[0,0,1]
	v_pk_fma_f32 v[4:5], v[10:11], v[140:141], v[4:5] op_sel_hi:[1,0,1]
	s_nop 0
	v_mov_b32_e32 v4, v143
	v_mov_b32_e32 v7, v5
	v_pk_mul_f32 v[4:5], v[12:13], v[4:5] op_sel:[1,0] op_sel_hi:[0,0]
	v_pk_add_f32 v[2:3], v[2:3], v[6:7]
	v_pk_fma_f32 v[6:7], v[12:13], v[142:143], v[4:5] neg_lo:[0,0,1] neg_hi:[0,0,1]
	v_pk_fma_f32 v[4:5], v[12:13], v[142:143], v[4:5] op_sel_hi:[1,0,1]
	s_nop 0
	v_mov_b32_e32 v7, v5
	s_waitcnt vmcnt(0) lgkmcnt(0)
	v_pk_mul_f32 v[4:5], v[14:15], v[144:145] op_sel:[1,1] op_sel_hi:[0,1]
	v_pk_add_f32 v[2:3], v[2:3], v[6:7]
	v_pk_fma_f32 v[6:7], v[14:15], v[144:145], v[4:5] neg_lo:[0,0,1] neg_hi:[0,0,1]
	v_pk_fma_f32 v[4:5], v[14:15], v[144:145], v[4:5] op_sel_hi:[1,0,1]
	s_nop 0
	v_mov_b32_e32 v4, v147
	v_mov_b32_e32 v7, v5
	v_pk_mul_f32 v[4:5], v[16:17], v[4:5] op_sel:[1,0] op_sel_hi:[0,0]
	v_pk_add_f32 v[2:3], v[2:3], v[6:7]
	v_pk_fma_f32 v[6:7], v[16:17], v[146:147], v[4:5] neg_lo:[0,0,1] neg_hi:[0,0,1]
	v_pk_fma_f32 v[4:5], v[16:17], v[146:147], v[4:5] op_sel_hi:[1,0,1]
	s_nop 0
	v_mov_b32_e32 v7, v5
	scratch_load_dwordx2 v[4:5], off, off offset:184
	v_pk_add_f32 v[2:3], v[2:3], v[6:7]
	s_waitcnt vmcnt(0)
	v_pk_add_f32 v[2:3], v[4:5], v[2:3] neg_lo:[0,1] neg_hi:[0,1]
	scratch_store_dwordx2 off, v[2:3], off offset:184
	s_and_saveexec_b64 s[0:1], vcc
	s_cbranch_execz .LBB127_353
; %bb.352:
	scratch_load_dwordx2 v[2:3], off, off offset:176
	v_mov_b32_e32 v4, 0
	v_mov_b32_e32 v5, v4
	scratch_store_dwordx2 off, v[4:5], off offset:176
	s_waitcnt vmcnt(1)
	ds_write_b64 v1, v[2:3]
.LBB127_353:
	s_or_b64 exec, exec, s[0:1]
	s_waitcnt lgkmcnt(0)
	; wave barrier
	scratch_load_dwordx4 v[6:9], off, off offset:184
	scratch_load_dwordx4 v[14:17], off, off offset:200
	;; [unrolled: 1-line block ×10, first 2 shown]
	v_mov_b32_e32 v102, 0
	ds_read2_b64 v[2:5], v102 offset0:87 offset1:88
	scratch_load_dwordx4 v[86:89], off, off offset:344
	scratch_load_dwordx4 v[94:97], off, off offset:360
	;; [unrolled: 1-line block ×7, first 2 shown]
	v_cmp_lt_u32_e32 vcc, 21, v0
	s_waitcnt vmcnt(16) lgkmcnt(0)
	v_mul_f32_e32 v10, v2, v7
	v_fmac_f32_e32 v10, v3, v6
	v_mul_f32_e32 v11, v4, v9
	v_add_f32_e32 v10, 0, v10
	v_fmac_f32_e32 v11, v5, v8
	v_add_f32_e32 v18, v10, v11
	ds_read2_b64 v[10:13], v102 offset0:89 offset1:90
	v_mul_f32_e32 v3, v3, v7
	v_fma_f32 v2, v2, v6, -v3
	v_mul_f32_e32 v3, v5, v9
	v_add_f32_e32 v2, 0, v2
	s_waitcnt vmcnt(15) lgkmcnt(0)
	v_mul_f32_e32 v19, v10, v15
	v_fmac_f32_e32 v19, v11, v14
	v_add_f32_e32 v18, v18, v19
	v_mul_f32_e32 v19, v12, v17
	v_fmac_f32_e32 v19, v13, v16
	v_add_f32_e32 v26, v18, v19
	ds_read2_b64 v[18:21], v102 offset0:91 offset1:92
	v_fma_f32 v3, v4, v8, -v3
	v_add_f32_e32 v2, v2, v3
	v_mul_f32_e32 v3, v11, v15
	v_fma_f32 v3, v10, v14, -v3
	s_waitcnt vmcnt(14) lgkmcnt(0)
	v_mul_f32_e32 v27, v18, v23
	v_fmac_f32_e32 v27, v19, v22
	v_add_f32_e32 v26, v26, v27
	v_mul_f32_e32 v27, v20, v25
	v_fmac_f32_e32 v27, v21, v24
	v_add_f32_e32 v34, v26, v27
	ds_read2_b64 v[26:29], v102 offset0:93 offset1:94
	v_add_f32_e32 v2, v2, v3
	v_mul_f32_e32 v3, v13, v17
	v_fma_f32 v3, v12, v16, -v3
	v_add_f32_e32 v2, v2, v3
	s_waitcnt vmcnt(13) lgkmcnt(0)
	v_mul_f32_e32 v35, v26, v31
	v_fmac_f32_e32 v35, v27, v30
	v_add_f32_e32 v34, v34, v35
	v_mul_f32_e32 v35, v28, v33
	v_fmac_f32_e32 v35, v29, v32
	v_add_f32_e32 v42, v34, v35
	ds_read2_b64 v[34:37], v102 offset0:95 offset1:96
	v_mul_f32_e32 v3, v19, v23
	v_fma_f32 v3, v18, v22, -v3
	v_add_f32_e32 v2, v2, v3
	v_mul_f32_e32 v3, v21, v25
	s_waitcnt vmcnt(12) lgkmcnt(0)
	v_mul_f32_e32 v43, v34, v39
	v_fmac_f32_e32 v43, v35, v38
	v_add_f32_e32 v42, v42, v43
	v_mul_f32_e32 v43, v36, v41
	v_fmac_f32_e32 v43, v37, v40
	v_add_f32_e32 v50, v42, v43
	ds_read2_b64 v[42:45], v102 offset0:97 offset1:98
	v_fma_f32 v3, v20, v24, -v3
	v_add_f32_e32 v2, v2, v3
	v_mul_f32_e32 v3, v27, v31
	v_fma_f32 v3, v26, v30, -v3
	s_waitcnt vmcnt(11) lgkmcnt(0)
	v_mul_f32_e32 v51, v42, v47
	v_fmac_f32_e32 v51, v43, v46
	v_add_f32_e32 v50, v50, v51
	v_mul_f32_e32 v51, v44, v49
	v_fmac_f32_e32 v51, v45, v48
	v_add_f32_e32 v58, v50, v51
	ds_read2_b64 v[50:53], v102 offset0:99 offset1:100
	v_add_f32_e32 v2, v2, v3
	v_mul_f32_e32 v3, v29, v33
	v_fma_f32 v3, v28, v32, -v3
	v_add_f32_e32 v2, v2, v3
	s_waitcnt vmcnt(10) lgkmcnt(0)
	v_mul_f32_e32 v59, v50, v55
	v_fmac_f32_e32 v59, v51, v54
	v_add_f32_e32 v58, v58, v59
	v_mul_f32_e32 v59, v52, v57
	v_fmac_f32_e32 v59, v53, v56
	v_add_f32_e32 v66, v58, v59
	ds_read2_b64 v[58:61], v102 offset0:101 offset1:102
	v_mul_f32_e32 v3, v35, v39
	v_fma_f32 v3, v34, v38, -v3
	v_add_f32_e32 v2, v2, v3
	v_mul_f32_e32 v3, v37, v41
	;; [unrolled: 36-line block ×4, first 2 shown]
	s_waitcnt vmcnt(3) lgkmcnt(0)
	v_mul_f32_e32 v116, v108, v113
	v_fmac_f32_e32 v116, v109, v112
	v_add_f32_e32 v103, v103, v116
	v_mul_f32_e32 v116, v110, v115
	v_fmac_f32_e32 v116, v111, v114
	v_add_f32_e32 v103, v103, v116
	ds_read2_b64 v[116:119], v102 offset0:115 offset1:116
	v_fma_f32 v3, v68, v72, -v3
	v_add_f32_e32 v2, v2, v3
	v_mul_f32_e32 v3, v75, v79
	v_fma_f32 v3, v74, v78, -v3
	s_waitcnt vmcnt(2) lgkmcnt(0)
	v_mul_f32_e32 v124, v116, v121
	v_fmac_f32_e32 v124, v117, v120
	v_add_f32_e32 v103, v103, v124
	v_mul_f32_e32 v124, v118, v123
	v_fmac_f32_e32 v124, v119, v122
	v_add_f32_e32 v103, v103, v124
	ds_read2_b64 v[124:127], v102 offset0:117 offset1:118
	v_add_f32_e32 v2, v2, v3
	v_mul_f32_e32 v3, v77, v81
	v_fma_f32 v3, v76, v80, -v3
	v_add_f32_e32 v2, v2, v3
	s_waitcnt vmcnt(1) lgkmcnt(0)
	v_mul_f32_e32 v132, v124, v129
	v_fmac_f32_e32 v132, v125, v128
	v_add_f32_e32 v153, v103, v132
	ds_read2_b64 v[132:135], v102 offset0:119 offset1:120
	scratch_load_dwordx4 v[140:143], off, off offset:456
	scratch_load_dwordx4 v[144:147], off, off offset:472
	;; [unrolled: 1-line block ×3, first 2 shown]
	scratch_load_dwordx2 v[160:161], off, off offset:504
	v_mul_f32_e32 v3, v83, v87
	v_fma_f32 v3, v82, v86, -v3
	v_add_f32_e32 v2, v2, v3
	v_mul_f32_e32 v3, v85, v89
	v_fma_f32 v3, v84, v88, -v3
	v_add_f32_e32 v2, v2, v3
	;; [unrolled: 3-line block ×11, first 2 shown]
	v_mul_f32_e32 v2, v127, v131
	v_mul_f32_e32 v155, v126, v131
	v_fma_f32 v154, v126, v130, -v2
	s_waitcnt vmcnt(4) lgkmcnt(0)
	v_mul_f32_e32 v2, v133, v137
	v_mov_b32_e32 v18, v139
	v_fmac_f32_e32 v155, v127, v130
	v_mul_f32_e32 v159, v132, v137
	v_fma_f32 v158, v132, v136, -v2
	ds_read2_b64 v[2:5], v102 offset0:121 offset1:122
	ds_read2_b64 v[6:9], v102 offset0:123 offset1:124
	ds_read2_b64 v[10:13], v102 offset0:125 offset1:126
	ds_read_b64 v[14:15], v102 offset:1016
	v_pk_mul_f32 v[18:19], v[134:135], v[18:19] op_sel:[1,0] op_sel_hi:[0,0]
	v_fmac_f32_e32 v159, v133, v136
	v_pk_add_f32 v[16:17], v[152:153], v[154:155]
	v_pk_fma_f32 v[20:21], v[134:135], v[138:139], v[18:19] neg_lo:[0,0,1] neg_hi:[0,0,1]
	v_pk_fma_f32 v[18:19], v[134:135], v[138:139], v[18:19] op_sel_hi:[1,0,1]
	v_pk_add_f32 v[16:17], v[16:17], v[158:159]
	v_mov_b32_e32 v21, v19
	v_pk_add_f32 v[16:17], v[16:17], v[20:21]
	s_waitcnt vmcnt(3) lgkmcnt(3)
	v_pk_mul_f32 v[18:19], v[2:3], v[140:141] op_sel:[1,1] op_sel_hi:[0,1]
	v_pk_fma_f32 v[20:21], v[2:3], v[140:141], v[18:19] neg_lo:[0,0,1] neg_hi:[0,0,1]
	v_pk_fma_f32 v[2:3], v[2:3], v[140:141], v[18:19] op_sel_hi:[1,0,1]
	s_nop 0
	v_mov_b32_e32 v21, v3
	v_pk_add_f32 v[2:3], v[16:17], v[20:21]
	v_mov_b32_e32 v16, v143
	v_pk_mul_f32 v[16:17], v[4:5], v[16:17] op_sel:[1,0] op_sel_hi:[0,0]
	v_pk_fma_f32 v[18:19], v[4:5], v[142:143], v[16:17] neg_lo:[0,0,1] neg_hi:[0,0,1]
	v_pk_fma_f32 v[4:5], v[4:5], v[142:143], v[16:17] op_sel_hi:[1,0,1]
	s_nop 0
	v_mov_b32_e32 v19, v5
	s_waitcnt vmcnt(2) lgkmcnt(2)
	v_pk_mul_f32 v[4:5], v[6:7], v[144:145] op_sel:[1,1] op_sel_hi:[0,1]
	v_pk_fma_f32 v[16:17], v[6:7], v[144:145], v[4:5] neg_lo:[0,0,1] neg_hi:[0,0,1]
	v_pk_fma_f32 v[4:5], v[6:7], v[144:145], v[4:5] op_sel_hi:[1,0,1]
	v_pk_add_f32 v[2:3], v[2:3], v[18:19]
	v_mov_b32_e32 v4, v147
	v_mov_b32_e32 v17, v5
	v_pk_mul_f32 v[4:5], v[8:9], v[4:5] op_sel:[1,0] op_sel_hi:[0,0]
	v_pk_fma_f32 v[6:7], v[8:9], v[146:147], v[4:5] neg_lo:[0,0,1] neg_hi:[0,0,1]
	v_pk_fma_f32 v[4:5], v[8:9], v[146:147], v[4:5] op_sel_hi:[1,0,1]
	v_pk_add_f32 v[2:3], v[2:3], v[16:17]
	v_mov_b32_e32 v7, v5
	s_waitcnt vmcnt(1) lgkmcnt(1)
	v_pk_mul_f32 v[4:5], v[10:11], v[148:149] op_sel:[1,1] op_sel_hi:[0,1]
	v_pk_add_f32 v[2:3], v[2:3], v[6:7]
	v_pk_fma_f32 v[6:7], v[10:11], v[148:149], v[4:5] neg_lo:[0,0,1] neg_hi:[0,0,1]
	v_pk_fma_f32 v[4:5], v[10:11], v[148:149], v[4:5] op_sel_hi:[1,0,1]
	s_nop 0
	v_mov_b32_e32 v4, v151
	v_mov_b32_e32 v7, v5
	v_pk_mul_f32 v[4:5], v[12:13], v[4:5] op_sel:[1,0] op_sel_hi:[0,0]
	v_pk_add_f32 v[2:3], v[2:3], v[6:7]
	v_pk_fma_f32 v[6:7], v[12:13], v[150:151], v[4:5] neg_lo:[0,0,1] neg_hi:[0,0,1]
	v_pk_fma_f32 v[4:5], v[12:13], v[150:151], v[4:5] op_sel_hi:[1,0,1]
	s_nop 0
	v_mov_b32_e32 v7, v5
	s_waitcnt vmcnt(0) lgkmcnt(0)
	v_pk_mul_f32 v[4:5], v[14:15], v[160:161] op_sel:[1,1] op_sel_hi:[0,1]
	v_pk_add_f32 v[2:3], v[2:3], v[6:7]
	v_pk_fma_f32 v[6:7], v[14:15], v[160:161], v[4:5] neg_lo:[0,0,1] neg_hi:[0,0,1]
	v_pk_fma_f32 v[4:5], v[14:15], v[160:161], v[4:5] op_sel_hi:[1,0,1]
	s_nop 0
	v_mov_b32_e32 v7, v5
	scratch_load_dwordx2 v[4:5], off, off offset:176
	v_pk_add_f32 v[2:3], v[2:3], v[6:7]
	s_waitcnt vmcnt(0)
	v_pk_add_f32 v[2:3], v[4:5], v[2:3] neg_lo:[0,1] neg_hi:[0,1]
	scratch_store_dwordx2 off, v[2:3], off offset:176
	s_and_saveexec_b64 s[0:1], vcc
	s_cbranch_execz .LBB127_355
; %bb.354:
	scratch_load_dwordx2 v[2:3], off, off offset:168
	v_mov_b32_e32 v103, v102
	scratch_store_dwordx2 off, v[102:103], off offset:168
	s_waitcnt vmcnt(1)
	ds_write_b64 v1, v[2:3]
.LBB127_355:
	s_or_b64 exec, exec, s[0:1]
	s_waitcnt lgkmcnt(0)
	; wave barrier
	ds_read_b128 v[14:17], v102 offset:688
	ds_read_b128 v[10:13], v102 offset:704
	;; [unrolled: 1-line block ×4, first 2 shown]
	scratch_load_dwordx4 v[18:21], off, off offset:176
	scratch_load_dwordx4 v[38:41], off, off offset:240
	scratch_load_dwordx4 v[70:73], off, off offset:304
	scratch_load_dwordx4 v[78:81], off, off offset:320
	scratch_load_dwordx4 v[86:89], off, off offset:336
	scratch_load_dwordx4 v[94:97], off, off offset:352
	scratch_load_dwordx4 v[104:107], off, off offset:368
	scratch_load_dwordx4 v[112:115], off, off offset:384
	scratch_load_dwordx4 v[120:123], off, off offset:400
	scratch_load_dwordx4 v[128:131], off, off offset:416
	scratch_load_dwordx4 v[136:139], off, off offset:432
	v_cmp_lt_u32_e32 vcc, 20, v0
	scratch_load_dwordx4 v[46:49], off, off offset:256
	scratch_load_dwordx4 v[54:57], off, off offset:272
	;; [unrolled: 1-line block ×3, first 2 shown]
	s_waitcnt vmcnt(13) lgkmcnt(3)
	v_mul_f32_e32 v22, v14, v19
	v_fmac_f32_e32 v22, v15, v18
	v_mul_f32_e32 v23, v16, v21
	v_add_f32_e32 v22, 0, v22
	v_fmac_f32_e32 v23, v17, v20
	v_add_f32_e32 v26, v22, v23
	scratch_load_dwordx4 v[22:25], off, off offset:192
	v_mul_f32_e32 v15, v15, v19
	v_fma_f32 v14, v14, v18, -v15
	v_mul_f32_e32 v15, v17, v21
	v_add_f32_e32 v14, 0, v14
	v_fma_f32 v15, v16, v20, -v15
	v_add_f32_e32 v14, v14, v15
	s_waitcnt vmcnt(0) lgkmcnt(2)
	v_mul_f32_e32 v27, v10, v23
	v_fmac_f32_e32 v27, v11, v22
	v_add_f32_e32 v26, v26, v27
	v_mul_f32_e32 v27, v12, v25
	v_fmac_f32_e32 v27, v13, v24
	v_add_f32_e32 v30, v26, v27
	scratch_load_dwordx4 v[26:29], off, off offset:208
	v_mul_f32_e32 v11, v11, v23
	v_fma_f32 v10, v10, v22, -v11
	v_mul_f32_e32 v11, v13, v25
	v_add_f32_e32 v10, v14, v10
	v_fma_f32 v11, v12, v24, -v11
	v_add_f32_e32 v10, v10, v11
	s_waitcnt vmcnt(0) lgkmcnt(1)
	v_mul_f32_e32 v31, v6, v27
	v_fmac_f32_e32 v31, v7, v26
	v_add_f32_e32 v30, v30, v31
	v_mul_f32_e32 v31, v8, v29
	;; [unrolled: 14-line block ×3, first 2 shown]
	v_fmac_f32_e32 v35, v5, v32
	v_add_f32_e32 v42, v34, v35
	ds_read_b128 v[34:37], v102 offset:752
	v_mul_f32_e32 v3, v3, v31
	v_fma_f32 v2, v2, v30, -v3
	v_mul_f32_e32 v3, v5, v33
	v_add_f32_e32 v2, v6, v2
	s_waitcnt lgkmcnt(0)
	v_mul_f32_e32 v43, v34, v39
	v_fmac_f32_e32 v43, v35, v38
	v_add_f32_e32 v42, v42, v43
	v_mul_f32_e32 v43, v36, v41
	v_fmac_f32_e32 v43, v37, v40
	v_add_f32_e32 v50, v42, v43
	ds_read_b128 v[42:45], v102 offset:768
	v_fma_f32 v3, v4, v32, -v3
	v_add_f32_e32 v2, v2, v3
	v_mul_f32_e32 v3, v35, v39
	v_fma_f32 v3, v34, v38, -v3
	s_waitcnt lgkmcnt(0)
	v_mul_f32_e32 v51, v42, v47
	v_fmac_f32_e32 v51, v43, v46
	v_add_f32_e32 v50, v50, v51
	v_mul_f32_e32 v51, v44, v49
	v_fmac_f32_e32 v51, v45, v48
	v_add_f32_e32 v58, v50, v51
	ds_read_b128 v[50:53], v102 offset:784
	v_add_f32_e32 v2, v2, v3
	v_mul_f32_e32 v3, v37, v41
	v_fma_f32 v3, v36, v40, -v3
	v_add_f32_e32 v2, v2, v3
	s_waitcnt lgkmcnt(0)
	v_mul_f32_e32 v59, v50, v55
	v_fmac_f32_e32 v59, v51, v54
	v_add_f32_e32 v58, v58, v59
	v_mul_f32_e32 v59, v52, v57
	v_fmac_f32_e32 v59, v53, v56
	v_add_f32_e32 v66, v58, v59
	ds_read_b128 v[58:61], v102 offset:800
	v_mul_f32_e32 v3, v43, v47
	v_fma_f32 v3, v42, v46, -v3
	v_add_f32_e32 v2, v2, v3
	v_mul_f32_e32 v3, v45, v49
	s_waitcnt lgkmcnt(0)
	v_mul_f32_e32 v67, v58, v63
	v_fmac_f32_e32 v67, v59, v62
	v_add_f32_e32 v66, v66, v67
	v_mul_f32_e32 v67, v60, v65
	v_fmac_f32_e32 v67, v61, v64
	v_add_f32_e32 v74, v66, v67
	ds_read_b128 v[66:69], v102 offset:816
	v_fma_f32 v3, v44, v48, -v3
	v_add_f32_e32 v2, v2, v3
	v_mul_f32_e32 v3, v51, v55
	v_fma_f32 v3, v50, v54, -v3
	s_waitcnt lgkmcnt(0)
	v_mul_f32_e32 v75, v66, v71
	v_fmac_f32_e32 v75, v67, v70
	v_add_f32_e32 v74, v74, v75
	v_mul_f32_e32 v75, v68, v73
	v_fmac_f32_e32 v75, v69, v72
	v_add_f32_e32 v82, v74, v75
	ds_read_b128 v[74:77], v102 offset:832
	v_add_f32_e32 v2, v2, v3
	v_mul_f32_e32 v3, v53, v57
	v_fma_f32 v3, v52, v56, -v3
	v_add_f32_e32 v2, v2, v3
	s_waitcnt lgkmcnt(0)
	v_mul_f32_e32 v83, v74, v79
	v_fmac_f32_e32 v83, v75, v78
	v_add_f32_e32 v82, v82, v83
	v_mul_f32_e32 v83, v76, v81
	v_fmac_f32_e32 v83, v77, v80
	v_add_f32_e32 v90, v82, v83
	ds_read_b128 v[82:85], v102 offset:848
	v_mul_f32_e32 v3, v59, v63
	v_fma_f32 v3, v58, v62, -v3
	v_add_f32_e32 v2, v2, v3
	v_mul_f32_e32 v3, v61, v65
	;; [unrolled: 36-line block ×3, first 2 shown]
	s_waitcnt lgkmcnt(0)
	v_mul_f32_e32 v116, v108, v113
	v_fmac_f32_e32 v116, v109, v112
	v_add_f32_e32 v103, v103, v116
	v_mul_f32_e32 v116, v110, v115
	v_fmac_f32_e32 v116, v111, v114
	v_add_f32_e32 v103, v103, v116
	ds_read_b128 v[116:119], v102 offset:912
	v_fma_f32 v3, v76, v80, -v3
	v_add_f32_e32 v2, v2, v3
	v_mul_f32_e32 v3, v83, v87
	v_fma_f32 v3, v82, v86, -v3
	s_waitcnt lgkmcnt(0)
	v_mul_f32_e32 v124, v116, v121
	v_fmac_f32_e32 v124, v117, v120
	v_add_f32_e32 v103, v103, v124
	v_mul_f32_e32 v124, v118, v123
	v_fmac_f32_e32 v124, v119, v122
	v_add_f32_e32 v103, v103, v124
	ds_read_b128 v[124:127], v102 offset:928
	v_add_f32_e32 v2, v2, v3
	v_mul_f32_e32 v3, v85, v89
	v_fma_f32 v3, v84, v88, -v3
	v_add_f32_e32 v2, v2, v3
	s_waitcnt lgkmcnt(0)
	v_mul_f32_e32 v132, v124, v129
	v_fmac_f32_e32 v132, v125, v128
	v_add_f32_e32 v103, v103, v132
	v_mul_f32_e32 v132, v126, v131
	v_fmac_f32_e32 v132, v127, v130
	v_add_f32_e32 v159, v103, v132
	ds_read_b128 v[132:135], v102 offset:944
	scratch_load_dwordx4 v[140:143], off, off offset:448
	scratch_load_dwordx4 v[144:147], off, off offset:464
	scratch_load_dwordx4 v[148:151], off, off offset:480
	scratch_load_dwordx4 v[152:155], off, off offset:496
	v_mul_f32_e32 v3, v91, v95
	v_fma_f32 v3, v90, v94, -v3
	v_add_f32_e32 v2, v2, v3
	v_mul_f32_e32 v3, v93, v97
	v_fma_f32 v3, v92, v96, -v3
	v_add_f32_e32 v2, v2, v3
	;; [unrolled: 3-line block ×10, first 2 shown]
	s_waitcnt lgkmcnt(0)
	v_mul_f32_e32 v2, v133, v137
	v_fma_f32 v160, v132, v136, -v2
	v_mul_f32_e32 v2, v135, v139
	v_fma_f32 v162, v134, v138, -v2
	ds_read_b128 v[2:5], v102 offset:960
	ds_read_b128 v[6:9], v102 offset:976
	;; [unrolled: 1-line block ×4, first 2 shown]
	v_mul_f32_e32 v161, v132, v137
	v_fmac_f32_e32 v161, v133, v136
	v_mul_f32_e32 v163, v134, v139
	v_fmac_f32_e32 v163, v135, v138
	v_pk_add_f32 v[18:19], v[158:159], v[160:161]
	s_waitcnt vmcnt(3) lgkmcnt(3)
	v_pk_mul_f32 v[20:21], v[2:3], v[140:141] op_sel:[1,1] op_sel_hi:[0,1]
	v_pk_fma_f32 v[22:23], v[2:3], v[140:141], v[20:21] neg_lo:[0,0,1] neg_hi:[0,0,1]
	v_pk_fma_f32 v[2:3], v[2:3], v[140:141], v[20:21] op_sel_hi:[1,0,1]
	v_pk_add_f32 v[18:19], v[18:19], v[162:163]
	v_mov_b32_e32 v23, v3
	v_pk_add_f32 v[2:3], v[18:19], v[22:23]
	v_mov_b32_e32 v18, v143
	v_pk_mul_f32 v[18:19], v[4:5], v[18:19] op_sel:[1,0] op_sel_hi:[0,0]
	v_pk_fma_f32 v[20:21], v[4:5], v[142:143], v[18:19] neg_lo:[0,0,1] neg_hi:[0,0,1]
	v_pk_fma_f32 v[4:5], v[4:5], v[142:143], v[18:19] op_sel_hi:[1,0,1]
	s_nop 0
	v_mov_b32_e32 v21, v5
	s_waitcnt vmcnt(2) lgkmcnt(2)
	v_pk_mul_f32 v[4:5], v[6:7], v[144:145] op_sel:[1,1] op_sel_hi:[0,1]
	v_pk_fma_f32 v[18:19], v[6:7], v[144:145], v[4:5] neg_lo:[0,0,1] neg_hi:[0,0,1]
	v_pk_fma_f32 v[4:5], v[6:7], v[144:145], v[4:5] op_sel_hi:[1,0,1]
	v_pk_add_f32 v[2:3], v[2:3], v[20:21]
	v_mov_b32_e32 v4, v147
	v_mov_b32_e32 v19, v5
	v_pk_mul_f32 v[4:5], v[8:9], v[4:5] op_sel:[1,0] op_sel_hi:[0,0]
	v_pk_fma_f32 v[6:7], v[8:9], v[146:147], v[4:5] neg_lo:[0,0,1] neg_hi:[0,0,1]
	v_pk_fma_f32 v[4:5], v[8:9], v[146:147], v[4:5] op_sel_hi:[1,0,1]
	v_pk_add_f32 v[2:3], v[2:3], v[18:19]
	v_mov_b32_e32 v7, v5
	s_waitcnt vmcnt(1) lgkmcnt(1)
	v_pk_mul_f32 v[4:5], v[10:11], v[148:149] op_sel:[1,1] op_sel_hi:[0,1]
	v_pk_add_f32 v[2:3], v[2:3], v[6:7]
	v_pk_fma_f32 v[6:7], v[10:11], v[148:149], v[4:5] neg_lo:[0,0,1] neg_hi:[0,0,1]
	v_pk_fma_f32 v[4:5], v[10:11], v[148:149], v[4:5] op_sel_hi:[1,0,1]
	s_nop 0
	v_mov_b32_e32 v4, v151
	v_mov_b32_e32 v7, v5
	v_pk_mul_f32 v[4:5], v[12:13], v[4:5] op_sel:[1,0] op_sel_hi:[0,0]
	v_pk_add_f32 v[2:3], v[2:3], v[6:7]
	v_pk_fma_f32 v[6:7], v[12:13], v[150:151], v[4:5] neg_lo:[0,0,1] neg_hi:[0,0,1]
	v_pk_fma_f32 v[4:5], v[12:13], v[150:151], v[4:5] op_sel_hi:[1,0,1]
	s_nop 0
	v_mov_b32_e32 v7, v5
	s_waitcnt vmcnt(0) lgkmcnt(0)
	v_pk_mul_f32 v[4:5], v[14:15], v[152:153] op_sel:[1,1] op_sel_hi:[0,1]
	v_pk_add_f32 v[2:3], v[2:3], v[6:7]
	v_pk_fma_f32 v[6:7], v[14:15], v[152:153], v[4:5] neg_lo:[0,0,1] neg_hi:[0,0,1]
	v_pk_fma_f32 v[4:5], v[14:15], v[152:153], v[4:5] op_sel_hi:[1,0,1]
	s_nop 0
	v_mov_b32_e32 v4, v155
	v_mov_b32_e32 v7, v5
	v_pk_mul_f32 v[4:5], v[16:17], v[4:5] op_sel:[1,0] op_sel_hi:[0,0]
	v_pk_add_f32 v[2:3], v[2:3], v[6:7]
	v_pk_fma_f32 v[6:7], v[16:17], v[154:155], v[4:5] neg_lo:[0,0,1] neg_hi:[0,0,1]
	v_pk_fma_f32 v[4:5], v[16:17], v[154:155], v[4:5] op_sel_hi:[1,0,1]
	s_nop 0
	v_mov_b32_e32 v7, v5
	scratch_load_dwordx2 v[4:5], off, off offset:168
	v_pk_add_f32 v[2:3], v[2:3], v[6:7]
	s_waitcnt vmcnt(0)
	v_pk_add_f32 v[2:3], v[4:5], v[2:3] neg_lo:[0,1] neg_hi:[0,1]
	scratch_store_dwordx2 off, v[2:3], off offset:168
	s_and_saveexec_b64 s[0:1], vcc
	s_cbranch_execz .LBB127_357
; %bb.356:
	scratch_load_dwordx2 v[2:3], off, off offset:160
	v_mov_b32_e32 v4, 0
	v_mov_b32_e32 v5, v4
	scratch_store_dwordx2 off, v[4:5], off offset:160
	s_waitcnt vmcnt(1)
	ds_write_b64 v1, v[2:3]
.LBB127_357:
	s_or_b64 exec, exec, s[0:1]
	s_waitcnt lgkmcnt(0)
	; wave barrier
	scratch_load_dwordx4 v[6:9], off, off offset:168
	scratch_load_dwordx4 v[14:17], off, off offset:184
	;; [unrolled: 1-line block ×10, first 2 shown]
	v_mov_b32_e32 v102, 0
	ds_read2_b64 v[2:5], v102 offset0:85 offset1:86
	scratch_load_dwordx4 v[86:89], off, off offset:328
	scratch_load_dwordx4 v[94:97], off, off offset:344
	;; [unrolled: 1-line block ×8, first 2 shown]
	v_cmp_lt_u32_e32 vcc, 19, v0
	s_waitcnt vmcnt(17) lgkmcnt(0)
	v_mul_f32_e32 v10, v2, v7
	v_fmac_f32_e32 v10, v3, v6
	v_mul_f32_e32 v11, v4, v9
	v_add_f32_e32 v10, 0, v10
	v_fmac_f32_e32 v11, v5, v8
	v_add_f32_e32 v18, v10, v11
	ds_read2_b64 v[10:13], v102 offset0:87 offset1:88
	v_mul_f32_e32 v3, v3, v7
	v_fma_f32 v2, v2, v6, -v3
	v_mul_f32_e32 v3, v5, v9
	v_add_f32_e32 v2, 0, v2
	s_waitcnt vmcnt(16) lgkmcnt(0)
	v_mul_f32_e32 v19, v10, v15
	v_fmac_f32_e32 v19, v11, v14
	v_add_f32_e32 v18, v18, v19
	v_mul_f32_e32 v19, v12, v17
	v_fmac_f32_e32 v19, v13, v16
	v_add_f32_e32 v26, v18, v19
	ds_read2_b64 v[18:21], v102 offset0:89 offset1:90
	v_fma_f32 v3, v4, v8, -v3
	v_add_f32_e32 v2, v2, v3
	v_mul_f32_e32 v3, v11, v15
	v_fma_f32 v3, v10, v14, -v3
	s_waitcnt vmcnt(15) lgkmcnt(0)
	v_mul_f32_e32 v27, v18, v23
	v_fmac_f32_e32 v27, v19, v22
	v_add_f32_e32 v26, v26, v27
	v_mul_f32_e32 v27, v20, v25
	v_fmac_f32_e32 v27, v21, v24
	v_add_f32_e32 v34, v26, v27
	ds_read2_b64 v[26:29], v102 offset0:91 offset1:92
	v_add_f32_e32 v2, v2, v3
	v_mul_f32_e32 v3, v13, v17
	v_fma_f32 v3, v12, v16, -v3
	v_add_f32_e32 v2, v2, v3
	s_waitcnt vmcnt(14) lgkmcnt(0)
	v_mul_f32_e32 v35, v26, v31
	v_fmac_f32_e32 v35, v27, v30
	v_add_f32_e32 v34, v34, v35
	v_mul_f32_e32 v35, v28, v33
	v_fmac_f32_e32 v35, v29, v32
	v_add_f32_e32 v42, v34, v35
	ds_read2_b64 v[34:37], v102 offset0:93 offset1:94
	v_mul_f32_e32 v3, v19, v23
	v_fma_f32 v3, v18, v22, -v3
	v_add_f32_e32 v2, v2, v3
	v_mul_f32_e32 v3, v21, v25
	s_waitcnt vmcnt(13) lgkmcnt(0)
	v_mul_f32_e32 v43, v34, v39
	v_fmac_f32_e32 v43, v35, v38
	v_add_f32_e32 v42, v42, v43
	v_mul_f32_e32 v43, v36, v41
	v_fmac_f32_e32 v43, v37, v40
	v_add_f32_e32 v50, v42, v43
	ds_read2_b64 v[42:45], v102 offset0:95 offset1:96
	v_fma_f32 v3, v20, v24, -v3
	v_add_f32_e32 v2, v2, v3
	v_mul_f32_e32 v3, v27, v31
	v_fma_f32 v3, v26, v30, -v3
	s_waitcnt vmcnt(12) lgkmcnt(0)
	v_mul_f32_e32 v51, v42, v47
	v_fmac_f32_e32 v51, v43, v46
	v_add_f32_e32 v50, v50, v51
	v_mul_f32_e32 v51, v44, v49
	v_fmac_f32_e32 v51, v45, v48
	v_add_f32_e32 v58, v50, v51
	ds_read2_b64 v[50:53], v102 offset0:97 offset1:98
	v_add_f32_e32 v2, v2, v3
	v_mul_f32_e32 v3, v29, v33
	v_fma_f32 v3, v28, v32, -v3
	v_add_f32_e32 v2, v2, v3
	s_waitcnt vmcnt(11) lgkmcnt(0)
	v_mul_f32_e32 v59, v50, v55
	v_fmac_f32_e32 v59, v51, v54
	v_add_f32_e32 v58, v58, v59
	v_mul_f32_e32 v59, v52, v57
	v_fmac_f32_e32 v59, v53, v56
	v_add_f32_e32 v66, v58, v59
	ds_read2_b64 v[58:61], v102 offset0:99 offset1:100
	v_mul_f32_e32 v3, v35, v39
	v_fma_f32 v3, v34, v38, -v3
	v_add_f32_e32 v2, v2, v3
	v_mul_f32_e32 v3, v37, v41
	;; [unrolled: 36-line block ×5, first 2 shown]
	s_waitcnt vmcnt(1) lgkmcnt(0)
	v_mul_f32_e32 v140, v132, v137
	v_fmac_f32_e32 v140, v133, v136
	v_add_f32_e32 v159, v103, v140
	ds_read2_b64 v[140:143], v102 offset0:119 offset1:120
	scratch_load_dwordx4 v[148:151], off, off offset:456
	scratch_load_dwordx4 v[152:155], off, off offset:472
	;; [unrolled: 1-line block ×3, first 2 shown]
	scratch_load_dwordx2 v[164:165], off, off offset:504
	v_fma_f32 v3, v84, v88, -v3
	v_add_f32_e32 v2, v2, v3
	v_mul_f32_e32 v3, v91, v95
	v_fma_f32 v3, v90, v94, -v3
	v_add_f32_e32 v2, v2, v3
	v_mul_f32_e32 v3, v93, v97
	;; [unrolled: 3-line block ×12, first 2 shown]
	v_mul_f32_e32 v161, v134, v139
	v_fma_f32 v160, v134, v138, -v2
	s_waitcnt vmcnt(4) lgkmcnt(0)
	v_mul_f32_e32 v2, v141, v145
	v_mov_b32_e32 v18, v147
	v_fmac_f32_e32 v161, v135, v138
	v_mul_f32_e32 v163, v140, v145
	v_fma_f32 v162, v140, v144, -v2
	ds_read2_b64 v[2:5], v102 offset0:121 offset1:122
	ds_read2_b64 v[6:9], v102 offset0:123 offset1:124
	;; [unrolled: 1-line block ×3, first 2 shown]
	ds_read_b64 v[14:15], v102 offset:1016
	v_pk_mul_f32 v[18:19], v[142:143], v[18:19] op_sel:[1,0] op_sel_hi:[0,0]
	v_fmac_f32_e32 v163, v141, v144
	v_pk_add_f32 v[16:17], v[158:159], v[160:161]
	v_pk_fma_f32 v[20:21], v[142:143], v[146:147], v[18:19] neg_lo:[0,0,1] neg_hi:[0,0,1]
	v_pk_fma_f32 v[18:19], v[142:143], v[146:147], v[18:19] op_sel_hi:[1,0,1]
	v_pk_add_f32 v[16:17], v[16:17], v[162:163]
	v_mov_b32_e32 v21, v19
	v_pk_add_f32 v[16:17], v[16:17], v[20:21]
	s_waitcnt vmcnt(3) lgkmcnt(3)
	v_pk_mul_f32 v[18:19], v[2:3], v[148:149] op_sel:[1,1] op_sel_hi:[0,1]
	v_pk_fma_f32 v[20:21], v[2:3], v[148:149], v[18:19] neg_lo:[0,0,1] neg_hi:[0,0,1]
	v_pk_fma_f32 v[2:3], v[2:3], v[148:149], v[18:19] op_sel_hi:[1,0,1]
	s_nop 0
	v_mov_b32_e32 v21, v3
	v_pk_add_f32 v[2:3], v[16:17], v[20:21]
	v_mov_b32_e32 v16, v151
	v_pk_mul_f32 v[16:17], v[4:5], v[16:17] op_sel:[1,0] op_sel_hi:[0,0]
	v_pk_fma_f32 v[18:19], v[4:5], v[150:151], v[16:17] neg_lo:[0,0,1] neg_hi:[0,0,1]
	v_pk_fma_f32 v[4:5], v[4:5], v[150:151], v[16:17] op_sel_hi:[1,0,1]
	s_nop 0
	v_mov_b32_e32 v19, v5
	s_waitcnt vmcnt(2) lgkmcnt(2)
	v_pk_mul_f32 v[4:5], v[6:7], v[152:153] op_sel:[1,1] op_sel_hi:[0,1]
	v_pk_fma_f32 v[16:17], v[6:7], v[152:153], v[4:5] neg_lo:[0,0,1] neg_hi:[0,0,1]
	v_pk_fma_f32 v[4:5], v[6:7], v[152:153], v[4:5] op_sel_hi:[1,0,1]
	v_pk_add_f32 v[2:3], v[2:3], v[18:19]
	v_mov_b32_e32 v4, v155
	v_mov_b32_e32 v17, v5
	v_pk_mul_f32 v[4:5], v[8:9], v[4:5] op_sel:[1,0] op_sel_hi:[0,0]
	v_pk_fma_f32 v[6:7], v[8:9], v[154:155], v[4:5] neg_lo:[0,0,1] neg_hi:[0,0,1]
	v_pk_fma_f32 v[4:5], v[8:9], v[154:155], v[4:5] op_sel_hi:[1,0,1]
	v_pk_add_f32 v[2:3], v[2:3], v[16:17]
	v_mov_b32_e32 v7, v5
	s_waitcnt vmcnt(1) lgkmcnt(1)
	v_pk_mul_f32 v[4:5], v[10:11], v[186:187] op_sel:[1,1] op_sel_hi:[0,1]
	v_pk_add_f32 v[2:3], v[2:3], v[6:7]
	v_pk_fma_f32 v[6:7], v[10:11], v[186:187], v[4:5] neg_lo:[0,0,1] neg_hi:[0,0,1]
	v_pk_fma_f32 v[4:5], v[10:11], v[186:187], v[4:5] op_sel_hi:[1,0,1]
	s_nop 0
	v_mov_b32_e32 v4, v189
	v_mov_b32_e32 v7, v5
	v_pk_mul_f32 v[4:5], v[12:13], v[4:5] op_sel:[1,0] op_sel_hi:[0,0]
	v_pk_add_f32 v[2:3], v[2:3], v[6:7]
	v_pk_fma_f32 v[6:7], v[12:13], v[188:189], v[4:5] neg_lo:[0,0,1] neg_hi:[0,0,1]
	v_pk_fma_f32 v[4:5], v[12:13], v[188:189], v[4:5] op_sel_hi:[1,0,1]
	s_nop 0
	v_mov_b32_e32 v7, v5
	s_waitcnt vmcnt(0) lgkmcnt(0)
	v_pk_mul_f32 v[4:5], v[14:15], v[164:165] op_sel:[1,1] op_sel_hi:[0,1]
	v_pk_add_f32 v[2:3], v[2:3], v[6:7]
	v_pk_fma_f32 v[6:7], v[14:15], v[164:165], v[4:5] neg_lo:[0,0,1] neg_hi:[0,0,1]
	v_pk_fma_f32 v[4:5], v[14:15], v[164:165], v[4:5] op_sel_hi:[1,0,1]
	s_nop 0
	v_mov_b32_e32 v7, v5
	scratch_load_dwordx2 v[4:5], off, off offset:160
	v_pk_add_f32 v[2:3], v[2:3], v[6:7]
	s_waitcnt vmcnt(0)
	v_pk_add_f32 v[2:3], v[4:5], v[2:3] neg_lo:[0,1] neg_hi:[0,1]
	scratch_store_dwordx2 off, v[2:3], off offset:160
	s_and_saveexec_b64 s[0:1], vcc
	s_cbranch_execz .LBB127_359
; %bb.358:
	scratch_load_dwordx2 v[2:3], off, off offset:152
	v_mov_b32_e32 v103, v102
	scratch_store_dwordx2 off, v[102:103], off offset:152
	s_waitcnt vmcnt(1)
	ds_write_b64 v1, v[2:3]
.LBB127_359:
	s_or_b64 exec, exec, s[0:1]
	s_waitcnt lgkmcnt(0)
	; wave barrier
	ds_read_b128 v[14:17], v102 offset:672
	ds_read_b128 v[10:13], v102 offset:688
	;; [unrolled: 1-line block ×4, first 2 shown]
	scratch_load_dwordx4 v[18:21], off, off offset:160
	scratch_load_dwordx4 v[38:41], off, off offset:224
	;; [unrolled: 1-line block ×12, first 2 shown]
	v_cmp_lt_u32_e32 vcc, 18, v0
	scratch_load_dwordx4 v[46:49], off, off offset:240
	scratch_load_dwordx4 v[54:57], off, off offset:256
	;; [unrolled: 1-line block ×3, first 2 shown]
	s_waitcnt vmcnt(14) lgkmcnt(3)
	v_mul_f32_e32 v22, v14, v19
	v_fmac_f32_e32 v22, v15, v18
	v_mul_f32_e32 v23, v16, v21
	v_add_f32_e32 v22, 0, v22
	v_fmac_f32_e32 v23, v17, v20
	v_add_f32_e32 v26, v22, v23
	scratch_load_dwordx4 v[22:25], off, off offset:176
	v_mul_f32_e32 v15, v15, v19
	v_fma_f32 v14, v14, v18, -v15
	v_mul_f32_e32 v15, v17, v21
	v_add_f32_e32 v14, 0, v14
	v_fma_f32 v15, v16, v20, -v15
	v_add_f32_e32 v14, v14, v15
	s_waitcnt vmcnt(0) lgkmcnt(2)
	v_mul_f32_e32 v27, v10, v23
	v_fmac_f32_e32 v27, v11, v22
	v_add_f32_e32 v26, v26, v27
	v_mul_f32_e32 v27, v12, v25
	v_fmac_f32_e32 v27, v13, v24
	v_add_f32_e32 v30, v26, v27
	scratch_load_dwordx4 v[26:29], off, off offset:192
	v_mul_f32_e32 v11, v11, v23
	v_fma_f32 v10, v10, v22, -v11
	v_mul_f32_e32 v11, v13, v25
	v_add_f32_e32 v10, v14, v10
	v_fma_f32 v11, v12, v24, -v11
	v_add_f32_e32 v10, v10, v11
	s_waitcnt vmcnt(0) lgkmcnt(1)
	v_mul_f32_e32 v31, v6, v27
	v_fmac_f32_e32 v31, v7, v26
	v_add_f32_e32 v30, v30, v31
	v_mul_f32_e32 v31, v8, v29
	v_fmac_f32_e32 v31, v9, v28
	v_add_f32_e32 v34, v30, v31
	scratch_load_dwordx4 v[30:33], off, off offset:208
	v_mul_f32_e32 v7, v7, v27
	v_fma_f32 v6, v6, v26, -v7
	v_mul_f32_e32 v7, v9, v29
	v_add_f32_e32 v6, v10, v6
	v_fma_f32 v7, v8, v28, -v7
	v_add_f32_e32 v6, v6, v7
	s_waitcnt vmcnt(0) lgkmcnt(0)
	v_mul_f32_e32 v35, v2, v31
	v_fmac_f32_e32 v35, v3, v30
	v_add_f32_e32 v34, v34, v35
	v_mul_f32_e32 v35, v4, v33
	v_fmac_f32_e32 v35, v5, v32
	v_add_f32_e32 v42, v34, v35
	ds_read_b128 v[34:37], v102 offset:736
	v_mul_f32_e32 v3, v3, v31
	v_fma_f32 v2, v2, v30, -v3
	v_mul_f32_e32 v3, v5, v33
	v_add_f32_e32 v2, v6, v2
	s_waitcnt lgkmcnt(0)
	v_mul_f32_e32 v43, v34, v39
	v_fmac_f32_e32 v43, v35, v38
	v_add_f32_e32 v42, v42, v43
	v_mul_f32_e32 v43, v36, v41
	v_fmac_f32_e32 v43, v37, v40
	v_add_f32_e32 v50, v42, v43
	ds_read_b128 v[42:45], v102 offset:752
	v_fma_f32 v3, v4, v32, -v3
	v_add_f32_e32 v2, v2, v3
	v_mul_f32_e32 v3, v35, v39
	v_fma_f32 v3, v34, v38, -v3
	s_waitcnt lgkmcnt(0)
	v_mul_f32_e32 v51, v42, v47
	v_fmac_f32_e32 v51, v43, v46
	v_add_f32_e32 v50, v50, v51
	v_mul_f32_e32 v51, v44, v49
	v_fmac_f32_e32 v51, v45, v48
	v_add_f32_e32 v58, v50, v51
	ds_read_b128 v[50:53], v102 offset:768
	v_add_f32_e32 v2, v2, v3
	v_mul_f32_e32 v3, v37, v41
	v_fma_f32 v3, v36, v40, -v3
	v_add_f32_e32 v2, v2, v3
	s_waitcnt lgkmcnt(0)
	v_mul_f32_e32 v59, v50, v55
	v_fmac_f32_e32 v59, v51, v54
	v_add_f32_e32 v58, v58, v59
	v_mul_f32_e32 v59, v52, v57
	v_fmac_f32_e32 v59, v53, v56
	v_add_f32_e32 v66, v58, v59
	ds_read_b128 v[58:61], v102 offset:784
	v_mul_f32_e32 v3, v43, v47
	v_fma_f32 v3, v42, v46, -v3
	v_add_f32_e32 v2, v2, v3
	v_mul_f32_e32 v3, v45, v49
	s_waitcnt lgkmcnt(0)
	v_mul_f32_e32 v67, v58, v63
	v_fmac_f32_e32 v67, v59, v62
	v_add_f32_e32 v66, v66, v67
	v_mul_f32_e32 v67, v60, v65
	v_fmac_f32_e32 v67, v61, v64
	v_add_f32_e32 v74, v66, v67
	ds_read_b128 v[66:69], v102 offset:800
	v_fma_f32 v3, v44, v48, -v3
	v_add_f32_e32 v2, v2, v3
	v_mul_f32_e32 v3, v51, v55
	v_fma_f32 v3, v50, v54, -v3
	s_waitcnt lgkmcnt(0)
	v_mul_f32_e32 v75, v66, v71
	v_fmac_f32_e32 v75, v67, v70
	v_add_f32_e32 v74, v74, v75
	v_mul_f32_e32 v75, v68, v73
	v_fmac_f32_e32 v75, v69, v72
	v_add_f32_e32 v82, v74, v75
	ds_read_b128 v[74:77], v102 offset:816
	v_add_f32_e32 v2, v2, v3
	v_mul_f32_e32 v3, v53, v57
	v_fma_f32 v3, v52, v56, -v3
	v_add_f32_e32 v2, v2, v3
	s_waitcnt lgkmcnt(0)
	v_mul_f32_e32 v83, v74, v79
	v_fmac_f32_e32 v83, v75, v78
	v_add_f32_e32 v82, v82, v83
	v_mul_f32_e32 v83, v76, v81
	v_fmac_f32_e32 v83, v77, v80
	v_add_f32_e32 v90, v82, v83
	ds_read_b128 v[82:85], v102 offset:832
	v_mul_f32_e32 v3, v59, v63
	v_fma_f32 v3, v58, v62, -v3
	v_add_f32_e32 v2, v2, v3
	v_mul_f32_e32 v3, v61, v65
	;; [unrolled: 36-line block ×4, first 2 shown]
	s_waitcnt lgkmcnt(0)
	v_mul_f32_e32 v140, v132, v137
	v_fmac_f32_e32 v140, v133, v136
	v_add_f32_e32 v103, v103, v140
	v_mul_f32_e32 v140, v134, v139
	v_fmac_f32_e32 v140, v135, v138
	v_add_f32_e32 v159, v103, v140
	ds_read_b128 v[140:143], v102 offset:944
	scratch_load_dwordx4 v[148:151], off, off offset:448
	scratch_load_dwordx4 v[152:155], off, off offset:464
	;; [unrolled: 1-line block ×4, first 2 shown]
	v_fma_f32 v3, v92, v96, -v3
	v_add_f32_e32 v2, v2, v3
	v_mul_f32_e32 v3, v99, v105
	v_fma_f32 v3, v98, v104, -v3
	v_add_f32_e32 v2, v2, v3
	v_mul_f32_e32 v3, v101, v107
	;; [unrolled: 3-line block ×10, first 2 shown]
	v_fma_f32 v3, v134, v138, -v3
	v_add_f32_e32 v158, v2, v3
	s_waitcnt lgkmcnt(0)
	v_mul_f32_e32 v2, v141, v145
	v_fma_f32 v160, v140, v144, -v2
	v_mul_f32_e32 v2, v143, v147
	v_fma_f32 v162, v142, v146, -v2
	ds_read_b128 v[2:5], v102 offset:960
	ds_read_b128 v[6:9], v102 offset:976
	;; [unrolled: 1-line block ×4, first 2 shown]
	v_mul_f32_e32 v161, v140, v145
	v_fmac_f32_e32 v161, v141, v144
	v_mul_f32_e32 v163, v142, v147
	v_fmac_f32_e32 v163, v143, v146
	v_pk_add_f32 v[18:19], v[158:159], v[160:161]
	s_waitcnt vmcnt(3) lgkmcnt(3)
	v_pk_mul_f32 v[20:21], v[2:3], v[148:149] op_sel:[1,1] op_sel_hi:[0,1]
	v_pk_fma_f32 v[22:23], v[2:3], v[148:149], v[20:21] neg_lo:[0,0,1] neg_hi:[0,0,1]
	v_pk_fma_f32 v[2:3], v[2:3], v[148:149], v[20:21] op_sel_hi:[1,0,1]
	v_pk_add_f32 v[18:19], v[18:19], v[162:163]
	v_mov_b32_e32 v23, v3
	v_pk_add_f32 v[2:3], v[18:19], v[22:23]
	v_mov_b32_e32 v18, v151
	v_pk_mul_f32 v[18:19], v[4:5], v[18:19] op_sel:[1,0] op_sel_hi:[0,0]
	v_pk_fma_f32 v[20:21], v[4:5], v[150:151], v[18:19] neg_lo:[0,0,1] neg_hi:[0,0,1]
	v_pk_fma_f32 v[4:5], v[4:5], v[150:151], v[18:19] op_sel_hi:[1,0,1]
	s_nop 0
	v_mov_b32_e32 v21, v5
	s_waitcnt vmcnt(2) lgkmcnt(2)
	v_pk_mul_f32 v[4:5], v[6:7], v[152:153] op_sel:[1,1] op_sel_hi:[0,1]
	v_pk_fma_f32 v[18:19], v[6:7], v[152:153], v[4:5] neg_lo:[0,0,1] neg_hi:[0,0,1]
	v_pk_fma_f32 v[4:5], v[6:7], v[152:153], v[4:5] op_sel_hi:[1,0,1]
	v_pk_add_f32 v[2:3], v[2:3], v[20:21]
	v_mov_b32_e32 v4, v155
	v_mov_b32_e32 v19, v5
	v_pk_mul_f32 v[4:5], v[8:9], v[4:5] op_sel:[1,0] op_sel_hi:[0,0]
	v_pk_fma_f32 v[6:7], v[8:9], v[154:155], v[4:5] neg_lo:[0,0,1] neg_hi:[0,0,1]
	v_pk_fma_f32 v[4:5], v[8:9], v[154:155], v[4:5] op_sel_hi:[1,0,1]
	v_pk_add_f32 v[2:3], v[2:3], v[18:19]
	v_mov_b32_e32 v7, v5
	s_waitcnt vmcnt(1) lgkmcnt(1)
	v_pk_mul_f32 v[4:5], v[10:11], v[186:187] op_sel:[1,1] op_sel_hi:[0,1]
	v_pk_add_f32 v[2:3], v[2:3], v[6:7]
	v_pk_fma_f32 v[6:7], v[10:11], v[186:187], v[4:5] neg_lo:[0,0,1] neg_hi:[0,0,1]
	v_pk_fma_f32 v[4:5], v[10:11], v[186:187], v[4:5] op_sel_hi:[1,0,1]
	s_nop 0
	v_mov_b32_e32 v4, v189
	v_mov_b32_e32 v7, v5
	v_pk_mul_f32 v[4:5], v[12:13], v[4:5] op_sel:[1,0] op_sel_hi:[0,0]
	v_pk_add_f32 v[2:3], v[2:3], v[6:7]
	v_pk_fma_f32 v[6:7], v[12:13], v[188:189], v[4:5] neg_lo:[0,0,1] neg_hi:[0,0,1]
	v_pk_fma_f32 v[4:5], v[12:13], v[188:189], v[4:5] op_sel_hi:[1,0,1]
	s_nop 0
	v_mov_b32_e32 v7, v5
	s_waitcnt vmcnt(0) lgkmcnt(0)
	v_pk_mul_f32 v[4:5], v[14:15], v[190:191] op_sel:[1,1] op_sel_hi:[0,1]
	v_pk_add_f32 v[2:3], v[2:3], v[6:7]
	v_pk_fma_f32 v[6:7], v[14:15], v[190:191], v[4:5] neg_lo:[0,0,1] neg_hi:[0,0,1]
	v_pk_fma_f32 v[4:5], v[14:15], v[190:191], v[4:5] op_sel_hi:[1,0,1]
	s_nop 0
	v_mov_b32_e32 v4, v193
	v_mov_b32_e32 v7, v5
	v_pk_mul_f32 v[4:5], v[16:17], v[4:5] op_sel:[1,0] op_sel_hi:[0,0]
	v_pk_add_f32 v[2:3], v[2:3], v[6:7]
	v_pk_fma_f32 v[6:7], v[16:17], v[192:193], v[4:5] neg_lo:[0,0,1] neg_hi:[0,0,1]
	v_pk_fma_f32 v[4:5], v[16:17], v[192:193], v[4:5] op_sel_hi:[1,0,1]
	s_nop 0
	v_mov_b32_e32 v7, v5
	scratch_load_dwordx2 v[4:5], off, off offset:152
	v_pk_add_f32 v[2:3], v[2:3], v[6:7]
	s_waitcnt vmcnt(0)
	v_pk_add_f32 v[2:3], v[4:5], v[2:3] neg_lo:[0,1] neg_hi:[0,1]
	scratch_store_dwordx2 off, v[2:3], off offset:152
	s_and_saveexec_b64 s[0:1], vcc
	s_cbranch_execz .LBB127_361
; %bb.360:
	scratch_load_dwordx2 v[2:3], off, off offset:144
	v_mov_b32_e32 v4, 0
	v_mov_b32_e32 v5, v4
	scratch_store_dwordx2 off, v[4:5], off offset:144
	s_waitcnt vmcnt(1)
	ds_write_b64 v1, v[2:3]
.LBB127_361:
	s_or_b64 exec, exec, s[0:1]
	s_waitcnt lgkmcnt(0)
	; wave barrier
	scratch_load_dwordx4 v[6:9], off, off offset:152
	scratch_load_dwordx4 v[14:17], off, off offset:168
	;; [unrolled: 1-line block ×10, first 2 shown]
	v_mov_b32_e32 v110, 0
	ds_read2_b64 v[2:5], v110 offset0:83 offset1:84
	scratch_load_dwordx4 v[86:89], off, off offset:312
	scratch_load_dwordx4 v[94:97], off, off offset:328
	;; [unrolled: 1-line block ×9, first 2 shown]
	v_cmp_lt_u32_e32 vcc, 17, v0
	s_waitcnt vmcnt(18) lgkmcnt(0)
	v_mul_f32_e32 v10, v2, v7
	v_fmac_f32_e32 v10, v3, v6
	v_mul_f32_e32 v11, v4, v9
	v_add_f32_e32 v10, 0, v10
	v_fmac_f32_e32 v11, v5, v8
	v_add_f32_e32 v18, v10, v11
	ds_read2_b64 v[10:13], v110 offset0:85 offset1:86
	v_mul_f32_e32 v3, v3, v7
	v_fma_f32 v2, v2, v6, -v3
	v_mul_f32_e32 v3, v5, v9
	v_add_f32_e32 v2, 0, v2
	s_waitcnt vmcnt(17) lgkmcnt(0)
	v_mul_f32_e32 v19, v10, v15
	v_fmac_f32_e32 v19, v11, v14
	v_add_f32_e32 v18, v18, v19
	v_mul_f32_e32 v19, v12, v17
	v_fmac_f32_e32 v19, v13, v16
	v_add_f32_e32 v26, v18, v19
	ds_read2_b64 v[18:21], v110 offset0:87 offset1:88
	v_fma_f32 v3, v4, v8, -v3
	v_add_f32_e32 v2, v2, v3
	v_mul_f32_e32 v3, v11, v15
	v_fma_f32 v3, v10, v14, -v3
	s_waitcnt vmcnt(16) lgkmcnt(0)
	v_mul_f32_e32 v27, v18, v23
	v_fmac_f32_e32 v27, v19, v22
	v_add_f32_e32 v26, v26, v27
	v_mul_f32_e32 v27, v20, v25
	v_fmac_f32_e32 v27, v21, v24
	v_add_f32_e32 v34, v26, v27
	ds_read2_b64 v[26:29], v110 offset0:89 offset1:90
	v_add_f32_e32 v2, v2, v3
	v_mul_f32_e32 v3, v13, v17
	v_fma_f32 v3, v12, v16, -v3
	v_add_f32_e32 v2, v2, v3
	s_waitcnt vmcnt(15) lgkmcnt(0)
	v_mul_f32_e32 v35, v26, v31
	v_fmac_f32_e32 v35, v27, v30
	v_add_f32_e32 v34, v34, v35
	v_mul_f32_e32 v35, v28, v33
	v_fmac_f32_e32 v35, v29, v32
	v_add_f32_e32 v42, v34, v35
	ds_read2_b64 v[34:37], v110 offset0:91 offset1:92
	v_mul_f32_e32 v3, v19, v23
	v_fma_f32 v3, v18, v22, -v3
	v_add_f32_e32 v2, v2, v3
	v_mul_f32_e32 v3, v21, v25
	s_waitcnt vmcnt(14) lgkmcnt(0)
	v_mul_f32_e32 v43, v34, v39
	v_fmac_f32_e32 v43, v35, v38
	v_add_f32_e32 v42, v42, v43
	v_mul_f32_e32 v43, v36, v41
	v_fmac_f32_e32 v43, v37, v40
	v_add_f32_e32 v50, v42, v43
	ds_read2_b64 v[42:45], v110 offset0:93 offset1:94
	v_fma_f32 v3, v20, v24, -v3
	v_add_f32_e32 v2, v2, v3
	v_mul_f32_e32 v3, v27, v31
	v_fma_f32 v3, v26, v30, -v3
	s_waitcnt vmcnt(13) lgkmcnt(0)
	v_mul_f32_e32 v51, v42, v47
	v_fmac_f32_e32 v51, v43, v46
	v_add_f32_e32 v50, v50, v51
	v_mul_f32_e32 v51, v44, v49
	v_fmac_f32_e32 v51, v45, v48
	v_add_f32_e32 v58, v50, v51
	ds_read2_b64 v[50:53], v110 offset0:95 offset1:96
	v_add_f32_e32 v2, v2, v3
	v_mul_f32_e32 v3, v29, v33
	v_fma_f32 v3, v28, v32, -v3
	v_add_f32_e32 v2, v2, v3
	s_waitcnt vmcnt(12) lgkmcnt(0)
	v_mul_f32_e32 v59, v50, v55
	v_fmac_f32_e32 v59, v51, v54
	v_add_f32_e32 v58, v58, v59
	v_mul_f32_e32 v59, v52, v57
	v_fmac_f32_e32 v59, v53, v56
	v_add_f32_e32 v66, v58, v59
	ds_read2_b64 v[58:61], v110 offset0:97 offset1:98
	v_mul_f32_e32 v3, v35, v39
	v_fma_f32 v3, v34, v38, -v3
	v_add_f32_e32 v2, v2, v3
	v_mul_f32_e32 v3, v37, v41
	;; [unrolled: 36-line block ×5, first 2 shown]
	s_waitcnt vmcnt(2) lgkmcnt(0)
	v_mul_f32_e32 v140, v132, v137
	v_fmac_f32_e32 v140, v133, v136
	v_add_f32_e32 v111, v111, v140
	v_mul_f32_e32 v140, v134, v139
	v_fmac_f32_e32 v140, v135, v138
	v_add_f32_e32 v111, v111, v140
	ds_read2_b64 v[140:143], v110 offset0:117 offset1:118
	v_fma_f32 v3, v84, v88, -v3
	v_add_f32_e32 v2, v2, v3
	v_mul_f32_e32 v3, v91, v95
	v_fma_f32 v3, v90, v94, -v3
	s_waitcnt vmcnt(1) lgkmcnt(0)
	v_mul_f32_e32 v148, v140, v145
	v_fmac_f32_e32 v148, v141, v144
	v_add_f32_e32 v159, v111, v148
	ds_read2_b64 v[148:151], v110 offset0:119 offset1:120
	scratch_load_dwordx4 v[186:189], off, off offset:456
	scratch_load_dwordx4 v[190:193], off, off offset:472
	;; [unrolled: 1-line block ×3, first 2 shown]
	scratch_load_dwordx2 v[164:165], off, off offset:504
	v_add_f32_e32 v2, v2, v3
	v_mul_f32_e32 v3, v93, v97
	v_fma_f32 v3, v92, v96, -v3
	v_add_f32_e32 v2, v2, v3
	v_mul_f32_e32 v3, v99, v103
	v_fma_f32 v3, v98, v102, -v3
	;; [unrolled: 3-line block ×12, first 2 shown]
	v_add_f32_e32 v158, v2, v3
	v_mul_f32_e32 v2, v143, v147
	v_mul_f32_e32 v161, v142, v147
	v_fma_f32 v160, v142, v146, -v2
	s_waitcnt vmcnt(4) lgkmcnt(0)
	v_mul_f32_e32 v2, v149, v153
	v_mov_b32_e32 v18, v155
	v_fmac_f32_e32 v161, v143, v146
	v_mul_f32_e32 v163, v148, v153
	v_fma_f32 v162, v148, v152, -v2
	ds_read2_b64 v[2:5], v110 offset0:121 offset1:122
	ds_read2_b64 v[6:9], v110 offset0:123 offset1:124
	;; [unrolled: 1-line block ×3, first 2 shown]
	ds_read_b64 v[14:15], v110 offset:1016
	v_pk_mul_f32 v[18:19], v[150:151], v[18:19] op_sel:[1,0] op_sel_hi:[0,0]
	v_fmac_f32_e32 v163, v149, v152
	v_pk_add_f32 v[16:17], v[158:159], v[160:161]
	v_pk_fma_f32 v[20:21], v[150:151], v[154:155], v[18:19] neg_lo:[0,0,1] neg_hi:[0,0,1]
	v_pk_fma_f32 v[18:19], v[150:151], v[154:155], v[18:19] op_sel_hi:[1,0,1]
	v_pk_add_f32 v[16:17], v[16:17], v[162:163]
	v_mov_b32_e32 v21, v19
	v_pk_add_f32 v[16:17], v[16:17], v[20:21]
	s_waitcnt vmcnt(3) lgkmcnt(3)
	v_pk_mul_f32 v[18:19], v[2:3], v[186:187] op_sel:[1,1] op_sel_hi:[0,1]
	v_pk_fma_f32 v[20:21], v[2:3], v[186:187], v[18:19] neg_lo:[0,0,1] neg_hi:[0,0,1]
	v_pk_fma_f32 v[2:3], v[2:3], v[186:187], v[18:19] op_sel_hi:[1,0,1]
	s_nop 0
	v_mov_b32_e32 v21, v3
	v_pk_add_f32 v[2:3], v[16:17], v[20:21]
	v_mov_b32_e32 v16, v189
	v_pk_mul_f32 v[16:17], v[4:5], v[16:17] op_sel:[1,0] op_sel_hi:[0,0]
	v_pk_fma_f32 v[18:19], v[4:5], v[188:189], v[16:17] neg_lo:[0,0,1] neg_hi:[0,0,1]
	v_pk_fma_f32 v[4:5], v[4:5], v[188:189], v[16:17] op_sel_hi:[1,0,1]
	s_nop 0
	v_mov_b32_e32 v19, v5
	s_waitcnt vmcnt(2) lgkmcnt(2)
	v_pk_mul_f32 v[4:5], v[6:7], v[190:191] op_sel:[1,1] op_sel_hi:[0,1]
	v_pk_fma_f32 v[16:17], v[6:7], v[190:191], v[4:5] neg_lo:[0,0,1] neg_hi:[0,0,1]
	v_pk_fma_f32 v[4:5], v[6:7], v[190:191], v[4:5] op_sel_hi:[1,0,1]
	v_pk_add_f32 v[2:3], v[2:3], v[18:19]
	v_mov_b32_e32 v4, v193
	v_mov_b32_e32 v17, v5
	v_pk_mul_f32 v[4:5], v[8:9], v[4:5] op_sel:[1,0] op_sel_hi:[0,0]
	v_pk_fma_f32 v[6:7], v[8:9], v[192:193], v[4:5] neg_lo:[0,0,1] neg_hi:[0,0,1]
	v_pk_fma_f32 v[4:5], v[8:9], v[192:193], v[4:5] op_sel_hi:[1,0,1]
	v_pk_add_f32 v[2:3], v[2:3], v[16:17]
	v_mov_b32_e32 v7, v5
	s_waitcnt vmcnt(1) lgkmcnt(1)
	v_pk_mul_f32 v[4:5], v[10:11], v[194:195] op_sel:[1,1] op_sel_hi:[0,1]
	v_pk_add_f32 v[2:3], v[2:3], v[6:7]
	v_pk_fma_f32 v[6:7], v[10:11], v[194:195], v[4:5] neg_lo:[0,0,1] neg_hi:[0,0,1]
	v_pk_fma_f32 v[4:5], v[10:11], v[194:195], v[4:5] op_sel_hi:[1,0,1]
	s_nop 0
	v_mov_b32_e32 v4, v197
	v_mov_b32_e32 v7, v5
	v_pk_mul_f32 v[4:5], v[12:13], v[4:5] op_sel:[1,0] op_sel_hi:[0,0]
	v_pk_add_f32 v[2:3], v[2:3], v[6:7]
	v_pk_fma_f32 v[6:7], v[12:13], v[196:197], v[4:5] neg_lo:[0,0,1] neg_hi:[0,0,1]
	v_pk_fma_f32 v[4:5], v[12:13], v[196:197], v[4:5] op_sel_hi:[1,0,1]
	s_nop 0
	v_mov_b32_e32 v7, v5
	s_waitcnt vmcnt(0) lgkmcnt(0)
	v_pk_mul_f32 v[4:5], v[14:15], v[164:165] op_sel:[1,1] op_sel_hi:[0,1]
	v_pk_add_f32 v[2:3], v[2:3], v[6:7]
	v_pk_fma_f32 v[6:7], v[14:15], v[164:165], v[4:5] neg_lo:[0,0,1] neg_hi:[0,0,1]
	v_pk_fma_f32 v[4:5], v[14:15], v[164:165], v[4:5] op_sel_hi:[1,0,1]
	s_nop 0
	v_mov_b32_e32 v7, v5
	scratch_load_dwordx2 v[4:5], off, off offset:144
	v_pk_add_f32 v[2:3], v[2:3], v[6:7]
	s_waitcnt vmcnt(0)
	v_pk_add_f32 v[2:3], v[4:5], v[2:3] neg_lo:[0,1] neg_hi:[0,1]
	scratch_store_dwordx2 off, v[2:3], off offset:144
	s_and_saveexec_b64 s[0:1], vcc
	s_cbranch_execz .LBB127_363
; %bb.362:
	scratch_load_dwordx2 v[2:3], off, off offset:136
	v_mov_b32_e32 v111, v110
	scratch_store_dwordx2 off, v[110:111], off offset:136
	s_waitcnt vmcnt(1)
	ds_write_b64 v1, v[2:3]
.LBB127_363:
	s_or_b64 exec, exec, s[0:1]
	s_waitcnt lgkmcnt(0)
	; wave barrier
	ds_read_b128 v[14:17], v110 offset:656
	ds_read_b128 v[10:13], v110 offset:672
	ds_read_b128 v[6:9], v110 offset:688
	ds_read_b128 v[2:5], v110 offset:704
	scratch_load_dwordx4 v[18:21], off, off offset:144
	scratch_load_dwordx4 v[38:41], off, off offset:208
	scratch_load_dwordx4 v[70:73], off, off offset:272
	scratch_load_dwordx4 v[78:81], off, off offset:288
	scratch_load_dwordx4 v[86:89], off, off offset:304
	scratch_load_dwordx4 v[94:97], off, off offset:320
	scratch_load_dwordx4 v[102:105], off, off offset:336
	scratch_load_dwordx4 v[112:115], off, off offset:352
	scratch_load_dwordx4 v[120:123], off, off offset:368
	scratch_load_dwordx4 v[128:131], off, off offset:384
	scratch_load_dwordx4 v[136:139], off, off offset:400
	scratch_load_dwordx4 v[144:147], off, off offset:416
	scratch_load_dwordx4 v[152:155], off, off offset:432
	v_cmp_lt_u32_e32 vcc, 16, v0
	scratch_load_dwordx4 v[46:49], off, off offset:224
	scratch_load_dwordx4 v[54:57], off, off offset:240
	;; [unrolled: 1-line block ×3, first 2 shown]
	s_waitcnt vmcnt(15) lgkmcnt(3)
	v_mul_f32_e32 v22, v14, v19
	v_fmac_f32_e32 v22, v15, v18
	v_mul_f32_e32 v23, v16, v21
	v_add_f32_e32 v22, 0, v22
	v_fmac_f32_e32 v23, v17, v20
	v_add_f32_e32 v26, v22, v23
	scratch_load_dwordx4 v[22:25], off, off offset:160
	v_mul_f32_e32 v15, v15, v19
	v_fma_f32 v14, v14, v18, -v15
	v_mul_f32_e32 v15, v17, v21
	v_add_f32_e32 v14, 0, v14
	v_fma_f32 v15, v16, v20, -v15
	v_add_f32_e32 v14, v14, v15
	s_waitcnt vmcnt(0) lgkmcnt(2)
	v_mul_f32_e32 v27, v10, v23
	v_fmac_f32_e32 v27, v11, v22
	v_add_f32_e32 v26, v26, v27
	v_mul_f32_e32 v27, v12, v25
	v_fmac_f32_e32 v27, v13, v24
	v_add_f32_e32 v30, v26, v27
	scratch_load_dwordx4 v[26:29], off, off offset:176
	v_mul_f32_e32 v11, v11, v23
	v_fma_f32 v10, v10, v22, -v11
	v_mul_f32_e32 v11, v13, v25
	v_add_f32_e32 v10, v14, v10
	v_fma_f32 v11, v12, v24, -v11
	v_add_f32_e32 v10, v10, v11
	s_waitcnt vmcnt(0) lgkmcnt(1)
	v_mul_f32_e32 v31, v6, v27
	v_fmac_f32_e32 v31, v7, v26
	v_add_f32_e32 v30, v30, v31
	v_mul_f32_e32 v31, v8, v29
	v_fmac_f32_e32 v31, v9, v28
	v_add_f32_e32 v34, v30, v31
	scratch_load_dwordx4 v[30:33], off, off offset:192
	v_mul_f32_e32 v7, v7, v27
	v_fma_f32 v6, v6, v26, -v7
	v_mul_f32_e32 v7, v9, v29
	v_add_f32_e32 v6, v10, v6
	v_fma_f32 v7, v8, v28, -v7
	v_add_f32_e32 v6, v6, v7
	s_waitcnt vmcnt(0) lgkmcnt(0)
	v_mul_f32_e32 v35, v2, v31
	v_fmac_f32_e32 v35, v3, v30
	v_add_f32_e32 v34, v34, v35
	v_mul_f32_e32 v35, v4, v33
	v_fmac_f32_e32 v35, v5, v32
	v_add_f32_e32 v42, v34, v35
	ds_read_b128 v[34:37], v110 offset:720
	v_mul_f32_e32 v3, v3, v31
	v_fma_f32 v2, v2, v30, -v3
	v_mul_f32_e32 v3, v5, v33
	v_add_f32_e32 v2, v6, v2
	s_waitcnt lgkmcnt(0)
	v_mul_f32_e32 v43, v34, v39
	v_fmac_f32_e32 v43, v35, v38
	v_add_f32_e32 v42, v42, v43
	v_mul_f32_e32 v43, v36, v41
	v_fmac_f32_e32 v43, v37, v40
	v_add_f32_e32 v50, v42, v43
	ds_read_b128 v[42:45], v110 offset:736
	v_fma_f32 v3, v4, v32, -v3
	v_add_f32_e32 v2, v2, v3
	v_mul_f32_e32 v3, v35, v39
	v_fma_f32 v3, v34, v38, -v3
	s_waitcnt lgkmcnt(0)
	v_mul_f32_e32 v51, v42, v47
	v_fmac_f32_e32 v51, v43, v46
	v_add_f32_e32 v50, v50, v51
	v_mul_f32_e32 v51, v44, v49
	v_fmac_f32_e32 v51, v45, v48
	v_add_f32_e32 v58, v50, v51
	ds_read_b128 v[50:53], v110 offset:752
	v_add_f32_e32 v2, v2, v3
	v_mul_f32_e32 v3, v37, v41
	v_fma_f32 v3, v36, v40, -v3
	v_add_f32_e32 v2, v2, v3
	s_waitcnt lgkmcnt(0)
	v_mul_f32_e32 v59, v50, v55
	v_fmac_f32_e32 v59, v51, v54
	v_add_f32_e32 v58, v58, v59
	v_mul_f32_e32 v59, v52, v57
	v_fmac_f32_e32 v59, v53, v56
	v_add_f32_e32 v66, v58, v59
	ds_read_b128 v[58:61], v110 offset:768
	v_mul_f32_e32 v3, v43, v47
	v_fma_f32 v3, v42, v46, -v3
	v_add_f32_e32 v2, v2, v3
	v_mul_f32_e32 v3, v45, v49
	s_waitcnt lgkmcnt(0)
	v_mul_f32_e32 v67, v58, v63
	v_fmac_f32_e32 v67, v59, v62
	v_add_f32_e32 v66, v66, v67
	v_mul_f32_e32 v67, v60, v65
	v_fmac_f32_e32 v67, v61, v64
	v_add_f32_e32 v74, v66, v67
	ds_read_b128 v[66:69], v110 offset:784
	v_fma_f32 v3, v44, v48, -v3
	v_add_f32_e32 v2, v2, v3
	v_mul_f32_e32 v3, v51, v55
	v_fma_f32 v3, v50, v54, -v3
	s_waitcnt lgkmcnt(0)
	v_mul_f32_e32 v75, v66, v71
	v_fmac_f32_e32 v75, v67, v70
	v_add_f32_e32 v74, v74, v75
	v_mul_f32_e32 v75, v68, v73
	v_fmac_f32_e32 v75, v69, v72
	v_add_f32_e32 v82, v74, v75
	ds_read_b128 v[74:77], v110 offset:800
	v_add_f32_e32 v2, v2, v3
	v_mul_f32_e32 v3, v53, v57
	v_fma_f32 v3, v52, v56, -v3
	v_add_f32_e32 v2, v2, v3
	s_waitcnt lgkmcnt(0)
	v_mul_f32_e32 v83, v74, v79
	v_fmac_f32_e32 v83, v75, v78
	v_add_f32_e32 v82, v82, v83
	v_mul_f32_e32 v83, v76, v81
	v_fmac_f32_e32 v83, v77, v80
	v_add_f32_e32 v90, v82, v83
	ds_read_b128 v[82:85], v110 offset:816
	v_mul_f32_e32 v3, v59, v63
	v_fma_f32 v3, v58, v62, -v3
	v_add_f32_e32 v2, v2, v3
	v_mul_f32_e32 v3, v61, v65
	;; [unrolled: 36-line block ×4, first 2 shown]
	s_waitcnt lgkmcnt(0)
	v_mul_f32_e32 v140, v132, v137
	v_fmac_f32_e32 v140, v133, v136
	v_add_f32_e32 v111, v111, v140
	v_mul_f32_e32 v140, v134, v139
	v_fmac_f32_e32 v140, v135, v138
	v_add_f32_e32 v111, v111, v140
	ds_read_b128 v[140:143], v110 offset:928
	v_fma_f32 v3, v92, v96, -v3
	v_add_f32_e32 v2, v2, v3
	v_mul_f32_e32 v3, v99, v103
	v_fma_f32 v3, v98, v102, -v3
	s_waitcnt lgkmcnt(0)
	v_mul_f32_e32 v148, v140, v145
	v_fmac_f32_e32 v148, v141, v144
	v_add_f32_e32 v111, v111, v148
	v_mul_f32_e32 v148, v142, v147
	v_fmac_f32_e32 v148, v143, v146
	v_add_f32_e32 v159, v111, v148
	ds_read_b128 v[148:151], v110 offset:944
	scratch_load_dwordx4 v[186:189], off, off offset:448
	scratch_load_dwordx4 v[190:193], off, off offset:464
	;; [unrolled: 1-line block ×4, first 2 shown]
	v_add_f32_e32 v2, v2, v3
	v_mul_f32_e32 v3, v101, v105
	v_fma_f32 v3, v100, v104, -v3
	v_add_f32_e32 v2, v2, v3
	v_mul_f32_e32 v3, v107, v113
	v_fma_f32 v3, v106, v112, -v3
	;; [unrolled: 3-line block ×11, first 2 shown]
	v_add_f32_e32 v158, v2, v3
	s_waitcnt lgkmcnt(0)
	v_mul_f32_e32 v2, v149, v153
	v_fma_f32 v160, v148, v152, -v2
	v_mul_f32_e32 v2, v151, v155
	v_fma_f32 v162, v150, v154, -v2
	ds_read_b128 v[2:5], v110 offset:960
	ds_read_b128 v[6:9], v110 offset:976
	;; [unrolled: 1-line block ×4, first 2 shown]
	v_mul_f32_e32 v161, v148, v153
	v_fmac_f32_e32 v161, v149, v152
	v_mul_f32_e32 v163, v150, v155
	v_fmac_f32_e32 v163, v151, v154
	v_pk_add_f32 v[18:19], v[158:159], v[160:161]
	s_waitcnt vmcnt(3) lgkmcnt(3)
	v_pk_mul_f32 v[20:21], v[2:3], v[186:187] op_sel:[1,1] op_sel_hi:[0,1]
	v_pk_fma_f32 v[22:23], v[2:3], v[186:187], v[20:21] neg_lo:[0,0,1] neg_hi:[0,0,1]
	v_pk_fma_f32 v[2:3], v[2:3], v[186:187], v[20:21] op_sel_hi:[1,0,1]
	v_pk_add_f32 v[18:19], v[18:19], v[162:163]
	v_mov_b32_e32 v23, v3
	v_pk_add_f32 v[2:3], v[18:19], v[22:23]
	v_mov_b32_e32 v18, v189
	v_pk_mul_f32 v[18:19], v[4:5], v[18:19] op_sel:[1,0] op_sel_hi:[0,0]
	v_pk_fma_f32 v[20:21], v[4:5], v[188:189], v[18:19] neg_lo:[0,0,1] neg_hi:[0,0,1]
	v_pk_fma_f32 v[4:5], v[4:5], v[188:189], v[18:19] op_sel_hi:[1,0,1]
	s_nop 0
	v_mov_b32_e32 v21, v5
	s_waitcnt vmcnt(2) lgkmcnt(2)
	v_pk_mul_f32 v[4:5], v[6:7], v[190:191] op_sel:[1,1] op_sel_hi:[0,1]
	v_pk_fma_f32 v[18:19], v[6:7], v[190:191], v[4:5] neg_lo:[0,0,1] neg_hi:[0,0,1]
	v_pk_fma_f32 v[4:5], v[6:7], v[190:191], v[4:5] op_sel_hi:[1,0,1]
	v_pk_add_f32 v[2:3], v[2:3], v[20:21]
	v_mov_b32_e32 v4, v193
	v_mov_b32_e32 v19, v5
	v_pk_mul_f32 v[4:5], v[8:9], v[4:5] op_sel:[1,0] op_sel_hi:[0,0]
	v_pk_fma_f32 v[6:7], v[8:9], v[192:193], v[4:5] neg_lo:[0,0,1] neg_hi:[0,0,1]
	v_pk_fma_f32 v[4:5], v[8:9], v[192:193], v[4:5] op_sel_hi:[1,0,1]
	v_pk_add_f32 v[2:3], v[2:3], v[18:19]
	v_mov_b32_e32 v7, v5
	s_waitcnt vmcnt(1) lgkmcnt(1)
	v_pk_mul_f32 v[4:5], v[10:11], v[194:195] op_sel:[1,1] op_sel_hi:[0,1]
	v_pk_add_f32 v[2:3], v[2:3], v[6:7]
	v_pk_fma_f32 v[6:7], v[10:11], v[194:195], v[4:5] neg_lo:[0,0,1] neg_hi:[0,0,1]
	v_pk_fma_f32 v[4:5], v[10:11], v[194:195], v[4:5] op_sel_hi:[1,0,1]
	s_nop 0
	v_mov_b32_e32 v4, v197
	v_mov_b32_e32 v7, v5
	v_pk_mul_f32 v[4:5], v[12:13], v[4:5] op_sel:[1,0] op_sel_hi:[0,0]
	v_pk_add_f32 v[2:3], v[2:3], v[6:7]
	v_pk_fma_f32 v[6:7], v[12:13], v[196:197], v[4:5] neg_lo:[0,0,1] neg_hi:[0,0,1]
	v_pk_fma_f32 v[4:5], v[12:13], v[196:197], v[4:5] op_sel_hi:[1,0,1]
	s_nop 0
	v_mov_b32_e32 v7, v5
	s_waitcnt vmcnt(0) lgkmcnt(0)
	v_pk_mul_f32 v[4:5], v[14:15], v[198:199] op_sel:[1,1] op_sel_hi:[0,1]
	v_pk_add_f32 v[2:3], v[2:3], v[6:7]
	v_pk_fma_f32 v[6:7], v[14:15], v[198:199], v[4:5] neg_lo:[0,0,1] neg_hi:[0,0,1]
	v_pk_fma_f32 v[4:5], v[14:15], v[198:199], v[4:5] op_sel_hi:[1,0,1]
	s_nop 0
	v_mov_b32_e32 v4, v201
	v_mov_b32_e32 v7, v5
	v_pk_mul_f32 v[4:5], v[16:17], v[4:5] op_sel:[1,0] op_sel_hi:[0,0]
	v_pk_add_f32 v[2:3], v[2:3], v[6:7]
	v_pk_fma_f32 v[6:7], v[16:17], v[200:201], v[4:5] neg_lo:[0,0,1] neg_hi:[0,0,1]
	v_pk_fma_f32 v[4:5], v[16:17], v[200:201], v[4:5] op_sel_hi:[1,0,1]
	s_nop 0
	v_mov_b32_e32 v7, v5
	scratch_load_dwordx2 v[4:5], off, off offset:136
	v_pk_add_f32 v[2:3], v[2:3], v[6:7]
	s_waitcnt vmcnt(0)
	v_pk_add_f32 v[2:3], v[4:5], v[2:3] neg_lo:[0,1] neg_hi:[0,1]
	scratch_store_dwordx2 off, v[2:3], off offset:136
	s_and_saveexec_b64 s[0:1], vcc
	s_cbranch_execz .LBB127_365
; %bb.364:
	scratch_load_dwordx2 v[2:3], off, off offset:128
	v_mov_b32_e32 v4, 0
	v_mov_b32_e32 v5, v4
	scratch_store_dwordx2 off, v[4:5], off offset:128
	s_waitcnt vmcnt(1)
	ds_write_b64 v1, v[2:3]
.LBB127_365:
	s_or_b64 exec, exec, s[0:1]
	s_waitcnt lgkmcnt(0)
	; wave barrier
	scratch_load_dwordx4 v[6:9], off, off offset:136
	scratch_load_dwordx4 v[14:17], off, off offset:152
	;; [unrolled: 1-line block ×10, first 2 shown]
	v_mov_b32_e32 v118, 0
	ds_read2_b64 v[2:5], v118 offset0:81 offset1:82
	ds_read2_b64 v[186:189], v118 offset0:119 offset1:120
	scratch_load_dwordx4 v[86:89], off, off offset:296
	scratch_load_dwordx4 v[94:97], off, off offset:312
	;; [unrolled: 1-line block ×10, first 2 shown]
	v_cmp_lt_u32_e32 vcc, 15, v0
	s_waitcnt vmcnt(19) lgkmcnt(1)
	v_mul_f32_e32 v10, v2, v7
	v_fmac_f32_e32 v10, v3, v6
	v_mul_f32_e32 v11, v4, v9
	v_add_f32_e32 v10, 0, v10
	v_fmac_f32_e32 v11, v5, v8
	v_add_f32_e32 v18, v10, v11
	ds_read2_b64 v[10:13], v118 offset0:83 offset1:84
	v_mul_f32_e32 v3, v3, v7
	v_fma_f32 v2, v2, v6, -v3
	v_mul_f32_e32 v3, v5, v9
	v_add_f32_e32 v2, 0, v2
	s_waitcnt vmcnt(18) lgkmcnt(0)
	v_mul_f32_e32 v19, v10, v15
	v_fmac_f32_e32 v19, v11, v14
	v_add_f32_e32 v18, v18, v19
	v_mul_f32_e32 v19, v12, v17
	v_fmac_f32_e32 v19, v13, v16
	v_add_f32_e32 v26, v18, v19
	ds_read2_b64 v[18:21], v118 offset0:85 offset1:86
	v_fma_f32 v3, v4, v8, -v3
	v_add_f32_e32 v2, v2, v3
	v_mul_f32_e32 v3, v11, v15
	v_fma_f32 v3, v10, v14, -v3
	s_waitcnt vmcnt(17) lgkmcnt(0)
	v_mul_f32_e32 v27, v18, v23
	v_fmac_f32_e32 v27, v19, v22
	v_add_f32_e32 v26, v26, v27
	v_mul_f32_e32 v27, v20, v25
	v_fmac_f32_e32 v27, v21, v24
	v_add_f32_e32 v34, v26, v27
	ds_read2_b64 v[26:29], v118 offset0:87 offset1:88
	v_add_f32_e32 v2, v2, v3
	v_mul_f32_e32 v3, v13, v17
	v_fma_f32 v3, v12, v16, -v3
	v_add_f32_e32 v2, v2, v3
	s_waitcnt vmcnt(16) lgkmcnt(0)
	v_mul_f32_e32 v35, v26, v31
	v_fmac_f32_e32 v35, v27, v30
	v_add_f32_e32 v34, v34, v35
	v_mul_f32_e32 v35, v28, v33
	v_fmac_f32_e32 v35, v29, v32
	v_add_f32_e32 v42, v34, v35
	ds_read2_b64 v[34:37], v118 offset0:89 offset1:90
	v_mul_f32_e32 v3, v19, v23
	v_fma_f32 v3, v18, v22, -v3
	v_add_f32_e32 v2, v2, v3
	v_mul_f32_e32 v3, v21, v25
	s_waitcnt vmcnt(15) lgkmcnt(0)
	v_mul_f32_e32 v43, v34, v39
	v_fmac_f32_e32 v43, v35, v38
	v_add_f32_e32 v42, v42, v43
	v_mul_f32_e32 v43, v36, v41
	v_fmac_f32_e32 v43, v37, v40
	v_add_f32_e32 v50, v42, v43
	ds_read2_b64 v[42:45], v118 offset0:91 offset1:92
	v_fma_f32 v3, v20, v24, -v3
	v_add_f32_e32 v2, v2, v3
	v_mul_f32_e32 v3, v27, v31
	v_fma_f32 v3, v26, v30, -v3
	s_waitcnt vmcnt(14) lgkmcnt(0)
	v_mul_f32_e32 v51, v42, v47
	v_fmac_f32_e32 v51, v43, v46
	v_add_f32_e32 v50, v50, v51
	v_mul_f32_e32 v51, v44, v49
	v_fmac_f32_e32 v51, v45, v48
	v_add_f32_e32 v58, v50, v51
	ds_read2_b64 v[50:53], v118 offset0:93 offset1:94
	v_add_f32_e32 v2, v2, v3
	v_mul_f32_e32 v3, v29, v33
	v_fma_f32 v3, v28, v32, -v3
	v_add_f32_e32 v2, v2, v3
	s_waitcnt vmcnt(13) lgkmcnt(0)
	v_mul_f32_e32 v59, v50, v55
	v_fmac_f32_e32 v59, v51, v54
	v_add_f32_e32 v58, v58, v59
	v_mul_f32_e32 v59, v52, v57
	v_fmac_f32_e32 v59, v53, v56
	v_add_f32_e32 v66, v58, v59
	ds_read2_b64 v[58:61], v118 offset0:95 offset1:96
	v_mul_f32_e32 v3, v35, v39
	v_fma_f32 v3, v34, v38, -v3
	v_add_f32_e32 v2, v2, v3
	v_mul_f32_e32 v3, v37, v41
	;; [unrolled: 36-line block ×5, first 2 shown]
	s_waitcnt vmcnt(3) lgkmcnt(0)
	v_mul_f32_e32 v140, v132, v137
	v_fmac_f32_e32 v140, v133, v136
	v_add_f32_e32 v119, v119, v140
	v_mul_f32_e32 v140, v134, v139
	v_fmac_f32_e32 v140, v135, v138
	v_add_f32_e32 v119, v119, v140
	ds_read2_b64 v[140:143], v118 offset0:115 offset1:116
	v_fma_f32 v3, v84, v88, -v3
	v_add_f32_e32 v2, v2, v3
	v_mul_f32_e32 v3, v91, v95
	v_fma_f32 v3, v90, v94, -v3
	s_waitcnt vmcnt(2) lgkmcnt(0)
	v_mul_f32_e32 v148, v140, v145
	v_fmac_f32_e32 v148, v141, v144
	v_add_f32_e32 v119, v119, v148
	v_mul_f32_e32 v148, v142, v147
	v_fmac_f32_e32 v148, v143, v146
	v_add_f32_e32 v119, v119, v148
	ds_read2_b64 v[148:151], v118 offset0:117 offset1:118
	scratch_load_dwordx4 v[194:197], off, off offset:456
	scratch_load_dwordx4 v[198:201], off, off offset:472
	;; [unrolled: 1-line block ×3, first 2 shown]
	scratch_load_dwordx2 v[164:165], off, off offset:504
	v_add_f32_e32 v2, v2, v3
	v_mul_f32_e32 v3, v93, v97
	v_fma_f32 v3, v92, v96, -v3
	v_add_f32_e32 v2, v2, v3
	v_mul_f32_e32 v3, v99, v103
	v_fma_f32 v3, v98, v102, -v3
	;; [unrolled: 3-line block ×13, first 2 shown]
	s_waitcnt vmcnt(5) lgkmcnt(0)
	v_mul_f32_e32 v158, v148, v153
	v_add_f32_e32 v2, v2, v3
	v_mul_f32_e32 v3, v149, v153
	v_fmac_f32_e32 v158, v149, v152
	v_fma_f32 v3, v148, v152, -v3
	v_add_f32_e32 v159, v119, v158
	v_add_f32_e32 v158, v2, v3
	v_mul_f32_e32 v2, v151, v155
	v_mul_f32_e32 v161, v150, v155
	v_fma_f32 v160, v150, v154, -v2
	s_waitcnt vmcnt(4)
	v_mul_f32_e32 v2, v187, v191
	v_mov_b32_e32 v18, v193
	v_fmac_f32_e32 v161, v151, v154
	v_mul_f32_e32 v163, v186, v191
	v_fma_f32 v162, v186, v190, -v2
	ds_read2_b64 v[2:5], v118 offset0:121 offset1:122
	ds_read2_b64 v[6:9], v118 offset0:123 offset1:124
	ds_read2_b64 v[10:13], v118 offset0:125 offset1:126
	ds_read_b64 v[14:15], v118 offset:1016
	v_pk_mul_f32 v[18:19], v[188:189], v[18:19] op_sel:[1,0] op_sel_hi:[0,0]
	v_fmac_f32_e32 v163, v187, v190
	v_pk_add_f32 v[16:17], v[158:159], v[160:161]
	v_pk_fma_f32 v[20:21], v[188:189], v[192:193], v[18:19] neg_lo:[0,0,1] neg_hi:[0,0,1]
	v_pk_fma_f32 v[18:19], v[188:189], v[192:193], v[18:19] op_sel_hi:[1,0,1]
	v_pk_add_f32 v[16:17], v[16:17], v[162:163]
	v_mov_b32_e32 v21, v19
	v_pk_add_f32 v[16:17], v[16:17], v[20:21]
	s_waitcnt vmcnt(3) lgkmcnt(3)
	v_pk_mul_f32 v[18:19], v[2:3], v[194:195] op_sel:[1,1] op_sel_hi:[0,1]
	v_pk_fma_f32 v[20:21], v[2:3], v[194:195], v[18:19] neg_lo:[0,0,1] neg_hi:[0,0,1]
	v_pk_fma_f32 v[2:3], v[2:3], v[194:195], v[18:19] op_sel_hi:[1,0,1]
	s_nop 0
	v_mov_b32_e32 v21, v3
	v_pk_add_f32 v[2:3], v[16:17], v[20:21]
	v_mov_b32_e32 v16, v197
	v_pk_mul_f32 v[16:17], v[4:5], v[16:17] op_sel:[1,0] op_sel_hi:[0,0]
	v_pk_fma_f32 v[18:19], v[4:5], v[196:197], v[16:17] neg_lo:[0,0,1] neg_hi:[0,0,1]
	v_pk_fma_f32 v[4:5], v[4:5], v[196:197], v[16:17] op_sel_hi:[1,0,1]
	s_nop 0
	v_mov_b32_e32 v19, v5
	s_waitcnt vmcnt(2) lgkmcnt(2)
	v_pk_mul_f32 v[4:5], v[6:7], v[198:199] op_sel:[1,1] op_sel_hi:[0,1]
	v_pk_fma_f32 v[16:17], v[6:7], v[198:199], v[4:5] neg_lo:[0,0,1] neg_hi:[0,0,1]
	v_pk_fma_f32 v[4:5], v[6:7], v[198:199], v[4:5] op_sel_hi:[1,0,1]
	v_pk_add_f32 v[2:3], v[2:3], v[18:19]
	v_mov_b32_e32 v4, v201
	v_mov_b32_e32 v17, v5
	v_pk_mul_f32 v[4:5], v[8:9], v[4:5] op_sel:[1,0] op_sel_hi:[0,0]
	v_pk_fma_f32 v[6:7], v[8:9], v[200:201], v[4:5] neg_lo:[0,0,1] neg_hi:[0,0,1]
	v_pk_fma_f32 v[4:5], v[8:9], v[200:201], v[4:5] op_sel_hi:[1,0,1]
	v_pk_add_f32 v[2:3], v[2:3], v[16:17]
	v_mov_b32_e32 v7, v5
	s_waitcnt vmcnt(1) lgkmcnt(1)
	v_pk_mul_f32 v[4:5], v[10:11], v[202:203] op_sel:[1,1] op_sel_hi:[0,1]
	v_pk_add_f32 v[2:3], v[2:3], v[6:7]
	v_pk_fma_f32 v[6:7], v[10:11], v[202:203], v[4:5] neg_lo:[0,0,1] neg_hi:[0,0,1]
	v_pk_fma_f32 v[4:5], v[10:11], v[202:203], v[4:5] op_sel_hi:[1,0,1]
	s_nop 0
	v_mov_b32_e32 v4, v205
	v_mov_b32_e32 v7, v5
	v_pk_mul_f32 v[4:5], v[12:13], v[4:5] op_sel:[1,0] op_sel_hi:[0,0]
	v_pk_add_f32 v[2:3], v[2:3], v[6:7]
	v_pk_fma_f32 v[6:7], v[12:13], v[204:205], v[4:5] neg_lo:[0,0,1] neg_hi:[0,0,1]
	v_pk_fma_f32 v[4:5], v[12:13], v[204:205], v[4:5] op_sel_hi:[1,0,1]
	s_nop 0
	v_mov_b32_e32 v7, v5
	s_waitcnt vmcnt(0) lgkmcnt(0)
	v_pk_mul_f32 v[4:5], v[14:15], v[164:165] op_sel:[1,1] op_sel_hi:[0,1]
	v_pk_add_f32 v[2:3], v[2:3], v[6:7]
	v_pk_fma_f32 v[6:7], v[14:15], v[164:165], v[4:5] neg_lo:[0,0,1] neg_hi:[0,0,1]
	v_pk_fma_f32 v[4:5], v[14:15], v[164:165], v[4:5] op_sel_hi:[1,0,1]
	s_nop 0
	v_mov_b32_e32 v7, v5
	scratch_load_dwordx2 v[4:5], off, off offset:128
	v_pk_add_f32 v[2:3], v[2:3], v[6:7]
	s_waitcnt vmcnt(0)
	v_pk_add_f32 v[2:3], v[4:5], v[2:3] neg_lo:[0,1] neg_hi:[0,1]
	scratch_store_dwordx2 off, v[2:3], off offset:128
	s_and_saveexec_b64 s[0:1], vcc
	s_cbranch_execz .LBB127_367
; %bb.366:
	scratch_load_dwordx2 v[2:3], off, off offset:120
	v_mov_b32_e32 v119, v118
	scratch_store_dwordx2 off, v[118:119], off offset:120
	s_waitcnt vmcnt(1)
	ds_write_b64 v1, v[2:3]
.LBB127_367:
	s_or_b64 exec, exec, s[0:1]
	s_waitcnt lgkmcnt(0)
	; wave barrier
	ds_read_b128 v[14:17], v118 offset:640
	ds_read_b128 v[10:13], v118 offset:656
	;; [unrolled: 1-line block ×4, first 2 shown]
	scratch_load_dwordx4 v[18:21], off, off offset:128
	scratch_load_dwordx4 v[38:41], off, off offset:192
	scratch_load_dwordx4 v[70:73], off, off offset:256
	scratch_load_dwordx4 v[78:81], off, off offset:272
	scratch_load_dwordx4 v[86:89], off, off offset:288
	scratch_load_dwordx4 v[94:97], off, off offset:304
	scratch_load_dwordx4 v[102:105], off, off offset:320
	scratch_load_dwordx4 v[110:113], off, off offset:336
	scratch_load_dwordx4 v[120:123], off, off offset:352
	scratch_load_dwordx4 v[128:131], off, off offset:368
	scratch_load_dwordx4 v[136:139], off, off offset:384
	scratch_load_dwordx4 v[144:147], off, off offset:400
	scratch_load_dwordx4 v[152:155], off, off offset:416
	scratch_load_dwordx4 v[190:193], off, off offset:432
	v_cmp_lt_u32_e32 vcc, 14, v0
	scratch_load_dwordx4 v[46:49], off, off offset:208
	scratch_load_dwordx4 v[54:57], off, off offset:224
	;; [unrolled: 1-line block ×3, first 2 shown]
	ds_read_b128 v[186:189], v118 offset:944
	s_waitcnt vmcnt(16) lgkmcnt(4)
	v_mul_f32_e32 v22, v14, v19
	v_fmac_f32_e32 v22, v15, v18
	v_mul_f32_e32 v23, v16, v21
	v_add_f32_e32 v22, 0, v22
	v_fmac_f32_e32 v23, v17, v20
	v_add_f32_e32 v26, v22, v23
	scratch_load_dwordx4 v[22:25], off, off offset:144
	v_mul_f32_e32 v15, v15, v19
	v_fma_f32 v14, v14, v18, -v15
	v_mul_f32_e32 v15, v17, v21
	v_add_f32_e32 v14, 0, v14
	v_fma_f32 v15, v16, v20, -v15
	v_add_f32_e32 v14, v14, v15
	s_waitcnt vmcnt(4) lgkmcnt(0)
	v_mul_f32_e32 v161, v186, v191
	v_mul_f32_e32 v163, v188, v193
	v_fmac_f32_e32 v161, v187, v190
	v_fmac_f32_e32 v163, v189, v192
	s_waitcnt vmcnt(0)
	v_mul_f32_e32 v27, v10, v23
	v_fmac_f32_e32 v27, v11, v22
	v_add_f32_e32 v26, v26, v27
	v_mul_f32_e32 v27, v12, v25
	v_fmac_f32_e32 v27, v13, v24
	v_add_f32_e32 v30, v26, v27
	scratch_load_dwordx4 v[26:29], off, off offset:160
	v_mul_f32_e32 v11, v11, v23
	v_fma_f32 v10, v10, v22, -v11
	v_mul_f32_e32 v11, v13, v25
	v_add_f32_e32 v10, v14, v10
	v_fma_f32 v11, v12, v24, -v11
	v_add_f32_e32 v10, v10, v11
	s_waitcnt vmcnt(0)
	v_mul_f32_e32 v31, v6, v27
	v_fmac_f32_e32 v31, v7, v26
	v_add_f32_e32 v30, v30, v31
	v_mul_f32_e32 v31, v8, v29
	v_fmac_f32_e32 v31, v9, v28
	v_add_f32_e32 v34, v30, v31
	scratch_load_dwordx4 v[30:33], off, off offset:176
	v_mul_f32_e32 v7, v7, v27
	v_fma_f32 v6, v6, v26, -v7
	v_mul_f32_e32 v7, v9, v29
	v_add_f32_e32 v6, v10, v6
	v_fma_f32 v7, v8, v28, -v7
	v_add_f32_e32 v6, v6, v7
	s_waitcnt vmcnt(0)
	v_mul_f32_e32 v35, v2, v31
	v_fmac_f32_e32 v35, v3, v30
	v_add_f32_e32 v34, v34, v35
	v_mul_f32_e32 v35, v4, v33
	v_fmac_f32_e32 v35, v5, v32
	v_add_f32_e32 v42, v34, v35
	ds_read_b128 v[34:37], v118 offset:704
	v_mul_f32_e32 v3, v3, v31
	v_fma_f32 v2, v2, v30, -v3
	v_mul_f32_e32 v3, v5, v33
	v_add_f32_e32 v2, v6, v2
	s_waitcnt lgkmcnt(0)
	v_mul_f32_e32 v43, v34, v39
	v_fmac_f32_e32 v43, v35, v38
	v_add_f32_e32 v42, v42, v43
	v_mul_f32_e32 v43, v36, v41
	v_fmac_f32_e32 v43, v37, v40
	v_add_f32_e32 v50, v42, v43
	ds_read_b128 v[42:45], v118 offset:720
	v_fma_f32 v3, v4, v32, -v3
	v_add_f32_e32 v2, v2, v3
	v_mul_f32_e32 v3, v35, v39
	v_fma_f32 v3, v34, v38, -v3
	s_waitcnt lgkmcnt(0)
	v_mul_f32_e32 v51, v42, v47
	v_fmac_f32_e32 v51, v43, v46
	v_add_f32_e32 v50, v50, v51
	v_mul_f32_e32 v51, v44, v49
	v_fmac_f32_e32 v51, v45, v48
	v_add_f32_e32 v58, v50, v51
	ds_read_b128 v[50:53], v118 offset:736
	v_add_f32_e32 v2, v2, v3
	v_mul_f32_e32 v3, v37, v41
	v_fma_f32 v3, v36, v40, -v3
	v_add_f32_e32 v2, v2, v3
	s_waitcnt lgkmcnt(0)
	v_mul_f32_e32 v59, v50, v55
	v_fmac_f32_e32 v59, v51, v54
	v_add_f32_e32 v58, v58, v59
	v_mul_f32_e32 v59, v52, v57
	v_fmac_f32_e32 v59, v53, v56
	v_add_f32_e32 v66, v58, v59
	ds_read_b128 v[58:61], v118 offset:752
	v_mul_f32_e32 v3, v43, v47
	v_fma_f32 v3, v42, v46, -v3
	v_add_f32_e32 v2, v2, v3
	v_mul_f32_e32 v3, v45, v49
	s_waitcnt lgkmcnt(0)
	v_mul_f32_e32 v67, v58, v63
	v_fmac_f32_e32 v67, v59, v62
	v_add_f32_e32 v66, v66, v67
	v_mul_f32_e32 v67, v60, v65
	v_fmac_f32_e32 v67, v61, v64
	v_add_f32_e32 v74, v66, v67
	ds_read_b128 v[66:69], v118 offset:768
	v_fma_f32 v3, v44, v48, -v3
	v_add_f32_e32 v2, v2, v3
	v_mul_f32_e32 v3, v51, v55
	v_fma_f32 v3, v50, v54, -v3
	s_waitcnt lgkmcnt(0)
	v_mul_f32_e32 v75, v66, v71
	v_fmac_f32_e32 v75, v67, v70
	v_add_f32_e32 v74, v74, v75
	v_mul_f32_e32 v75, v68, v73
	v_fmac_f32_e32 v75, v69, v72
	v_add_f32_e32 v82, v74, v75
	ds_read_b128 v[74:77], v118 offset:784
	v_add_f32_e32 v2, v2, v3
	v_mul_f32_e32 v3, v53, v57
	v_fma_f32 v3, v52, v56, -v3
	v_add_f32_e32 v2, v2, v3
	s_waitcnt lgkmcnt(0)
	v_mul_f32_e32 v83, v74, v79
	v_fmac_f32_e32 v83, v75, v78
	v_add_f32_e32 v82, v82, v83
	v_mul_f32_e32 v83, v76, v81
	v_fmac_f32_e32 v83, v77, v80
	v_add_f32_e32 v90, v82, v83
	ds_read_b128 v[82:85], v118 offset:800
	v_mul_f32_e32 v3, v59, v63
	v_fma_f32 v3, v58, v62, -v3
	v_add_f32_e32 v2, v2, v3
	v_mul_f32_e32 v3, v61, v65
	;; [unrolled: 36-line block ×4, first 2 shown]
	s_waitcnt lgkmcnt(0)
	v_mul_f32_e32 v140, v132, v137
	v_fmac_f32_e32 v140, v133, v136
	v_add_f32_e32 v119, v119, v140
	v_mul_f32_e32 v140, v134, v139
	v_fmac_f32_e32 v140, v135, v138
	v_add_f32_e32 v119, v119, v140
	ds_read_b128 v[140:143], v118 offset:912
	v_fma_f32 v3, v92, v96, -v3
	v_add_f32_e32 v2, v2, v3
	v_mul_f32_e32 v3, v99, v103
	v_fma_f32 v3, v98, v102, -v3
	s_waitcnt lgkmcnt(0)
	v_mul_f32_e32 v148, v140, v145
	v_fmac_f32_e32 v148, v141, v144
	v_add_f32_e32 v119, v119, v148
	v_mul_f32_e32 v148, v142, v147
	v_fmac_f32_e32 v148, v143, v146
	v_add_f32_e32 v119, v119, v148
	ds_read_b128 v[148:151], v118 offset:928
	scratch_load_dwordx4 v[194:197], off, off offset:448
	scratch_load_dwordx4 v[198:201], off, off offset:464
	;; [unrolled: 1-line block ×4, first 2 shown]
	v_add_f32_e32 v2, v2, v3
	v_mul_f32_e32 v3, v101, v105
	v_fma_f32 v3, v100, v104, -v3
	v_add_f32_e32 v2, v2, v3
	v_mul_f32_e32 v3, v107, v111
	v_fma_f32 v3, v106, v110, -v3
	;; [unrolled: 3-line block ×11, first 2 shown]
	s_waitcnt lgkmcnt(0)
	v_mul_f32_e32 v158, v148, v153
	v_add_f32_e32 v2, v2, v3
	v_mul_f32_e32 v3, v149, v153
	v_fmac_f32_e32 v158, v149, v152
	v_fma_f32 v3, v148, v152, -v3
	v_add_f32_e32 v119, v119, v158
	v_mul_f32_e32 v158, v150, v155
	v_add_f32_e32 v2, v2, v3
	v_mul_f32_e32 v3, v151, v155
	v_fmac_f32_e32 v158, v151, v154
	v_fma_f32 v3, v150, v154, -v3
	v_add_f32_e32 v159, v119, v158
	v_add_f32_e32 v158, v2, v3
	v_mul_f32_e32 v2, v187, v191
	v_fma_f32 v160, v186, v190, -v2
	v_mul_f32_e32 v2, v189, v193
	v_fma_f32 v162, v188, v192, -v2
	ds_read_b128 v[2:5], v118 offset:960
	ds_read_b128 v[6:9], v118 offset:976
	ds_read_b128 v[10:13], v118 offset:992
	ds_read_b128 v[14:17], v118 offset:1008
	v_pk_add_f32 v[18:19], v[158:159], v[160:161]
	s_waitcnt vmcnt(3) lgkmcnt(3)
	v_pk_mul_f32 v[20:21], v[2:3], v[194:195] op_sel:[1,1] op_sel_hi:[0,1]
	v_pk_fma_f32 v[22:23], v[2:3], v[194:195], v[20:21] neg_lo:[0,0,1] neg_hi:[0,0,1]
	v_pk_fma_f32 v[2:3], v[2:3], v[194:195], v[20:21] op_sel_hi:[1,0,1]
	v_pk_add_f32 v[18:19], v[18:19], v[162:163]
	v_mov_b32_e32 v23, v3
	v_pk_add_f32 v[2:3], v[18:19], v[22:23]
	v_mov_b32_e32 v18, v197
	v_pk_mul_f32 v[18:19], v[4:5], v[18:19] op_sel:[1,0] op_sel_hi:[0,0]
	v_pk_fma_f32 v[20:21], v[4:5], v[196:197], v[18:19] neg_lo:[0,0,1] neg_hi:[0,0,1]
	v_pk_fma_f32 v[4:5], v[4:5], v[196:197], v[18:19] op_sel_hi:[1,0,1]
	s_nop 0
	v_mov_b32_e32 v21, v5
	s_waitcnt vmcnt(2) lgkmcnt(2)
	v_pk_mul_f32 v[4:5], v[6:7], v[198:199] op_sel:[1,1] op_sel_hi:[0,1]
	v_pk_fma_f32 v[18:19], v[6:7], v[198:199], v[4:5] neg_lo:[0,0,1] neg_hi:[0,0,1]
	v_pk_fma_f32 v[4:5], v[6:7], v[198:199], v[4:5] op_sel_hi:[1,0,1]
	v_pk_add_f32 v[2:3], v[2:3], v[20:21]
	v_mov_b32_e32 v4, v201
	v_mov_b32_e32 v19, v5
	v_pk_mul_f32 v[4:5], v[8:9], v[4:5] op_sel:[1,0] op_sel_hi:[0,0]
	v_pk_fma_f32 v[6:7], v[8:9], v[200:201], v[4:5] neg_lo:[0,0,1] neg_hi:[0,0,1]
	v_pk_fma_f32 v[4:5], v[8:9], v[200:201], v[4:5] op_sel_hi:[1,0,1]
	v_pk_add_f32 v[2:3], v[2:3], v[18:19]
	v_mov_b32_e32 v7, v5
	s_waitcnt vmcnt(1) lgkmcnt(1)
	v_pk_mul_f32 v[4:5], v[10:11], v[202:203] op_sel:[1,1] op_sel_hi:[0,1]
	v_pk_add_f32 v[2:3], v[2:3], v[6:7]
	v_pk_fma_f32 v[6:7], v[10:11], v[202:203], v[4:5] neg_lo:[0,0,1] neg_hi:[0,0,1]
	v_pk_fma_f32 v[4:5], v[10:11], v[202:203], v[4:5] op_sel_hi:[1,0,1]
	s_nop 0
	v_mov_b32_e32 v4, v205
	v_mov_b32_e32 v7, v5
	v_pk_mul_f32 v[4:5], v[12:13], v[4:5] op_sel:[1,0] op_sel_hi:[0,0]
	v_pk_add_f32 v[2:3], v[2:3], v[6:7]
	v_pk_fma_f32 v[6:7], v[12:13], v[204:205], v[4:5] neg_lo:[0,0,1] neg_hi:[0,0,1]
	v_pk_fma_f32 v[4:5], v[12:13], v[204:205], v[4:5] op_sel_hi:[1,0,1]
	s_nop 0
	v_mov_b32_e32 v7, v5
	s_waitcnt vmcnt(0) lgkmcnt(0)
	v_pk_mul_f32 v[4:5], v[14:15], v[206:207] op_sel:[1,1] op_sel_hi:[0,1]
	v_pk_add_f32 v[2:3], v[2:3], v[6:7]
	v_pk_fma_f32 v[6:7], v[14:15], v[206:207], v[4:5] neg_lo:[0,0,1] neg_hi:[0,0,1]
	v_pk_fma_f32 v[4:5], v[14:15], v[206:207], v[4:5] op_sel_hi:[1,0,1]
	s_nop 0
	v_mov_b32_e32 v4, v209
	v_mov_b32_e32 v7, v5
	v_pk_mul_f32 v[4:5], v[16:17], v[4:5] op_sel:[1,0] op_sel_hi:[0,0]
	v_pk_add_f32 v[2:3], v[2:3], v[6:7]
	v_pk_fma_f32 v[6:7], v[16:17], v[208:209], v[4:5] neg_lo:[0,0,1] neg_hi:[0,0,1]
	v_pk_fma_f32 v[4:5], v[16:17], v[208:209], v[4:5] op_sel_hi:[1,0,1]
	s_nop 0
	v_mov_b32_e32 v7, v5
	scratch_load_dwordx2 v[4:5], off, off offset:120
	v_pk_add_f32 v[2:3], v[2:3], v[6:7]
	s_waitcnt vmcnt(0)
	v_pk_add_f32 v[2:3], v[4:5], v[2:3] neg_lo:[0,1] neg_hi:[0,1]
	scratch_store_dwordx2 off, v[2:3], off offset:120
	s_and_saveexec_b64 s[0:1], vcc
	s_cbranch_execz .LBB127_369
; %bb.368:
	scratch_load_dwordx2 v[2:3], off, off offset:112
	v_mov_b32_e32 v4, 0
	v_mov_b32_e32 v5, v4
	scratch_store_dwordx2 off, v[4:5], off offset:112
	s_waitcnt vmcnt(1)
	ds_write_b64 v1, v[2:3]
.LBB127_369:
	s_or_b64 exec, exec, s[0:1]
	s_waitcnt lgkmcnt(0)
	; wave barrier
	scratch_load_dwordx4 v[6:9], off, off offset:120
	scratch_load_dwordx4 v[14:17], off, off offset:136
	;; [unrolled: 1-line block ×10, first 2 shown]
	v_mov_b32_e32 v134, 0
	ds_read2_b64 v[2:5], v134 offset0:79 offset1:80
	ds_read2_b64 v[186:189], v134 offset0:117 offset1:118
	scratch_load_dwordx4 v[86:89], off, off offset:280
	scratch_load_dwordx4 v[94:97], off, off offset:296
	;; [unrolled: 1-line block ×11, first 2 shown]
	v_cmp_lt_u32_e32 vcc, 13, v0
	ds_read2_b64 v[194:197], v134 offset0:119 offset1:120
	s_waitcnt vmcnt(20) lgkmcnt(2)
	v_mul_f32_e32 v10, v2, v7
	v_fmac_f32_e32 v10, v3, v6
	v_mul_f32_e32 v11, v4, v9
	v_add_f32_e32 v10, 0, v10
	v_fmac_f32_e32 v11, v5, v8
	v_add_f32_e32 v18, v10, v11
	ds_read2_b64 v[10:13], v134 offset0:81 offset1:82
	v_mul_f32_e32 v3, v3, v7
	v_fma_f32 v2, v2, v6, -v3
	v_mul_f32_e32 v3, v5, v9
	v_add_f32_e32 v2, 0, v2
	s_waitcnt vmcnt(19) lgkmcnt(0)
	v_mul_f32_e32 v19, v10, v15
	v_fmac_f32_e32 v19, v11, v14
	v_add_f32_e32 v18, v18, v19
	v_mul_f32_e32 v19, v12, v17
	v_fmac_f32_e32 v19, v13, v16
	v_add_f32_e32 v26, v18, v19
	ds_read2_b64 v[18:21], v134 offset0:83 offset1:84
	v_fma_f32 v3, v4, v8, -v3
	v_add_f32_e32 v2, v2, v3
	v_mul_f32_e32 v3, v11, v15
	v_fma_f32 v3, v10, v14, -v3
	s_waitcnt vmcnt(18) lgkmcnt(0)
	v_mul_f32_e32 v27, v18, v23
	v_fmac_f32_e32 v27, v19, v22
	v_add_f32_e32 v26, v26, v27
	v_mul_f32_e32 v27, v20, v25
	v_fmac_f32_e32 v27, v21, v24
	v_add_f32_e32 v34, v26, v27
	ds_read2_b64 v[26:29], v134 offset0:85 offset1:86
	v_add_f32_e32 v2, v2, v3
	v_mul_f32_e32 v3, v13, v17
	v_fma_f32 v3, v12, v16, -v3
	v_add_f32_e32 v2, v2, v3
	s_waitcnt vmcnt(17) lgkmcnt(0)
	v_mul_f32_e32 v35, v26, v31
	v_fmac_f32_e32 v35, v27, v30
	v_add_f32_e32 v34, v34, v35
	v_mul_f32_e32 v35, v28, v33
	v_fmac_f32_e32 v35, v29, v32
	v_add_f32_e32 v42, v34, v35
	ds_read2_b64 v[34:37], v134 offset0:87 offset1:88
	v_mul_f32_e32 v3, v19, v23
	v_fma_f32 v3, v18, v22, -v3
	v_add_f32_e32 v2, v2, v3
	v_mul_f32_e32 v3, v21, v25
	s_waitcnt vmcnt(16) lgkmcnt(0)
	v_mul_f32_e32 v43, v34, v39
	v_fmac_f32_e32 v43, v35, v38
	v_add_f32_e32 v42, v42, v43
	v_mul_f32_e32 v43, v36, v41
	v_fmac_f32_e32 v43, v37, v40
	v_add_f32_e32 v50, v42, v43
	ds_read2_b64 v[42:45], v134 offset0:89 offset1:90
	v_fma_f32 v3, v20, v24, -v3
	v_add_f32_e32 v2, v2, v3
	v_mul_f32_e32 v3, v27, v31
	v_fma_f32 v3, v26, v30, -v3
	s_waitcnt vmcnt(15) lgkmcnt(0)
	v_mul_f32_e32 v51, v42, v47
	v_fmac_f32_e32 v51, v43, v46
	v_add_f32_e32 v50, v50, v51
	v_mul_f32_e32 v51, v44, v49
	v_fmac_f32_e32 v51, v45, v48
	v_add_f32_e32 v58, v50, v51
	ds_read2_b64 v[50:53], v134 offset0:91 offset1:92
	v_add_f32_e32 v2, v2, v3
	v_mul_f32_e32 v3, v29, v33
	v_fma_f32 v3, v28, v32, -v3
	v_add_f32_e32 v2, v2, v3
	s_waitcnt vmcnt(14) lgkmcnt(0)
	v_mul_f32_e32 v59, v50, v55
	v_fmac_f32_e32 v59, v51, v54
	v_add_f32_e32 v58, v58, v59
	v_mul_f32_e32 v59, v52, v57
	v_fmac_f32_e32 v59, v53, v56
	v_add_f32_e32 v66, v58, v59
	ds_read2_b64 v[58:61], v134 offset0:93 offset1:94
	v_mul_f32_e32 v3, v35, v39
	v_fma_f32 v3, v34, v38, -v3
	v_add_f32_e32 v2, v2, v3
	v_mul_f32_e32 v3, v37, v41
	s_waitcnt vmcnt(13) lgkmcnt(0)
	v_mul_f32_e32 v67, v58, v63
	v_fmac_f32_e32 v67, v59, v62
	v_add_f32_e32 v66, v66, v67
	v_mul_f32_e32 v67, v60, v65
	v_fmac_f32_e32 v67, v61, v64
	v_add_f32_e32 v74, v66, v67
	ds_read2_b64 v[66:69], v134 offset0:95 offset1:96
	v_fma_f32 v3, v36, v40, -v3
	v_add_f32_e32 v2, v2, v3
	v_mul_f32_e32 v3, v43, v47
	v_fma_f32 v3, v42, v46, -v3
	s_waitcnt vmcnt(12) lgkmcnt(0)
	v_mul_f32_e32 v75, v66, v71
	v_fmac_f32_e32 v75, v67, v70
	v_add_f32_e32 v74, v74, v75
	v_mul_f32_e32 v75, v68, v73
	v_fmac_f32_e32 v75, v69, v72
	v_add_f32_e32 v82, v74, v75
	ds_read2_b64 v[74:77], v134 offset0:97 offset1:98
	v_add_f32_e32 v2, v2, v3
	v_mul_f32_e32 v3, v45, v49
	v_fma_f32 v3, v44, v48, -v3
	v_add_f32_e32 v2, v2, v3
	s_waitcnt vmcnt(11) lgkmcnt(0)
	v_mul_f32_e32 v83, v74, v79
	v_fmac_f32_e32 v83, v75, v78
	v_add_f32_e32 v82, v82, v83
	v_mul_f32_e32 v83, v76, v81
	v_fmac_f32_e32 v83, v77, v80
	v_add_f32_e32 v90, v82, v83
	ds_read2_b64 v[82:85], v134 offset0:99 offset1:100
	v_mul_f32_e32 v3, v51, v55
	v_fma_f32 v3, v50, v54, -v3
	v_add_f32_e32 v2, v2, v3
	v_mul_f32_e32 v3, v53, v57
	s_waitcnt vmcnt(10) lgkmcnt(0)
	v_mul_f32_e32 v91, v82, v87
	v_fmac_f32_e32 v91, v83, v86
	v_add_f32_e32 v90, v90, v91
	v_mul_f32_e32 v91, v84, v89
	v_fmac_f32_e32 v91, v85, v88
	v_add_f32_e32 v98, v90, v91
	ds_read2_b64 v[90:93], v134 offset0:101 offset1:102
	v_fma_f32 v3, v52, v56, -v3
	v_add_f32_e32 v2, v2, v3
	v_mul_f32_e32 v3, v59, v63
	v_fma_f32 v3, v58, v62, -v3
	s_waitcnt vmcnt(9) lgkmcnt(0)
	v_mul_f32_e32 v99, v90, v95
	v_fmac_f32_e32 v99, v91, v94
	v_add_f32_e32 v98, v98, v99
	v_mul_f32_e32 v99, v92, v97
	v_fmac_f32_e32 v99, v93, v96
	v_add_f32_e32 v106, v98, v99
	ds_read2_b64 v[98:101], v134 offset0:103 offset1:104
	v_add_f32_e32 v2, v2, v3
	v_mul_f32_e32 v3, v61, v65
	v_fma_f32 v3, v60, v64, -v3
	v_add_f32_e32 v2, v2, v3
	s_waitcnt vmcnt(8) lgkmcnt(0)
	v_mul_f32_e32 v107, v98, v103
	v_fmac_f32_e32 v107, v99, v102
	v_add_f32_e32 v106, v106, v107
	v_mul_f32_e32 v107, v100, v105
	v_fmac_f32_e32 v107, v101, v104
	v_add_f32_e32 v114, v106, v107
	ds_read2_b64 v[106:109], v134 offset0:105 offset1:106
	v_mul_f32_e32 v3, v67, v71
	v_fma_f32 v3, v66, v70, -v3
	v_add_f32_e32 v2, v2, v3
	v_mul_f32_e32 v3, v69, v73
	s_waitcnt vmcnt(7) lgkmcnt(0)
	v_mul_f32_e32 v115, v106, v111
	v_fmac_f32_e32 v115, v107, v110
	v_add_f32_e32 v114, v114, v115
	v_mul_f32_e32 v115, v108, v113
	v_fmac_f32_e32 v115, v109, v112
	v_add_f32_e32 v122, v114, v115
	ds_read2_b64 v[114:117], v134 offset0:107 offset1:108
	v_fma_f32 v3, v68, v72, -v3
	v_add_f32_e32 v2, v2, v3
	v_mul_f32_e32 v3, v75, v79
	v_fma_f32 v3, v74, v78, -v3
	s_waitcnt vmcnt(6) lgkmcnt(0)
	v_mul_f32_e32 v123, v114, v119
	v_fmac_f32_e32 v123, v115, v118
	v_add_f32_e32 v122, v122, v123
	v_mul_f32_e32 v123, v116, v121
	v_fmac_f32_e32 v123, v117, v120
	v_add_f32_e32 v130, v122, v123
	ds_read2_b64 v[122:125], v134 offset0:109 offset1:110
	v_add_f32_e32 v2, v2, v3
	v_mul_f32_e32 v3, v77, v81
	v_fma_f32 v3, v76, v80, -v3
	v_add_f32_e32 v2, v2, v3
	s_waitcnt vmcnt(5) lgkmcnt(0)
	v_mul_f32_e32 v131, v122, v127
	v_fmac_f32_e32 v131, v123, v126
	v_add_f32_e32 v130, v130, v131
	v_mul_f32_e32 v131, v124, v129
	v_fmac_f32_e32 v131, v125, v128
	v_add_f32_e32 v135, v130, v131
	ds_read2_b64 v[130:133], v134 offset0:111 offset1:112
	v_mul_f32_e32 v3, v83, v87
	v_fma_f32 v3, v82, v86, -v3
	v_add_f32_e32 v2, v2, v3
	v_mul_f32_e32 v3, v85, v89
	s_waitcnt vmcnt(4) lgkmcnt(0)
	v_mul_f32_e32 v140, v130, v137
	v_fmac_f32_e32 v140, v131, v136
	v_add_f32_e32 v135, v135, v140
	v_mul_f32_e32 v140, v132, v139
	v_fmac_f32_e32 v140, v133, v138
	v_add_f32_e32 v135, v135, v140
	ds_read2_b64 v[140:143], v134 offset0:113 offset1:114
	v_fma_f32 v3, v84, v88, -v3
	v_add_f32_e32 v2, v2, v3
	v_mul_f32_e32 v3, v91, v95
	v_fma_f32 v3, v90, v94, -v3
	s_waitcnt vmcnt(3) lgkmcnt(0)
	v_mul_f32_e32 v148, v140, v145
	v_fmac_f32_e32 v148, v141, v144
	v_add_f32_e32 v135, v135, v148
	v_mul_f32_e32 v148, v142, v147
	v_fmac_f32_e32 v148, v143, v146
	v_add_f32_e32 v135, v135, v148
	ds_read2_b64 v[148:151], v134 offset0:115 offset1:116
	scratch_load_dwordx4 v[202:205], off, off offset:456
	scratch_load_dwordx4 v[206:209], off, off offset:472
	;; [unrolled: 1-line block ×3, first 2 shown]
	scratch_load_dwordx2 v[164:165], off, off offset:504
	v_add_f32_e32 v2, v2, v3
	v_mul_f32_e32 v3, v93, v97
	v_fma_f32 v3, v92, v96, -v3
	v_add_f32_e32 v2, v2, v3
	v_mul_f32_e32 v3, v99, v103
	v_fma_f32 v3, v98, v102, -v3
	;; [unrolled: 3-line block ×13, first 2 shown]
	s_waitcnt vmcnt(6) lgkmcnt(0)
	v_mul_f32_e32 v158, v148, v153
	v_add_f32_e32 v2, v2, v3
	v_mul_f32_e32 v3, v149, v153
	v_fmac_f32_e32 v158, v149, v152
	v_fma_f32 v3, v148, v152, -v3
	v_add_f32_e32 v135, v135, v158
	v_mul_f32_e32 v158, v150, v155
	v_add_f32_e32 v2, v2, v3
	v_mul_f32_e32 v3, v151, v155
	v_fmac_f32_e32 v158, v151, v154
	v_fma_f32 v3, v150, v154, -v3
	v_add_f32_e32 v135, v135, v158
	s_waitcnt vmcnt(5)
	v_mul_f32_e32 v158, v186, v191
	v_add_f32_e32 v2, v2, v3
	v_mul_f32_e32 v3, v187, v191
	v_fmac_f32_e32 v158, v187, v190
	v_fma_f32 v3, v186, v190, -v3
	v_add_f32_e32 v159, v135, v158
	v_add_f32_e32 v158, v2, v3
	v_mul_f32_e32 v2, v189, v193
	v_mul_f32_e32 v161, v188, v193
	v_fma_f32 v160, v188, v192, -v2
	s_waitcnt vmcnt(4)
	v_mul_f32_e32 v2, v195, v199
	v_mov_b32_e32 v18, v201
	v_fmac_f32_e32 v161, v189, v192
	v_mul_f32_e32 v163, v194, v199
	v_fma_f32 v162, v194, v198, -v2
	ds_read2_b64 v[2:5], v134 offset0:121 offset1:122
	ds_read2_b64 v[6:9], v134 offset0:123 offset1:124
	;; [unrolled: 1-line block ×3, first 2 shown]
	ds_read_b64 v[14:15], v134 offset:1016
	v_pk_mul_f32 v[18:19], v[196:197], v[18:19] op_sel:[1,0] op_sel_hi:[0,0]
	v_fmac_f32_e32 v163, v195, v198
	v_pk_add_f32 v[16:17], v[158:159], v[160:161]
	v_pk_fma_f32 v[20:21], v[196:197], v[200:201], v[18:19] neg_lo:[0,0,1] neg_hi:[0,0,1]
	v_pk_fma_f32 v[18:19], v[196:197], v[200:201], v[18:19] op_sel_hi:[1,0,1]
	v_pk_add_f32 v[16:17], v[16:17], v[162:163]
	v_mov_b32_e32 v21, v19
	v_pk_add_f32 v[16:17], v[16:17], v[20:21]
	s_waitcnt vmcnt(3) lgkmcnt(3)
	v_pk_mul_f32 v[18:19], v[2:3], v[202:203] op_sel:[1,1] op_sel_hi:[0,1]
	v_pk_fma_f32 v[20:21], v[2:3], v[202:203], v[18:19] neg_lo:[0,0,1] neg_hi:[0,0,1]
	v_pk_fma_f32 v[2:3], v[2:3], v[202:203], v[18:19] op_sel_hi:[1,0,1]
	s_nop 0
	v_mov_b32_e32 v21, v3
	v_pk_add_f32 v[2:3], v[16:17], v[20:21]
	v_mov_b32_e32 v16, v205
	v_pk_mul_f32 v[16:17], v[4:5], v[16:17] op_sel:[1,0] op_sel_hi:[0,0]
	v_pk_fma_f32 v[18:19], v[4:5], v[204:205], v[16:17] neg_lo:[0,0,1] neg_hi:[0,0,1]
	v_pk_fma_f32 v[4:5], v[4:5], v[204:205], v[16:17] op_sel_hi:[1,0,1]
	s_nop 0
	v_mov_b32_e32 v19, v5
	s_waitcnt vmcnt(2) lgkmcnt(2)
	v_pk_mul_f32 v[4:5], v[6:7], v[206:207] op_sel:[1,1] op_sel_hi:[0,1]
	v_pk_fma_f32 v[16:17], v[6:7], v[206:207], v[4:5] neg_lo:[0,0,1] neg_hi:[0,0,1]
	v_pk_fma_f32 v[4:5], v[6:7], v[206:207], v[4:5] op_sel_hi:[1,0,1]
	v_pk_add_f32 v[2:3], v[2:3], v[18:19]
	v_mov_b32_e32 v4, v209
	v_mov_b32_e32 v17, v5
	v_pk_mul_f32 v[4:5], v[8:9], v[4:5] op_sel:[1,0] op_sel_hi:[0,0]
	v_pk_fma_f32 v[6:7], v[8:9], v[208:209], v[4:5] neg_lo:[0,0,1] neg_hi:[0,0,1]
	v_pk_fma_f32 v[4:5], v[8:9], v[208:209], v[4:5] op_sel_hi:[1,0,1]
	v_pk_add_f32 v[2:3], v[2:3], v[16:17]
	v_mov_b32_e32 v7, v5
	s_waitcnt vmcnt(1) lgkmcnt(1)
	v_pk_mul_f32 v[4:5], v[10:11], v[210:211] op_sel:[1,1] op_sel_hi:[0,1]
	v_pk_add_f32 v[2:3], v[2:3], v[6:7]
	v_pk_fma_f32 v[6:7], v[10:11], v[210:211], v[4:5] neg_lo:[0,0,1] neg_hi:[0,0,1]
	v_pk_fma_f32 v[4:5], v[10:11], v[210:211], v[4:5] op_sel_hi:[1,0,1]
	s_nop 0
	v_mov_b32_e32 v4, v213
	v_mov_b32_e32 v7, v5
	v_pk_mul_f32 v[4:5], v[12:13], v[4:5] op_sel:[1,0] op_sel_hi:[0,0]
	v_pk_add_f32 v[2:3], v[2:3], v[6:7]
	v_pk_fma_f32 v[6:7], v[12:13], v[212:213], v[4:5] neg_lo:[0,0,1] neg_hi:[0,0,1]
	v_pk_fma_f32 v[4:5], v[12:13], v[212:213], v[4:5] op_sel_hi:[1,0,1]
	s_nop 0
	v_mov_b32_e32 v7, v5
	s_waitcnt vmcnt(0) lgkmcnt(0)
	v_pk_mul_f32 v[4:5], v[14:15], v[164:165] op_sel:[1,1] op_sel_hi:[0,1]
	v_pk_add_f32 v[2:3], v[2:3], v[6:7]
	v_pk_fma_f32 v[6:7], v[14:15], v[164:165], v[4:5] neg_lo:[0,0,1] neg_hi:[0,0,1]
	v_pk_fma_f32 v[4:5], v[14:15], v[164:165], v[4:5] op_sel_hi:[1,0,1]
	s_nop 0
	v_mov_b32_e32 v7, v5
	scratch_load_dwordx2 v[4:5], off, off offset:112
	v_pk_add_f32 v[2:3], v[2:3], v[6:7]
	s_waitcnt vmcnt(0)
	v_pk_add_f32 v[2:3], v[4:5], v[2:3] neg_lo:[0,1] neg_hi:[0,1]
	scratch_store_dwordx2 off, v[2:3], off offset:112
	s_and_saveexec_b64 s[0:1], vcc
	s_cbranch_execz .LBB127_371
; %bb.370:
	scratch_load_dwordx2 v[2:3], off, off offset:104
	v_mov_b32_e32 v135, v134
	scratch_store_dwordx2 off, v[134:135], off offset:104
	s_waitcnt vmcnt(1)
	ds_write_b64 v1, v[2:3]
.LBB127_371:
	s_or_b64 exec, exec, s[0:1]
	s_waitcnt lgkmcnt(0)
	; wave barrier
	ds_read_b128 v[14:17], v134 offset:624
	ds_read_b128 v[10:13], v134 offset:640
	;; [unrolled: 1-line block ×4, first 2 shown]
	scratch_load_dwordx4 v[18:21], off, off offset:112
	scratch_load_dwordx4 v[38:41], off, off offset:176
	;; [unrolled: 1-line block ×15, first 2 shown]
	v_cmp_lt_u32_e32 vcc, 12, v0
	scratch_load_dwordx4 v[46:49], off, off offset:192
	scratch_load_dwordx4 v[54:57], off, off offset:208
	;; [unrolled: 1-line block ×3, first 2 shown]
	ds_read_b128 v[186:189], v134 offset:928
	ds_read_b128 v[194:197], v134 offset:944
	s_waitcnt vmcnt(17) lgkmcnt(5)
	v_mul_f32_e32 v22, v14, v19
	v_fmac_f32_e32 v22, v15, v18
	v_mul_f32_e32 v23, v16, v21
	v_add_f32_e32 v22, 0, v22
	v_fmac_f32_e32 v23, v17, v20
	v_add_f32_e32 v26, v22, v23
	scratch_load_dwordx4 v[22:25], off, off offset:128
	v_mul_f32_e32 v15, v15, v19
	v_fma_f32 v14, v14, v18, -v15
	v_mul_f32_e32 v15, v17, v21
	v_add_f32_e32 v14, 0, v14
	v_fma_f32 v15, v16, v20, -v15
	v_add_f32_e32 v14, v14, v15
	s_waitcnt vmcnt(4) lgkmcnt(0)
	v_mul_f32_e32 v161, v194, v199
	v_mul_f32_e32 v163, v196, v201
	v_fmac_f32_e32 v161, v195, v198
	v_fmac_f32_e32 v163, v197, v200
	s_waitcnt vmcnt(0)
	v_mul_f32_e32 v27, v10, v23
	v_fmac_f32_e32 v27, v11, v22
	v_add_f32_e32 v26, v26, v27
	v_mul_f32_e32 v27, v12, v25
	v_fmac_f32_e32 v27, v13, v24
	v_add_f32_e32 v30, v26, v27
	scratch_load_dwordx4 v[26:29], off, off offset:144
	v_mul_f32_e32 v11, v11, v23
	v_fma_f32 v10, v10, v22, -v11
	v_mul_f32_e32 v11, v13, v25
	v_add_f32_e32 v10, v14, v10
	v_fma_f32 v11, v12, v24, -v11
	v_add_f32_e32 v10, v10, v11
	s_waitcnt vmcnt(0)
	v_mul_f32_e32 v31, v6, v27
	v_fmac_f32_e32 v31, v7, v26
	v_add_f32_e32 v30, v30, v31
	v_mul_f32_e32 v31, v8, v29
	v_fmac_f32_e32 v31, v9, v28
	v_add_f32_e32 v34, v30, v31
	scratch_load_dwordx4 v[30:33], off, off offset:160
	v_mul_f32_e32 v7, v7, v27
	v_fma_f32 v6, v6, v26, -v7
	v_mul_f32_e32 v7, v9, v29
	v_add_f32_e32 v6, v10, v6
	v_fma_f32 v7, v8, v28, -v7
	v_add_f32_e32 v6, v6, v7
	s_waitcnt vmcnt(0)
	v_mul_f32_e32 v35, v2, v31
	v_fmac_f32_e32 v35, v3, v30
	v_add_f32_e32 v34, v34, v35
	v_mul_f32_e32 v35, v4, v33
	v_fmac_f32_e32 v35, v5, v32
	v_add_f32_e32 v42, v34, v35
	ds_read_b128 v[34:37], v134 offset:688
	v_mul_f32_e32 v3, v3, v31
	v_fma_f32 v2, v2, v30, -v3
	v_mul_f32_e32 v3, v5, v33
	v_add_f32_e32 v2, v6, v2
	s_waitcnt lgkmcnt(0)
	v_mul_f32_e32 v43, v34, v39
	v_fmac_f32_e32 v43, v35, v38
	v_add_f32_e32 v42, v42, v43
	v_mul_f32_e32 v43, v36, v41
	v_fmac_f32_e32 v43, v37, v40
	v_add_f32_e32 v50, v42, v43
	ds_read_b128 v[42:45], v134 offset:704
	v_fma_f32 v3, v4, v32, -v3
	v_add_f32_e32 v2, v2, v3
	v_mul_f32_e32 v3, v35, v39
	v_fma_f32 v3, v34, v38, -v3
	s_waitcnt lgkmcnt(0)
	v_mul_f32_e32 v51, v42, v47
	v_fmac_f32_e32 v51, v43, v46
	v_add_f32_e32 v50, v50, v51
	v_mul_f32_e32 v51, v44, v49
	v_fmac_f32_e32 v51, v45, v48
	v_add_f32_e32 v58, v50, v51
	ds_read_b128 v[50:53], v134 offset:720
	v_add_f32_e32 v2, v2, v3
	v_mul_f32_e32 v3, v37, v41
	v_fma_f32 v3, v36, v40, -v3
	v_add_f32_e32 v2, v2, v3
	s_waitcnt lgkmcnt(0)
	v_mul_f32_e32 v59, v50, v55
	v_fmac_f32_e32 v59, v51, v54
	v_add_f32_e32 v58, v58, v59
	v_mul_f32_e32 v59, v52, v57
	v_fmac_f32_e32 v59, v53, v56
	v_add_f32_e32 v66, v58, v59
	ds_read_b128 v[58:61], v134 offset:736
	v_mul_f32_e32 v3, v43, v47
	v_fma_f32 v3, v42, v46, -v3
	v_add_f32_e32 v2, v2, v3
	v_mul_f32_e32 v3, v45, v49
	s_waitcnt lgkmcnt(0)
	v_mul_f32_e32 v67, v58, v63
	v_fmac_f32_e32 v67, v59, v62
	v_add_f32_e32 v66, v66, v67
	v_mul_f32_e32 v67, v60, v65
	v_fmac_f32_e32 v67, v61, v64
	v_add_f32_e32 v74, v66, v67
	ds_read_b128 v[66:69], v134 offset:752
	v_fma_f32 v3, v44, v48, -v3
	v_add_f32_e32 v2, v2, v3
	v_mul_f32_e32 v3, v51, v55
	v_fma_f32 v3, v50, v54, -v3
	s_waitcnt lgkmcnt(0)
	v_mul_f32_e32 v75, v66, v71
	v_fmac_f32_e32 v75, v67, v70
	v_add_f32_e32 v74, v74, v75
	v_mul_f32_e32 v75, v68, v73
	v_fmac_f32_e32 v75, v69, v72
	v_add_f32_e32 v82, v74, v75
	ds_read_b128 v[74:77], v134 offset:768
	v_add_f32_e32 v2, v2, v3
	v_mul_f32_e32 v3, v53, v57
	v_fma_f32 v3, v52, v56, -v3
	v_add_f32_e32 v2, v2, v3
	s_waitcnt lgkmcnt(0)
	v_mul_f32_e32 v83, v74, v79
	v_fmac_f32_e32 v83, v75, v78
	v_add_f32_e32 v82, v82, v83
	v_mul_f32_e32 v83, v76, v81
	v_fmac_f32_e32 v83, v77, v80
	v_add_f32_e32 v90, v82, v83
	ds_read_b128 v[82:85], v134 offset:784
	v_mul_f32_e32 v3, v59, v63
	v_fma_f32 v3, v58, v62, -v3
	v_add_f32_e32 v2, v2, v3
	v_mul_f32_e32 v3, v61, v65
	;; [unrolled: 36-line block ×4, first 2 shown]
	s_waitcnt lgkmcnt(0)
	v_mul_f32_e32 v140, v130, v137
	v_fmac_f32_e32 v140, v131, v136
	v_add_f32_e32 v135, v135, v140
	v_mul_f32_e32 v140, v132, v139
	v_fmac_f32_e32 v140, v133, v138
	v_add_f32_e32 v135, v135, v140
	ds_read_b128 v[140:143], v134 offset:896
	v_fma_f32 v3, v92, v96, -v3
	v_add_f32_e32 v2, v2, v3
	v_mul_f32_e32 v3, v99, v103
	v_fma_f32 v3, v98, v102, -v3
	s_waitcnt lgkmcnt(0)
	v_mul_f32_e32 v148, v140, v145
	v_fmac_f32_e32 v148, v141, v144
	v_add_f32_e32 v135, v135, v148
	v_mul_f32_e32 v148, v142, v147
	v_fmac_f32_e32 v148, v143, v146
	v_add_f32_e32 v135, v135, v148
	ds_read_b128 v[148:151], v134 offset:912
	scratch_load_dwordx4 v[202:205], off, off offset:448
	scratch_load_dwordx4 v[206:209], off, off offset:464
	;; [unrolled: 1-line block ×4, first 2 shown]
	v_add_f32_e32 v2, v2, v3
	v_mul_f32_e32 v3, v101, v105
	v_fma_f32 v3, v100, v104, -v3
	v_add_f32_e32 v2, v2, v3
	v_mul_f32_e32 v3, v107, v111
	v_fma_f32 v3, v106, v110, -v3
	;; [unrolled: 3-line block ×11, first 2 shown]
	s_waitcnt lgkmcnt(0)
	v_mul_f32_e32 v158, v148, v153
	v_add_f32_e32 v2, v2, v3
	v_mul_f32_e32 v3, v149, v153
	v_fmac_f32_e32 v158, v149, v152
	v_fma_f32 v3, v148, v152, -v3
	v_add_f32_e32 v135, v135, v158
	v_mul_f32_e32 v158, v150, v155
	v_add_f32_e32 v2, v2, v3
	v_mul_f32_e32 v3, v151, v155
	v_fmac_f32_e32 v158, v151, v154
	v_fma_f32 v3, v150, v154, -v3
	v_add_f32_e32 v135, v135, v158
	;; [unrolled: 6-line block ×4, first 2 shown]
	v_add_f32_e32 v158, v2, v3
	v_mul_f32_e32 v2, v195, v199
	v_fma_f32 v160, v194, v198, -v2
	v_mul_f32_e32 v2, v197, v201
	v_fma_f32 v162, v196, v200, -v2
	ds_read_b128 v[2:5], v134 offset:960
	ds_read_b128 v[6:9], v134 offset:976
	;; [unrolled: 1-line block ×4, first 2 shown]
	v_pk_add_f32 v[18:19], v[158:159], v[160:161]
	s_waitcnt vmcnt(3) lgkmcnt(3)
	v_pk_mul_f32 v[20:21], v[2:3], v[202:203] op_sel:[1,1] op_sel_hi:[0,1]
	v_pk_fma_f32 v[22:23], v[2:3], v[202:203], v[20:21] neg_lo:[0,0,1] neg_hi:[0,0,1]
	v_pk_fma_f32 v[2:3], v[2:3], v[202:203], v[20:21] op_sel_hi:[1,0,1]
	v_pk_add_f32 v[18:19], v[18:19], v[162:163]
	v_mov_b32_e32 v23, v3
	v_pk_add_f32 v[2:3], v[18:19], v[22:23]
	v_mov_b32_e32 v18, v205
	v_pk_mul_f32 v[18:19], v[4:5], v[18:19] op_sel:[1,0] op_sel_hi:[0,0]
	v_pk_fma_f32 v[20:21], v[4:5], v[204:205], v[18:19] neg_lo:[0,0,1] neg_hi:[0,0,1]
	v_pk_fma_f32 v[4:5], v[4:5], v[204:205], v[18:19] op_sel_hi:[1,0,1]
	s_nop 0
	v_mov_b32_e32 v21, v5
	s_waitcnt vmcnt(2) lgkmcnt(2)
	v_pk_mul_f32 v[4:5], v[6:7], v[206:207] op_sel:[1,1] op_sel_hi:[0,1]
	v_pk_fma_f32 v[18:19], v[6:7], v[206:207], v[4:5] neg_lo:[0,0,1] neg_hi:[0,0,1]
	v_pk_fma_f32 v[4:5], v[6:7], v[206:207], v[4:5] op_sel_hi:[1,0,1]
	v_pk_add_f32 v[2:3], v[2:3], v[20:21]
	v_mov_b32_e32 v4, v209
	v_mov_b32_e32 v19, v5
	v_pk_mul_f32 v[4:5], v[8:9], v[4:5] op_sel:[1,0] op_sel_hi:[0,0]
	v_pk_fma_f32 v[6:7], v[8:9], v[208:209], v[4:5] neg_lo:[0,0,1] neg_hi:[0,0,1]
	v_pk_fma_f32 v[4:5], v[8:9], v[208:209], v[4:5] op_sel_hi:[1,0,1]
	v_pk_add_f32 v[2:3], v[2:3], v[18:19]
	v_mov_b32_e32 v7, v5
	s_waitcnt vmcnt(1) lgkmcnt(1)
	v_pk_mul_f32 v[4:5], v[10:11], v[210:211] op_sel:[1,1] op_sel_hi:[0,1]
	v_pk_add_f32 v[2:3], v[2:3], v[6:7]
	v_pk_fma_f32 v[6:7], v[10:11], v[210:211], v[4:5] neg_lo:[0,0,1] neg_hi:[0,0,1]
	v_pk_fma_f32 v[4:5], v[10:11], v[210:211], v[4:5] op_sel_hi:[1,0,1]
	s_nop 0
	v_mov_b32_e32 v4, v213
	v_mov_b32_e32 v7, v5
	v_pk_mul_f32 v[4:5], v[12:13], v[4:5] op_sel:[1,0] op_sel_hi:[0,0]
	v_pk_add_f32 v[2:3], v[2:3], v[6:7]
	v_pk_fma_f32 v[6:7], v[12:13], v[212:213], v[4:5] neg_lo:[0,0,1] neg_hi:[0,0,1]
	v_pk_fma_f32 v[4:5], v[12:13], v[212:213], v[4:5] op_sel_hi:[1,0,1]
	s_nop 0
	v_mov_b32_e32 v7, v5
	s_waitcnt vmcnt(0) lgkmcnt(0)
	v_pk_mul_f32 v[4:5], v[14:15], v[214:215] op_sel:[1,1] op_sel_hi:[0,1]
	v_pk_add_f32 v[2:3], v[2:3], v[6:7]
	v_pk_fma_f32 v[6:7], v[14:15], v[214:215], v[4:5] neg_lo:[0,0,1] neg_hi:[0,0,1]
	v_pk_fma_f32 v[4:5], v[14:15], v[214:215], v[4:5] op_sel_hi:[1,0,1]
	s_nop 0
	v_mov_b32_e32 v4, v217
	v_mov_b32_e32 v7, v5
	v_pk_mul_f32 v[4:5], v[16:17], v[4:5] op_sel:[1,0] op_sel_hi:[0,0]
	v_pk_add_f32 v[2:3], v[2:3], v[6:7]
	v_pk_fma_f32 v[6:7], v[16:17], v[216:217], v[4:5] neg_lo:[0,0,1] neg_hi:[0,0,1]
	v_pk_fma_f32 v[4:5], v[16:17], v[216:217], v[4:5] op_sel_hi:[1,0,1]
	s_nop 0
	v_mov_b32_e32 v7, v5
	scratch_load_dwordx2 v[4:5], off, off offset:104
	v_pk_add_f32 v[2:3], v[2:3], v[6:7]
	s_waitcnt vmcnt(0)
	v_pk_add_f32 v[2:3], v[4:5], v[2:3] neg_lo:[0,1] neg_hi:[0,1]
	scratch_store_dwordx2 off, v[2:3], off offset:104
	s_and_saveexec_b64 s[0:1], vcc
	s_cbranch_execz .LBB127_373
; %bb.372:
	scratch_load_dwordx2 v[2:3], off, off offset:96
	v_mov_b32_e32 v4, 0
	v_mov_b32_e32 v5, v4
	scratch_store_dwordx2 off, v[4:5], off offset:96
	s_waitcnt vmcnt(1)
	ds_write_b64 v1, v[2:3]
.LBB127_373:
	s_or_b64 exec, exec, s[0:1]
	s_waitcnt lgkmcnt(0)
	; wave barrier
	scratch_load_dwordx4 v[6:9], off, off offset:104
	scratch_load_dwordx4 v[14:17], off, off offset:120
	scratch_load_dwordx4 v[22:25], off, off offset:136
	scratch_load_dwordx4 v[30:33], off, off offset:152
	scratch_load_dwordx4 v[38:41], off, off offset:168
	scratch_load_dwordx4 v[46:49], off, off offset:184
	scratch_load_dwordx4 v[54:57], off, off offset:200
	scratch_load_dwordx4 v[62:65], off, off offset:216
	scratch_load_dwordx4 v[70:73], off, off offset:232
	scratch_load_dwordx4 v[78:81], off, off offset:248
	v_mov_b32_e32 v142, 0
	ds_read2_b64 v[2:5], v142 offset0:77 offset1:78
	ds_read2_b64 v[186:189], v142 offset0:115 offset1:116
	scratch_load_dwordx4 v[86:89], off, off offset:264
	scratch_load_dwordx4 v[94:97], off, off offset:280
	;; [unrolled: 1-line block ×12, first 2 shown]
	v_cmp_lt_u32_e32 vcc, 11, v0
	ds_read2_b64 v[194:197], v142 offset0:117 offset1:118
	ds_read2_b64 v[202:205], v142 offset0:119 offset1:120
	s_waitcnt vmcnt(21) lgkmcnt(3)
	v_mul_f32_e32 v10, v2, v7
	v_fmac_f32_e32 v10, v3, v6
	v_mul_f32_e32 v11, v4, v9
	v_add_f32_e32 v10, 0, v10
	v_fmac_f32_e32 v11, v5, v8
	v_add_f32_e32 v18, v10, v11
	ds_read2_b64 v[10:13], v142 offset0:79 offset1:80
	v_mul_f32_e32 v3, v3, v7
	v_fma_f32 v2, v2, v6, -v3
	v_mul_f32_e32 v3, v5, v9
	v_add_f32_e32 v2, 0, v2
	s_waitcnt vmcnt(20) lgkmcnt(0)
	v_mul_f32_e32 v19, v10, v15
	v_fmac_f32_e32 v19, v11, v14
	v_add_f32_e32 v18, v18, v19
	v_mul_f32_e32 v19, v12, v17
	v_fmac_f32_e32 v19, v13, v16
	v_add_f32_e32 v26, v18, v19
	ds_read2_b64 v[18:21], v142 offset0:81 offset1:82
	v_fma_f32 v3, v4, v8, -v3
	v_add_f32_e32 v2, v2, v3
	v_mul_f32_e32 v3, v11, v15
	v_fma_f32 v3, v10, v14, -v3
	s_waitcnt vmcnt(19) lgkmcnt(0)
	v_mul_f32_e32 v27, v18, v23
	v_fmac_f32_e32 v27, v19, v22
	v_add_f32_e32 v26, v26, v27
	v_mul_f32_e32 v27, v20, v25
	v_fmac_f32_e32 v27, v21, v24
	v_add_f32_e32 v34, v26, v27
	ds_read2_b64 v[26:29], v142 offset0:83 offset1:84
	v_add_f32_e32 v2, v2, v3
	v_mul_f32_e32 v3, v13, v17
	v_fma_f32 v3, v12, v16, -v3
	v_add_f32_e32 v2, v2, v3
	s_waitcnt vmcnt(18) lgkmcnt(0)
	v_mul_f32_e32 v35, v26, v31
	v_fmac_f32_e32 v35, v27, v30
	v_add_f32_e32 v34, v34, v35
	v_mul_f32_e32 v35, v28, v33
	v_fmac_f32_e32 v35, v29, v32
	v_add_f32_e32 v42, v34, v35
	ds_read2_b64 v[34:37], v142 offset0:85 offset1:86
	v_mul_f32_e32 v3, v19, v23
	v_fma_f32 v3, v18, v22, -v3
	v_add_f32_e32 v2, v2, v3
	v_mul_f32_e32 v3, v21, v25
	s_waitcnt vmcnt(17) lgkmcnt(0)
	v_mul_f32_e32 v43, v34, v39
	v_fmac_f32_e32 v43, v35, v38
	v_add_f32_e32 v42, v42, v43
	v_mul_f32_e32 v43, v36, v41
	v_fmac_f32_e32 v43, v37, v40
	v_add_f32_e32 v50, v42, v43
	ds_read2_b64 v[42:45], v142 offset0:87 offset1:88
	v_fma_f32 v3, v20, v24, -v3
	v_add_f32_e32 v2, v2, v3
	v_mul_f32_e32 v3, v27, v31
	v_fma_f32 v3, v26, v30, -v3
	s_waitcnt vmcnt(16) lgkmcnt(0)
	v_mul_f32_e32 v51, v42, v47
	v_fmac_f32_e32 v51, v43, v46
	v_add_f32_e32 v50, v50, v51
	v_mul_f32_e32 v51, v44, v49
	v_fmac_f32_e32 v51, v45, v48
	v_add_f32_e32 v58, v50, v51
	ds_read2_b64 v[50:53], v142 offset0:89 offset1:90
	v_add_f32_e32 v2, v2, v3
	v_mul_f32_e32 v3, v29, v33
	v_fma_f32 v3, v28, v32, -v3
	v_add_f32_e32 v2, v2, v3
	s_waitcnt vmcnt(15) lgkmcnt(0)
	v_mul_f32_e32 v59, v50, v55
	v_fmac_f32_e32 v59, v51, v54
	v_add_f32_e32 v58, v58, v59
	v_mul_f32_e32 v59, v52, v57
	v_fmac_f32_e32 v59, v53, v56
	v_add_f32_e32 v66, v58, v59
	ds_read2_b64 v[58:61], v142 offset0:91 offset1:92
	v_mul_f32_e32 v3, v35, v39
	v_fma_f32 v3, v34, v38, -v3
	v_add_f32_e32 v2, v2, v3
	v_mul_f32_e32 v3, v37, v41
	;; [unrolled: 36-line block ×5, first 2 shown]
	s_waitcnt vmcnt(5) lgkmcnt(0)
	v_mul_f32_e32 v139, v130, v135
	v_fmac_f32_e32 v139, v131, v134
	v_add_f32_e32 v138, v138, v139
	v_mul_f32_e32 v139, v132, v137
	v_fmac_f32_e32 v139, v133, v136
	v_add_f32_e32 v143, v138, v139
	ds_read2_b64 v[138:141], v142 offset0:111 offset1:112
	v_fma_f32 v3, v84, v88, -v3
	v_add_f32_e32 v2, v2, v3
	v_mul_f32_e32 v3, v91, v95
	v_fma_f32 v3, v90, v94, -v3
	s_waitcnt vmcnt(4) lgkmcnt(0)
	v_mul_f32_e32 v148, v138, v145
	v_fmac_f32_e32 v148, v139, v144
	v_add_f32_e32 v143, v143, v148
	v_mul_f32_e32 v148, v140, v147
	v_fmac_f32_e32 v148, v141, v146
	v_add_f32_e32 v143, v143, v148
	ds_read2_b64 v[148:151], v142 offset0:113 offset1:114
	scratch_load_dwordx4 v[210:213], off, off offset:456
	scratch_load_dwordx4 v[214:217], off, off offset:472
	;; [unrolled: 1-line block ×3, first 2 shown]
	scratch_load_dwordx2 v[164:165], off, off offset:504
	v_add_f32_e32 v2, v2, v3
	v_mul_f32_e32 v3, v93, v97
	v_fma_f32 v3, v92, v96, -v3
	v_add_f32_e32 v2, v2, v3
	v_mul_f32_e32 v3, v99, v103
	v_fma_f32 v3, v98, v102, -v3
	;; [unrolled: 3-line block ×13, first 2 shown]
	s_waitcnt vmcnt(7) lgkmcnt(0)
	v_mul_f32_e32 v158, v148, v153
	v_add_f32_e32 v2, v2, v3
	v_mul_f32_e32 v3, v149, v153
	v_fmac_f32_e32 v158, v149, v152
	v_fma_f32 v3, v148, v152, -v3
	v_add_f32_e32 v143, v143, v158
	v_mul_f32_e32 v158, v150, v155
	v_add_f32_e32 v2, v2, v3
	v_mul_f32_e32 v3, v151, v155
	v_fmac_f32_e32 v158, v151, v154
	v_fma_f32 v3, v150, v154, -v3
	v_add_f32_e32 v143, v143, v158
	s_waitcnt vmcnt(6)
	v_mul_f32_e32 v158, v186, v191
	v_add_f32_e32 v2, v2, v3
	v_mul_f32_e32 v3, v187, v191
	v_fmac_f32_e32 v158, v187, v190
	v_fma_f32 v3, v186, v190, -v3
	v_add_f32_e32 v143, v143, v158
	v_mul_f32_e32 v158, v188, v193
	v_add_f32_e32 v2, v2, v3
	v_mul_f32_e32 v3, v189, v193
	v_fmac_f32_e32 v158, v189, v192
	v_fma_f32 v3, v188, v192, -v3
	v_add_f32_e32 v143, v143, v158
	s_waitcnt vmcnt(5)
	v_mul_f32_e32 v158, v194, v199
	v_add_f32_e32 v2, v2, v3
	v_mul_f32_e32 v3, v195, v199
	v_fmac_f32_e32 v158, v195, v198
	v_fma_f32 v3, v194, v198, -v3
	v_add_f32_e32 v159, v143, v158
	v_add_f32_e32 v158, v2, v3
	v_mul_f32_e32 v2, v197, v201
	v_mul_f32_e32 v161, v196, v201
	v_fma_f32 v160, v196, v200, -v2
	s_waitcnt vmcnt(4)
	v_mul_f32_e32 v2, v203, v207
	v_mov_b32_e32 v18, v209
	v_fmac_f32_e32 v161, v197, v200
	v_mul_f32_e32 v163, v202, v207
	v_fma_f32 v162, v202, v206, -v2
	ds_read2_b64 v[2:5], v142 offset0:121 offset1:122
	ds_read2_b64 v[6:9], v142 offset0:123 offset1:124
	;; [unrolled: 1-line block ×3, first 2 shown]
	ds_read_b64 v[14:15], v142 offset:1016
	v_pk_mul_f32 v[18:19], v[204:205], v[18:19] op_sel:[1,0] op_sel_hi:[0,0]
	v_fmac_f32_e32 v163, v203, v206
	v_pk_add_f32 v[16:17], v[158:159], v[160:161]
	v_pk_fma_f32 v[20:21], v[204:205], v[208:209], v[18:19] neg_lo:[0,0,1] neg_hi:[0,0,1]
	v_pk_fma_f32 v[18:19], v[204:205], v[208:209], v[18:19] op_sel_hi:[1,0,1]
	v_pk_add_f32 v[16:17], v[16:17], v[162:163]
	v_mov_b32_e32 v21, v19
	s_waitcnt vmcnt(3) lgkmcnt(3)
	v_pk_mul_f32 v[18:19], v[2:3], v[210:211] op_sel:[1,1] op_sel_hi:[0,1]
	v_pk_add_f32 v[16:17], v[16:17], v[20:21]
	v_pk_fma_f32 v[20:21], v[2:3], v[210:211], v[18:19] neg_lo:[0,0,1] neg_hi:[0,0,1]
	v_pk_fma_f32 v[2:3], v[2:3], v[210:211], v[18:19] op_sel_hi:[1,0,1]
	s_nop 0
	v_mov_b32_e32 v21, v3
	v_pk_add_f32 v[2:3], v[16:17], v[20:21]
	v_mov_b32_e32 v16, v213
	v_pk_mul_f32 v[16:17], v[4:5], v[16:17] op_sel:[1,0] op_sel_hi:[0,0]
	v_pk_fma_f32 v[18:19], v[4:5], v[212:213], v[16:17] neg_lo:[0,0,1] neg_hi:[0,0,1]
	v_pk_fma_f32 v[4:5], v[4:5], v[212:213], v[16:17] op_sel_hi:[1,0,1]
	s_nop 0
	v_mov_b32_e32 v19, v5
	s_waitcnt vmcnt(2) lgkmcnt(2)
	v_pk_mul_f32 v[4:5], v[6:7], v[214:215] op_sel:[1,1] op_sel_hi:[0,1]
	v_pk_fma_f32 v[16:17], v[6:7], v[214:215], v[4:5] neg_lo:[0,0,1] neg_hi:[0,0,1]
	v_pk_fma_f32 v[4:5], v[6:7], v[214:215], v[4:5] op_sel_hi:[1,0,1]
	v_pk_add_f32 v[2:3], v[2:3], v[18:19]
	v_mov_b32_e32 v4, v217
	v_mov_b32_e32 v17, v5
	v_pk_mul_f32 v[4:5], v[8:9], v[4:5] op_sel:[1,0] op_sel_hi:[0,0]
	v_pk_fma_f32 v[6:7], v[8:9], v[216:217], v[4:5] neg_lo:[0,0,1] neg_hi:[0,0,1]
	v_pk_fma_f32 v[4:5], v[8:9], v[216:217], v[4:5] op_sel_hi:[1,0,1]
	v_pk_add_f32 v[2:3], v[2:3], v[16:17]
	v_mov_b32_e32 v7, v5
	s_waitcnt vmcnt(1) lgkmcnt(1)
	v_pk_mul_f32 v[4:5], v[10:11], v[218:219] op_sel:[1,1] op_sel_hi:[0,1]
	v_pk_add_f32 v[2:3], v[2:3], v[6:7]
	v_pk_fma_f32 v[6:7], v[10:11], v[218:219], v[4:5] neg_lo:[0,0,1] neg_hi:[0,0,1]
	v_pk_fma_f32 v[4:5], v[10:11], v[218:219], v[4:5] op_sel_hi:[1,0,1]
	s_nop 0
	v_mov_b32_e32 v4, v221
	v_mov_b32_e32 v7, v5
	v_pk_mul_f32 v[4:5], v[12:13], v[4:5] op_sel:[1,0] op_sel_hi:[0,0]
	v_pk_add_f32 v[2:3], v[2:3], v[6:7]
	v_pk_fma_f32 v[6:7], v[12:13], v[220:221], v[4:5] neg_lo:[0,0,1] neg_hi:[0,0,1]
	v_pk_fma_f32 v[4:5], v[12:13], v[220:221], v[4:5] op_sel_hi:[1,0,1]
	s_nop 0
	v_mov_b32_e32 v7, v5
	s_waitcnt vmcnt(0) lgkmcnt(0)
	v_pk_mul_f32 v[4:5], v[14:15], v[164:165] op_sel:[1,1] op_sel_hi:[0,1]
	v_pk_add_f32 v[2:3], v[2:3], v[6:7]
	v_pk_fma_f32 v[6:7], v[14:15], v[164:165], v[4:5] neg_lo:[0,0,1] neg_hi:[0,0,1]
	v_pk_fma_f32 v[4:5], v[14:15], v[164:165], v[4:5] op_sel_hi:[1,0,1]
	s_nop 0
	v_mov_b32_e32 v7, v5
	scratch_load_dwordx2 v[4:5], off, off offset:96
	v_pk_add_f32 v[2:3], v[2:3], v[6:7]
	s_waitcnt vmcnt(0)
	v_pk_add_f32 v[2:3], v[4:5], v[2:3] neg_lo:[0,1] neg_hi:[0,1]
	scratch_store_dwordx2 off, v[2:3], off offset:96
	s_and_saveexec_b64 s[0:1], vcc
	s_cbranch_execz .LBB127_375
; %bb.374:
	scratch_load_dwordx2 v[2:3], off, off offset:88
	v_mov_b32_e32 v143, v142
	scratch_store_dwordx2 off, v[142:143], off offset:88
	s_waitcnt vmcnt(1)
	ds_write_b64 v1, v[2:3]
.LBB127_375:
	s_or_b64 exec, exec, s[0:1]
	s_waitcnt lgkmcnt(0)
	; wave barrier
	ds_read_b128 v[14:17], v142 offset:608
	ds_read_b128 v[10:13], v142 offset:624
	;; [unrolled: 1-line block ×4, first 2 shown]
	scratch_load_dwordx4 v[18:21], off, off offset:96
	scratch_load_dwordx4 v[38:41], off, off offset:160
	;; [unrolled: 1-line block ×16, first 2 shown]
	v_cmp_lt_u32_e32 vcc, 10, v0
	scratch_load_dwordx4 v[46:49], off, off offset:176
	scratch_load_dwordx4 v[54:57], off, off offset:192
	;; [unrolled: 1-line block ×3, first 2 shown]
	ds_read_b128 v[186:189], v142 offset:912
	ds_read_b128 v[194:197], v142 offset:928
	;; [unrolled: 1-line block ×3, first 2 shown]
	s_waitcnt vmcnt(18) lgkmcnt(6)
	v_mul_f32_e32 v22, v14, v19
	v_fmac_f32_e32 v22, v15, v18
	v_mul_f32_e32 v23, v16, v21
	v_add_f32_e32 v22, 0, v22
	v_fmac_f32_e32 v23, v17, v20
	v_add_f32_e32 v26, v22, v23
	scratch_load_dwordx4 v[22:25], off, off offset:112
	v_mul_f32_e32 v15, v15, v19
	v_fma_f32 v14, v14, v18, -v15
	v_mul_f32_e32 v15, v17, v21
	v_add_f32_e32 v14, 0, v14
	v_fma_f32 v15, v16, v20, -v15
	v_add_f32_e32 v14, v14, v15
	s_waitcnt vmcnt(4) lgkmcnt(0)
	v_mul_f32_e32 v161, v202, v207
	v_mul_f32_e32 v163, v204, v209
	v_fmac_f32_e32 v161, v203, v206
	v_fmac_f32_e32 v163, v205, v208
	s_waitcnt vmcnt(0)
	v_mul_f32_e32 v27, v10, v23
	v_fmac_f32_e32 v27, v11, v22
	v_add_f32_e32 v26, v26, v27
	v_mul_f32_e32 v27, v12, v25
	v_fmac_f32_e32 v27, v13, v24
	v_add_f32_e32 v30, v26, v27
	scratch_load_dwordx4 v[26:29], off, off offset:128
	v_mul_f32_e32 v11, v11, v23
	v_fma_f32 v10, v10, v22, -v11
	v_mul_f32_e32 v11, v13, v25
	v_add_f32_e32 v10, v14, v10
	v_fma_f32 v11, v12, v24, -v11
	v_add_f32_e32 v10, v10, v11
	s_waitcnt vmcnt(0)
	v_mul_f32_e32 v31, v6, v27
	v_fmac_f32_e32 v31, v7, v26
	v_add_f32_e32 v30, v30, v31
	v_mul_f32_e32 v31, v8, v29
	v_fmac_f32_e32 v31, v9, v28
	v_add_f32_e32 v34, v30, v31
	scratch_load_dwordx4 v[30:33], off, off offset:144
	v_mul_f32_e32 v7, v7, v27
	v_fma_f32 v6, v6, v26, -v7
	v_mul_f32_e32 v7, v9, v29
	v_add_f32_e32 v6, v10, v6
	v_fma_f32 v7, v8, v28, -v7
	v_add_f32_e32 v6, v6, v7
	s_waitcnt vmcnt(0)
	v_mul_f32_e32 v35, v2, v31
	v_fmac_f32_e32 v35, v3, v30
	v_add_f32_e32 v34, v34, v35
	v_mul_f32_e32 v35, v4, v33
	v_fmac_f32_e32 v35, v5, v32
	v_add_f32_e32 v42, v34, v35
	ds_read_b128 v[34:37], v142 offset:672
	v_mul_f32_e32 v3, v3, v31
	v_fma_f32 v2, v2, v30, -v3
	v_mul_f32_e32 v3, v5, v33
	v_add_f32_e32 v2, v6, v2
	s_waitcnt lgkmcnt(0)
	v_mul_f32_e32 v43, v34, v39
	v_fmac_f32_e32 v43, v35, v38
	v_add_f32_e32 v42, v42, v43
	v_mul_f32_e32 v43, v36, v41
	v_fmac_f32_e32 v43, v37, v40
	v_add_f32_e32 v50, v42, v43
	ds_read_b128 v[42:45], v142 offset:688
	v_fma_f32 v3, v4, v32, -v3
	v_add_f32_e32 v2, v2, v3
	v_mul_f32_e32 v3, v35, v39
	v_fma_f32 v3, v34, v38, -v3
	s_waitcnt lgkmcnt(0)
	v_mul_f32_e32 v51, v42, v47
	v_fmac_f32_e32 v51, v43, v46
	v_add_f32_e32 v50, v50, v51
	v_mul_f32_e32 v51, v44, v49
	v_fmac_f32_e32 v51, v45, v48
	v_add_f32_e32 v58, v50, v51
	ds_read_b128 v[50:53], v142 offset:704
	v_add_f32_e32 v2, v2, v3
	v_mul_f32_e32 v3, v37, v41
	v_fma_f32 v3, v36, v40, -v3
	v_add_f32_e32 v2, v2, v3
	s_waitcnt lgkmcnt(0)
	v_mul_f32_e32 v59, v50, v55
	v_fmac_f32_e32 v59, v51, v54
	v_add_f32_e32 v58, v58, v59
	v_mul_f32_e32 v59, v52, v57
	v_fmac_f32_e32 v59, v53, v56
	v_add_f32_e32 v66, v58, v59
	ds_read_b128 v[58:61], v142 offset:720
	v_mul_f32_e32 v3, v43, v47
	v_fma_f32 v3, v42, v46, -v3
	v_add_f32_e32 v2, v2, v3
	v_mul_f32_e32 v3, v45, v49
	s_waitcnt lgkmcnt(0)
	v_mul_f32_e32 v67, v58, v63
	v_fmac_f32_e32 v67, v59, v62
	v_add_f32_e32 v66, v66, v67
	v_mul_f32_e32 v67, v60, v65
	v_fmac_f32_e32 v67, v61, v64
	v_add_f32_e32 v74, v66, v67
	ds_read_b128 v[66:69], v142 offset:736
	v_fma_f32 v3, v44, v48, -v3
	v_add_f32_e32 v2, v2, v3
	v_mul_f32_e32 v3, v51, v55
	v_fma_f32 v3, v50, v54, -v3
	s_waitcnt lgkmcnt(0)
	v_mul_f32_e32 v75, v66, v71
	v_fmac_f32_e32 v75, v67, v70
	v_add_f32_e32 v74, v74, v75
	v_mul_f32_e32 v75, v68, v73
	v_fmac_f32_e32 v75, v69, v72
	v_add_f32_e32 v82, v74, v75
	ds_read_b128 v[74:77], v142 offset:752
	v_add_f32_e32 v2, v2, v3
	v_mul_f32_e32 v3, v53, v57
	v_fma_f32 v3, v52, v56, -v3
	v_add_f32_e32 v2, v2, v3
	s_waitcnt lgkmcnt(0)
	v_mul_f32_e32 v83, v74, v79
	v_fmac_f32_e32 v83, v75, v78
	v_add_f32_e32 v82, v82, v83
	v_mul_f32_e32 v83, v76, v81
	v_fmac_f32_e32 v83, v77, v80
	v_add_f32_e32 v90, v82, v83
	ds_read_b128 v[82:85], v142 offset:768
	v_mul_f32_e32 v3, v59, v63
	v_fma_f32 v3, v58, v62, -v3
	v_add_f32_e32 v2, v2, v3
	v_mul_f32_e32 v3, v61, v65
	;; [unrolled: 36-line block ×4, first 2 shown]
	s_waitcnt lgkmcnt(0)
	v_mul_f32_e32 v139, v130, v135
	v_fmac_f32_e32 v139, v131, v134
	v_add_f32_e32 v138, v138, v139
	v_mul_f32_e32 v139, v132, v137
	v_fmac_f32_e32 v139, v133, v136
	v_add_f32_e32 v143, v138, v139
	ds_read_b128 v[138:141], v142 offset:880
	v_fma_f32 v3, v92, v96, -v3
	v_add_f32_e32 v2, v2, v3
	v_mul_f32_e32 v3, v99, v103
	v_fma_f32 v3, v98, v102, -v3
	s_waitcnt lgkmcnt(0)
	v_mul_f32_e32 v148, v138, v145
	v_fmac_f32_e32 v148, v139, v144
	v_add_f32_e32 v143, v143, v148
	v_mul_f32_e32 v148, v140, v147
	v_fmac_f32_e32 v148, v141, v146
	v_add_f32_e32 v143, v143, v148
	ds_read_b128 v[148:151], v142 offset:896
	scratch_load_dwordx4 v[210:213], off, off offset:448
	scratch_load_dwordx4 v[214:217], off, off offset:464
	;; [unrolled: 1-line block ×4, first 2 shown]
	v_add_f32_e32 v2, v2, v3
	v_mul_f32_e32 v3, v101, v105
	v_fma_f32 v3, v100, v104, -v3
	v_add_f32_e32 v2, v2, v3
	v_mul_f32_e32 v3, v107, v111
	v_fma_f32 v3, v106, v110, -v3
	;; [unrolled: 3-line block ×11, first 2 shown]
	s_waitcnt lgkmcnt(0)
	v_mul_f32_e32 v158, v148, v153
	v_add_f32_e32 v2, v2, v3
	v_mul_f32_e32 v3, v149, v153
	v_fmac_f32_e32 v158, v149, v152
	v_fma_f32 v3, v148, v152, -v3
	v_add_f32_e32 v143, v143, v158
	v_mul_f32_e32 v158, v150, v155
	v_add_f32_e32 v2, v2, v3
	v_mul_f32_e32 v3, v151, v155
	v_fmac_f32_e32 v158, v151, v154
	v_fma_f32 v3, v150, v154, -v3
	v_add_f32_e32 v143, v143, v158
	;; [unrolled: 6-line block ×6, first 2 shown]
	v_add_f32_e32 v158, v2, v3
	v_mul_f32_e32 v2, v203, v207
	v_fma_f32 v160, v202, v206, -v2
	v_mul_f32_e32 v2, v205, v209
	v_fma_f32 v162, v204, v208, -v2
	ds_read_b128 v[2:5], v142 offset:960
	ds_read_b128 v[6:9], v142 offset:976
	;; [unrolled: 1-line block ×4, first 2 shown]
	v_pk_add_f32 v[18:19], v[158:159], v[160:161]
	s_waitcnt vmcnt(3) lgkmcnt(3)
	v_pk_mul_f32 v[20:21], v[2:3], v[210:211] op_sel:[1,1] op_sel_hi:[0,1]
	v_pk_fma_f32 v[22:23], v[2:3], v[210:211], v[20:21] neg_lo:[0,0,1] neg_hi:[0,0,1]
	v_pk_fma_f32 v[2:3], v[2:3], v[210:211], v[20:21] op_sel_hi:[1,0,1]
	v_pk_add_f32 v[18:19], v[18:19], v[162:163]
	v_mov_b32_e32 v23, v3
	v_pk_add_f32 v[2:3], v[18:19], v[22:23]
	v_mov_b32_e32 v18, v213
	v_pk_mul_f32 v[18:19], v[4:5], v[18:19] op_sel:[1,0] op_sel_hi:[0,0]
	v_pk_fma_f32 v[20:21], v[4:5], v[212:213], v[18:19] neg_lo:[0,0,1] neg_hi:[0,0,1]
	v_pk_fma_f32 v[4:5], v[4:5], v[212:213], v[18:19] op_sel_hi:[1,0,1]
	s_nop 0
	v_mov_b32_e32 v21, v5
	s_waitcnt vmcnt(2) lgkmcnt(2)
	v_pk_mul_f32 v[4:5], v[6:7], v[214:215] op_sel:[1,1] op_sel_hi:[0,1]
	v_pk_fma_f32 v[18:19], v[6:7], v[214:215], v[4:5] neg_lo:[0,0,1] neg_hi:[0,0,1]
	v_pk_fma_f32 v[4:5], v[6:7], v[214:215], v[4:5] op_sel_hi:[1,0,1]
	v_pk_add_f32 v[2:3], v[2:3], v[20:21]
	v_mov_b32_e32 v4, v217
	v_mov_b32_e32 v19, v5
	v_pk_mul_f32 v[4:5], v[8:9], v[4:5] op_sel:[1,0] op_sel_hi:[0,0]
	v_pk_fma_f32 v[6:7], v[8:9], v[216:217], v[4:5] neg_lo:[0,0,1] neg_hi:[0,0,1]
	v_pk_fma_f32 v[4:5], v[8:9], v[216:217], v[4:5] op_sel_hi:[1,0,1]
	v_pk_add_f32 v[2:3], v[2:3], v[18:19]
	v_mov_b32_e32 v7, v5
	s_waitcnt vmcnt(1) lgkmcnt(1)
	v_pk_mul_f32 v[4:5], v[10:11], v[218:219] op_sel:[1,1] op_sel_hi:[0,1]
	v_pk_add_f32 v[2:3], v[2:3], v[6:7]
	v_pk_fma_f32 v[6:7], v[10:11], v[218:219], v[4:5] neg_lo:[0,0,1] neg_hi:[0,0,1]
	v_pk_fma_f32 v[4:5], v[10:11], v[218:219], v[4:5] op_sel_hi:[1,0,1]
	s_nop 0
	v_mov_b32_e32 v4, v221
	v_mov_b32_e32 v7, v5
	v_pk_mul_f32 v[4:5], v[12:13], v[4:5] op_sel:[1,0] op_sel_hi:[0,0]
	v_pk_add_f32 v[2:3], v[2:3], v[6:7]
	v_pk_fma_f32 v[6:7], v[12:13], v[220:221], v[4:5] neg_lo:[0,0,1] neg_hi:[0,0,1]
	v_pk_fma_f32 v[4:5], v[12:13], v[220:221], v[4:5] op_sel_hi:[1,0,1]
	s_nop 0
	v_mov_b32_e32 v7, v5
	s_waitcnt vmcnt(0) lgkmcnt(0)
	v_pk_mul_f32 v[4:5], v[14:15], v[222:223] op_sel:[1,1] op_sel_hi:[0,1]
	v_pk_add_f32 v[2:3], v[2:3], v[6:7]
	v_pk_fma_f32 v[6:7], v[14:15], v[222:223], v[4:5] neg_lo:[0,0,1] neg_hi:[0,0,1]
	v_pk_fma_f32 v[4:5], v[14:15], v[222:223], v[4:5] op_sel_hi:[1,0,1]
	s_nop 0
	v_mov_b32_e32 v4, v225
	v_mov_b32_e32 v7, v5
	v_pk_mul_f32 v[4:5], v[16:17], v[4:5] op_sel:[1,0] op_sel_hi:[0,0]
	v_pk_add_f32 v[2:3], v[2:3], v[6:7]
	v_pk_fma_f32 v[6:7], v[16:17], v[224:225], v[4:5] neg_lo:[0,0,1] neg_hi:[0,0,1]
	v_pk_fma_f32 v[4:5], v[16:17], v[224:225], v[4:5] op_sel_hi:[1,0,1]
	s_nop 0
	v_mov_b32_e32 v7, v5
	scratch_load_dwordx2 v[4:5], off, off offset:88
	v_pk_add_f32 v[2:3], v[2:3], v[6:7]
	s_waitcnt vmcnt(0)
	v_pk_add_f32 v[2:3], v[4:5], v[2:3] neg_lo:[0,1] neg_hi:[0,1]
	scratch_store_dwordx2 off, v[2:3], off offset:88
	s_and_saveexec_b64 s[0:1], vcc
	s_cbranch_execz .LBB127_377
; %bb.376:
	scratch_load_dwordx2 v[2:3], off, off offset:80
	v_mov_b32_e32 v4, 0
	v_mov_b32_e32 v5, v4
	scratch_store_dwordx2 off, v[4:5], off offset:80
	s_waitcnt vmcnt(1)
	ds_write_b64 v1, v[2:3]
.LBB127_377:
	s_or_b64 exec, exec, s[0:1]
	s_waitcnt lgkmcnt(0)
	; wave barrier
	scratch_load_dwordx4 v[6:9], off, off offset:88
	scratch_load_dwordx4 v[14:17], off, off offset:104
	;; [unrolled: 1-line block ×10, first 2 shown]
	v_mov_b32_e32 v150, 0
	ds_read2_b64 v[2:5], v150 offset0:75 offset1:76
	ds_read2_b64 v[186:189], v150 offset0:113 offset1:114
	scratch_load_dwordx4 v[86:89], off, off offset:248
	scratch_load_dwordx4 v[94:97], off, off offset:264
	scratch_load_dwordx4 v[102:105], off, off offset:280
	scratch_load_dwordx4 v[110:113], off, off offset:296
	scratch_load_dwordx4 v[118:121], off, off offset:312
	scratch_load_dwordx4 v[126:129], off, off offset:328
	scratch_load_dwordx4 v[134:137], off, off offset:344
	scratch_load_dwordx4 v[142:145], off, off offset:360
	scratch_load_dwordx4 v[152:155], off, off offset:376
	scratch_load_dwordx4 v[190:193], off, off offset:392
	scratch_load_dwordx4 v[198:201], off, off offset:408
	scratch_load_dwordx4 v[206:209], off, off offset:424
	scratch_load_dwordx4 v[214:217], off, off offset:440
	v_cmp_lt_u32_e32 vcc, 9, v0
	ds_read2_b64 v[194:197], v150 offset0:115 offset1:116
	ds_read2_b64 v[202:205], v150 offset0:117 offset1:118
	;; [unrolled: 1-line block ×3, first 2 shown]
	s_waitcnt vmcnt(22) lgkmcnt(4)
	v_mul_f32_e32 v10, v2, v7
	v_fmac_f32_e32 v10, v3, v6
	v_mul_f32_e32 v11, v4, v9
	v_add_f32_e32 v10, 0, v10
	v_fmac_f32_e32 v11, v5, v8
	v_add_f32_e32 v18, v10, v11
	ds_read2_b64 v[10:13], v150 offset0:77 offset1:78
	v_mul_f32_e32 v3, v3, v7
	v_fma_f32 v2, v2, v6, -v3
	v_mul_f32_e32 v3, v5, v9
	v_add_f32_e32 v2, 0, v2
	s_waitcnt vmcnt(21) lgkmcnt(0)
	v_mul_f32_e32 v19, v10, v15
	v_fmac_f32_e32 v19, v11, v14
	v_add_f32_e32 v18, v18, v19
	v_mul_f32_e32 v19, v12, v17
	v_fmac_f32_e32 v19, v13, v16
	v_add_f32_e32 v26, v18, v19
	ds_read2_b64 v[18:21], v150 offset0:79 offset1:80
	v_fma_f32 v3, v4, v8, -v3
	v_add_f32_e32 v2, v2, v3
	v_mul_f32_e32 v3, v11, v15
	v_fma_f32 v3, v10, v14, -v3
	s_waitcnt vmcnt(20) lgkmcnt(0)
	v_mul_f32_e32 v27, v18, v23
	v_fmac_f32_e32 v27, v19, v22
	v_add_f32_e32 v26, v26, v27
	v_mul_f32_e32 v27, v20, v25
	v_fmac_f32_e32 v27, v21, v24
	v_add_f32_e32 v34, v26, v27
	ds_read2_b64 v[26:29], v150 offset0:81 offset1:82
	v_add_f32_e32 v2, v2, v3
	v_mul_f32_e32 v3, v13, v17
	v_fma_f32 v3, v12, v16, -v3
	v_add_f32_e32 v2, v2, v3
	s_waitcnt vmcnt(19) lgkmcnt(0)
	v_mul_f32_e32 v35, v26, v31
	v_fmac_f32_e32 v35, v27, v30
	v_add_f32_e32 v34, v34, v35
	v_mul_f32_e32 v35, v28, v33
	v_fmac_f32_e32 v35, v29, v32
	v_add_f32_e32 v42, v34, v35
	ds_read2_b64 v[34:37], v150 offset0:83 offset1:84
	v_mul_f32_e32 v3, v19, v23
	v_fma_f32 v3, v18, v22, -v3
	v_add_f32_e32 v2, v2, v3
	v_mul_f32_e32 v3, v21, v25
	s_waitcnt vmcnt(18) lgkmcnt(0)
	v_mul_f32_e32 v43, v34, v39
	v_fmac_f32_e32 v43, v35, v38
	v_add_f32_e32 v42, v42, v43
	v_mul_f32_e32 v43, v36, v41
	v_fmac_f32_e32 v43, v37, v40
	v_add_f32_e32 v50, v42, v43
	ds_read2_b64 v[42:45], v150 offset0:85 offset1:86
	v_fma_f32 v3, v20, v24, -v3
	v_add_f32_e32 v2, v2, v3
	v_mul_f32_e32 v3, v27, v31
	v_fma_f32 v3, v26, v30, -v3
	s_waitcnt vmcnt(17) lgkmcnt(0)
	v_mul_f32_e32 v51, v42, v47
	v_fmac_f32_e32 v51, v43, v46
	v_add_f32_e32 v50, v50, v51
	v_mul_f32_e32 v51, v44, v49
	v_fmac_f32_e32 v51, v45, v48
	v_add_f32_e32 v58, v50, v51
	ds_read2_b64 v[50:53], v150 offset0:87 offset1:88
	v_add_f32_e32 v2, v2, v3
	v_mul_f32_e32 v3, v29, v33
	v_fma_f32 v3, v28, v32, -v3
	v_add_f32_e32 v2, v2, v3
	s_waitcnt vmcnt(16) lgkmcnt(0)
	v_mul_f32_e32 v59, v50, v55
	v_fmac_f32_e32 v59, v51, v54
	v_add_f32_e32 v58, v58, v59
	v_mul_f32_e32 v59, v52, v57
	v_fmac_f32_e32 v59, v53, v56
	v_add_f32_e32 v66, v58, v59
	ds_read2_b64 v[58:61], v150 offset0:89 offset1:90
	v_mul_f32_e32 v3, v35, v39
	v_fma_f32 v3, v34, v38, -v3
	v_add_f32_e32 v2, v2, v3
	v_mul_f32_e32 v3, v37, v41
	;; [unrolled: 36-line block ×5, first 2 shown]
	s_waitcnt vmcnt(6) lgkmcnt(0)
	v_mul_f32_e32 v139, v130, v135
	v_fmac_f32_e32 v139, v131, v134
	v_add_f32_e32 v138, v138, v139
	v_mul_f32_e32 v139, v132, v137
	v_fmac_f32_e32 v139, v133, v136
	v_add_f32_e32 v146, v138, v139
	ds_read2_b64 v[138:141], v150 offset0:109 offset1:110
	v_fma_f32 v3, v84, v88, -v3
	v_add_f32_e32 v2, v2, v3
	v_mul_f32_e32 v3, v91, v95
	v_fma_f32 v3, v90, v94, -v3
	s_waitcnt vmcnt(5) lgkmcnt(0)
	v_mul_f32_e32 v147, v138, v143
	v_fmac_f32_e32 v147, v139, v142
	v_add_f32_e32 v146, v146, v147
	v_mul_f32_e32 v147, v140, v145
	v_fmac_f32_e32 v147, v141, v144
	v_add_f32_e32 v151, v146, v147
	ds_read2_b64 v[146:149], v150 offset0:111 offset1:112
	scratch_load_dwordx4 v[218:221], off, off offset:456
	scratch_load_dwordx4 v[222:225], off, off offset:472
	;; [unrolled: 1-line block ×3, first 2 shown]
	scratch_load_dwordx2 v[164:165], off, off offset:504
	v_add_f32_e32 v2, v2, v3
	v_mul_f32_e32 v3, v93, v97
	v_fma_f32 v3, v92, v96, -v3
	v_add_f32_e32 v2, v2, v3
	v_mul_f32_e32 v3, v99, v103
	v_fma_f32 v3, v98, v102, -v3
	v_add_f32_e32 v2, v2, v3
	v_mul_f32_e32 v3, v101, v105
	v_fma_f32 v3, v100, v104, -v3
	v_add_f32_e32 v2, v2, v3
	v_mul_f32_e32 v3, v107, v111
	v_fma_f32 v3, v106, v110, -v3
	v_add_f32_e32 v2, v2, v3
	v_mul_f32_e32 v3, v109, v113
	v_fma_f32 v3, v108, v112, -v3
	v_add_f32_e32 v2, v2, v3
	v_mul_f32_e32 v3, v115, v119
	v_fma_f32 v3, v114, v118, -v3
	v_add_f32_e32 v2, v2, v3
	v_mul_f32_e32 v3, v117, v121
	v_fma_f32 v3, v116, v120, -v3
	v_add_f32_e32 v2, v2, v3
	v_mul_f32_e32 v3, v123, v127
	v_fma_f32 v3, v122, v126, -v3
	v_add_f32_e32 v2, v2, v3
	v_mul_f32_e32 v3, v125, v129
	v_fma_f32 v3, v124, v128, -v3
	v_add_f32_e32 v2, v2, v3
	v_mul_f32_e32 v3, v131, v135
	v_fma_f32 v3, v130, v134, -v3
	v_add_f32_e32 v2, v2, v3
	v_mul_f32_e32 v3, v133, v137
	v_fma_f32 v3, v132, v136, -v3
	v_add_f32_e32 v2, v2, v3
	v_mul_f32_e32 v3, v139, v143
	v_fma_f32 v3, v138, v142, -v3
	v_add_f32_e32 v2, v2, v3
	v_mul_f32_e32 v3, v141, v145
	v_fma_f32 v3, v140, v144, -v3
	s_waitcnt vmcnt(8) lgkmcnt(0)
	v_mul_f32_e32 v158, v146, v153
	v_add_f32_e32 v2, v2, v3
	v_mul_f32_e32 v3, v147, v153
	v_fmac_f32_e32 v158, v147, v152
	v_fma_f32 v3, v146, v152, -v3
	v_add_f32_e32 v151, v151, v158
	v_mul_f32_e32 v158, v148, v155
	v_add_f32_e32 v2, v2, v3
	v_mul_f32_e32 v3, v149, v155
	v_fmac_f32_e32 v158, v149, v154
	v_fma_f32 v3, v148, v154, -v3
	v_add_f32_e32 v151, v151, v158
	s_waitcnt vmcnt(7)
	v_mul_f32_e32 v158, v186, v191
	v_add_f32_e32 v2, v2, v3
	v_mul_f32_e32 v3, v187, v191
	v_fmac_f32_e32 v158, v187, v190
	v_fma_f32 v3, v186, v190, -v3
	v_add_f32_e32 v151, v151, v158
	v_mul_f32_e32 v158, v188, v193
	v_add_f32_e32 v2, v2, v3
	v_mul_f32_e32 v3, v189, v193
	v_fmac_f32_e32 v158, v189, v192
	v_fma_f32 v3, v188, v192, -v3
	v_add_f32_e32 v151, v151, v158
	s_waitcnt vmcnt(6)
	;; [unrolled: 13-line block ×3, first 2 shown]
	v_mul_f32_e32 v158, v202, v207
	v_add_f32_e32 v2, v2, v3
	v_mul_f32_e32 v3, v203, v207
	v_fmac_f32_e32 v158, v203, v206
	v_fma_f32 v3, v202, v206, -v3
	v_add_f32_e32 v159, v151, v158
	v_add_f32_e32 v158, v2, v3
	v_mul_f32_e32 v2, v205, v209
	v_mul_f32_e32 v161, v204, v209
	v_fma_f32 v160, v204, v208, -v2
	s_waitcnt vmcnt(4)
	v_mul_f32_e32 v2, v211, v215
	v_mov_b32_e32 v18, v217
	v_fmac_f32_e32 v161, v205, v208
	v_mul_f32_e32 v163, v210, v215
	v_fma_f32 v162, v210, v214, -v2
	ds_read2_b64 v[2:5], v150 offset0:121 offset1:122
	ds_read2_b64 v[6:9], v150 offset0:123 offset1:124
	;; [unrolled: 1-line block ×3, first 2 shown]
	ds_read_b64 v[14:15], v150 offset:1016
	v_pk_mul_f32 v[18:19], v[212:213], v[18:19] op_sel:[1,0] op_sel_hi:[0,0]
	v_fmac_f32_e32 v163, v211, v214
	v_pk_add_f32 v[16:17], v[158:159], v[160:161]
	v_pk_fma_f32 v[20:21], v[212:213], v[216:217], v[18:19] neg_lo:[0,0,1] neg_hi:[0,0,1]
	v_pk_fma_f32 v[18:19], v[212:213], v[216:217], v[18:19] op_sel_hi:[1,0,1]
	v_pk_add_f32 v[16:17], v[16:17], v[162:163]
	v_mov_b32_e32 v21, v19
	s_waitcnt vmcnt(3) lgkmcnt(3)
	v_pk_mul_f32 v[18:19], v[2:3], v[218:219] op_sel:[1,1] op_sel_hi:[0,1]
	v_pk_add_f32 v[16:17], v[16:17], v[20:21]
	v_pk_fma_f32 v[20:21], v[2:3], v[218:219], v[18:19] neg_lo:[0,0,1] neg_hi:[0,0,1]
	v_pk_fma_f32 v[2:3], v[2:3], v[218:219], v[18:19] op_sel_hi:[1,0,1]
	s_nop 0
	v_mov_b32_e32 v21, v3
	v_pk_add_f32 v[2:3], v[16:17], v[20:21]
	v_mov_b32_e32 v16, v221
	v_pk_mul_f32 v[16:17], v[4:5], v[16:17] op_sel:[1,0] op_sel_hi:[0,0]
	v_pk_fma_f32 v[18:19], v[4:5], v[220:221], v[16:17] neg_lo:[0,0,1] neg_hi:[0,0,1]
	v_pk_fma_f32 v[4:5], v[4:5], v[220:221], v[16:17] op_sel_hi:[1,0,1]
	s_nop 0
	v_mov_b32_e32 v19, v5
	s_waitcnt vmcnt(2) lgkmcnt(2)
	v_pk_mul_f32 v[4:5], v[6:7], v[222:223] op_sel:[1,1] op_sel_hi:[0,1]
	v_pk_fma_f32 v[16:17], v[6:7], v[222:223], v[4:5] neg_lo:[0,0,1] neg_hi:[0,0,1]
	v_pk_fma_f32 v[4:5], v[6:7], v[222:223], v[4:5] op_sel_hi:[1,0,1]
	v_pk_add_f32 v[2:3], v[2:3], v[18:19]
	v_mov_b32_e32 v4, v225
	v_mov_b32_e32 v17, v5
	v_pk_mul_f32 v[4:5], v[8:9], v[4:5] op_sel:[1,0] op_sel_hi:[0,0]
	v_pk_fma_f32 v[6:7], v[8:9], v[224:225], v[4:5] neg_lo:[0,0,1] neg_hi:[0,0,1]
	v_pk_fma_f32 v[4:5], v[8:9], v[224:225], v[4:5] op_sel_hi:[1,0,1]
	v_pk_add_f32 v[2:3], v[2:3], v[16:17]
	v_mov_b32_e32 v7, v5
	s_waitcnt vmcnt(1) lgkmcnt(1)
	v_pk_mul_f32 v[4:5], v[10:11], v[226:227] op_sel:[1,1] op_sel_hi:[0,1]
	v_pk_add_f32 v[2:3], v[2:3], v[6:7]
	v_pk_fma_f32 v[6:7], v[10:11], v[226:227], v[4:5] neg_lo:[0,0,1] neg_hi:[0,0,1]
	v_pk_fma_f32 v[4:5], v[10:11], v[226:227], v[4:5] op_sel_hi:[1,0,1]
	s_nop 0
	v_mov_b32_e32 v4, v229
	v_mov_b32_e32 v7, v5
	v_pk_mul_f32 v[4:5], v[12:13], v[4:5] op_sel:[1,0] op_sel_hi:[0,0]
	v_pk_add_f32 v[2:3], v[2:3], v[6:7]
	v_pk_fma_f32 v[6:7], v[12:13], v[228:229], v[4:5] neg_lo:[0,0,1] neg_hi:[0,0,1]
	v_pk_fma_f32 v[4:5], v[12:13], v[228:229], v[4:5] op_sel_hi:[1,0,1]
	s_nop 0
	v_mov_b32_e32 v7, v5
	s_waitcnt vmcnt(0) lgkmcnt(0)
	v_pk_mul_f32 v[4:5], v[14:15], v[164:165] op_sel:[1,1] op_sel_hi:[0,1]
	v_pk_add_f32 v[2:3], v[2:3], v[6:7]
	v_pk_fma_f32 v[6:7], v[14:15], v[164:165], v[4:5] neg_lo:[0,0,1] neg_hi:[0,0,1]
	v_pk_fma_f32 v[4:5], v[14:15], v[164:165], v[4:5] op_sel_hi:[1,0,1]
	s_nop 0
	v_mov_b32_e32 v7, v5
	scratch_load_dwordx2 v[4:5], off, off offset:80
	v_pk_add_f32 v[2:3], v[2:3], v[6:7]
	s_waitcnt vmcnt(0)
	v_pk_add_f32 v[2:3], v[4:5], v[2:3] neg_lo:[0,1] neg_hi:[0,1]
	scratch_store_dwordx2 off, v[2:3], off offset:80
	s_and_saveexec_b64 s[0:1], vcc
	s_cbranch_execz .LBB127_379
; %bb.378:
	scratch_load_dwordx2 v[2:3], off, off offset:72
	v_mov_b32_e32 v151, v150
	scratch_store_dwordx2 off, v[150:151], off offset:72
	s_waitcnt vmcnt(1)
	ds_write_b64 v1, v[2:3]
.LBB127_379:
	s_or_b64 exec, exec, s[0:1]
	s_waitcnt lgkmcnt(0)
	; wave barrier
	ds_read_b128 v[14:17], v150 offset:592
	ds_read_b128 v[10:13], v150 offset:608
	;; [unrolled: 1-line block ×4, first 2 shown]
	scratch_load_dwordx4 v[18:21], off, off offset:80
	scratch_load_dwordx4 v[38:41], off, off offset:144
	;; [unrolled: 1-line block ×17, first 2 shown]
	v_cmp_lt_u32_e32 vcc, 8, v0
	scratch_load_dwordx4 v[46:49], off, off offset:160
	scratch_load_dwordx4 v[54:57], off, off offset:176
	;; [unrolled: 1-line block ×3, first 2 shown]
	ds_read_b128 v[186:189], v150 offset:896
	ds_read_b128 v[194:197], v150 offset:912
	;; [unrolled: 1-line block ×4, first 2 shown]
	s_waitcnt vmcnt(19) lgkmcnt(7)
	v_mul_f32_e32 v22, v14, v19
	v_fmac_f32_e32 v22, v15, v18
	v_mul_f32_e32 v23, v16, v21
	v_add_f32_e32 v22, 0, v22
	v_fmac_f32_e32 v23, v17, v20
	v_add_f32_e32 v26, v22, v23
	scratch_load_dwordx4 v[22:25], off, off offset:96
	v_mul_f32_e32 v15, v15, v19
	v_fma_f32 v14, v14, v18, -v15
	v_mul_f32_e32 v15, v17, v21
	v_add_f32_e32 v14, 0, v14
	v_fma_f32 v15, v16, v20, -v15
	v_add_f32_e32 v14, v14, v15
	s_waitcnt vmcnt(4) lgkmcnt(0)
	v_mul_f32_e32 v161, v210, v215
	v_mul_f32_e32 v163, v212, v217
	v_fmac_f32_e32 v161, v211, v214
	v_fmac_f32_e32 v163, v213, v216
	s_waitcnt vmcnt(0)
	v_mul_f32_e32 v27, v10, v23
	v_fmac_f32_e32 v27, v11, v22
	v_add_f32_e32 v26, v26, v27
	v_mul_f32_e32 v27, v12, v25
	v_fmac_f32_e32 v27, v13, v24
	v_add_f32_e32 v30, v26, v27
	scratch_load_dwordx4 v[26:29], off, off offset:112
	v_mul_f32_e32 v11, v11, v23
	v_fma_f32 v10, v10, v22, -v11
	v_mul_f32_e32 v11, v13, v25
	v_add_f32_e32 v10, v14, v10
	v_fma_f32 v11, v12, v24, -v11
	v_add_f32_e32 v10, v10, v11
	s_waitcnt vmcnt(0)
	v_mul_f32_e32 v31, v6, v27
	v_fmac_f32_e32 v31, v7, v26
	v_add_f32_e32 v30, v30, v31
	v_mul_f32_e32 v31, v8, v29
	v_fmac_f32_e32 v31, v9, v28
	v_add_f32_e32 v34, v30, v31
	scratch_load_dwordx4 v[30:33], off, off offset:128
	v_mul_f32_e32 v7, v7, v27
	v_fma_f32 v6, v6, v26, -v7
	v_mul_f32_e32 v7, v9, v29
	v_add_f32_e32 v6, v10, v6
	v_fma_f32 v7, v8, v28, -v7
	v_add_f32_e32 v6, v6, v7
	s_waitcnt vmcnt(0)
	v_mul_f32_e32 v35, v2, v31
	v_fmac_f32_e32 v35, v3, v30
	v_add_f32_e32 v34, v34, v35
	v_mul_f32_e32 v35, v4, v33
	v_fmac_f32_e32 v35, v5, v32
	v_add_f32_e32 v42, v34, v35
	ds_read_b128 v[34:37], v150 offset:656
	v_mul_f32_e32 v3, v3, v31
	v_fma_f32 v2, v2, v30, -v3
	v_mul_f32_e32 v3, v5, v33
	v_add_f32_e32 v2, v6, v2
	s_waitcnt lgkmcnt(0)
	v_mul_f32_e32 v43, v34, v39
	v_fmac_f32_e32 v43, v35, v38
	v_add_f32_e32 v42, v42, v43
	v_mul_f32_e32 v43, v36, v41
	v_fmac_f32_e32 v43, v37, v40
	v_add_f32_e32 v50, v42, v43
	ds_read_b128 v[42:45], v150 offset:672
	v_fma_f32 v3, v4, v32, -v3
	v_add_f32_e32 v2, v2, v3
	v_mul_f32_e32 v3, v35, v39
	v_fma_f32 v3, v34, v38, -v3
	s_waitcnt lgkmcnt(0)
	v_mul_f32_e32 v51, v42, v47
	v_fmac_f32_e32 v51, v43, v46
	v_add_f32_e32 v50, v50, v51
	v_mul_f32_e32 v51, v44, v49
	v_fmac_f32_e32 v51, v45, v48
	v_add_f32_e32 v58, v50, v51
	ds_read_b128 v[50:53], v150 offset:688
	v_add_f32_e32 v2, v2, v3
	v_mul_f32_e32 v3, v37, v41
	v_fma_f32 v3, v36, v40, -v3
	v_add_f32_e32 v2, v2, v3
	s_waitcnt lgkmcnt(0)
	v_mul_f32_e32 v59, v50, v55
	v_fmac_f32_e32 v59, v51, v54
	v_add_f32_e32 v58, v58, v59
	v_mul_f32_e32 v59, v52, v57
	v_fmac_f32_e32 v59, v53, v56
	v_add_f32_e32 v66, v58, v59
	ds_read_b128 v[58:61], v150 offset:704
	v_mul_f32_e32 v3, v43, v47
	v_fma_f32 v3, v42, v46, -v3
	v_add_f32_e32 v2, v2, v3
	v_mul_f32_e32 v3, v45, v49
	s_waitcnt lgkmcnt(0)
	v_mul_f32_e32 v67, v58, v63
	v_fmac_f32_e32 v67, v59, v62
	v_add_f32_e32 v66, v66, v67
	v_mul_f32_e32 v67, v60, v65
	v_fmac_f32_e32 v67, v61, v64
	v_add_f32_e32 v74, v66, v67
	ds_read_b128 v[66:69], v150 offset:720
	v_fma_f32 v3, v44, v48, -v3
	v_add_f32_e32 v2, v2, v3
	v_mul_f32_e32 v3, v51, v55
	v_fma_f32 v3, v50, v54, -v3
	s_waitcnt lgkmcnt(0)
	v_mul_f32_e32 v75, v66, v71
	v_fmac_f32_e32 v75, v67, v70
	v_add_f32_e32 v74, v74, v75
	v_mul_f32_e32 v75, v68, v73
	v_fmac_f32_e32 v75, v69, v72
	v_add_f32_e32 v82, v74, v75
	ds_read_b128 v[74:77], v150 offset:736
	v_add_f32_e32 v2, v2, v3
	v_mul_f32_e32 v3, v53, v57
	v_fma_f32 v3, v52, v56, -v3
	v_add_f32_e32 v2, v2, v3
	s_waitcnt lgkmcnt(0)
	v_mul_f32_e32 v83, v74, v79
	v_fmac_f32_e32 v83, v75, v78
	v_add_f32_e32 v82, v82, v83
	v_mul_f32_e32 v83, v76, v81
	v_fmac_f32_e32 v83, v77, v80
	v_add_f32_e32 v90, v82, v83
	ds_read_b128 v[82:85], v150 offset:752
	v_mul_f32_e32 v3, v59, v63
	v_fma_f32 v3, v58, v62, -v3
	v_add_f32_e32 v2, v2, v3
	v_mul_f32_e32 v3, v61, v65
	;; [unrolled: 36-line block ×4, first 2 shown]
	s_waitcnt lgkmcnt(0)
	v_mul_f32_e32 v139, v130, v135
	v_fmac_f32_e32 v139, v131, v134
	v_add_f32_e32 v138, v138, v139
	v_mul_f32_e32 v139, v132, v137
	v_fmac_f32_e32 v139, v133, v136
	v_add_f32_e32 v146, v138, v139
	ds_read_b128 v[138:141], v150 offset:864
	v_fma_f32 v3, v92, v96, -v3
	v_add_f32_e32 v2, v2, v3
	v_mul_f32_e32 v3, v99, v103
	v_fma_f32 v3, v98, v102, -v3
	s_waitcnt lgkmcnt(0)
	v_mul_f32_e32 v147, v138, v143
	v_fmac_f32_e32 v147, v139, v142
	v_add_f32_e32 v146, v146, v147
	v_mul_f32_e32 v147, v140, v145
	v_fmac_f32_e32 v147, v141, v144
	v_add_f32_e32 v151, v146, v147
	ds_read_b128 v[146:149], v150 offset:880
	scratch_load_dwordx4 v[218:221], off, off offset:448
	scratch_load_dwordx4 v[222:225], off, off offset:464
	;; [unrolled: 1-line block ×4, first 2 shown]
	v_add_f32_e32 v2, v2, v3
	v_mul_f32_e32 v3, v101, v105
	v_fma_f32 v3, v100, v104, -v3
	v_add_f32_e32 v2, v2, v3
	v_mul_f32_e32 v3, v107, v111
	v_fma_f32 v3, v106, v110, -v3
	;; [unrolled: 3-line block ×11, first 2 shown]
	s_waitcnt lgkmcnt(0)
	v_mul_f32_e32 v158, v146, v153
	v_add_f32_e32 v2, v2, v3
	v_mul_f32_e32 v3, v147, v153
	v_fmac_f32_e32 v158, v147, v152
	v_fma_f32 v3, v146, v152, -v3
	v_add_f32_e32 v151, v151, v158
	v_mul_f32_e32 v158, v148, v155
	v_add_f32_e32 v2, v2, v3
	v_mul_f32_e32 v3, v149, v155
	v_fmac_f32_e32 v158, v149, v154
	v_fma_f32 v3, v148, v154, -v3
	v_add_f32_e32 v151, v151, v158
	;; [unrolled: 6-line block ×8, first 2 shown]
	v_add_f32_e32 v158, v2, v3
	v_mul_f32_e32 v2, v211, v215
	v_fma_f32 v160, v210, v214, -v2
	v_mul_f32_e32 v2, v213, v217
	v_fma_f32 v162, v212, v216, -v2
	ds_read_b128 v[2:5], v150 offset:960
	ds_read_b128 v[6:9], v150 offset:976
	;; [unrolled: 1-line block ×4, first 2 shown]
	v_pk_add_f32 v[18:19], v[158:159], v[160:161]
	s_waitcnt vmcnt(3) lgkmcnt(3)
	v_pk_mul_f32 v[20:21], v[2:3], v[218:219] op_sel:[1,1] op_sel_hi:[0,1]
	v_pk_fma_f32 v[22:23], v[2:3], v[218:219], v[20:21] neg_lo:[0,0,1] neg_hi:[0,0,1]
	v_pk_fma_f32 v[2:3], v[2:3], v[218:219], v[20:21] op_sel_hi:[1,0,1]
	v_pk_add_f32 v[18:19], v[18:19], v[162:163]
	v_mov_b32_e32 v23, v3
	v_pk_add_f32 v[2:3], v[18:19], v[22:23]
	v_mov_b32_e32 v18, v221
	v_pk_mul_f32 v[18:19], v[4:5], v[18:19] op_sel:[1,0] op_sel_hi:[0,0]
	v_pk_fma_f32 v[20:21], v[4:5], v[220:221], v[18:19] neg_lo:[0,0,1] neg_hi:[0,0,1]
	v_pk_fma_f32 v[4:5], v[4:5], v[220:221], v[18:19] op_sel_hi:[1,0,1]
	s_nop 0
	v_mov_b32_e32 v21, v5
	s_waitcnt vmcnt(2) lgkmcnt(2)
	v_pk_mul_f32 v[4:5], v[6:7], v[222:223] op_sel:[1,1] op_sel_hi:[0,1]
	v_pk_fma_f32 v[18:19], v[6:7], v[222:223], v[4:5] neg_lo:[0,0,1] neg_hi:[0,0,1]
	v_pk_fma_f32 v[4:5], v[6:7], v[222:223], v[4:5] op_sel_hi:[1,0,1]
	v_pk_add_f32 v[2:3], v[2:3], v[20:21]
	v_mov_b32_e32 v4, v225
	v_mov_b32_e32 v19, v5
	v_pk_mul_f32 v[4:5], v[8:9], v[4:5] op_sel:[1,0] op_sel_hi:[0,0]
	v_pk_fma_f32 v[6:7], v[8:9], v[224:225], v[4:5] neg_lo:[0,0,1] neg_hi:[0,0,1]
	v_pk_fma_f32 v[4:5], v[8:9], v[224:225], v[4:5] op_sel_hi:[1,0,1]
	v_pk_add_f32 v[2:3], v[2:3], v[18:19]
	v_mov_b32_e32 v7, v5
	s_waitcnt vmcnt(1) lgkmcnt(1)
	v_pk_mul_f32 v[4:5], v[10:11], v[226:227] op_sel:[1,1] op_sel_hi:[0,1]
	v_pk_add_f32 v[2:3], v[2:3], v[6:7]
	v_pk_fma_f32 v[6:7], v[10:11], v[226:227], v[4:5] neg_lo:[0,0,1] neg_hi:[0,0,1]
	v_pk_fma_f32 v[4:5], v[10:11], v[226:227], v[4:5] op_sel_hi:[1,0,1]
	s_nop 0
	v_mov_b32_e32 v4, v229
	v_mov_b32_e32 v7, v5
	v_pk_mul_f32 v[4:5], v[12:13], v[4:5] op_sel:[1,0] op_sel_hi:[0,0]
	v_pk_add_f32 v[2:3], v[2:3], v[6:7]
	v_pk_fma_f32 v[6:7], v[12:13], v[228:229], v[4:5] neg_lo:[0,0,1] neg_hi:[0,0,1]
	v_pk_fma_f32 v[4:5], v[12:13], v[228:229], v[4:5] op_sel_hi:[1,0,1]
	s_nop 0
	v_mov_b32_e32 v7, v5
	s_waitcnt vmcnt(0) lgkmcnt(0)
	v_pk_mul_f32 v[4:5], v[14:15], v[230:231] op_sel:[1,1] op_sel_hi:[0,1]
	v_pk_add_f32 v[2:3], v[2:3], v[6:7]
	v_pk_fma_f32 v[6:7], v[14:15], v[230:231], v[4:5] neg_lo:[0,0,1] neg_hi:[0,0,1]
	v_pk_fma_f32 v[4:5], v[14:15], v[230:231], v[4:5] op_sel_hi:[1,0,1]
	s_nop 0
	v_mov_b32_e32 v4, v233
	v_mov_b32_e32 v7, v5
	v_pk_mul_f32 v[4:5], v[16:17], v[4:5] op_sel:[1,0] op_sel_hi:[0,0]
	v_pk_add_f32 v[2:3], v[2:3], v[6:7]
	v_pk_fma_f32 v[6:7], v[16:17], v[232:233], v[4:5] neg_lo:[0,0,1] neg_hi:[0,0,1]
	v_pk_fma_f32 v[4:5], v[16:17], v[232:233], v[4:5] op_sel_hi:[1,0,1]
	s_nop 0
	v_mov_b32_e32 v7, v5
	scratch_load_dwordx2 v[4:5], off, off offset:72
	v_pk_add_f32 v[2:3], v[2:3], v[6:7]
	s_waitcnt vmcnt(0)
	v_pk_add_f32 v[2:3], v[4:5], v[2:3] neg_lo:[0,1] neg_hi:[0,1]
	scratch_store_dwordx2 off, v[2:3], off offset:72
	s_and_saveexec_b64 s[0:1], vcc
	s_cbranch_execz .LBB127_381
; %bb.380:
	scratch_load_dwordx2 v[2:3], off, off offset:64
	v_mov_b32_e32 v4, 0
	v_mov_b32_e32 v5, v4
	scratch_store_dwordx2 off, v[4:5], off offset:64
	s_waitcnt vmcnt(1)
	ds_write_b64 v1, v[2:3]
.LBB127_381:
	s_or_b64 exec, exec, s[0:1]
	s_waitcnt lgkmcnt(0)
	; wave barrier
	scratch_load_dwordx4 v[6:9], off, off offset:72
	scratch_load_dwordx4 v[14:17], off, off offset:88
	;; [unrolled: 1-line block ×10, first 2 shown]
	v_mov_b32_e32 v150, 0
	ds_read2_b64 v[2:5], v150 offset0:73 offset1:74
	ds_read2_b64 v[186:189], v150 offset0:111 offset1:112
	scratch_load_dwordx4 v[86:89], off, off offset:232
	scratch_load_dwordx4 v[94:97], off, off offset:248
	scratch_load_dwordx4 v[102:105], off, off offset:264
	scratch_load_dwordx4 v[110:113], off, off offset:280
	scratch_load_dwordx4 v[118:121], off, off offset:296
	scratch_load_dwordx4 v[126:129], off, off offset:312
	scratch_load_dwordx4 v[134:137], off, off offset:328
	scratch_load_dwordx4 v[142:145], off, off offset:344
	scratch_load_dwordx4 v[152:155], off, off offset:360
	scratch_load_dwordx4 v[190:193], off, off offset:376
	scratch_load_dwordx4 v[198:201], off, off offset:392
	scratch_load_dwordx4 v[206:209], off, off offset:408
	scratch_load_dwordx4 v[214:217], off, off offset:424
	scratch_load_dwordx4 v[222:225], off, off offset:440
	v_cmp_lt_u32_e32 vcc, 7, v0
	ds_read2_b64 v[194:197], v150 offset0:113 offset1:114
	ds_read2_b64 v[202:205], v150 offset0:115 offset1:116
	;; [unrolled: 1-line block ×4, first 2 shown]
	s_waitcnt vmcnt(23) lgkmcnt(5)
	v_mul_f32_e32 v10, v2, v7
	v_fmac_f32_e32 v10, v3, v6
	v_mul_f32_e32 v11, v4, v9
	v_add_f32_e32 v10, 0, v10
	v_fmac_f32_e32 v11, v5, v8
	v_add_f32_e32 v18, v10, v11
	ds_read2_b64 v[10:13], v150 offset0:75 offset1:76
	v_mul_f32_e32 v3, v3, v7
	v_fma_f32 v2, v2, v6, -v3
	v_mul_f32_e32 v3, v5, v9
	v_add_f32_e32 v2, 0, v2
	s_waitcnt vmcnt(22) lgkmcnt(0)
	v_mul_f32_e32 v19, v10, v15
	v_fmac_f32_e32 v19, v11, v14
	v_add_f32_e32 v18, v18, v19
	v_mul_f32_e32 v19, v12, v17
	v_fmac_f32_e32 v19, v13, v16
	v_add_f32_e32 v26, v18, v19
	ds_read2_b64 v[18:21], v150 offset0:77 offset1:78
	v_fma_f32 v3, v4, v8, -v3
	v_add_f32_e32 v2, v2, v3
	v_mul_f32_e32 v3, v11, v15
	v_fma_f32 v3, v10, v14, -v3
	s_waitcnt vmcnt(21) lgkmcnt(0)
	v_mul_f32_e32 v27, v18, v23
	v_fmac_f32_e32 v27, v19, v22
	v_add_f32_e32 v26, v26, v27
	v_mul_f32_e32 v27, v20, v25
	v_fmac_f32_e32 v27, v21, v24
	v_add_f32_e32 v34, v26, v27
	ds_read2_b64 v[26:29], v150 offset0:79 offset1:80
	v_add_f32_e32 v2, v2, v3
	v_mul_f32_e32 v3, v13, v17
	v_fma_f32 v3, v12, v16, -v3
	v_add_f32_e32 v2, v2, v3
	s_waitcnt vmcnt(20) lgkmcnt(0)
	v_mul_f32_e32 v35, v26, v31
	v_fmac_f32_e32 v35, v27, v30
	v_add_f32_e32 v34, v34, v35
	v_mul_f32_e32 v35, v28, v33
	v_fmac_f32_e32 v35, v29, v32
	v_add_f32_e32 v42, v34, v35
	ds_read2_b64 v[34:37], v150 offset0:81 offset1:82
	v_mul_f32_e32 v3, v19, v23
	v_fma_f32 v3, v18, v22, -v3
	v_add_f32_e32 v2, v2, v3
	v_mul_f32_e32 v3, v21, v25
	s_waitcnt vmcnt(19) lgkmcnt(0)
	v_mul_f32_e32 v43, v34, v39
	v_fmac_f32_e32 v43, v35, v38
	v_add_f32_e32 v42, v42, v43
	v_mul_f32_e32 v43, v36, v41
	v_fmac_f32_e32 v43, v37, v40
	v_add_f32_e32 v50, v42, v43
	ds_read2_b64 v[42:45], v150 offset0:83 offset1:84
	v_fma_f32 v3, v20, v24, -v3
	v_add_f32_e32 v2, v2, v3
	v_mul_f32_e32 v3, v27, v31
	v_fma_f32 v3, v26, v30, -v3
	s_waitcnt vmcnt(18) lgkmcnt(0)
	v_mul_f32_e32 v51, v42, v47
	v_fmac_f32_e32 v51, v43, v46
	v_add_f32_e32 v50, v50, v51
	v_mul_f32_e32 v51, v44, v49
	v_fmac_f32_e32 v51, v45, v48
	v_add_f32_e32 v58, v50, v51
	ds_read2_b64 v[50:53], v150 offset0:85 offset1:86
	v_add_f32_e32 v2, v2, v3
	v_mul_f32_e32 v3, v29, v33
	v_fma_f32 v3, v28, v32, -v3
	v_add_f32_e32 v2, v2, v3
	s_waitcnt vmcnt(17) lgkmcnt(0)
	v_mul_f32_e32 v59, v50, v55
	v_fmac_f32_e32 v59, v51, v54
	v_add_f32_e32 v58, v58, v59
	v_mul_f32_e32 v59, v52, v57
	v_fmac_f32_e32 v59, v53, v56
	v_add_f32_e32 v66, v58, v59
	ds_read2_b64 v[58:61], v150 offset0:87 offset1:88
	v_mul_f32_e32 v3, v35, v39
	v_fma_f32 v3, v34, v38, -v3
	v_add_f32_e32 v2, v2, v3
	v_mul_f32_e32 v3, v37, v41
	s_waitcnt vmcnt(16) lgkmcnt(0)
	v_mul_f32_e32 v67, v58, v63
	v_fmac_f32_e32 v67, v59, v62
	v_add_f32_e32 v66, v66, v67
	v_mul_f32_e32 v67, v60, v65
	v_fmac_f32_e32 v67, v61, v64
	v_add_f32_e32 v74, v66, v67
	ds_read2_b64 v[66:69], v150 offset0:89 offset1:90
	v_fma_f32 v3, v36, v40, -v3
	v_add_f32_e32 v2, v2, v3
	v_mul_f32_e32 v3, v43, v47
	v_fma_f32 v3, v42, v46, -v3
	s_waitcnt vmcnt(15) lgkmcnt(0)
	v_mul_f32_e32 v75, v66, v71
	v_fmac_f32_e32 v75, v67, v70
	v_add_f32_e32 v74, v74, v75
	v_mul_f32_e32 v75, v68, v73
	v_fmac_f32_e32 v75, v69, v72
	v_add_f32_e32 v82, v74, v75
	ds_read2_b64 v[74:77], v150 offset0:91 offset1:92
	v_add_f32_e32 v2, v2, v3
	v_mul_f32_e32 v3, v45, v49
	v_fma_f32 v3, v44, v48, -v3
	v_add_f32_e32 v2, v2, v3
	s_waitcnt vmcnt(14) lgkmcnt(0)
	v_mul_f32_e32 v83, v74, v79
	v_fmac_f32_e32 v83, v75, v78
	v_add_f32_e32 v82, v82, v83
	v_mul_f32_e32 v83, v76, v81
	v_fmac_f32_e32 v83, v77, v80
	v_add_f32_e32 v90, v82, v83
	ds_read2_b64 v[82:85], v150 offset0:93 offset1:94
	v_mul_f32_e32 v3, v51, v55
	v_fma_f32 v3, v50, v54, -v3
	v_add_f32_e32 v2, v2, v3
	v_mul_f32_e32 v3, v53, v57
	s_waitcnt vmcnt(13) lgkmcnt(0)
	v_mul_f32_e32 v91, v82, v87
	v_fmac_f32_e32 v91, v83, v86
	v_add_f32_e32 v90, v90, v91
	v_mul_f32_e32 v91, v84, v89
	v_fmac_f32_e32 v91, v85, v88
	v_add_f32_e32 v98, v90, v91
	ds_read2_b64 v[90:93], v150 offset0:95 offset1:96
	v_fma_f32 v3, v52, v56, -v3
	v_add_f32_e32 v2, v2, v3
	v_mul_f32_e32 v3, v59, v63
	v_fma_f32 v3, v58, v62, -v3
	s_waitcnt vmcnt(12) lgkmcnt(0)
	v_mul_f32_e32 v99, v90, v95
	v_fmac_f32_e32 v99, v91, v94
	v_add_f32_e32 v98, v98, v99
	v_mul_f32_e32 v99, v92, v97
	v_fmac_f32_e32 v99, v93, v96
	v_add_f32_e32 v106, v98, v99
	ds_read2_b64 v[98:101], v150 offset0:97 offset1:98
	v_add_f32_e32 v2, v2, v3
	v_mul_f32_e32 v3, v61, v65
	v_fma_f32 v3, v60, v64, -v3
	v_add_f32_e32 v2, v2, v3
	s_waitcnt vmcnt(11) lgkmcnt(0)
	v_mul_f32_e32 v107, v98, v103
	v_fmac_f32_e32 v107, v99, v102
	v_add_f32_e32 v106, v106, v107
	v_mul_f32_e32 v107, v100, v105
	v_fmac_f32_e32 v107, v101, v104
	v_add_f32_e32 v114, v106, v107
	ds_read2_b64 v[106:109], v150 offset0:99 offset1:100
	v_mul_f32_e32 v3, v67, v71
	v_fma_f32 v3, v66, v70, -v3
	v_add_f32_e32 v2, v2, v3
	v_mul_f32_e32 v3, v69, v73
	s_waitcnt vmcnt(10) lgkmcnt(0)
	v_mul_f32_e32 v115, v106, v111
	v_fmac_f32_e32 v115, v107, v110
	v_add_f32_e32 v114, v114, v115
	v_mul_f32_e32 v115, v108, v113
	v_fmac_f32_e32 v115, v109, v112
	v_add_f32_e32 v122, v114, v115
	ds_read2_b64 v[114:117], v150 offset0:101 offset1:102
	v_fma_f32 v3, v68, v72, -v3
	v_add_f32_e32 v2, v2, v3
	v_mul_f32_e32 v3, v75, v79
	v_fma_f32 v3, v74, v78, -v3
	s_waitcnt vmcnt(9) lgkmcnt(0)
	v_mul_f32_e32 v123, v114, v119
	v_fmac_f32_e32 v123, v115, v118
	v_add_f32_e32 v122, v122, v123
	v_mul_f32_e32 v123, v116, v121
	v_fmac_f32_e32 v123, v117, v120
	v_add_f32_e32 v130, v122, v123
	ds_read2_b64 v[122:125], v150 offset0:103 offset1:104
	v_add_f32_e32 v2, v2, v3
	v_mul_f32_e32 v3, v77, v81
	v_fma_f32 v3, v76, v80, -v3
	v_add_f32_e32 v2, v2, v3
	s_waitcnt vmcnt(8) lgkmcnt(0)
	v_mul_f32_e32 v131, v122, v127
	v_fmac_f32_e32 v131, v123, v126
	v_add_f32_e32 v130, v130, v131
	v_mul_f32_e32 v131, v124, v129
	v_fmac_f32_e32 v131, v125, v128
	v_add_f32_e32 v138, v130, v131
	ds_read2_b64 v[130:133], v150 offset0:105 offset1:106
	v_mul_f32_e32 v3, v83, v87
	v_fma_f32 v3, v82, v86, -v3
	v_add_f32_e32 v2, v2, v3
	v_mul_f32_e32 v3, v85, v89
	s_waitcnt vmcnt(7) lgkmcnt(0)
	v_mul_f32_e32 v139, v130, v135
	v_fmac_f32_e32 v139, v131, v134
	v_add_f32_e32 v138, v138, v139
	v_mul_f32_e32 v139, v132, v137
	v_fmac_f32_e32 v139, v133, v136
	v_add_f32_e32 v146, v138, v139
	ds_read2_b64 v[138:141], v150 offset0:107 offset1:108
	v_fma_f32 v3, v84, v88, -v3
	v_add_f32_e32 v2, v2, v3
	v_mul_f32_e32 v3, v91, v95
	v_fma_f32 v3, v90, v94, -v3
	s_waitcnt vmcnt(6) lgkmcnt(0)
	v_mul_f32_e32 v147, v138, v143
	v_fmac_f32_e32 v147, v139, v142
	v_add_f32_e32 v146, v146, v147
	v_mul_f32_e32 v147, v140, v145
	v_fmac_f32_e32 v147, v141, v144
	v_add_f32_e32 v151, v146, v147
	ds_read2_b64 v[146:149], v150 offset0:109 offset1:110
	scratch_load_dwordx4 v[226:229], off, off offset:456
	scratch_load_dwordx4 v[230:233], off, off offset:472
	;; [unrolled: 1-line block ×3, first 2 shown]
	scratch_load_dwordx2 v[164:165], off, off offset:504
	v_add_f32_e32 v2, v2, v3
	v_mul_f32_e32 v3, v93, v97
	v_fma_f32 v3, v92, v96, -v3
	v_add_f32_e32 v2, v2, v3
	v_mul_f32_e32 v3, v99, v103
	v_fma_f32 v3, v98, v102, -v3
	;; [unrolled: 3-line block ×13, first 2 shown]
	s_waitcnt vmcnt(9) lgkmcnt(0)
	v_mul_f32_e32 v158, v146, v153
	v_add_f32_e32 v2, v2, v3
	v_mul_f32_e32 v3, v147, v153
	v_fmac_f32_e32 v158, v147, v152
	v_fma_f32 v3, v146, v152, -v3
	v_add_f32_e32 v151, v151, v158
	v_mul_f32_e32 v158, v148, v155
	v_add_f32_e32 v2, v2, v3
	v_mul_f32_e32 v3, v149, v155
	v_fmac_f32_e32 v158, v149, v154
	v_fma_f32 v3, v148, v154, -v3
	v_add_f32_e32 v151, v151, v158
	s_waitcnt vmcnt(8)
	v_mul_f32_e32 v158, v186, v191
	v_add_f32_e32 v2, v2, v3
	v_mul_f32_e32 v3, v187, v191
	v_fmac_f32_e32 v158, v187, v190
	v_fma_f32 v3, v186, v190, -v3
	v_add_f32_e32 v151, v151, v158
	v_mul_f32_e32 v158, v188, v193
	v_add_f32_e32 v2, v2, v3
	v_mul_f32_e32 v3, v189, v193
	v_fmac_f32_e32 v158, v189, v192
	v_fma_f32 v3, v188, v192, -v3
	v_add_f32_e32 v151, v151, v158
	s_waitcnt vmcnt(7)
	;; [unrolled: 13-line block ×4, first 2 shown]
	v_mul_f32_e32 v158, v210, v215
	v_add_f32_e32 v2, v2, v3
	v_mul_f32_e32 v3, v211, v215
	v_fmac_f32_e32 v158, v211, v214
	v_fma_f32 v3, v210, v214, -v3
	v_add_f32_e32 v159, v151, v158
	v_add_f32_e32 v158, v2, v3
	v_mul_f32_e32 v2, v213, v217
	v_mul_f32_e32 v161, v212, v217
	v_fma_f32 v160, v212, v216, -v2
	s_waitcnt vmcnt(4)
	v_mul_f32_e32 v2, v219, v223
	v_mov_b32_e32 v18, v225
	v_fmac_f32_e32 v161, v213, v216
	v_mul_f32_e32 v163, v218, v223
	v_fma_f32 v162, v218, v222, -v2
	ds_read2_b64 v[2:5], v150 offset0:121 offset1:122
	ds_read2_b64 v[6:9], v150 offset0:123 offset1:124
	;; [unrolled: 1-line block ×3, first 2 shown]
	ds_read_b64 v[14:15], v150 offset:1016
	v_pk_mul_f32 v[18:19], v[220:221], v[18:19] op_sel:[1,0] op_sel_hi:[0,0]
	v_fmac_f32_e32 v163, v219, v222
	v_pk_add_f32 v[16:17], v[158:159], v[160:161]
	v_pk_fma_f32 v[20:21], v[220:221], v[224:225], v[18:19] neg_lo:[0,0,1] neg_hi:[0,0,1]
	v_pk_fma_f32 v[18:19], v[220:221], v[224:225], v[18:19] op_sel_hi:[1,0,1]
	v_pk_add_f32 v[16:17], v[16:17], v[162:163]
	v_mov_b32_e32 v21, v19
	s_waitcnt vmcnt(3) lgkmcnt(3)
	v_pk_mul_f32 v[18:19], v[2:3], v[226:227] op_sel:[1,1] op_sel_hi:[0,1]
	v_pk_add_f32 v[16:17], v[16:17], v[20:21]
	v_pk_fma_f32 v[20:21], v[2:3], v[226:227], v[18:19] neg_lo:[0,0,1] neg_hi:[0,0,1]
	v_pk_fma_f32 v[2:3], v[2:3], v[226:227], v[18:19] op_sel_hi:[1,0,1]
	s_nop 0
	v_mov_b32_e32 v21, v3
	v_pk_add_f32 v[2:3], v[16:17], v[20:21]
	v_mov_b32_e32 v16, v229
	v_pk_mul_f32 v[16:17], v[4:5], v[16:17] op_sel:[1,0] op_sel_hi:[0,0]
	v_pk_fma_f32 v[18:19], v[4:5], v[228:229], v[16:17] neg_lo:[0,0,1] neg_hi:[0,0,1]
	v_pk_fma_f32 v[4:5], v[4:5], v[228:229], v[16:17] op_sel_hi:[1,0,1]
	s_nop 0
	v_mov_b32_e32 v19, v5
	s_waitcnt vmcnt(2) lgkmcnt(2)
	v_pk_mul_f32 v[4:5], v[6:7], v[230:231] op_sel:[1,1] op_sel_hi:[0,1]
	v_pk_fma_f32 v[16:17], v[6:7], v[230:231], v[4:5] neg_lo:[0,0,1] neg_hi:[0,0,1]
	v_pk_fma_f32 v[4:5], v[6:7], v[230:231], v[4:5] op_sel_hi:[1,0,1]
	v_pk_add_f32 v[2:3], v[2:3], v[18:19]
	v_mov_b32_e32 v4, v233
	v_mov_b32_e32 v17, v5
	v_pk_mul_f32 v[4:5], v[8:9], v[4:5] op_sel:[1,0] op_sel_hi:[0,0]
	v_pk_fma_f32 v[6:7], v[8:9], v[232:233], v[4:5] neg_lo:[0,0,1] neg_hi:[0,0,1]
	v_pk_fma_f32 v[4:5], v[8:9], v[232:233], v[4:5] op_sel_hi:[1,0,1]
	v_pk_add_f32 v[2:3], v[2:3], v[16:17]
	v_mov_b32_e32 v7, v5
	s_waitcnt vmcnt(1) lgkmcnt(1)
	v_pk_mul_f32 v[4:5], v[10:11], v[234:235] op_sel:[1,1] op_sel_hi:[0,1]
	v_pk_add_f32 v[2:3], v[2:3], v[6:7]
	v_pk_fma_f32 v[6:7], v[10:11], v[234:235], v[4:5] neg_lo:[0,0,1] neg_hi:[0,0,1]
	v_pk_fma_f32 v[4:5], v[10:11], v[234:235], v[4:5] op_sel_hi:[1,0,1]
	s_nop 0
	v_mov_b32_e32 v4, v237
	v_mov_b32_e32 v7, v5
	v_pk_mul_f32 v[4:5], v[12:13], v[4:5] op_sel:[1,0] op_sel_hi:[0,0]
	v_pk_add_f32 v[2:3], v[2:3], v[6:7]
	v_pk_fma_f32 v[6:7], v[12:13], v[236:237], v[4:5] neg_lo:[0,0,1] neg_hi:[0,0,1]
	v_pk_fma_f32 v[4:5], v[12:13], v[236:237], v[4:5] op_sel_hi:[1,0,1]
	s_nop 0
	v_mov_b32_e32 v7, v5
	s_waitcnt vmcnt(0) lgkmcnt(0)
	v_pk_mul_f32 v[4:5], v[14:15], v[164:165] op_sel:[1,1] op_sel_hi:[0,1]
	v_pk_add_f32 v[2:3], v[2:3], v[6:7]
	v_pk_fma_f32 v[6:7], v[14:15], v[164:165], v[4:5] neg_lo:[0,0,1] neg_hi:[0,0,1]
	v_pk_fma_f32 v[4:5], v[14:15], v[164:165], v[4:5] op_sel_hi:[1,0,1]
	s_nop 0
	v_mov_b32_e32 v7, v5
	scratch_load_dwordx2 v[4:5], off, off offset:64
	v_pk_add_f32 v[2:3], v[2:3], v[6:7]
	s_waitcnt vmcnt(0)
	v_pk_add_f32 v[2:3], v[4:5], v[2:3] neg_lo:[0,1] neg_hi:[0,1]
	scratch_store_dwordx2 off, v[2:3], off offset:64
	s_and_saveexec_b64 s[0:1], vcc
	s_cbranch_execz .LBB127_383
; %bb.382:
	scratch_load_dwordx2 v[2:3], off, off offset:56
	v_mov_b32_e32 v151, v150
	scratch_store_dwordx2 off, v[150:151], off offset:56
	s_waitcnt vmcnt(1)
	ds_write_b64 v1, v[2:3]
.LBB127_383:
	s_or_b64 exec, exec, s[0:1]
	s_waitcnt lgkmcnt(0)
	; wave barrier
	ds_read_b128 v[14:17], v150 offset:576
	ds_read_b128 v[10:13], v150 offset:592
	;; [unrolled: 1-line block ×4, first 2 shown]
	scratch_load_dwordx4 v[18:21], off, off offset:64
	scratch_load_dwordx4 v[38:41], off, off offset:128
	;; [unrolled: 1-line block ×18, first 2 shown]
	v_cmp_lt_u32_e32 vcc, 6, v0
	scratch_load_dwordx4 v[46:49], off, off offset:144
	scratch_load_dwordx4 v[54:57], off, off offset:160
	;; [unrolled: 1-line block ×3, first 2 shown]
	ds_read_b128 v[186:189], v150 offset:880
	ds_read_b128 v[194:197], v150 offset:896
	;; [unrolled: 1-line block ×5, first 2 shown]
	s_waitcnt vmcnt(20) lgkmcnt(8)
	v_mul_f32_e32 v22, v14, v19
	v_fmac_f32_e32 v22, v15, v18
	v_mul_f32_e32 v23, v16, v21
	v_add_f32_e32 v22, 0, v22
	v_fmac_f32_e32 v23, v17, v20
	v_add_f32_e32 v26, v22, v23
	scratch_load_dwordx4 v[22:25], off, off offset:80
	v_mul_f32_e32 v15, v15, v19
	v_fma_f32 v14, v14, v18, -v15
	v_mul_f32_e32 v15, v17, v21
	v_add_f32_e32 v14, 0, v14
	v_fma_f32 v15, v16, v20, -v15
	v_add_f32_e32 v14, v14, v15
	s_waitcnt vmcnt(4) lgkmcnt(0)
	v_mul_f32_e32 v161, v218, v223
	v_mul_f32_e32 v163, v220, v225
	v_fmac_f32_e32 v161, v219, v222
	v_fmac_f32_e32 v163, v221, v224
	s_waitcnt vmcnt(0)
	v_mul_f32_e32 v27, v10, v23
	v_fmac_f32_e32 v27, v11, v22
	v_add_f32_e32 v26, v26, v27
	v_mul_f32_e32 v27, v12, v25
	v_fmac_f32_e32 v27, v13, v24
	v_add_f32_e32 v30, v26, v27
	scratch_load_dwordx4 v[26:29], off, off offset:96
	v_mul_f32_e32 v11, v11, v23
	v_fma_f32 v10, v10, v22, -v11
	v_mul_f32_e32 v11, v13, v25
	v_add_f32_e32 v10, v14, v10
	v_fma_f32 v11, v12, v24, -v11
	v_add_f32_e32 v10, v10, v11
	s_waitcnt vmcnt(0)
	v_mul_f32_e32 v31, v6, v27
	v_fmac_f32_e32 v31, v7, v26
	v_add_f32_e32 v30, v30, v31
	v_mul_f32_e32 v31, v8, v29
	v_fmac_f32_e32 v31, v9, v28
	v_add_f32_e32 v34, v30, v31
	scratch_load_dwordx4 v[30:33], off, off offset:112
	v_mul_f32_e32 v7, v7, v27
	v_fma_f32 v6, v6, v26, -v7
	v_mul_f32_e32 v7, v9, v29
	v_add_f32_e32 v6, v10, v6
	v_fma_f32 v7, v8, v28, -v7
	v_add_f32_e32 v6, v6, v7
	s_waitcnt vmcnt(0)
	v_mul_f32_e32 v35, v2, v31
	v_fmac_f32_e32 v35, v3, v30
	v_add_f32_e32 v34, v34, v35
	v_mul_f32_e32 v35, v4, v33
	v_fmac_f32_e32 v35, v5, v32
	v_add_f32_e32 v42, v34, v35
	ds_read_b128 v[34:37], v150 offset:640
	v_mul_f32_e32 v3, v3, v31
	v_fma_f32 v2, v2, v30, -v3
	v_mul_f32_e32 v3, v5, v33
	v_add_f32_e32 v2, v6, v2
	s_waitcnt lgkmcnt(0)
	v_mul_f32_e32 v43, v34, v39
	v_fmac_f32_e32 v43, v35, v38
	v_add_f32_e32 v42, v42, v43
	v_mul_f32_e32 v43, v36, v41
	v_fmac_f32_e32 v43, v37, v40
	v_add_f32_e32 v50, v42, v43
	ds_read_b128 v[42:45], v150 offset:656
	v_fma_f32 v3, v4, v32, -v3
	v_add_f32_e32 v2, v2, v3
	v_mul_f32_e32 v3, v35, v39
	v_fma_f32 v3, v34, v38, -v3
	s_waitcnt lgkmcnt(0)
	v_mul_f32_e32 v51, v42, v47
	v_fmac_f32_e32 v51, v43, v46
	v_add_f32_e32 v50, v50, v51
	v_mul_f32_e32 v51, v44, v49
	v_fmac_f32_e32 v51, v45, v48
	v_add_f32_e32 v58, v50, v51
	ds_read_b128 v[50:53], v150 offset:672
	v_add_f32_e32 v2, v2, v3
	v_mul_f32_e32 v3, v37, v41
	v_fma_f32 v3, v36, v40, -v3
	v_add_f32_e32 v2, v2, v3
	s_waitcnt lgkmcnt(0)
	v_mul_f32_e32 v59, v50, v55
	v_fmac_f32_e32 v59, v51, v54
	v_add_f32_e32 v58, v58, v59
	v_mul_f32_e32 v59, v52, v57
	v_fmac_f32_e32 v59, v53, v56
	v_add_f32_e32 v66, v58, v59
	ds_read_b128 v[58:61], v150 offset:688
	v_mul_f32_e32 v3, v43, v47
	v_fma_f32 v3, v42, v46, -v3
	v_add_f32_e32 v2, v2, v3
	v_mul_f32_e32 v3, v45, v49
	s_waitcnt lgkmcnt(0)
	v_mul_f32_e32 v67, v58, v63
	v_fmac_f32_e32 v67, v59, v62
	v_add_f32_e32 v66, v66, v67
	v_mul_f32_e32 v67, v60, v65
	v_fmac_f32_e32 v67, v61, v64
	v_add_f32_e32 v74, v66, v67
	ds_read_b128 v[66:69], v150 offset:704
	v_fma_f32 v3, v44, v48, -v3
	v_add_f32_e32 v2, v2, v3
	v_mul_f32_e32 v3, v51, v55
	v_fma_f32 v3, v50, v54, -v3
	s_waitcnt lgkmcnt(0)
	v_mul_f32_e32 v75, v66, v71
	v_fmac_f32_e32 v75, v67, v70
	v_add_f32_e32 v74, v74, v75
	v_mul_f32_e32 v75, v68, v73
	v_fmac_f32_e32 v75, v69, v72
	v_add_f32_e32 v82, v74, v75
	ds_read_b128 v[74:77], v150 offset:720
	v_add_f32_e32 v2, v2, v3
	v_mul_f32_e32 v3, v53, v57
	v_fma_f32 v3, v52, v56, -v3
	v_add_f32_e32 v2, v2, v3
	s_waitcnt lgkmcnt(0)
	v_mul_f32_e32 v83, v74, v79
	v_fmac_f32_e32 v83, v75, v78
	v_add_f32_e32 v82, v82, v83
	v_mul_f32_e32 v83, v76, v81
	v_fmac_f32_e32 v83, v77, v80
	v_add_f32_e32 v90, v82, v83
	ds_read_b128 v[82:85], v150 offset:736
	v_mul_f32_e32 v3, v59, v63
	v_fma_f32 v3, v58, v62, -v3
	v_add_f32_e32 v2, v2, v3
	v_mul_f32_e32 v3, v61, v65
	;; [unrolled: 36-line block ×4, first 2 shown]
	s_waitcnt lgkmcnt(0)
	v_mul_f32_e32 v139, v130, v135
	v_fmac_f32_e32 v139, v131, v134
	v_add_f32_e32 v138, v138, v139
	v_mul_f32_e32 v139, v132, v137
	v_fmac_f32_e32 v139, v133, v136
	v_add_f32_e32 v146, v138, v139
	ds_read_b128 v[138:141], v150 offset:848
	v_fma_f32 v3, v92, v96, -v3
	v_add_f32_e32 v2, v2, v3
	v_mul_f32_e32 v3, v99, v103
	v_fma_f32 v3, v98, v102, -v3
	s_waitcnt lgkmcnt(0)
	v_mul_f32_e32 v147, v138, v143
	v_fmac_f32_e32 v147, v139, v142
	v_add_f32_e32 v146, v146, v147
	v_mul_f32_e32 v147, v140, v145
	v_fmac_f32_e32 v147, v141, v144
	v_add_f32_e32 v151, v146, v147
	ds_read_b128 v[146:149], v150 offset:864
	scratch_load_dwordx4 v[226:229], off, off offset:448
	scratch_load_dwordx4 v[230:233], off, off offset:464
	scratch_load_dwordx4 v[234:237], off, off offset:480
	scratch_load_dwordx4 v[238:241], off, off offset:496
	v_add_f32_e32 v2, v2, v3
	v_mul_f32_e32 v3, v101, v105
	v_fma_f32 v3, v100, v104, -v3
	v_add_f32_e32 v2, v2, v3
	v_mul_f32_e32 v3, v107, v111
	v_fma_f32 v3, v106, v110, -v3
	;; [unrolled: 3-line block ×11, first 2 shown]
	s_waitcnt lgkmcnt(0)
	v_mul_f32_e32 v158, v146, v153
	v_add_f32_e32 v2, v2, v3
	v_mul_f32_e32 v3, v147, v153
	v_fmac_f32_e32 v158, v147, v152
	v_fma_f32 v3, v146, v152, -v3
	v_add_f32_e32 v151, v151, v158
	v_mul_f32_e32 v158, v148, v155
	v_add_f32_e32 v2, v2, v3
	v_mul_f32_e32 v3, v149, v155
	v_fmac_f32_e32 v158, v149, v154
	v_fma_f32 v3, v148, v154, -v3
	v_add_f32_e32 v151, v151, v158
	;; [unrolled: 6-line block ×10, first 2 shown]
	v_add_f32_e32 v158, v2, v3
	v_mul_f32_e32 v2, v219, v223
	v_fma_f32 v160, v218, v222, -v2
	v_mul_f32_e32 v2, v221, v225
	v_fma_f32 v162, v220, v224, -v2
	ds_read_b128 v[2:5], v150 offset:960
	ds_read_b128 v[6:9], v150 offset:976
	;; [unrolled: 1-line block ×4, first 2 shown]
	v_pk_add_f32 v[18:19], v[158:159], v[160:161]
	s_waitcnt vmcnt(3) lgkmcnt(3)
	v_pk_mul_f32 v[20:21], v[2:3], v[226:227] op_sel:[1,1] op_sel_hi:[0,1]
	v_pk_fma_f32 v[22:23], v[2:3], v[226:227], v[20:21] neg_lo:[0,0,1] neg_hi:[0,0,1]
	v_pk_fma_f32 v[2:3], v[2:3], v[226:227], v[20:21] op_sel_hi:[1,0,1]
	v_pk_add_f32 v[18:19], v[18:19], v[162:163]
	v_mov_b32_e32 v23, v3
	v_pk_add_f32 v[2:3], v[18:19], v[22:23]
	v_mov_b32_e32 v18, v229
	v_pk_mul_f32 v[18:19], v[4:5], v[18:19] op_sel:[1,0] op_sel_hi:[0,0]
	v_pk_fma_f32 v[20:21], v[4:5], v[228:229], v[18:19] neg_lo:[0,0,1] neg_hi:[0,0,1]
	v_pk_fma_f32 v[4:5], v[4:5], v[228:229], v[18:19] op_sel_hi:[1,0,1]
	s_nop 0
	v_mov_b32_e32 v21, v5
	s_waitcnt vmcnt(2) lgkmcnt(2)
	v_pk_mul_f32 v[4:5], v[6:7], v[230:231] op_sel:[1,1] op_sel_hi:[0,1]
	v_pk_fma_f32 v[18:19], v[6:7], v[230:231], v[4:5] neg_lo:[0,0,1] neg_hi:[0,0,1]
	v_pk_fma_f32 v[4:5], v[6:7], v[230:231], v[4:5] op_sel_hi:[1,0,1]
	v_pk_add_f32 v[2:3], v[2:3], v[20:21]
	v_mov_b32_e32 v4, v233
	v_mov_b32_e32 v19, v5
	v_pk_mul_f32 v[4:5], v[8:9], v[4:5] op_sel:[1,0] op_sel_hi:[0,0]
	v_pk_fma_f32 v[6:7], v[8:9], v[232:233], v[4:5] neg_lo:[0,0,1] neg_hi:[0,0,1]
	v_pk_fma_f32 v[4:5], v[8:9], v[232:233], v[4:5] op_sel_hi:[1,0,1]
	v_pk_add_f32 v[2:3], v[2:3], v[18:19]
	v_mov_b32_e32 v7, v5
	s_waitcnt vmcnt(1) lgkmcnt(1)
	v_pk_mul_f32 v[4:5], v[10:11], v[234:235] op_sel:[1,1] op_sel_hi:[0,1]
	v_pk_add_f32 v[2:3], v[2:3], v[6:7]
	v_pk_fma_f32 v[6:7], v[10:11], v[234:235], v[4:5] neg_lo:[0,0,1] neg_hi:[0,0,1]
	v_pk_fma_f32 v[4:5], v[10:11], v[234:235], v[4:5] op_sel_hi:[1,0,1]
	s_nop 0
	v_mov_b32_e32 v4, v237
	v_mov_b32_e32 v7, v5
	v_pk_mul_f32 v[4:5], v[12:13], v[4:5] op_sel:[1,0] op_sel_hi:[0,0]
	v_pk_add_f32 v[2:3], v[2:3], v[6:7]
	v_pk_fma_f32 v[6:7], v[12:13], v[236:237], v[4:5] neg_lo:[0,0,1] neg_hi:[0,0,1]
	v_pk_fma_f32 v[4:5], v[12:13], v[236:237], v[4:5] op_sel_hi:[1,0,1]
	s_nop 0
	v_mov_b32_e32 v7, v5
	s_waitcnt vmcnt(0) lgkmcnt(0)
	v_pk_mul_f32 v[4:5], v[14:15], v[238:239] op_sel:[1,1] op_sel_hi:[0,1]
	v_pk_add_f32 v[2:3], v[2:3], v[6:7]
	v_pk_fma_f32 v[6:7], v[14:15], v[238:239], v[4:5] neg_lo:[0,0,1] neg_hi:[0,0,1]
	v_pk_fma_f32 v[4:5], v[14:15], v[238:239], v[4:5] op_sel_hi:[1,0,1]
	s_nop 0
	v_mov_b32_e32 v4, v241
	v_mov_b32_e32 v7, v5
	v_pk_mul_f32 v[4:5], v[16:17], v[4:5] op_sel:[1,0] op_sel_hi:[0,0]
	v_pk_add_f32 v[2:3], v[2:3], v[6:7]
	v_pk_fma_f32 v[6:7], v[16:17], v[240:241], v[4:5] neg_lo:[0,0,1] neg_hi:[0,0,1]
	v_pk_fma_f32 v[4:5], v[16:17], v[240:241], v[4:5] op_sel_hi:[1,0,1]
	s_nop 0
	v_mov_b32_e32 v7, v5
	scratch_load_dwordx2 v[4:5], off, off offset:56
	v_pk_add_f32 v[2:3], v[2:3], v[6:7]
	s_waitcnt vmcnt(0)
	v_pk_add_f32 v[2:3], v[4:5], v[2:3] neg_lo:[0,1] neg_hi:[0,1]
	scratch_store_dwordx2 off, v[2:3], off offset:56
	s_and_saveexec_b64 s[0:1], vcc
	s_cbranch_execz .LBB127_385
; %bb.384:
	scratch_load_dwordx2 v[2:3], off, off offset:48
	v_mov_b32_e32 v4, 0
	v_mov_b32_e32 v5, v4
	scratch_store_dwordx2 off, v[4:5], off offset:48
	s_waitcnt vmcnt(1)
	ds_write_b64 v1, v[2:3]
.LBB127_385:
	s_or_b64 exec, exec, s[0:1]
	s_waitcnt lgkmcnt(0)
	; wave barrier
	scratch_load_dwordx4 v[6:9], off, off offset:56
	scratch_load_dwordx4 v[14:17], off, off offset:72
	;; [unrolled: 1-line block ×10, first 2 shown]
	v_mov_b32_e32 v150, 0
	ds_read2_b64 v[2:5], v150 offset0:71 offset1:72
	ds_read2_b64 v[186:189], v150 offset0:109 offset1:110
	scratch_load_dwordx4 v[86:89], off, off offset:216
	scratch_load_dwordx4 v[94:97], off, off offset:232
	;; [unrolled: 1-line block ×15, first 2 shown]
	v_cmp_lt_u32_e32 vcc, 5, v0
	ds_read2_b64 v[194:197], v150 offset0:111 offset1:112
	ds_read2_b64 v[202:205], v150 offset0:113 offset1:114
	;; [unrolled: 1-line block ×5, first 2 shown]
	s_waitcnt vmcnt(24) lgkmcnt(6)
	v_mul_f32_e32 v10, v2, v7
	v_fmac_f32_e32 v10, v3, v6
	v_mul_f32_e32 v11, v4, v9
	v_add_f32_e32 v10, 0, v10
	v_fmac_f32_e32 v11, v5, v8
	v_add_f32_e32 v18, v10, v11
	ds_read2_b64 v[10:13], v150 offset0:73 offset1:74
	v_mul_f32_e32 v3, v3, v7
	v_fma_f32 v2, v2, v6, -v3
	v_mul_f32_e32 v3, v5, v9
	v_add_f32_e32 v2, 0, v2
	s_waitcnt vmcnt(23) lgkmcnt(0)
	v_mul_f32_e32 v19, v10, v15
	v_fmac_f32_e32 v19, v11, v14
	v_add_f32_e32 v18, v18, v19
	v_mul_f32_e32 v19, v12, v17
	v_fmac_f32_e32 v19, v13, v16
	v_add_f32_e32 v26, v18, v19
	ds_read2_b64 v[18:21], v150 offset0:75 offset1:76
	v_fma_f32 v3, v4, v8, -v3
	v_add_f32_e32 v2, v2, v3
	v_mul_f32_e32 v3, v11, v15
	v_fma_f32 v3, v10, v14, -v3
	s_waitcnt vmcnt(22) lgkmcnt(0)
	v_mul_f32_e32 v27, v18, v23
	v_fmac_f32_e32 v27, v19, v22
	v_add_f32_e32 v26, v26, v27
	v_mul_f32_e32 v27, v20, v25
	v_fmac_f32_e32 v27, v21, v24
	v_add_f32_e32 v34, v26, v27
	ds_read2_b64 v[26:29], v150 offset0:77 offset1:78
	v_add_f32_e32 v2, v2, v3
	v_mul_f32_e32 v3, v13, v17
	v_fma_f32 v3, v12, v16, -v3
	v_add_f32_e32 v2, v2, v3
	s_waitcnt vmcnt(21) lgkmcnt(0)
	v_mul_f32_e32 v35, v26, v31
	v_fmac_f32_e32 v35, v27, v30
	v_add_f32_e32 v34, v34, v35
	v_mul_f32_e32 v35, v28, v33
	v_fmac_f32_e32 v35, v29, v32
	v_add_f32_e32 v42, v34, v35
	ds_read2_b64 v[34:37], v150 offset0:79 offset1:80
	v_mul_f32_e32 v3, v19, v23
	v_fma_f32 v3, v18, v22, -v3
	v_add_f32_e32 v2, v2, v3
	v_mul_f32_e32 v3, v21, v25
	s_waitcnt vmcnt(20) lgkmcnt(0)
	v_mul_f32_e32 v43, v34, v39
	v_fmac_f32_e32 v43, v35, v38
	v_add_f32_e32 v42, v42, v43
	v_mul_f32_e32 v43, v36, v41
	v_fmac_f32_e32 v43, v37, v40
	v_add_f32_e32 v50, v42, v43
	ds_read2_b64 v[42:45], v150 offset0:81 offset1:82
	v_fma_f32 v3, v20, v24, -v3
	v_add_f32_e32 v2, v2, v3
	v_mul_f32_e32 v3, v27, v31
	v_fma_f32 v3, v26, v30, -v3
	s_waitcnt vmcnt(19) lgkmcnt(0)
	v_mul_f32_e32 v51, v42, v47
	v_fmac_f32_e32 v51, v43, v46
	v_add_f32_e32 v50, v50, v51
	v_mul_f32_e32 v51, v44, v49
	v_fmac_f32_e32 v51, v45, v48
	v_add_f32_e32 v58, v50, v51
	ds_read2_b64 v[50:53], v150 offset0:83 offset1:84
	v_add_f32_e32 v2, v2, v3
	v_mul_f32_e32 v3, v29, v33
	v_fma_f32 v3, v28, v32, -v3
	v_add_f32_e32 v2, v2, v3
	s_waitcnt vmcnt(18) lgkmcnt(0)
	v_mul_f32_e32 v59, v50, v55
	v_fmac_f32_e32 v59, v51, v54
	v_add_f32_e32 v58, v58, v59
	v_mul_f32_e32 v59, v52, v57
	v_fmac_f32_e32 v59, v53, v56
	v_add_f32_e32 v66, v58, v59
	ds_read2_b64 v[58:61], v150 offset0:85 offset1:86
	v_mul_f32_e32 v3, v35, v39
	v_fma_f32 v3, v34, v38, -v3
	v_add_f32_e32 v2, v2, v3
	v_mul_f32_e32 v3, v37, v41
	s_waitcnt vmcnt(17) lgkmcnt(0)
	v_mul_f32_e32 v67, v58, v63
	v_fmac_f32_e32 v67, v59, v62
	v_add_f32_e32 v66, v66, v67
	v_mul_f32_e32 v67, v60, v65
	v_fmac_f32_e32 v67, v61, v64
	v_add_f32_e32 v74, v66, v67
	ds_read2_b64 v[66:69], v150 offset0:87 offset1:88
	v_fma_f32 v3, v36, v40, -v3
	v_add_f32_e32 v2, v2, v3
	v_mul_f32_e32 v3, v43, v47
	v_fma_f32 v3, v42, v46, -v3
	s_waitcnt vmcnt(16) lgkmcnt(0)
	v_mul_f32_e32 v75, v66, v71
	v_fmac_f32_e32 v75, v67, v70
	v_add_f32_e32 v74, v74, v75
	v_mul_f32_e32 v75, v68, v73
	v_fmac_f32_e32 v75, v69, v72
	v_add_f32_e32 v82, v74, v75
	ds_read2_b64 v[74:77], v150 offset0:89 offset1:90
	v_add_f32_e32 v2, v2, v3
	v_mul_f32_e32 v3, v45, v49
	v_fma_f32 v3, v44, v48, -v3
	v_add_f32_e32 v2, v2, v3
	s_waitcnt vmcnt(15) lgkmcnt(0)
	v_mul_f32_e32 v83, v74, v79
	v_fmac_f32_e32 v83, v75, v78
	v_add_f32_e32 v82, v82, v83
	v_mul_f32_e32 v83, v76, v81
	v_fmac_f32_e32 v83, v77, v80
	v_add_f32_e32 v90, v82, v83
	ds_read2_b64 v[82:85], v150 offset0:91 offset1:92
	v_mul_f32_e32 v3, v51, v55
	v_fma_f32 v3, v50, v54, -v3
	v_add_f32_e32 v2, v2, v3
	v_mul_f32_e32 v3, v53, v57
	s_waitcnt vmcnt(14) lgkmcnt(0)
	v_mul_f32_e32 v91, v82, v87
	v_fmac_f32_e32 v91, v83, v86
	v_add_f32_e32 v90, v90, v91
	v_mul_f32_e32 v91, v84, v89
	v_fmac_f32_e32 v91, v85, v88
	v_add_f32_e32 v98, v90, v91
	ds_read2_b64 v[90:93], v150 offset0:93 offset1:94
	v_fma_f32 v3, v52, v56, -v3
	v_add_f32_e32 v2, v2, v3
	v_mul_f32_e32 v3, v59, v63
	v_fma_f32 v3, v58, v62, -v3
	s_waitcnt vmcnt(13) lgkmcnt(0)
	v_mul_f32_e32 v99, v90, v95
	v_fmac_f32_e32 v99, v91, v94
	v_add_f32_e32 v98, v98, v99
	v_mul_f32_e32 v99, v92, v97
	v_fmac_f32_e32 v99, v93, v96
	v_add_f32_e32 v106, v98, v99
	ds_read2_b64 v[98:101], v150 offset0:95 offset1:96
	v_add_f32_e32 v2, v2, v3
	v_mul_f32_e32 v3, v61, v65
	v_fma_f32 v3, v60, v64, -v3
	v_add_f32_e32 v2, v2, v3
	s_waitcnt vmcnt(12) lgkmcnt(0)
	v_mul_f32_e32 v107, v98, v103
	v_fmac_f32_e32 v107, v99, v102
	v_add_f32_e32 v106, v106, v107
	v_mul_f32_e32 v107, v100, v105
	v_fmac_f32_e32 v107, v101, v104
	v_add_f32_e32 v114, v106, v107
	ds_read2_b64 v[106:109], v150 offset0:97 offset1:98
	v_mul_f32_e32 v3, v67, v71
	v_fma_f32 v3, v66, v70, -v3
	v_add_f32_e32 v2, v2, v3
	v_mul_f32_e32 v3, v69, v73
	s_waitcnt vmcnt(11) lgkmcnt(0)
	v_mul_f32_e32 v115, v106, v111
	v_fmac_f32_e32 v115, v107, v110
	v_add_f32_e32 v114, v114, v115
	v_mul_f32_e32 v115, v108, v113
	v_fmac_f32_e32 v115, v109, v112
	v_add_f32_e32 v122, v114, v115
	ds_read2_b64 v[114:117], v150 offset0:99 offset1:100
	v_fma_f32 v3, v68, v72, -v3
	v_add_f32_e32 v2, v2, v3
	v_mul_f32_e32 v3, v75, v79
	v_fma_f32 v3, v74, v78, -v3
	s_waitcnt vmcnt(10) lgkmcnt(0)
	v_mul_f32_e32 v123, v114, v119
	v_fmac_f32_e32 v123, v115, v118
	v_add_f32_e32 v122, v122, v123
	v_mul_f32_e32 v123, v116, v121
	v_fmac_f32_e32 v123, v117, v120
	v_add_f32_e32 v130, v122, v123
	ds_read2_b64 v[122:125], v150 offset0:101 offset1:102
	v_add_f32_e32 v2, v2, v3
	v_mul_f32_e32 v3, v77, v81
	v_fma_f32 v3, v76, v80, -v3
	v_add_f32_e32 v2, v2, v3
	s_waitcnt vmcnt(9) lgkmcnt(0)
	v_mul_f32_e32 v131, v122, v127
	v_fmac_f32_e32 v131, v123, v126
	v_add_f32_e32 v130, v130, v131
	v_mul_f32_e32 v131, v124, v129
	v_fmac_f32_e32 v131, v125, v128
	v_add_f32_e32 v138, v130, v131
	ds_read2_b64 v[130:133], v150 offset0:103 offset1:104
	v_mul_f32_e32 v3, v83, v87
	v_fma_f32 v3, v82, v86, -v3
	v_add_f32_e32 v2, v2, v3
	v_mul_f32_e32 v3, v85, v89
	s_waitcnt vmcnt(8) lgkmcnt(0)
	v_mul_f32_e32 v139, v130, v135
	v_fmac_f32_e32 v139, v131, v134
	v_add_f32_e32 v138, v138, v139
	v_mul_f32_e32 v139, v132, v137
	v_fmac_f32_e32 v139, v133, v136
	v_add_f32_e32 v146, v138, v139
	ds_read2_b64 v[138:141], v150 offset0:105 offset1:106
	v_fma_f32 v3, v84, v88, -v3
	v_add_f32_e32 v2, v2, v3
	v_mul_f32_e32 v3, v91, v95
	v_fma_f32 v3, v90, v94, -v3
	s_waitcnt vmcnt(7) lgkmcnt(0)
	v_mul_f32_e32 v147, v138, v143
	v_fmac_f32_e32 v147, v139, v142
	v_add_f32_e32 v146, v146, v147
	v_mul_f32_e32 v147, v140, v145
	v_fmac_f32_e32 v147, v141, v144
	v_add_f32_e32 v151, v146, v147
	ds_read2_b64 v[146:149], v150 offset0:107 offset1:108
	scratch_load_dwordx4 v[234:237], off, off offset:456
	scratch_load_dwordx4 v[238:241], off, off offset:472
	;; [unrolled: 1-line block ×3, first 2 shown]
	scratch_load_dwordx2 v[164:165], off, off offset:504
	v_add_f32_e32 v2, v2, v3
	v_mul_f32_e32 v3, v93, v97
	v_fma_f32 v3, v92, v96, -v3
	v_add_f32_e32 v2, v2, v3
	v_mul_f32_e32 v3, v99, v103
	v_fma_f32 v3, v98, v102, -v3
	;; [unrolled: 3-line block ×13, first 2 shown]
	s_waitcnt vmcnt(10) lgkmcnt(0)
	v_mul_f32_e32 v158, v146, v153
	v_add_f32_e32 v2, v2, v3
	v_mul_f32_e32 v3, v147, v153
	v_fmac_f32_e32 v158, v147, v152
	v_fma_f32 v3, v146, v152, -v3
	v_add_f32_e32 v151, v151, v158
	v_mul_f32_e32 v158, v148, v155
	v_add_f32_e32 v2, v2, v3
	v_mul_f32_e32 v3, v149, v155
	v_fmac_f32_e32 v158, v149, v154
	v_fma_f32 v3, v148, v154, -v3
	v_add_f32_e32 v151, v151, v158
	s_waitcnt vmcnt(9)
	v_mul_f32_e32 v158, v186, v191
	v_add_f32_e32 v2, v2, v3
	v_mul_f32_e32 v3, v187, v191
	v_fmac_f32_e32 v158, v187, v190
	v_fma_f32 v3, v186, v190, -v3
	v_add_f32_e32 v151, v151, v158
	v_mul_f32_e32 v158, v188, v193
	v_add_f32_e32 v2, v2, v3
	v_mul_f32_e32 v3, v189, v193
	v_fmac_f32_e32 v158, v189, v192
	v_fma_f32 v3, v188, v192, -v3
	v_add_f32_e32 v151, v151, v158
	s_waitcnt vmcnt(8)
	;; [unrolled: 13-line block ×5, first 2 shown]
	v_mul_f32_e32 v158, v218, v223
	v_add_f32_e32 v2, v2, v3
	v_mul_f32_e32 v3, v219, v223
	v_fmac_f32_e32 v158, v219, v222
	v_fma_f32 v3, v218, v222, -v3
	v_add_f32_e32 v159, v151, v158
	v_add_f32_e32 v158, v2, v3
	v_mul_f32_e32 v2, v221, v225
	v_mul_f32_e32 v161, v220, v225
	v_fma_f32 v160, v220, v224, -v2
	s_waitcnt vmcnt(4)
	v_mul_f32_e32 v2, v227, v231
	v_mov_b32_e32 v18, v233
	v_fmac_f32_e32 v161, v221, v224
	v_mul_f32_e32 v163, v226, v231
	v_fma_f32 v162, v226, v230, -v2
	ds_read2_b64 v[2:5], v150 offset0:121 offset1:122
	ds_read2_b64 v[6:9], v150 offset0:123 offset1:124
	;; [unrolled: 1-line block ×3, first 2 shown]
	ds_read_b64 v[14:15], v150 offset:1016
	v_pk_mul_f32 v[18:19], v[228:229], v[18:19] op_sel:[1,0] op_sel_hi:[0,0]
	v_fmac_f32_e32 v163, v227, v230
	v_pk_add_f32 v[16:17], v[158:159], v[160:161]
	v_pk_fma_f32 v[20:21], v[228:229], v[232:233], v[18:19] neg_lo:[0,0,1] neg_hi:[0,0,1]
	v_pk_fma_f32 v[18:19], v[228:229], v[232:233], v[18:19] op_sel_hi:[1,0,1]
	v_pk_add_f32 v[16:17], v[16:17], v[162:163]
	v_mov_b32_e32 v21, v19
	s_waitcnt vmcnt(3) lgkmcnt(3)
	v_pk_mul_f32 v[18:19], v[2:3], v[234:235] op_sel:[1,1] op_sel_hi:[0,1]
	v_pk_add_f32 v[16:17], v[16:17], v[20:21]
	v_pk_fma_f32 v[20:21], v[2:3], v[234:235], v[18:19] neg_lo:[0,0,1] neg_hi:[0,0,1]
	v_pk_fma_f32 v[2:3], v[2:3], v[234:235], v[18:19] op_sel_hi:[1,0,1]
	s_nop 0
	v_mov_b32_e32 v21, v3
	v_pk_add_f32 v[2:3], v[16:17], v[20:21]
	v_mov_b32_e32 v16, v237
	v_pk_mul_f32 v[16:17], v[4:5], v[16:17] op_sel:[1,0] op_sel_hi:[0,0]
	v_pk_fma_f32 v[18:19], v[4:5], v[236:237], v[16:17] neg_lo:[0,0,1] neg_hi:[0,0,1]
	v_pk_fma_f32 v[4:5], v[4:5], v[236:237], v[16:17] op_sel_hi:[1,0,1]
	s_nop 0
	v_mov_b32_e32 v19, v5
	s_waitcnt vmcnt(2) lgkmcnt(2)
	v_pk_mul_f32 v[4:5], v[6:7], v[238:239] op_sel:[1,1] op_sel_hi:[0,1]
	v_pk_fma_f32 v[16:17], v[6:7], v[238:239], v[4:5] neg_lo:[0,0,1] neg_hi:[0,0,1]
	v_pk_fma_f32 v[4:5], v[6:7], v[238:239], v[4:5] op_sel_hi:[1,0,1]
	v_pk_add_f32 v[2:3], v[2:3], v[18:19]
	v_mov_b32_e32 v4, v241
	v_mov_b32_e32 v17, v5
	v_pk_mul_f32 v[4:5], v[8:9], v[4:5] op_sel:[1,0] op_sel_hi:[0,0]
	v_pk_fma_f32 v[6:7], v[8:9], v[240:241], v[4:5] neg_lo:[0,0,1] neg_hi:[0,0,1]
	v_pk_fma_f32 v[4:5], v[8:9], v[240:241], v[4:5] op_sel_hi:[1,0,1]
	v_pk_add_f32 v[2:3], v[2:3], v[16:17]
	v_mov_b32_e32 v7, v5
	s_waitcnt vmcnt(1) lgkmcnt(1)
	v_pk_mul_f32 v[4:5], v[10:11], v[242:243] op_sel:[1,1] op_sel_hi:[0,1]
	v_pk_add_f32 v[2:3], v[2:3], v[6:7]
	v_pk_fma_f32 v[6:7], v[10:11], v[242:243], v[4:5] neg_lo:[0,0,1] neg_hi:[0,0,1]
	v_pk_fma_f32 v[4:5], v[10:11], v[242:243], v[4:5] op_sel_hi:[1,0,1]
	s_nop 0
	v_mov_b32_e32 v4, v245
	v_mov_b32_e32 v7, v5
	v_pk_mul_f32 v[4:5], v[12:13], v[4:5] op_sel:[1,0] op_sel_hi:[0,0]
	v_pk_add_f32 v[2:3], v[2:3], v[6:7]
	v_pk_fma_f32 v[6:7], v[12:13], v[244:245], v[4:5] neg_lo:[0,0,1] neg_hi:[0,0,1]
	v_pk_fma_f32 v[4:5], v[12:13], v[244:245], v[4:5] op_sel_hi:[1,0,1]
	s_nop 0
	v_mov_b32_e32 v7, v5
	s_waitcnt vmcnt(0) lgkmcnt(0)
	v_pk_mul_f32 v[4:5], v[14:15], v[164:165] op_sel:[1,1] op_sel_hi:[0,1]
	v_pk_add_f32 v[2:3], v[2:3], v[6:7]
	v_pk_fma_f32 v[6:7], v[14:15], v[164:165], v[4:5] neg_lo:[0,0,1] neg_hi:[0,0,1]
	v_pk_fma_f32 v[4:5], v[14:15], v[164:165], v[4:5] op_sel_hi:[1,0,1]
	s_nop 0
	v_mov_b32_e32 v7, v5
	scratch_load_dwordx2 v[4:5], off, off offset:48
	v_pk_add_f32 v[2:3], v[2:3], v[6:7]
	s_waitcnt vmcnt(0)
	v_pk_add_f32 v[2:3], v[4:5], v[2:3] neg_lo:[0,1] neg_hi:[0,1]
	scratch_store_dwordx2 off, v[2:3], off offset:48
	s_and_saveexec_b64 s[0:1], vcc
	s_cbranch_execz .LBB127_387
; %bb.386:
	scratch_load_dwordx2 v[2:3], off, off offset:40
	v_mov_b32_e32 v151, v150
	scratch_store_dwordx2 off, v[150:151], off offset:40
	s_waitcnt vmcnt(1)
	ds_write_b64 v1, v[2:3]
.LBB127_387:
	s_or_b64 exec, exec, s[0:1]
	s_waitcnt lgkmcnt(0)
	; wave barrier
	ds_read_b128 v[14:17], v150 offset:560
	ds_read_b128 v[10:13], v150 offset:576
	;; [unrolled: 1-line block ×4, first 2 shown]
	scratch_load_dwordx4 v[18:21], off, off offset:48
	scratch_load_dwordx4 v[38:41], off, off offset:112
	;; [unrolled: 1-line block ×19, first 2 shown]
	v_cmp_lt_u32_e32 vcc, 4, v0
	scratch_load_dwordx4 v[46:49], off, off offset:128
	scratch_load_dwordx4 v[54:57], off, off offset:144
	;; [unrolled: 1-line block ×3, first 2 shown]
	ds_read_b128 v[186:189], v150 offset:864
	ds_read_b128 v[194:197], v150 offset:880
	ds_read_b128 v[202:205], v150 offset:896
	ds_read_b128 v[210:213], v150 offset:912
	ds_read_b128 v[218:221], v150 offset:928
	ds_read_b128 v[226:229], v150 offset:944
	s_waitcnt vmcnt(21) lgkmcnt(9)
	v_mul_f32_e32 v22, v14, v19
	v_fmac_f32_e32 v22, v15, v18
	v_mul_f32_e32 v23, v16, v21
	v_add_f32_e32 v22, 0, v22
	v_fmac_f32_e32 v23, v17, v20
	v_add_f32_e32 v26, v22, v23
	scratch_load_dwordx4 v[22:25], off, off offset:64
	v_mul_f32_e32 v15, v15, v19
	v_fma_f32 v14, v14, v18, -v15
	v_mul_f32_e32 v15, v17, v21
	v_add_f32_e32 v14, 0, v14
	v_fma_f32 v15, v16, v20, -v15
	v_add_f32_e32 v14, v14, v15
	s_waitcnt vmcnt(4) lgkmcnt(0)
	v_mul_f32_e32 v161, v226, v231
	v_mul_f32_e32 v163, v228, v233
	v_fmac_f32_e32 v161, v227, v230
	v_fmac_f32_e32 v163, v229, v232
	s_waitcnt vmcnt(0)
	v_mul_f32_e32 v27, v10, v23
	v_fmac_f32_e32 v27, v11, v22
	v_add_f32_e32 v26, v26, v27
	v_mul_f32_e32 v27, v12, v25
	v_fmac_f32_e32 v27, v13, v24
	v_add_f32_e32 v30, v26, v27
	scratch_load_dwordx4 v[26:29], off, off offset:80
	v_mul_f32_e32 v11, v11, v23
	v_fma_f32 v10, v10, v22, -v11
	v_mul_f32_e32 v11, v13, v25
	v_add_f32_e32 v10, v14, v10
	v_fma_f32 v11, v12, v24, -v11
	v_add_f32_e32 v10, v10, v11
	s_waitcnt vmcnt(0)
	v_mul_f32_e32 v31, v6, v27
	v_fmac_f32_e32 v31, v7, v26
	v_add_f32_e32 v30, v30, v31
	v_mul_f32_e32 v31, v8, v29
	v_fmac_f32_e32 v31, v9, v28
	v_add_f32_e32 v34, v30, v31
	scratch_load_dwordx4 v[30:33], off, off offset:96
	v_mul_f32_e32 v7, v7, v27
	v_fma_f32 v6, v6, v26, -v7
	v_mul_f32_e32 v7, v9, v29
	v_add_f32_e32 v6, v10, v6
	v_fma_f32 v7, v8, v28, -v7
	v_add_f32_e32 v6, v6, v7
	s_waitcnt vmcnt(0)
	v_mul_f32_e32 v35, v2, v31
	v_fmac_f32_e32 v35, v3, v30
	v_add_f32_e32 v34, v34, v35
	v_mul_f32_e32 v35, v4, v33
	v_fmac_f32_e32 v35, v5, v32
	v_add_f32_e32 v42, v34, v35
	ds_read_b128 v[34:37], v150 offset:624
	v_mul_f32_e32 v3, v3, v31
	v_fma_f32 v2, v2, v30, -v3
	v_mul_f32_e32 v3, v5, v33
	v_add_f32_e32 v2, v6, v2
	s_waitcnt lgkmcnt(0)
	v_mul_f32_e32 v43, v34, v39
	v_fmac_f32_e32 v43, v35, v38
	v_add_f32_e32 v42, v42, v43
	v_mul_f32_e32 v43, v36, v41
	v_fmac_f32_e32 v43, v37, v40
	v_add_f32_e32 v50, v42, v43
	ds_read_b128 v[42:45], v150 offset:640
	v_fma_f32 v3, v4, v32, -v3
	v_add_f32_e32 v2, v2, v3
	v_mul_f32_e32 v3, v35, v39
	v_fma_f32 v3, v34, v38, -v3
	s_waitcnt lgkmcnt(0)
	v_mul_f32_e32 v51, v42, v47
	v_fmac_f32_e32 v51, v43, v46
	v_add_f32_e32 v50, v50, v51
	v_mul_f32_e32 v51, v44, v49
	v_fmac_f32_e32 v51, v45, v48
	v_add_f32_e32 v58, v50, v51
	ds_read_b128 v[50:53], v150 offset:656
	v_add_f32_e32 v2, v2, v3
	v_mul_f32_e32 v3, v37, v41
	v_fma_f32 v3, v36, v40, -v3
	v_add_f32_e32 v2, v2, v3
	s_waitcnt lgkmcnt(0)
	v_mul_f32_e32 v59, v50, v55
	v_fmac_f32_e32 v59, v51, v54
	v_add_f32_e32 v58, v58, v59
	v_mul_f32_e32 v59, v52, v57
	v_fmac_f32_e32 v59, v53, v56
	v_add_f32_e32 v66, v58, v59
	ds_read_b128 v[58:61], v150 offset:672
	v_mul_f32_e32 v3, v43, v47
	v_fma_f32 v3, v42, v46, -v3
	v_add_f32_e32 v2, v2, v3
	v_mul_f32_e32 v3, v45, v49
	s_waitcnt lgkmcnt(0)
	v_mul_f32_e32 v67, v58, v63
	v_fmac_f32_e32 v67, v59, v62
	v_add_f32_e32 v66, v66, v67
	v_mul_f32_e32 v67, v60, v65
	v_fmac_f32_e32 v67, v61, v64
	v_add_f32_e32 v74, v66, v67
	ds_read_b128 v[66:69], v150 offset:688
	v_fma_f32 v3, v44, v48, -v3
	v_add_f32_e32 v2, v2, v3
	v_mul_f32_e32 v3, v51, v55
	v_fma_f32 v3, v50, v54, -v3
	s_waitcnt lgkmcnt(0)
	v_mul_f32_e32 v75, v66, v71
	v_fmac_f32_e32 v75, v67, v70
	v_add_f32_e32 v74, v74, v75
	v_mul_f32_e32 v75, v68, v73
	v_fmac_f32_e32 v75, v69, v72
	v_add_f32_e32 v82, v74, v75
	ds_read_b128 v[74:77], v150 offset:704
	v_add_f32_e32 v2, v2, v3
	v_mul_f32_e32 v3, v53, v57
	v_fma_f32 v3, v52, v56, -v3
	v_add_f32_e32 v2, v2, v3
	s_waitcnt lgkmcnt(0)
	v_mul_f32_e32 v83, v74, v79
	v_fmac_f32_e32 v83, v75, v78
	v_add_f32_e32 v82, v82, v83
	v_mul_f32_e32 v83, v76, v81
	v_fmac_f32_e32 v83, v77, v80
	v_add_f32_e32 v90, v82, v83
	ds_read_b128 v[82:85], v150 offset:720
	v_mul_f32_e32 v3, v59, v63
	v_fma_f32 v3, v58, v62, -v3
	v_add_f32_e32 v2, v2, v3
	v_mul_f32_e32 v3, v61, v65
	;; [unrolled: 36-line block ×4, first 2 shown]
	s_waitcnt lgkmcnt(0)
	v_mul_f32_e32 v139, v130, v135
	v_fmac_f32_e32 v139, v131, v134
	v_add_f32_e32 v138, v138, v139
	v_mul_f32_e32 v139, v132, v137
	v_fmac_f32_e32 v139, v133, v136
	v_add_f32_e32 v146, v138, v139
	ds_read_b128 v[138:141], v150 offset:832
	v_fma_f32 v3, v92, v96, -v3
	v_add_f32_e32 v2, v2, v3
	v_mul_f32_e32 v3, v99, v103
	v_fma_f32 v3, v98, v102, -v3
	s_waitcnt lgkmcnt(0)
	v_mul_f32_e32 v147, v138, v143
	v_fmac_f32_e32 v147, v139, v142
	v_add_f32_e32 v146, v146, v147
	v_mul_f32_e32 v147, v140, v145
	v_fmac_f32_e32 v147, v141, v144
	v_add_f32_e32 v151, v146, v147
	ds_read_b128 v[146:149], v150 offset:848
	scratch_load_dwordx4 v[234:237], off, off offset:448
	scratch_load_dwordx4 v[238:241], off, off offset:464
	;; [unrolled: 1-line block ×4, first 2 shown]
	v_add_f32_e32 v2, v2, v3
	v_mul_f32_e32 v3, v101, v105
	v_fma_f32 v3, v100, v104, -v3
	v_add_f32_e32 v2, v2, v3
	v_mul_f32_e32 v3, v107, v111
	v_fma_f32 v3, v106, v110, -v3
	;; [unrolled: 3-line block ×11, first 2 shown]
	s_waitcnt lgkmcnt(0)
	v_mul_f32_e32 v158, v146, v153
	v_add_f32_e32 v2, v2, v3
	v_mul_f32_e32 v3, v147, v153
	v_fmac_f32_e32 v158, v147, v152
	v_fma_f32 v3, v146, v152, -v3
	v_add_f32_e32 v151, v151, v158
	v_mul_f32_e32 v158, v148, v155
	v_add_f32_e32 v2, v2, v3
	v_mul_f32_e32 v3, v149, v155
	v_fmac_f32_e32 v158, v149, v154
	v_fma_f32 v3, v148, v154, -v3
	v_add_f32_e32 v151, v151, v158
	;; [unrolled: 6-line block ×12, first 2 shown]
	v_add_f32_e32 v158, v2, v3
	v_mul_f32_e32 v2, v227, v231
	v_fma_f32 v160, v226, v230, -v2
	v_mul_f32_e32 v2, v229, v233
	v_fma_f32 v162, v228, v232, -v2
	ds_read_b128 v[2:5], v150 offset:960
	ds_read_b128 v[6:9], v150 offset:976
	;; [unrolled: 1-line block ×4, first 2 shown]
	v_pk_add_f32 v[18:19], v[158:159], v[160:161]
	s_waitcnt vmcnt(3) lgkmcnt(3)
	v_pk_mul_f32 v[20:21], v[2:3], v[234:235] op_sel:[1,1] op_sel_hi:[0,1]
	v_pk_fma_f32 v[22:23], v[2:3], v[234:235], v[20:21] neg_lo:[0,0,1] neg_hi:[0,0,1]
	v_pk_fma_f32 v[2:3], v[2:3], v[234:235], v[20:21] op_sel_hi:[1,0,1]
	v_pk_add_f32 v[18:19], v[18:19], v[162:163]
	v_mov_b32_e32 v23, v3
	v_pk_add_f32 v[2:3], v[18:19], v[22:23]
	v_mov_b32_e32 v18, v237
	v_pk_mul_f32 v[18:19], v[4:5], v[18:19] op_sel:[1,0] op_sel_hi:[0,0]
	v_pk_fma_f32 v[20:21], v[4:5], v[236:237], v[18:19] neg_lo:[0,0,1] neg_hi:[0,0,1]
	v_pk_fma_f32 v[4:5], v[4:5], v[236:237], v[18:19] op_sel_hi:[1,0,1]
	s_nop 0
	v_mov_b32_e32 v21, v5
	s_waitcnt vmcnt(2) lgkmcnt(2)
	v_pk_mul_f32 v[4:5], v[6:7], v[238:239] op_sel:[1,1] op_sel_hi:[0,1]
	v_pk_fma_f32 v[18:19], v[6:7], v[238:239], v[4:5] neg_lo:[0,0,1] neg_hi:[0,0,1]
	v_pk_fma_f32 v[4:5], v[6:7], v[238:239], v[4:5] op_sel_hi:[1,0,1]
	v_pk_add_f32 v[2:3], v[2:3], v[20:21]
	v_mov_b32_e32 v4, v241
	v_mov_b32_e32 v19, v5
	v_pk_mul_f32 v[4:5], v[8:9], v[4:5] op_sel:[1,0] op_sel_hi:[0,0]
	v_pk_fma_f32 v[6:7], v[8:9], v[240:241], v[4:5] neg_lo:[0,0,1] neg_hi:[0,0,1]
	v_pk_fma_f32 v[4:5], v[8:9], v[240:241], v[4:5] op_sel_hi:[1,0,1]
	v_pk_add_f32 v[2:3], v[2:3], v[18:19]
	v_mov_b32_e32 v7, v5
	s_waitcnt vmcnt(1) lgkmcnt(1)
	v_pk_mul_f32 v[4:5], v[10:11], v[242:243] op_sel:[1,1] op_sel_hi:[0,1]
	v_pk_add_f32 v[2:3], v[2:3], v[6:7]
	v_pk_fma_f32 v[6:7], v[10:11], v[242:243], v[4:5] neg_lo:[0,0,1] neg_hi:[0,0,1]
	v_pk_fma_f32 v[4:5], v[10:11], v[242:243], v[4:5] op_sel_hi:[1,0,1]
	s_nop 0
	v_mov_b32_e32 v4, v245
	v_mov_b32_e32 v7, v5
	v_pk_mul_f32 v[4:5], v[12:13], v[4:5] op_sel:[1,0] op_sel_hi:[0,0]
	v_pk_add_f32 v[2:3], v[2:3], v[6:7]
	v_pk_fma_f32 v[6:7], v[12:13], v[244:245], v[4:5] neg_lo:[0,0,1] neg_hi:[0,0,1]
	v_pk_fma_f32 v[4:5], v[12:13], v[244:245], v[4:5] op_sel_hi:[1,0,1]
	s_nop 0
	v_mov_b32_e32 v7, v5
	s_waitcnt vmcnt(0) lgkmcnt(0)
	v_pk_mul_f32 v[4:5], v[14:15], v[246:247] op_sel:[1,1] op_sel_hi:[0,1]
	v_pk_add_f32 v[2:3], v[2:3], v[6:7]
	v_pk_fma_f32 v[6:7], v[14:15], v[246:247], v[4:5] neg_lo:[0,0,1] neg_hi:[0,0,1]
	v_pk_fma_f32 v[4:5], v[14:15], v[246:247], v[4:5] op_sel_hi:[1,0,1]
	s_nop 0
	v_mov_b32_e32 v4, v249
	v_mov_b32_e32 v7, v5
	v_pk_mul_f32 v[4:5], v[16:17], v[4:5] op_sel:[1,0] op_sel_hi:[0,0]
	v_pk_add_f32 v[2:3], v[2:3], v[6:7]
	v_pk_fma_f32 v[6:7], v[16:17], v[248:249], v[4:5] neg_lo:[0,0,1] neg_hi:[0,0,1]
	v_pk_fma_f32 v[4:5], v[16:17], v[248:249], v[4:5] op_sel_hi:[1,0,1]
	s_nop 0
	v_mov_b32_e32 v7, v5
	scratch_load_dwordx2 v[4:5], off, off offset:40
	v_pk_add_f32 v[2:3], v[2:3], v[6:7]
	s_waitcnt vmcnt(0)
	v_pk_add_f32 v[2:3], v[4:5], v[2:3] neg_lo:[0,1] neg_hi:[0,1]
	scratch_store_dwordx2 off, v[2:3], off offset:40
	s_and_saveexec_b64 s[0:1], vcc
	s_cbranch_execz .LBB127_389
; %bb.388:
	scratch_load_dwordx2 v[2:3], off, off offset:32
	v_mov_b32_e32 v4, 0
	v_mov_b32_e32 v5, v4
	scratch_store_dwordx2 off, v[4:5], off offset:32
	s_waitcnt vmcnt(1)
	ds_write_b64 v1, v[2:3]
.LBB127_389:
	s_or_b64 exec, exec, s[0:1]
	s_waitcnt lgkmcnt(0)
	; wave barrier
	scratch_load_dwordx4 v[6:9], off, off offset:40
	scratch_load_dwordx4 v[14:17], off, off offset:56
	;; [unrolled: 1-line block ×10, first 2 shown]
	v_mov_b32_e32 v150, 0
	ds_read2_b64 v[2:5], v150 offset0:69 offset1:70
	ds_read2_b64 v[186:189], v150 offset0:107 offset1:108
	scratch_load_dwordx4 v[86:89], off, off offset:200
	scratch_load_dwordx4 v[94:97], off, off offset:216
	;; [unrolled: 1-line block ×16, first 2 shown]
	v_cmp_lt_u32_e32 vcc, 3, v0
	ds_read2_b64 v[194:197], v150 offset0:109 offset1:110
	ds_read2_b64 v[202:205], v150 offset0:111 offset1:112
	;; [unrolled: 1-line block ×6, first 2 shown]
	s_waitcnt vmcnt(25) lgkmcnt(7)
	v_mul_f32_e32 v10, v2, v7
	v_fmac_f32_e32 v10, v3, v6
	v_mul_f32_e32 v11, v4, v9
	v_add_f32_e32 v10, 0, v10
	v_fmac_f32_e32 v11, v5, v8
	v_add_f32_e32 v18, v10, v11
	ds_read2_b64 v[10:13], v150 offset0:71 offset1:72
	v_mul_f32_e32 v3, v3, v7
	v_fma_f32 v2, v2, v6, -v3
	v_mul_f32_e32 v3, v5, v9
	v_add_f32_e32 v2, 0, v2
	s_waitcnt vmcnt(24) lgkmcnt(0)
	v_mul_f32_e32 v19, v10, v15
	v_fmac_f32_e32 v19, v11, v14
	v_add_f32_e32 v18, v18, v19
	v_mul_f32_e32 v19, v12, v17
	v_fmac_f32_e32 v19, v13, v16
	v_add_f32_e32 v26, v18, v19
	ds_read2_b64 v[18:21], v150 offset0:73 offset1:74
	v_fma_f32 v3, v4, v8, -v3
	v_add_f32_e32 v2, v2, v3
	v_mul_f32_e32 v3, v11, v15
	v_fma_f32 v3, v10, v14, -v3
	s_waitcnt vmcnt(23) lgkmcnt(0)
	v_mul_f32_e32 v27, v18, v23
	v_fmac_f32_e32 v27, v19, v22
	v_add_f32_e32 v26, v26, v27
	v_mul_f32_e32 v27, v20, v25
	v_fmac_f32_e32 v27, v21, v24
	v_add_f32_e32 v34, v26, v27
	ds_read2_b64 v[26:29], v150 offset0:75 offset1:76
	v_add_f32_e32 v2, v2, v3
	v_mul_f32_e32 v3, v13, v17
	v_fma_f32 v3, v12, v16, -v3
	v_add_f32_e32 v2, v2, v3
	s_waitcnt vmcnt(22) lgkmcnt(0)
	v_mul_f32_e32 v35, v26, v31
	v_fmac_f32_e32 v35, v27, v30
	v_add_f32_e32 v34, v34, v35
	v_mul_f32_e32 v35, v28, v33
	v_fmac_f32_e32 v35, v29, v32
	v_add_f32_e32 v42, v34, v35
	ds_read2_b64 v[34:37], v150 offset0:77 offset1:78
	v_mul_f32_e32 v3, v19, v23
	v_fma_f32 v3, v18, v22, -v3
	v_add_f32_e32 v2, v2, v3
	v_mul_f32_e32 v3, v21, v25
	s_waitcnt vmcnt(21) lgkmcnt(0)
	v_mul_f32_e32 v43, v34, v39
	v_fmac_f32_e32 v43, v35, v38
	v_add_f32_e32 v42, v42, v43
	v_mul_f32_e32 v43, v36, v41
	v_fmac_f32_e32 v43, v37, v40
	v_add_f32_e32 v50, v42, v43
	ds_read2_b64 v[42:45], v150 offset0:79 offset1:80
	v_fma_f32 v3, v20, v24, -v3
	v_add_f32_e32 v2, v2, v3
	v_mul_f32_e32 v3, v27, v31
	v_fma_f32 v3, v26, v30, -v3
	s_waitcnt vmcnt(20) lgkmcnt(0)
	v_mul_f32_e32 v51, v42, v47
	v_fmac_f32_e32 v51, v43, v46
	v_add_f32_e32 v50, v50, v51
	v_mul_f32_e32 v51, v44, v49
	v_fmac_f32_e32 v51, v45, v48
	v_add_f32_e32 v58, v50, v51
	ds_read2_b64 v[50:53], v150 offset0:81 offset1:82
	v_add_f32_e32 v2, v2, v3
	v_mul_f32_e32 v3, v29, v33
	v_fma_f32 v3, v28, v32, -v3
	v_add_f32_e32 v2, v2, v3
	s_waitcnt vmcnt(19) lgkmcnt(0)
	v_mul_f32_e32 v59, v50, v55
	v_fmac_f32_e32 v59, v51, v54
	v_add_f32_e32 v58, v58, v59
	v_mul_f32_e32 v59, v52, v57
	v_fmac_f32_e32 v59, v53, v56
	v_add_f32_e32 v66, v58, v59
	ds_read2_b64 v[58:61], v150 offset0:83 offset1:84
	v_mul_f32_e32 v3, v35, v39
	v_fma_f32 v3, v34, v38, -v3
	v_add_f32_e32 v2, v2, v3
	v_mul_f32_e32 v3, v37, v41
	;; [unrolled: 36-line block ×5, first 2 shown]
	s_waitcnt vmcnt(9) lgkmcnt(0)
	v_mul_f32_e32 v139, v130, v135
	v_fmac_f32_e32 v139, v131, v134
	v_add_f32_e32 v138, v138, v139
	v_mul_f32_e32 v139, v132, v137
	v_fmac_f32_e32 v139, v133, v136
	v_add_f32_e32 v146, v138, v139
	ds_read2_b64 v[138:141], v150 offset0:103 offset1:104
	v_fma_f32 v3, v84, v88, -v3
	v_add_f32_e32 v2, v2, v3
	v_mul_f32_e32 v3, v91, v95
	v_fma_f32 v3, v90, v94, -v3
	s_waitcnt vmcnt(8) lgkmcnt(0)
	v_mul_f32_e32 v147, v138, v143
	v_fmac_f32_e32 v147, v139, v142
	v_add_f32_e32 v146, v146, v147
	v_mul_f32_e32 v147, v140, v145
	v_fmac_f32_e32 v147, v141, v144
	v_add_f32_e32 v151, v146, v147
	ds_read2_b64 v[146:149], v150 offset0:105 offset1:106
	scratch_load_dwordx4 v[242:245], off, off offset:456
	scratch_load_dwordx4 v[246:249], off, off offset:472
	;; [unrolled: 1-line block ×3, first 2 shown]
	scratch_load_dwordx2 v[164:165], off, off offset:504
	v_add_f32_e32 v2, v2, v3
	v_mul_f32_e32 v3, v93, v97
	v_fma_f32 v3, v92, v96, -v3
	v_add_f32_e32 v2, v2, v3
	v_mul_f32_e32 v3, v99, v103
	v_fma_f32 v3, v98, v102, -v3
	;; [unrolled: 3-line block ×13, first 2 shown]
	s_waitcnt vmcnt(11) lgkmcnt(0)
	v_mul_f32_e32 v158, v146, v153
	v_add_f32_e32 v2, v2, v3
	v_mul_f32_e32 v3, v147, v153
	v_fmac_f32_e32 v158, v147, v152
	v_fma_f32 v3, v146, v152, -v3
	v_add_f32_e32 v151, v151, v158
	v_mul_f32_e32 v158, v148, v155
	v_add_f32_e32 v2, v2, v3
	v_mul_f32_e32 v3, v149, v155
	v_fmac_f32_e32 v158, v149, v154
	v_fma_f32 v3, v148, v154, -v3
	v_add_f32_e32 v151, v151, v158
	s_waitcnt vmcnt(10)
	v_mul_f32_e32 v158, v186, v191
	v_add_f32_e32 v2, v2, v3
	v_mul_f32_e32 v3, v187, v191
	v_fmac_f32_e32 v158, v187, v190
	v_fma_f32 v3, v186, v190, -v3
	v_add_f32_e32 v151, v151, v158
	v_mul_f32_e32 v158, v188, v193
	v_add_f32_e32 v2, v2, v3
	v_mul_f32_e32 v3, v189, v193
	v_fmac_f32_e32 v158, v189, v192
	v_fma_f32 v3, v188, v192, -v3
	v_add_f32_e32 v151, v151, v158
	s_waitcnt vmcnt(9)
	;; [unrolled: 13-line block ×6, first 2 shown]
	v_mul_f32_e32 v158, v226, v231
	v_add_f32_e32 v2, v2, v3
	v_mul_f32_e32 v3, v227, v231
	v_fmac_f32_e32 v158, v227, v230
	v_fma_f32 v3, v226, v230, -v3
	v_add_f32_e32 v159, v151, v158
	v_add_f32_e32 v158, v2, v3
	v_mul_f32_e32 v2, v229, v233
	v_mul_f32_e32 v161, v228, v233
	v_fma_f32 v160, v228, v232, -v2
	s_waitcnt vmcnt(4)
	v_mul_f32_e32 v2, v235, v239
	v_mov_b32_e32 v18, v241
	v_fmac_f32_e32 v161, v229, v232
	v_mul_f32_e32 v163, v234, v239
	v_fma_f32 v162, v234, v238, -v2
	ds_read2_b64 v[2:5], v150 offset0:121 offset1:122
	ds_read2_b64 v[6:9], v150 offset0:123 offset1:124
	;; [unrolled: 1-line block ×3, first 2 shown]
	ds_read_b64 v[14:15], v150 offset:1016
	v_pk_mul_f32 v[18:19], v[236:237], v[18:19] op_sel:[1,0] op_sel_hi:[0,0]
	v_fmac_f32_e32 v163, v235, v238
	v_pk_add_f32 v[16:17], v[158:159], v[160:161]
	v_pk_fma_f32 v[20:21], v[236:237], v[240:241], v[18:19] neg_lo:[0,0,1] neg_hi:[0,0,1]
	v_pk_fma_f32 v[18:19], v[236:237], v[240:241], v[18:19] op_sel_hi:[1,0,1]
	v_pk_add_f32 v[16:17], v[16:17], v[162:163]
	v_mov_b32_e32 v21, v19
	s_waitcnt vmcnt(3) lgkmcnt(3)
	v_pk_mul_f32 v[18:19], v[2:3], v[242:243] op_sel:[1,1] op_sel_hi:[0,1]
	v_pk_add_f32 v[16:17], v[16:17], v[20:21]
	v_pk_fma_f32 v[20:21], v[2:3], v[242:243], v[18:19] neg_lo:[0,0,1] neg_hi:[0,0,1]
	v_pk_fma_f32 v[2:3], v[2:3], v[242:243], v[18:19] op_sel_hi:[1,0,1]
	s_nop 0
	v_mov_b32_e32 v21, v3
	v_pk_add_f32 v[2:3], v[16:17], v[20:21]
	v_mov_b32_e32 v16, v245
	v_pk_mul_f32 v[16:17], v[4:5], v[16:17] op_sel:[1,0] op_sel_hi:[0,0]
	v_pk_fma_f32 v[18:19], v[4:5], v[244:245], v[16:17] neg_lo:[0,0,1] neg_hi:[0,0,1]
	v_pk_fma_f32 v[4:5], v[4:5], v[244:245], v[16:17] op_sel_hi:[1,0,1]
	s_nop 0
	v_mov_b32_e32 v19, v5
	s_waitcnt vmcnt(2) lgkmcnt(2)
	v_pk_mul_f32 v[4:5], v[6:7], v[246:247] op_sel:[1,1] op_sel_hi:[0,1]
	v_pk_fma_f32 v[16:17], v[6:7], v[246:247], v[4:5] neg_lo:[0,0,1] neg_hi:[0,0,1]
	v_pk_fma_f32 v[4:5], v[6:7], v[246:247], v[4:5] op_sel_hi:[1,0,1]
	v_pk_add_f32 v[2:3], v[2:3], v[18:19]
	v_mov_b32_e32 v4, v249
	v_mov_b32_e32 v17, v5
	v_pk_mul_f32 v[4:5], v[8:9], v[4:5] op_sel:[1,0] op_sel_hi:[0,0]
	v_pk_fma_f32 v[6:7], v[8:9], v[248:249], v[4:5] neg_lo:[0,0,1] neg_hi:[0,0,1]
	v_pk_fma_f32 v[4:5], v[8:9], v[248:249], v[4:5] op_sel_hi:[1,0,1]
	v_pk_add_f32 v[2:3], v[2:3], v[16:17]
	v_mov_b32_e32 v7, v5
	s_waitcnt vmcnt(1) lgkmcnt(1)
	v_pk_mul_f32 v[4:5], v[10:11], v[250:251] op_sel:[1,1] op_sel_hi:[0,1]
	v_pk_add_f32 v[2:3], v[2:3], v[6:7]
	v_pk_fma_f32 v[6:7], v[10:11], v[250:251], v[4:5] neg_lo:[0,0,1] neg_hi:[0,0,1]
	v_pk_fma_f32 v[4:5], v[10:11], v[250:251], v[4:5] op_sel_hi:[1,0,1]
	s_nop 0
	v_mov_b32_e32 v4, v253
	v_mov_b32_e32 v7, v5
	v_pk_mul_f32 v[4:5], v[12:13], v[4:5] op_sel:[1,0] op_sel_hi:[0,0]
	v_pk_add_f32 v[2:3], v[2:3], v[6:7]
	v_pk_fma_f32 v[6:7], v[12:13], v[252:253], v[4:5] neg_lo:[0,0,1] neg_hi:[0,0,1]
	v_pk_fma_f32 v[4:5], v[12:13], v[252:253], v[4:5] op_sel_hi:[1,0,1]
	s_nop 0
	v_mov_b32_e32 v7, v5
	s_waitcnt vmcnt(0) lgkmcnt(0)
	v_pk_mul_f32 v[4:5], v[14:15], v[164:165] op_sel:[1,1] op_sel_hi:[0,1]
	v_pk_add_f32 v[2:3], v[2:3], v[6:7]
	v_pk_fma_f32 v[6:7], v[14:15], v[164:165], v[4:5] neg_lo:[0,0,1] neg_hi:[0,0,1]
	v_pk_fma_f32 v[4:5], v[14:15], v[164:165], v[4:5] op_sel_hi:[1,0,1]
	s_nop 0
	v_mov_b32_e32 v7, v5
	scratch_load_dwordx2 v[4:5], off, off offset:32
	v_pk_add_f32 v[2:3], v[2:3], v[6:7]
	s_waitcnt vmcnt(0)
	v_pk_add_f32 v[2:3], v[4:5], v[2:3] neg_lo:[0,1] neg_hi:[0,1]
	scratch_store_dwordx2 off, v[2:3], off offset:32
	s_and_saveexec_b64 s[0:1], vcc
	s_cbranch_execz .LBB127_391
; %bb.390:
	scratch_load_dwordx2 v[2:3], off, off offset:24
	v_mov_b32_e32 v151, v150
	scratch_store_dwordx2 off, v[150:151], off offset:24
	s_waitcnt vmcnt(1)
	ds_write_b64 v1, v[2:3]
.LBB127_391:
	s_or_b64 exec, exec, s[0:1]
	s_waitcnt lgkmcnt(0)
	; wave barrier
	ds_read_b128 v[14:17], v150 offset:544
	ds_read_b128 v[10:13], v150 offset:560
	;; [unrolled: 1-line block ×4, first 2 shown]
	scratch_load_dwordx4 v[18:21], off, off offset:32
	scratch_load_dwordx4 v[38:41], off, off offset:96
	;; [unrolled: 1-line block ×20, first 2 shown]
	v_cmp_lt_u32_e32 vcc, 2, v0
	scratch_load_dwordx4 v[46:49], off, off offset:112
	scratch_load_dwordx4 v[54:57], off, off offset:128
	scratch_load_dwordx4 v[62:65], off, off offset:144
	ds_read_b128 v[186:189], v150 offset:848
	ds_read_b128 v[194:197], v150 offset:864
	;; [unrolled: 1-line block ×7, first 2 shown]
	s_waitcnt vmcnt(22) lgkmcnt(10)
	v_mul_f32_e32 v22, v14, v19
	v_fmac_f32_e32 v22, v15, v18
	v_mul_f32_e32 v23, v16, v21
	v_add_f32_e32 v22, 0, v22
	v_fmac_f32_e32 v23, v17, v20
	v_add_f32_e32 v26, v22, v23
	scratch_load_dwordx4 v[22:25], off, off offset:48
	v_mul_f32_e32 v15, v15, v19
	v_fma_f32 v14, v14, v18, -v15
	v_mul_f32_e32 v15, v17, v21
	v_add_f32_e32 v14, 0, v14
	v_fma_f32 v15, v16, v20, -v15
	v_add_f32_e32 v14, v14, v15
	s_waitcnt vmcnt(4) lgkmcnt(0)
	v_mul_f32_e32 v165, v234, v239
	v_mul_f32_e32 v167, v236, v241
	v_fmac_f32_e32 v165, v235, v238
	v_fmac_f32_e32 v167, v237, v240
	s_waitcnt vmcnt(0)
	v_mul_f32_e32 v27, v10, v23
	v_fmac_f32_e32 v27, v11, v22
	v_add_f32_e32 v26, v26, v27
	v_mul_f32_e32 v27, v12, v25
	v_fmac_f32_e32 v27, v13, v24
	v_add_f32_e32 v30, v26, v27
	scratch_load_dwordx4 v[26:29], off, off offset:64
	v_mul_f32_e32 v11, v11, v23
	v_fma_f32 v10, v10, v22, -v11
	v_mul_f32_e32 v11, v13, v25
	v_add_f32_e32 v10, v14, v10
	v_fma_f32 v11, v12, v24, -v11
	v_add_f32_e32 v10, v10, v11
	s_waitcnt vmcnt(0)
	v_mul_f32_e32 v31, v6, v27
	v_fmac_f32_e32 v31, v7, v26
	v_add_f32_e32 v30, v30, v31
	v_mul_f32_e32 v31, v8, v29
	v_fmac_f32_e32 v31, v9, v28
	v_add_f32_e32 v34, v30, v31
	scratch_load_dwordx4 v[30:33], off, off offset:80
	v_mul_f32_e32 v7, v7, v27
	v_fma_f32 v6, v6, v26, -v7
	v_mul_f32_e32 v7, v9, v29
	v_add_f32_e32 v6, v10, v6
	v_fma_f32 v7, v8, v28, -v7
	v_add_f32_e32 v6, v6, v7
	s_waitcnt vmcnt(0)
	v_mul_f32_e32 v35, v2, v31
	v_fmac_f32_e32 v35, v3, v30
	v_add_f32_e32 v34, v34, v35
	v_mul_f32_e32 v35, v4, v33
	v_fmac_f32_e32 v35, v5, v32
	v_add_f32_e32 v42, v34, v35
	ds_read_b128 v[34:37], v150 offset:608
	v_mul_f32_e32 v3, v3, v31
	v_fma_f32 v2, v2, v30, -v3
	v_mul_f32_e32 v3, v5, v33
	v_add_f32_e32 v2, v6, v2
	s_waitcnt lgkmcnt(0)
	v_mul_f32_e32 v43, v34, v39
	v_fmac_f32_e32 v43, v35, v38
	v_add_f32_e32 v42, v42, v43
	v_mul_f32_e32 v43, v36, v41
	v_fmac_f32_e32 v43, v37, v40
	v_add_f32_e32 v50, v42, v43
	ds_read_b128 v[42:45], v150 offset:624
	v_fma_f32 v3, v4, v32, -v3
	v_add_f32_e32 v2, v2, v3
	v_mul_f32_e32 v3, v35, v39
	v_fma_f32 v3, v34, v38, -v3
	s_waitcnt lgkmcnt(0)
	v_mul_f32_e32 v51, v42, v47
	v_fmac_f32_e32 v51, v43, v46
	v_add_f32_e32 v50, v50, v51
	v_mul_f32_e32 v51, v44, v49
	v_fmac_f32_e32 v51, v45, v48
	v_add_f32_e32 v58, v50, v51
	ds_read_b128 v[50:53], v150 offset:640
	v_add_f32_e32 v2, v2, v3
	v_mul_f32_e32 v3, v37, v41
	v_fma_f32 v3, v36, v40, -v3
	v_add_f32_e32 v2, v2, v3
	s_waitcnt lgkmcnt(0)
	v_mul_f32_e32 v59, v50, v55
	v_fmac_f32_e32 v59, v51, v54
	v_add_f32_e32 v58, v58, v59
	v_mul_f32_e32 v59, v52, v57
	v_fmac_f32_e32 v59, v53, v56
	v_add_f32_e32 v66, v58, v59
	ds_read_b128 v[58:61], v150 offset:656
	v_mul_f32_e32 v3, v43, v47
	v_fma_f32 v3, v42, v46, -v3
	v_add_f32_e32 v2, v2, v3
	v_mul_f32_e32 v3, v45, v49
	s_waitcnt lgkmcnt(0)
	v_mul_f32_e32 v67, v58, v63
	v_fmac_f32_e32 v67, v59, v62
	v_add_f32_e32 v66, v66, v67
	v_mul_f32_e32 v67, v60, v65
	v_fmac_f32_e32 v67, v61, v64
	v_add_f32_e32 v74, v66, v67
	ds_read_b128 v[66:69], v150 offset:672
	v_fma_f32 v3, v44, v48, -v3
	v_add_f32_e32 v2, v2, v3
	v_mul_f32_e32 v3, v51, v55
	v_fma_f32 v3, v50, v54, -v3
	s_waitcnt lgkmcnt(0)
	v_mul_f32_e32 v75, v66, v71
	v_fmac_f32_e32 v75, v67, v70
	v_add_f32_e32 v74, v74, v75
	v_mul_f32_e32 v75, v68, v73
	v_fmac_f32_e32 v75, v69, v72
	v_add_f32_e32 v82, v74, v75
	ds_read_b128 v[74:77], v150 offset:688
	v_add_f32_e32 v2, v2, v3
	v_mul_f32_e32 v3, v53, v57
	v_fma_f32 v3, v52, v56, -v3
	v_add_f32_e32 v2, v2, v3
	s_waitcnt lgkmcnt(0)
	v_mul_f32_e32 v83, v74, v79
	v_fmac_f32_e32 v83, v75, v78
	v_add_f32_e32 v82, v82, v83
	v_mul_f32_e32 v83, v76, v81
	v_fmac_f32_e32 v83, v77, v80
	v_add_f32_e32 v90, v82, v83
	ds_read_b128 v[82:85], v150 offset:704
	v_mul_f32_e32 v3, v59, v63
	v_fma_f32 v3, v58, v62, -v3
	v_add_f32_e32 v2, v2, v3
	v_mul_f32_e32 v3, v61, v65
	;; [unrolled: 36-line block ×4, first 2 shown]
	s_waitcnt lgkmcnt(0)
	v_mul_f32_e32 v139, v130, v135
	v_fmac_f32_e32 v139, v131, v134
	v_add_f32_e32 v138, v138, v139
	v_mul_f32_e32 v139, v132, v137
	v_fmac_f32_e32 v139, v133, v136
	v_add_f32_e32 v146, v138, v139
	ds_read_b128 v[138:141], v150 offset:816
	v_fma_f32 v3, v92, v96, -v3
	v_add_f32_e32 v2, v2, v3
	v_mul_f32_e32 v3, v99, v103
	v_fma_f32 v3, v98, v102, -v3
	s_waitcnt lgkmcnt(0)
	v_mul_f32_e32 v147, v138, v143
	v_fmac_f32_e32 v147, v139, v142
	v_add_f32_e32 v146, v146, v147
	v_mul_f32_e32 v147, v140, v145
	v_fmac_f32_e32 v147, v141, v144
	v_add_f32_e32 v151, v146, v147
	ds_read_b128 v[146:149], v150 offset:832
	v_add_f32_e32 v2, v2, v3
	v_mul_f32_e32 v3, v101, v105
	v_fma_f32 v3, v100, v104, -v3
	v_add_f32_e32 v2, v2, v3
	s_waitcnt lgkmcnt(0)
	v_mul_f32_e32 v158, v146, v153
	v_fmac_f32_e32 v158, v147, v152
	v_add_f32_e32 v151, v151, v158
	v_mul_f32_e32 v158, v148, v155
	v_fmac_f32_e32 v158, v149, v154
	v_add_f32_e32 v151, v151, v158
	;; [unrolled: 3-line block ×14, first 2 shown]
	scratch_load_dwordx4 v[242:245], off, off offset:448
	scratch_load_dwordx4 v[246:249], off, off offset:464
	scratch_load_dwordx4 v[250:253], off, off offset:480
	scratch_load_dwordx4 v[158:161], off, off offset:496
	v_mul_f32_e32 v3, v107, v111
	v_fma_f32 v3, v106, v110, -v3
	v_add_f32_e32 v2, v2, v3
	v_mul_f32_e32 v3, v109, v113
	v_fma_f32 v3, v108, v112, -v3
	v_add_f32_e32 v2, v2, v3
	;; [unrolled: 3-line block ×24, first 2 shown]
	v_mul_f32_e32 v2, v235, v239
	v_fma_f32 v164, v234, v238, -v2
	v_mul_f32_e32 v2, v237, v241
	v_fma_f32 v166, v236, v240, -v2
	ds_read_b128 v[2:5], v150 offset:960
	ds_read_b128 v[6:9], v150 offset:976
	;; [unrolled: 1-line block ×4, first 2 shown]
	v_pk_add_f32 v[18:19], v[162:163], v[164:165]
	s_waitcnt vmcnt(3) lgkmcnt(3)
	v_pk_mul_f32 v[20:21], v[2:3], v[242:243] op_sel:[1,1] op_sel_hi:[0,1]
	v_pk_fma_f32 v[22:23], v[2:3], v[242:243], v[20:21] neg_lo:[0,0,1] neg_hi:[0,0,1]
	v_pk_fma_f32 v[2:3], v[2:3], v[242:243], v[20:21] op_sel_hi:[1,0,1]
	v_pk_add_f32 v[18:19], v[18:19], v[166:167]
	v_mov_b32_e32 v23, v3
	v_pk_add_f32 v[2:3], v[18:19], v[22:23]
	v_mov_b32_e32 v18, v245
	v_pk_mul_f32 v[18:19], v[4:5], v[18:19] op_sel:[1,0] op_sel_hi:[0,0]
	v_pk_fma_f32 v[20:21], v[4:5], v[244:245], v[18:19] neg_lo:[0,0,1] neg_hi:[0,0,1]
	v_pk_fma_f32 v[4:5], v[4:5], v[244:245], v[18:19] op_sel_hi:[1,0,1]
	s_nop 0
	v_mov_b32_e32 v21, v5
	s_waitcnt vmcnt(2) lgkmcnt(2)
	v_pk_mul_f32 v[4:5], v[6:7], v[246:247] op_sel:[1,1] op_sel_hi:[0,1]
	v_pk_fma_f32 v[18:19], v[6:7], v[246:247], v[4:5] neg_lo:[0,0,1] neg_hi:[0,0,1]
	v_pk_fma_f32 v[4:5], v[6:7], v[246:247], v[4:5] op_sel_hi:[1,0,1]
	v_pk_add_f32 v[2:3], v[2:3], v[20:21]
	v_mov_b32_e32 v4, v249
	v_mov_b32_e32 v19, v5
	v_pk_mul_f32 v[4:5], v[8:9], v[4:5] op_sel:[1,0] op_sel_hi:[0,0]
	v_pk_fma_f32 v[6:7], v[8:9], v[248:249], v[4:5] neg_lo:[0,0,1] neg_hi:[0,0,1]
	v_pk_fma_f32 v[4:5], v[8:9], v[248:249], v[4:5] op_sel_hi:[1,0,1]
	v_pk_add_f32 v[2:3], v[2:3], v[18:19]
	v_mov_b32_e32 v7, v5
	s_waitcnt vmcnt(1) lgkmcnt(1)
	v_pk_mul_f32 v[4:5], v[10:11], v[250:251] op_sel:[1,1] op_sel_hi:[0,1]
	v_pk_add_f32 v[2:3], v[2:3], v[6:7]
	v_pk_fma_f32 v[6:7], v[10:11], v[250:251], v[4:5] neg_lo:[0,0,1] neg_hi:[0,0,1]
	v_pk_fma_f32 v[4:5], v[10:11], v[250:251], v[4:5] op_sel_hi:[1,0,1]
	s_nop 0
	v_mov_b32_e32 v4, v253
	v_mov_b32_e32 v7, v5
	v_pk_mul_f32 v[4:5], v[12:13], v[4:5] op_sel:[1,0] op_sel_hi:[0,0]
	v_pk_add_f32 v[2:3], v[2:3], v[6:7]
	v_pk_fma_f32 v[6:7], v[12:13], v[252:253], v[4:5] neg_lo:[0,0,1] neg_hi:[0,0,1]
	v_pk_fma_f32 v[4:5], v[12:13], v[252:253], v[4:5] op_sel_hi:[1,0,1]
	s_nop 0
	v_mov_b32_e32 v7, v5
	s_waitcnt vmcnt(0) lgkmcnt(0)
	v_pk_mul_f32 v[4:5], v[14:15], v[158:159] op_sel:[1,1] op_sel_hi:[0,1]
	v_pk_add_f32 v[2:3], v[2:3], v[6:7]
	v_pk_fma_f32 v[6:7], v[14:15], v[158:159], v[4:5] neg_lo:[0,0,1] neg_hi:[0,0,1]
	v_pk_fma_f32 v[4:5], v[14:15], v[158:159], v[4:5] op_sel_hi:[1,0,1]
	s_nop 0
	v_mov_b32_e32 v4, v161
	v_mov_b32_e32 v7, v5
	v_pk_mul_f32 v[4:5], v[16:17], v[4:5] op_sel:[1,0] op_sel_hi:[0,0]
	v_pk_add_f32 v[2:3], v[2:3], v[6:7]
	v_pk_fma_f32 v[6:7], v[16:17], v[160:161], v[4:5] neg_lo:[0,0,1] neg_hi:[0,0,1]
	v_pk_fma_f32 v[4:5], v[16:17], v[160:161], v[4:5] op_sel_hi:[1,0,1]
	s_nop 0
	v_mov_b32_e32 v7, v5
	scratch_load_dwordx2 v[4:5], off, off offset:24
	v_pk_add_f32 v[2:3], v[2:3], v[6:7]
	s_waitcnt vmcnt(0)
	v_pk_add_f32 v[2:3], v[4:5], v[2:3] neg_lo:[0,1] neg_hi:[0,1]
	scratch_store_dwordx2 off, v[2:3], off offset:24
	s_and_saveexec_b64 s[0:1], vcc
	s_cbranch_execz .LBB127_393
; %bb.392:
	scratch_load_dwordx2 v[2:3], off, off offset:16
	v_mov_b32_e32 v4, 0
	v_mov_b32_e32 v5, v4
	scratch_store_dwordx2 off, v[4:5], off offset:16
	s_waitcnt vmcnt(1)
	ds_write_b64 v1, v[2:3]
.LBB127_393:
	s_or_b64 exec, exec, s[0:1]
	s_waitcnt lgkmcnt(0)
	; wave barrier
	scratch_load_dwordx4 v[6:9], off, off offset:24
	scratch_load_dwordx4 v[14:17], off, off offset:40
	;; [unrolled: 1-line block ×10, first 2 shown]
	v_mov_b32_e32 v150, 0
	ds_read2_b64 v[2:5], v150 offset0:67 offset1:68
	ds_read2_b64 v[190:193], v150 offset0:107 offset1:108
	scratch_load_dwordx4 v[86:89], off, off offset:184
	scratch_load_dwordx4 v[94:97], off, off offset:200
	;; [unrolled: 1-line block ×17, first 2 shown]
	v_cmp_lt_u32_e32 vcc, 1, v0
	ds_read2_b64 v[198:201], v150 offset0:109 offset1:110
	ds_read2_b64 v[206:209], v150 offset0:111 offset1:112
	;; [unrolled: 1-line block ×6, first 2 shown]
	s_waitcnt vmcnt(26) lgkmcnt(7)
	v_mul_f32_e32 v10, v2, v7
	v_fmac_f32_e32 v10, v3, v6
	v_mul_f32_e32 v11, v4, v9
	v_add_f32_e32 v10, 0, v10
	v_fmac_f32_e32 v11, v5, v8
	v_add_f32_e32 v18, v10, v11
	ds_read2_b64 v[10:13], v150 offset0:69 offset1:70
	v_mul_f32_e32 v3, v3, v7
	v_fma_f32 v2, v2, v6, -v3
	v_mul_f32_e32 v3, v5, v9
	v_add_f32_e32 v2, 0, v2
	s_waitcnt vmcnt(25) lgkmcnt(0)
	v_mul_f32_e32 v19, v10, v15
	v_fmac_f32_e32 v19, v11, v14
	v_add_f32_e32 v18, v18, v19
	v_mul_f32_e32 v19, v12, v17
	v_fmac_f32_e32 v19, v13, v16
	v_add_f32_e32 v26, v18, v19
	ds_read2_b64 v[18:21], v150 offset0:71 offset1:72
	v_fma_f32 v3, v4, v8, -v3
	v_add_f32_e32 v2, v2, v3
	v_mul_f32_e32 v3, v11, v15
	v_fma_f32 v3, v10, v14, -v3
	s_waitcnt vmcnt(24) lgkmcnt(0)
	v_mul_f32_e32 v27, v18, v23
	v_fmac_f32_e32 v27, v19, v22
	v_add_f32_e32 v26, v26, v27
	v_mul_f32_e32 v27, v20, v25
	v_fmac_f32_e32 v27, v21, v24
	v_add_f32_e32 v34, v26, v27
	ds_read2_b64 v[26:29], v150 offset0:73 offset1:74
	v_add_f32_e32 v2, v2, v3
	v_mul_f32_e32 v3, v13, v17
	v_fma_f32 v3, v12, v16, -v3
	v_add_f32_e32 v2, v2, v3
	s_waitcnt vmcnt(23) lgkmcnt(0)
	v_mul_f32_e32 v35, v26, v31
	v_fmac_f32_e32 v35, v27, v30
	v_add_f32_e32 v34, v34, v35
	v_mul_f32_e32 v35, v28, v33
	v_fmac_f32_e32 v35, v29, v32
	v_add_f32_e32 v42, v34, v35
	ds_read2_b64 v[34:37], v150 offset0:75 offset1:76
	v_mul_f32_e32 v3, v19, v23
	v_fma_f32 v3, v18, v22, -v3
	v_add_f32_e32 v2, v2, v3
	v_mul_f32_e32 v3, v21, v25
	s_waitcnt vmcnt(22) lgkmcnt(0)
	v_mul_f32_e32 v43, v34, v39
	v_fmac_f32_e32 v43, v35, v38
	v_add_f32_e32 v42, v42, v43
	v_mul_f32_e32 v43, v36, v41
	v_fmac_f32_e32 v43, v37, v40
	v_add_f32_e32 v50, v42, v43
	ds_read2_b64 v[42:45], v150 offset0:77 offset1:78
	v_fma_f32 v3, v20, v24, -v3
	v_add_f32_e32 v2, v2, v3
	v_mul_f32_e32 v3, v27, v31
	v_fma_f32 v3, v26, v30, -v3
	s_waitcnt vmcnt(21) lgkmcnt(0)
	v_mul_f32_e32 v51, v42, v47
	v_fmac_f32_e32 v51, v43, v46
	v_add_f32_e32 v50, v50, v51
	v_mul_f32_e32 v51, v44, v49
	v_fmac_f32_e32 v51, v45, v48
	v_add_f32_e32 v58, v50, v51
	ds_read2_b64 v[50:53], v150 offset0:79 offset1:80
	v_add_f32_e32 v2, v2, v3
	v_mul_f32_e32 v3, v29, v33
	v_fma_f32 v3, v28, v32, -v3
	v_add_f32_e32 v2, v2, v3
	s_waitcnt vmcnt(20) lgkmcnt(0)
	v_mul_f32_e32 v59, v50, v55
	v_fmac_f32_e32 v59, v51, v54
	v_add_f32_e32 v58, v58, v59
	v_mul_f32_e32 v59, v52, v57
	v_fmac_f32_e32 v59, v53, v56
	v_add_f32_e32 v66, v58, v59
	ds_read2_b64 v[58:61], v150 offset0:81 offset1:82
	v_mul_f32_e32 v3, v35, v39
	v_fma_f32 v3, v34, v38, -v3
	v_add_f32_e32 v2, v2, v3
	v_mul_f32_e32 v3, v37, v41
	;; [unrolled: 36-line block ×6, first 2 shown]
	s_waitcnt vmcnt(7) lgkmcnt(0)
	v_mul_f32_e32 v162, v158, v187
	v_fmac_f32_e32 v162, v159, v186
	v_add_f32_e32 v151, v151, v162
	v_mul_f32_e32 v162, v160, v189
	v_fmac_f32_e32 v162, v161, v188
	v_add_f32_e32 v151, v151, v162
	s_waitcnt vmcnt(6)
	v_mul_f32_e32 v162, v190, v195
	v_fmac_f32_e32 v162, v191, v194
	v_add_f32_e32 v151, v151, v162
	v_mul_f32_e32 v162, v192, v197
	v_fmac_f32_e32 v162, v193, v196
	v_add_f32_e32 v151, v151, v162
	s_waitcnt vmcnt(5)
	;; [unrolled: 7-line block ×6, first 2 shown]
	v_mul_f32_e32 v162, v230, v235
	v_fmac_f32_e32 v162, v231, v234
	v_add_f32_e32 v167, v151, v162
	scratch_load_dwordx4 v[246:249], off, off offset:456
	scratch_load_dwordx4 v[250:253], off, off offset:472
	;; [unrolled: 1-line block ×3, first 2 shown]
	scratch_load_dwordx2 v[172:173], off, off offset:504
	v_fma_f32 v3, v100, v104, -v3
	v_add_f32_e32 v2, v2, v3
	v_mul_f32_e32 v3, v107, v111
	v_fma_f32 v3, v106, v110, -v3
	v_add_f32_e32 v2, v2, v3
	v_mul_f32_e32 v3, v109, v113
	;; [unrolled: 3-line block ×26, first 2 shown]
	v_mul_f32_e32 v169, v232, v237
	v_fma_f32 v168, v232, v236, -v2
	s_waitcnt vmcnt(4)
	v_mul_f32_e32 v2, v239, v243
	v_mov_b32_e32 v18, v245
	v_fmac_f32_e32 v169, v233, v236
	v_mul_f32_e32 v171, v238, v243
	v_fma_f32 v170, v238, v242, -v2
	ds_read2_b64 v[2:5], v150 offset0:121 offset1:122
	ds_read2_b64 v[6:9], v150 offset0:123 offset1:124
	;; [unrolled: 1-line block ×3, first 2 shown]
	ds_read_b64 v[14:15], v150 offset:1016
	v_pk_mul_f32 v[18:19], v[240:241], v[18:19] op_sel:[1,0] op_sel_hi:[0,0]
	v_fmac_f32_e32 v171, v239, v242
	v_pk_add_f32 v[16:17], v[166:167], v[168:169]
	v_pk_fma_f32 v[20:21], v[240:241], v[244:245], v[18:19] neg_lo:[0,0,1] neg_hi:[0,0,1]
	v_pk_fma_f32 v[18:19], v[240:241], v[244:245], v[18:19] op_sel_hi:[1,0,1]
	v_pk_add_f32 v[16:17], v[16:17], v[170:171]
	v_mov_b32_e32 v21, v19
	s_waitcnt vmcnt(3) lgkmcnt(3)
	v_pk_mul_f32 v[18:19], v[2:3], v[246:247] op_sel:[1,1] op_sel_hi:[0,1]
	v_pk_add_f32 v[16:17], v[16:17], v[20:21]
	v_pk_fma_f32 v[20:21], v[2:3], v[246:247], v[18:19] neg_lo:[0,0,1] neg_hi:[0,0,1]
	v_pk_fma_f32 v[2:3], v[2:3], v[246:247], v[18:19] op_sel_hi:[1,0,1]
	s_nop 0
	v_mov_b32_e32 v21, v3
	v_pk_add_f32 v[2:3], v[16:17], v[20:21]
	v_mov_b32_e32 v16, v249
	v_pk_mul_f32 v[16:17], v[4:5], v[16:17] op_sel:[1,0] op_sel_hi:[0,0]
	v_pk_fma_f32 v[18:19], v[4:5], v[248:249], v[16:17] neg_lo:[0,0,1] neg_hi:[0,0,1]
	v_pk_fma_f32 v[4:5], v[4:5], v[248:249], v[16:17] op_sel_hi:[1,0,1]
	s_nop 0
	v_mov_b32_e32 v19, v5
	s_waitcnt vmcnt(2) lgkmcnt(2)
	v_pk_mul_f32 v[4:5], v[6:7], v[250:251] op_sel:[1,1] op_sel_hi:[0,1]
	v_pk_fma_f32 v[16:17], v[6:7], v[250:251], v[4:5] neg_lo:[0,0,1] neg_hi:[0,0,1]
	v_pk_fma_f32 v[4:5], v[6:7], v[250:251], v[4:5] op_sel_hi:[1,0,1]
	v_pk_add_f32 v[2:3], v[2:3], v[18:19]
	v_mov_b32_e32 v4, v253
	v_mov_b32_e32 v17, v5
	v_pk_mul_f32 v[4:5], v[8:9], v[4:5] op_sel:[1,0] op_sel_hi:[0,0]
	v_pk_fma_f32 v[6:7], v[8:9], v[252:253], v[4:5] neg_lo:[0,0,1] neg_hi:[0,0,1]
	v_pk_fma_f32 v[4:5], v[8:9], v[252:253], v[4:5] op_sel_hi:[1,0,1]
	v_pk_add_f32 v[2:3], v[2:3], v[16:17]
	v_mov_b32_e32 v7, v5
	s_waitcnt vmcnt(1) lgkmcnt(1)
	v_pk_mul_f32 v[4:5], v[10:11], v[162:163] op_sel:[1,1] op_sel_hi:[0,1]
	v_pk_add_f32 v[2:3], v[2:3], v[6:7]
	v_pk_fma_f32 v[6:7], v[10:11], v[162:163], v[4:5] neg_lo:[0,0,1] neg_hi:[0,0,1]
	v_pk_fma_f32 v[4:5], v[10:11], v[162:163], v[4:5] op_sel_hi:[1,0,1]
	s_nop 0
	v_mov_b32_e32 v4, v165
	v_mov_b32_e32 v7, v5
	v_pk_mul_f32 v[4:5], v[12:13], v[4:5] op_sel:[1,0] op_sel_hi:[0,0]
	v_pk_add_f32 v[2:3], v[2:3], v[6:7]
	v_pk_fma_f32 v[6:7], v[12:13], v[164:165], v[4:5] neg_lo:[0,0,1] neg_hi:[0,0,1]
	v_pk_fma_f32 v[4:5], v[12:13], v[164:165], v[4:5] op_sel_hi:[1,0,1]
	s_nop 0
	v_mov_b32_e32 v7, v5
	s_waitcnt vmcnt(0) lgkmcnt(0)
	v_pk_mul_f32 v[4:5], v[14:15], v[172:173] op_sel:[1,1] op_sel_hi:[0,1]
	v_pk_add_f32 v[2:3], v[2:3], v[6:7]
	v_pk_fma_f32 v[6:7], v[14:15], v[172:173], v[4:5] neg_lo:[0,0,1] neg_hi:[0,0,1]
	v_pk_fma_f32 v[4:5], v[14:15], v[172:173], v[4:5] op_sel_hi:[1,0,1]
	s_nop 0
	v_mov_b32_e32 v7, v5
	scratch_load_dwordx2 v[4:5], off, off offset:16
	v_pk_add_f32 v[2:3], v[2:3], v[6:7]
	s_waitcnt vmcnt(0)
	v_pk_add_f32 v[2:3], v[4:5], v[2:3] neg_lo:[0,1] neg_hi:[0,1]
	scratch_store_dwordx2 off, v[2:3], off offset:16
	s_and_saveexec_b64 s[0:1], vcc
	s_cbranch_execz .LBB127_395
; %bb.394:
	scratch_load_dwordx2 v[2:3], off, off offset:8
	v_mov_b32_e32 v151, v150
	scratch_store_dwordx2 off, v[150:151], off offset:8
	s_waitcnt vmcnt(1)
	ds_write_b64 v1, v[2:3]
.LBB127_395:
	s_or_b64 exec, exec, s[0:1]
	s_waitcnt lgkmcnt(0)
	; wave barrier
	ds_read_b128 v[14:17], v150 offset:528
	ds_read_b128 v[10:13], v150 offset:544
	;; [unrolled: 1-line block ×4, first 2 shown]
	scratch_load_dwordx4 v[18:21], off, off offset:16
	scratch_load_dwordx4 v[38:41], off, off offset:80
	;; [unrolled: 1-line block ×21, first 2 shown]
	v_cmp_ne_u32_e32 vcc, 0, v0
	scratch_load_dwordx4 v[46:49], off, off offset:96
	scratch_load_dwordx4 v[54:57], off, off offset:112
	;; [unrolled: 1-line block ×3, first 2 shown]
	ds_read_b128 v[186:189], v150 offset:848
	ds_read_b128 v[194:197], v150 offset:864
	;; [unrolled: 1-line block ×7, first 2 shown]
	s_waitcnt vmcnt(23) lgkmcnt(10)
	v_mul_f32_e32 v22, v14, v19
	v_fmac_f32_e32 v22, v15, v18
	v_mul_f32_e32 v23, v16, v21
	v_add_f32_e32 v22, 0, v22
	v_fmac_f32_e32 v23, v17, v20
	v_add_f32_e32 v26, v22, v23
	scratch_load_dwordx4 v[22:25], off, off offset:32
	v_mul_f32_e32 v15, v15, v19
	v_fma_f32 v14, v14, v18, -v15
	v_mul_f32_e32 v15, v17, v21
	v_add_f32_e32 v14, 0, v14
	v_fma_f32 v15, v16, v20, -v15
	v_add_f32_e32 v14, v14, v15
	s_waitcnt vmcnt(4) lgkmcnt(0)
	v_mul_f32_e32 v173, v234, v239
	v_mul_f32_e32 v175, v236, v241
	v_fmac_f32_e32 v173, v235, v238
	v_fmac_f32_e32 v175, v237, v240
	s_waitcnt vmcnt(0)
	v_mul_f32_e32 v27, v10, v23
	v_fmac_f32_e32 v27, v11, v22
	v_add_f32_e32 v26, v26, v27
	v_mul_f32_e32 v27, v12, v25
	v_fmac_f32_e32 v27, v13, v24
	v_add_f32_e32 v30, v26, v27
	scratch_load_dwordx4 v[26:29], off, off offset:48
	v_mul_f32_e32 v11, v11, v23
	v_fma_f32 v10, v10, v22, -v11
	v_mul_f32_e32 v11, v13, v25
	v_add_f32_e32 v10, v14, v10
	v_fma_f32 v11, v12, v24, -v11
	v_add_f32_e32 v10, v10, v11
	s_waitcnt vmcnt(0)
	v_mul_f32_e32 v31, v6, v27
	v_fmac_f32_e32 v31, v7, v26
	v_add_f32_e32 v30, v30, v31
	v_mul_f32_e32 v31, v8, v29
	v_fmac_f32_e32 v31, v9, v28
	v_add_f32_e32 v34, v30, v31
	scratch_load_dwordx4 v[30:33], off, off offset:64
	v_mul_f32_e32 v7, v7, v27
	v_fma_f32 v6, v6, v26, -v7
	v_mul_f32_e32 v7, v9, v29
	v_add_f32_e32 v6, v10, v6
	v_fma_f32 v7, v8, v28, -v7
	v_add_f32_e32 v6, v6, v7
	s_waitcnt vmcnt(0)
	v_mul_f32_e32 v35, v2, v31
	v_fmac_f32_e32 v35, v3, v30
	v_add_f32_e32 v34, v34, v35
	v_mul_f32_e32 v35, v4, v33
	v_fmac_f32_e32 v35, v5, v32
	v_add_f32_e32 v42, v34, v35
	ds_read_b128 v[34:37], v150 offset:592
	v_mul_f32_e32 v3, v3, v31
	v_fma_f32 v2, v2, v30, -v3
	v_mul_f32_e32 v3, v5, v33
	v_add_f32_e32 v2, v6, v2
	s_waitcnt lgkmcnt(0)
	v_mul_f32_e32 v43, v34, v39
	v_fmac_f32_e32 v43, v35, v38
	v_add_f32_e32 v42, v42, v43
	v_mul_f32_e32 v43, v36, v41
	v_fmac_f32_e32 v43, v37, v40
	v_add_f32_e32 v50, v42, v43
	ds_read_b128 v[42:45], v150 offset:608
	v_fma_f32 v3, v4, v32, -v3
	v_add_f32_e32 v2, v2, v3
	v_mul_f32_e32 v3, v35, v39
	v_fma_f32 v3, v34, v38, -v3
	s_waitcnt lgkmcnt(0)
	v_mul_f32_e32 v51, v42, v47
	v_fmac_f32_e32 v51, v43, v46
	v_add_f32_e32 v50, v50, v51
	v_mul_f32_e32 v51, v44, v49
	v_fmac_f32_e32 v51, v45, v48
	v_add_f32_e32 v58, v50, v51
	ds_read_b128 v[50:53], v150 offset:624
	v_add_f32_e32 v2, v2, v3
	v_mul_f32_e32 v3, v37, v41
	v_fma_f32 v3, v36, v40, -v3
	v_add_f32_e32 v2, v2, v3
	s_waitcnt lgkmcnt(0)
	v_mul_f32_e32 v59, v50, v55
	v_fmac_f32_e32 v59, v51, v54
	v_add_f32_e32 v58, v58, v59
	v_mul_f32_e32 v59, v52, v57
	v_fmac_f32_e32 v59, v53, v56
	v_add_f32_e32 v66, v58, v59
	ds_read_b128 v[58:61], v150 offset:640
	v_mul_f32_e32 v3, v43, v47
	v_fma_f32 v3, v42, v46, -v3
	v_add_f32_e32 v2, v2, v3
	v_mul_f32_e32 v3, v45, v49
	s_waitcnt lgkmcnt(0)
	v_mul_f32_e32 v67, v58, v63
	v_fmac_f32_e32 v67, v59, v62
	v_add_f32_e32 v66, v66, v67
	v_mul_f32_e32 v67, v60, v65
	v_fmac_f32_e32 v67, v61, v64
	v_add_f32_e32 v74, v66, v67
	ds_read_b128 v[66:69], v150 offset:656
	v_fma_f32 v3, v44, v48, -v3
	v_add_f32_e32 v2, v2, v3
	v_mul_f32_e32 v3, v51, v55
	v_fma_f32 v3, v50, v54, -v3
	s_waitcnt lgkmcnt(0)
	v_mul_f32_e32 v75, v66, v71
	v_fmac_f32_e32 v75, v67, v70
	v_add_f32_e32 v74, v74, v75
	v_mul_f32_e32 v75, v68, v73
	v_fmac_f32_e32 v75, v69, v72
	v_add_f32_e32 v82, v74, v75
	ds_read_b128 v[74:77], v150 offset:672
	v_add_f32_e32 v2, v2, v3
	v_mul_f32_e32 v3, v53, v57
	v_fma_f32 v3, v52, v56, -v3
	v_add_f32_e32 v2, v2, v3
	s_waitcnt lgkmcnt(0)
	v_mul_f32_e32 v83, v74, v79
	v_fmac_f32_e32 v83, v75, v78
	v_add_f32_e32 v82, v82, v83
	v_mul_f32_e32 v83, v76, v81
	v_fmac_f32_e32 v83, v77, v80
	v_add_f32_e32 v90, v82, v83
	ds_read_b128 v[82:85], v150 offset:688
	v_mul_f32_e32 v3, v59, v63
	v_fma_f32 v3, v58, v62, -v3
	v_add_f32_e32 v2, v2, v3
	v_mul_f32_e32 v3, v61, v65
	;; [unrolled: 36-line block ×5, first 2 shown]
	s_waitcnt lgkmcnt(0)
	v_mul_f32_e32 v166, v158, v163
	v_fmac_f32_e32 v166, v159, v162
	v_add_f32_e32 v151, v151, v166
	v_mul_f32_e32 v166, v160, v165
	v_fmac_f32_e32 v166, v161, v164
	v_add_f32_e32 v151, v151, v166
	;; [unrolled: 3-line block ×14, first 2 shown]
	scratch_load_dwordx4 v[242:245], off, off offset:448
	scratch_load_dwordx4 v[246:249], off, off offset:464
	;; [unrolled: 1-line block ×4, first 2 shown]
	v_fma_f32 v3, v108, v112, -v3
	v_add_f32_e32 v2, v2, v3
	v_mul_f32_e32 v3, v115, v119
	v_fma_f32 v3, v114, v118, -v3
	v_add_f32_e32 v2, v2, v3
	v_mul_f32_e32 v3, v117, v121
	;; [unrolled: 3-line block ×25, first 2 shown]
	v_fma_f32 v172, v234, v238, -v2
	v_mul_f32_e32 v2, v237, v241
	v_fma_f32 v174, v236, v240, -v2
	ds_read_b128 v[2:5], v150 offset:960
	ds_read_b128 v[6:9], v150 offset:976
	;; [unrolled: 1-line block ×4, first 2 shown]
	v_pk_add_f32 v[18:19], v[170:171], v[172:173]
	s_waitcnt vmcnt(3) lgkmcnt(3)
	v_pk_mul_f32 v[20:21], v[2:3], v[242:243] op_sel:[1,1] op_sel_hi:[0,1]
	v_pk_fma_f32 v[22:23], v[2:3], v[242:243], v[20:21] neg_lo:[0,0,1] neg_hi:[0,0,1]
	v_pk_fma_f32 v[2:3], v[2:3], v[242:243], v[20:21] op_sel_hi:[1,0,1]
	v_pk_add_f32 v[18:19], v[18:19], v[174:175]
	v_mov_b32_e32 v23, v3
	v_pk_add_f32 v[2:3], v[18:19], v[22:23]
	v_mov_b32_e32 v18, v245
	v_pk_mul_f32 v[18:19], v[4:5], v[18:19] op_sel:[1,0] op_sel_hi:[0,0]
	v_pk_fma_f32 v[20:21], v[4:5], v[244:245], v[18:19] neg_lo:[0,0,1] neg_hi:[0,0,1]
	v_pk_fma_f32 v[4:5], v[4:5], v[244:245], v[18:19] op_sel_hi:[1,0,1]
	s_nop 0
	v_mov_b32_e32 v21, v5
	s_waitcnt vmcnt(2) lgkmcnt(2)
	v_pk_mul_f32 v[4:5], v[6:7], v[246:247] op_sel:[1,1] op_sel_hi:[0,1]
	v_pk_fma_f32 v[18:19], v[6:7], v[246:247], v[4:5] neg_lo:[0,0,1] neg_hi:[0,0,1]
	v_pk_fma_f32 v[4:5], v[6:7], v[246:247], v[4:5] op_sel_hi:[1,0,1]
	v_pk_add_f32 v[2:3], v[2:3], v[20:21]
	v_mov_b32_e32 v4, v249
	v_mov_b32_e32 v19, v5
	v_pk_mul_f32 v[4:5], v[8:9], v[4:5] op_sel:[1,0] op_sel_hi:[0,0]
	v_pk_fma_f32 v[6:7], v[8:9], v[248:249], v[4:5] neg_lo:[0,0,1] neg_hi:[0,0,1]
	v_pk_fma_f32 v[4:5], v[8:9], v[248:249], v[4:5] op_sel_hi:[1,0,1]
	v_pk_add_f32 v[2:3], v[2:3], v[18:19]
	v_mov_b32_e32 v7, v5
	s_waitcnt vmcnt(1) lgkmcnt(1)
	v_pk_mul_f32 v[4:5], v[10:11], v[250:251] op_sel:[1,1] op_sel_hi:[0,1]
	v_pk_add_f32 v[2:3], v[2:3], v[6:7]
	v_pk_fma_f32 v[6:7], v[10:11], v[250:251], v[4:5] neg_lo:[0,0,1] neg_hi:[0,0,1]
	v_pk_fma_f32 v[4:5], v[10:11], v[250:251], v[4:5] op_sel_hi:[1,0,1]
	s_nop 0
	v_mov_b32_e32 v4, v253
	v_mov_b32_e32 v7, v5
	v_pk_mul_f32 v[4:5], v[12:13], v[4:5] op_sel:[1,0] op_sel_hi:[0,0]
	v_pk_add_f32 v[2:3], v[2:3], v[6:7]
	v_pk_fma_f32 v[6:7], v[12:13], v[252:253], v[4:5] neg_lo:[0,0,1] neg_hi:[0,0,1]
	v_pk_fma_f32 v[4:5], v[12:13], v[252:253], v[4:5] op_sel_hi:[1,0,1]
	s_nop 0
	v_mov_b32_e32 v7, v5
	s_waitcnt vmcnt(0) lgkmcnt(0)
	v_pk_mul_f32 v[4:5], v[14:15], v[166:167] op_sel:[1,1] op_sel_hi:[0,1]
	v_pk_add_f32 v[2:3], v[2:3], v[6:7]
	v_pk_fma_f32 v[6:7], v[14:15], v[166:167], v[4:5] neg_lo:[0,0,1] neg_hi:[0,0,1]
	v_pk_fma_f32 v[4:5], v[14:15], v[166:167], v[4:5] op_sel_hi:[1,0,1]
	s_nop 0
	v_mov_b32_e32 v4, v169
	v_mov_b32_e32 v7, v5
	v_pk_mul_f32 v[4:5], v[16:17], v[4:5] op_sel:[1,0] op_sel_hi:[0,0]
	v_pk_add_f32 v[2:3], v[2:3], v[6:7]
	v_pk_fma_f32 v[6:7], v[16:17], v[168:169], v[4:5] neg_lo:[0,0,1] neg_hi:[0,0,1]
	v_pk_fma_f32 v[4:5], v[16:17], v[168:169], v[4:5] op_sel_hi:[1,0,1]
	s_nop 0
	v_mov_b32_e32 v7, v5
	scratch_load_dwordx2 v[4:5], off, off offset:8
	v_pk_add_f32 v[2:3], v[2:3], v[6:7]
	s_waitcnt vmcnt(0)
	v_pk_add_f32 v[2:3], v[4:5], v[2:3] neg_lo:[0,1] neg_hi:[0,1]
	scratch_store_dwordx2 off, v[2:3], off offset:8
	s_and_saveexec_b64 s[0:1], vcc
	s_cbranch_execz .LBB127_397
; %bb.396:
	scratch_load_dwordx2 v[2:3], off, off
	v_mov_b32_e32 v4, 0
	v_mov_b32_e32 v5, v4
	scratch_store_dwordx2 off, v[4:5], off
	s_waitcnt vmcnt(1)
	ds_write_b64 v1, v[2:3]
.LBB127_397:
	s_or_b64 exec, exec, s[0:1]
	s_waitcnt lgkmcnt(0)
	; wave barrier
	scratch_load_dwordx4 v[60:63], off, off offset:8
	scratch_load_dwordx4 v[64:67], off, off offset:24
	;; [unrolled: 1-line block ×22, first 2 shown]
	v_mov_b32_e32 v192, 0
	ds_read2_b64 v[158:161], v192 offset0:65 offset1:66
	ds_read2_b64 v[162:165], v192 offset0:67 offset1:68
	;; [unrolled: 1-line block ×28, first 2 shown]
	s_and_b64 vcc, exec, s[10:11]
	s_waitcnt vmcnt(21) lgkmcnt(14)
	v_mul_f32_e32 v0, v158, v61
	v_mul_f32_e32 v1, v160, v63
	v_fmac_f32_e32 v0, v159, v60
	s_waitcnt vmcnt(20)
	v_mul_f32_e32 v2, v162, v65
	v_fmac_f32_e32 v1, v161, v62
	v_add_f32_e32 v0, 0, v0
	v_mul_f32_e32 v3, v164, v67
	v_fmac_f32_e32 v2, v163, v64
	v_add_f32_e32 v0, v0, v1
	s_waitcnt vmcnt(19)
	v_mul_f32_e32 v4, v166, v69
	v_fmac_f32_e32 v3, v165, v66
	v_add_f32_e32 v0, v0, v2
	v_mul_f32_e32 v5, v168, v71
	v_fmac_f32_e32 v4, v167, v68
	v_add_f32_e32 v0, v0, v3
	;; [unrolled: 7-line block ×4, first 2 shown]
	scratch_load_dwordx4 v[4:7], off, off offset:360
	s_waitcnt vmcnt(17)
	v_mul_f32_e32 v10, v202, v81
	v_fmac_f32_e32 v9, v201, v78
	v_add_f32_e32 v0, v0, v8
	v_mul_f32_e32 v11, v204, v83
	v_fmac_f32_e32 v10, v203, v80
	v_add_f32_e32 v0, v0, v9
	s_waitcnt vmcnt(16)
	v_mul_f32_e32 v12, v206, v85
	v_fmac_f32_e32 v11, v205, v82
	v_add_f32_e32 v0, v0, v10
	v_mul_f32_e32 v13, v208, v87
	v_fmac_f32_e32 v12, v207, v84
	v_add_f32_e32 v0, v0, v11
	scratch_load_dwordx4 v[8:11], off, off offset:376
	s_waitcnt vmcnt(16)
	v_mul_f32_e32 v14, v210, v89
	v_fmac_f32_e32 v13, v209, v86
	v_add_f32_e32 v0, v0, v12
	v_mul_f32_e32 v15, v212, v91
	v_fmac_f32_e32 v14, v211, v88
	v_add_f32_e32 v0, v0, v13
	s_waitcnt vmcnt(15)
	v_mul_f32_e32 v16, v214, v93
	v_fmac_f32_e32 v15, v213, v90
	v_add_f32_e32 v0, v0, v14
	v_mul_f32_e32 v17, v216, v95
	v_fmac_f32_e32 v16, v215, v92
	v_add_f32_e32 v0, v0, v15
	scratch_load_dwordx4 v[12:15], off, off offset:392
	s_waitcnt vmcnt(15)
	v_mul_f32_e32 v18, v218, v97
	v_fmac_f32_e32 v17, v217, v94
	v_add_f32_e32 v0, v0, v16
	v_mul_f32_e32 v19, v220, v99
	v_fmac_f32_e32 v18, v219, v96
	v_add_f32_e32 v0, v0, v17
	v_fmac_f32_e32 v19, v221, v98
	v_add_f32_e32 v0, v0, v18
	s_waitcnt vmcnt(14)
	v_mul_f32_e32 v20, v152, v101
	v_add_f32_e32 v0, v0, v19
	scratch_load_dwordx4 v[16:19], off, off offset:408
	v_mul_f32_e32 v21, v154, v103
	v_fmac_f32_e32 v20, v153, v100
	s_waitcnt vmcnt(14)
	v_mul_f32_e32 v22, v148, v105
	v_fmac_f32_e32 v21, v155, v102
	v_add_f32_e32 v0, v0, v20
	v_add_f32_e32 v0, v0, v21
	v_fmac_f32_e32 v22, v149, v104
	v_add_f32_e32 v0, v0, v22
	scratch_load_dwordx4 v[20:23], off, off offset:424
	v_mul_f32_e32 v1, v150, v107
	v_fmac_f32_e32 v1, v151, v106
	v_add_f32_e32 v0, v0, v1
	s_waitcnt vmcnt(14)
	v_mul_f32_e32 v1, v222, v109
	v_fmac_f32_e32 v1, v223, v108
	v_add_f32_e32 v0, v0, v1
	v_mul_f32_e32 v1, v224, v111
	v_fmac_f32_e32 v1, v225, v110
	v_add_f32_e32 v0, v0, v1
	s_waitcnt vmcnt(13)
	v_mul_f32_e32 v1, v226, v113
	v_fmac_f32_e32 v1, v227, v112
	v_add_f32_e32 v0, v0, v1
	v_mul_f32_e32 v1, v228, v115
	v_fmac_f32_e32 v1, v229, v114
	v_add_f32_e32 v0, v0, v1
	s_waitcnt vmcnt(12) lgkmcnt(13)
	v_mul_f32_e32 v1, v230, v117
	v_fmac_f32_e32 v1, v231, v116
	v_add_f32_e32 v0, v0, v1
	v_mul_f32_e32 v1, v232, v119
	v_fmac_f32_e32 v1, v233, v118
	v_add_f32_e32 v0, v0, v1
	s_waitcnt vmcnt(11) lgkmcnt(12)
	v_mul_f32_e32 v1, v234, v121
	v_fmac_f32_e32 v1, v235, v120
	v_mul_f32_e32 v25, v236, v123
	v_add_f32_e32 v24, v0, v1
	v_fmac_f32_e32 v25, v237, v122
	v_add_f32_e32 v24, v24, v25
	s_waitcnt vmcnt(10) lgkmcnt(11)
	v_mul_f32_e32 v25, v238, v125
	v_fmac_f32_e32 v25, v239, v124
	v_add_f32_e32 v24, v24, v25
	v_mul_f32_e32 v25, v240, v127
	v_fmac_f32_e32 v25, v241, v126
	v_add_f32_e32 v24, v24, v25
	s_waitcnt vmcnt(9) lgkmcnt(10)
	v_mul_f32_e32 v25, v242, v129
	v_fmac_f32_e32 v25, v243, v128
	v_add_f32_e32 v24, v24, v25
	v_mul_f32_e32 v25, v244, v131
	;; [unrolled: 7-line block ×4, first 2 shown]
	v_mul_f32_e32 v61, v159, v61
	v_fmac_f32_e32 v25, v253, v138
	v_fma_f32 v158, v158, v60, -v61
	v_mul_f32_e32 v60, v161, v63
	v_add_f32_e32 v24, v24, v25
	s_waitcnt vmcnt(6) lgkmcnt(7)
	v_mul_f32_e32 v25, v170, v141
	v_fma_f32 v62, v160, v62, -v60
	v_add_f32_e32 v63, 0, v158
	v_fmac_f32_e32 v25, v171, v140
	v_add_f32_e32 v62, v63, v62
	v_mul_f32_e32 v63, v163, v65
	v_add_f32_e32 v24, v24, v25
	v_mul_f32_e32 v25, v172, v143
	v_fma_f32 v63, v162, v64, -v63
	v_fmac_f32_e32 v25, v173, v142
	v_add_f32_e32 v62, v62, v63
	v_mul_f32_e32 v63, v165, v67
	v_add_f32_e32 v24, v24, v25
	s_waitcnt vmcnt(5) lgkmcnt(6)
	v_mul_f32_e32 v25, v174, v145
	v_fma_f32 v63, v164, v66, -v63
	v_fmac_f32_e32 v25, v175, v144
	v_add_f32_e32 v62, v62, v63
	v_mul_f32_e32 v63, v167, v69
	v_add_f32_e32 v24, v24, v25
	v_mul_f32_e32 v25, v176, v147
	v_fma_f32 v63, v166, v68, -v63
	v_fmac_f32_e32 v25, v177, v146
	v_add_f32_e32 v62, v62, v63
	v_mul_f32_e32 v63, v169, v71
	v_add_f32_e32 v24, v24, v25
	s_waitcnt vmcnt(4) lgkmcnt(5)
	v_mul_f32_e32 v25, v40, v5
	v_fma_f32 v63, v168, v70, -v63
	;; [unrolled: 13-line block ×4, first 2 shown]
	v_fmac_f32_e32 v25, v49, v12
	v_add_f32_e32 v62, v62, v63
	v_mul_f32_e32 v63, v203, v81
	v_add_f32_e32 v24, v24, v25
	v_mul_f32_e32 v25, v50, v15
	v_fma_f32 v63, v202, v80, -v63
	v_fmac_f32_e32 v25, v51, v14
	v_add_f32_e32 v62, v62, v63
	v_mul_f32_e32 v63, v205, v83
	scratch_load_dwordx4 v[0:3], off, off offset:440
	v_add_f32_e32 v24, v24, v25
	s_waitcnt vmcnt(2) lgkmcnt(2)
	v_mul_f32_e32 v25, v52, v17
	v_fma_f32 v63, v204, v82, -v63
	v_fmac_f32_e32 v25, v53, v16
	v_add_f32_e32 v62, v62, v63
	v_mul_f32_e32 v63, v207, v85
	v_add_f32_e32 v24, v24, v25
	v_mul_f32_e32 v25, v54, v19
	v_fma_f32 v63, v206, v84, -v63
	v_fmac_f32_e32 v25, v55, v18
	v_add_f32_e32 v62, v62, v63
	v_mul_f32_e32 v63, v209, v87
	v_add_f32_e32 v24, v24, v25
	s_waitcnt vmcnt(1) lgkmcnt(1)
	v_mul_f32_e32 v25, v56, v21
	v_fma_f32 v63, v208, v86, -v63
	v_fmac_f32_e32 v25, v57, v20
	v_add_f32_e32 v62, v62, v63
	v_mul_f32_e32 v63, v211, v89
	v_add_f32_e32 v187, v24, v25
	scratch_load_dwordx4 v[32:35], off, off offset:456
	scratch_load_dwordx4 v[28:31], off, off offset:472
	;; [unrolled: 1-line block ×3, first 2 shown]
	v_fma_f32 v63, v210, v88, -v63
	v_add_f32_e32 v62, v62, v63
	v_mul_f32_e32 v63, v213, v91
	v_fma_f32 v63, v212, v90, -v63
	v_add_f32_e32 v62, v62, v63
	v_mul_f32_e32 v63, v215, v93
	;; [unrolled: 3-line block ×6, first 2 shown]
	v_fma_f32 v63, v152, v100, -v63
	scratch_load_dwordx2 v[60:61], off, off offset:504
	v_add_f32_e32 v62, v62, v63
	v_mul_f32_e32 v63, v155, v103
	v_fma_f32 v63, v154, v102, -v63
	v_add_f32_e32 v62, v62, v63
	v_mul_f32_e32 v63, v149, v105
	v_fma_f32 v63, v148, v104, -v63
	v_mul_f32_e32 v5, v41, v5
	v_add_f32_e32 v62, v62, v63
	v_mul_f32_e32 v63, v151, v107
	v_fma_f32 v40, v40, v4, -v5
	scratch_load_dwordx2 v[4:5], off, off
	v_fma_f32 v63, v150, v106, -v63
	v_add_f32_e32 v62, v62, v63
	v_mul_f32_e32 v63, v223, v109
	v_fma_f32 v63, v222, v108, -v63
	v_add_f32_e32 v62, v62, v63
	v_mul_f32_e32 v63, v225, v111
	;; [unrolled: 3-line block ×21, first 2 shown]
	v_add_f32_e32 v40, v62, v40
	v_fma_f32 v6, v42, v6, -v7
	v_mul_f32_e32 v7, v45, v9
	v_add_f32_e32 v6, v40, v6
	v_fma_f32 v7, v44, v8, -v7
	v_add_f32_e32 v6, v6, v7
	v_mul_f32_e32 v7, v47, v11
	v_fma_f32 v7, v46, v10, -v7
	v_add_f32_e32 v6, v6, v7
	v_mul_f32_e32 v7, v49, v13
	;; [unrolled: 3-line block ×6, first 2 shown]
	v_fma_f32 v7, v56, v20, -v7
	v_mul_f32_e32 v189, v58, v23
	v_add_f32_e32 v186, v6, v7
	v_mul_f32_e32 v6, v59, v23
	s_waitcnt vmcnt(5)
	v_mov_b32_e32 v20, v3
	v_fmac_f32_e32 v189, v59, v22
	s_waitcnt lgkmcnt(0)
	v_mul_f32_e32 v191, v36, v1
	v_fma_f32 v188, v58, v22, -v6
	v_mul_f32_e32 v1, v37, v1
	v_pk_mul_f32 v[20:21], v[38:39], v[20:21] op_sel:[1,0] op_sel_hi:[0,0]
	v_fmac_f32_e32 v191, v37, v0
	v_fma_f32 v190, v36, v0, -v1
	ds_read2_b64 v[6:9], v192 offset0:121 offset1:122
	ds_read2_b64 v[10:13], v192 offset0:123 offset1:124
	;; [unrolled: 1-line block ×3, first 2 shown]
	ds_read_b64 v[0:1], v192 offset:1016
	v_pk_add_f32 v[18:19], v[186:187], v[188:189]
	v_pk_fma_f32 v[22:23], v[38:39], v[2:3], v[20:21] neg_lo:[0,0,1] neg_hi:[0,0,1]
	v_pk_fma_f32 v[2:3], v[38:39], v[2:3], v[20:21] op_sel_hi:[1,0,1]
	v_pk_add_f32 v[18:19], v[18:19], v[190:191]
	v_mov_b32_e32 v23, v3
	v_pk_add_f32 v[2:3], v[18:19], v[22:23]
	s_waitcnt vmcnt(4) lgkmcnt(3)
	v_pk_mul_f32 v[18:19], v[6:7], v[32:33] op_sel:[1,1] op_sel_hi:[0,1]
	v_pk_fma_f32 v[20:21], v[6:7], v[32:33], v[18:19] neg_lo:[0,0,1] neg_hi:[0,0,1]
	v_pk_fma_f32 v[6:7], v[6:7], v[32:33], v[18:19] op_sel_hi:[1,0,1]
	s_nop 0
	v_mov_b32_e32 v6, v35
	v_mov_b32_e32 v21, v7
	v_pk_mul_f32 v[6:7], v[8:9], v[6:7] op_sel:[1,0] op_sel_hi:[0,0]
	v_pk_fma_f32 v[18:19], v[8:9], v[34:35], v[6:7] neg_lo:[0,0,1] neg_hi:[0,0,1]
	v_pk_fma_f32 v[6:7], v[8:9], v[34:35], v[6:7] op_sel_hi:[1,0,1]
	v_pk_add_f32 v[2:3], v[2:3], v[20:21]
	v_mov_b32_e32 v19, v7
	s_waitcnt vmcnt(3) lgkmcnt(2)
	v_pk_mul_f32 v[6:7], v[10:11], v[28:29] op_sel:[1,1] op_sel_hi:[0,1]
	v_pk_fma_f32 v[8:9], v[10:11], v[28:29], v[6:7] neg_lo:[0,0,1] neg_hi:[0,0,1]
	v_pk_fma_f32 v[6:7], v[10:11], v[28:29], v[6:7] op_sel_hi:[1,0,1]
	v_pk_add_f32 v[2:3], v[2:3], v[18:19]
	v_mov_b32_e32 v6, v31
	v_mov_b32_e32 v9, v7
	v_pk_mul_f32 v[6:7], v[12:13], v[6:7] op_sel:[1,0] op_sel_hi:[0,0]
	v_pk_add_f32 v[2:3], v[2:3], v[8:9]
	v_pk_fma_f32 v[8:9], v[12:13], v[30:31], v[6:7] neg_lo:[0,0,1] neg_hi:[0,0,1]
	v_pk_fma_f32 v[6:7], v[12:13], v[30:31], v[6:7] op_sel_hi:[1,0,1]
	s_nop 0
	v_mov_b32_e32 v9, v7
	s_waitcnt vmcnt(2) lgkmcnt(1)
	v_pk_mul_f32 v[6:7], v[14:15], v[24:25] op_sel:[1,1] op_sel_hi:[0,1]
	v_pk_add_f32 v[2:3], v[2:3], v[8:9]
	v_pk_fma_f32 v[8:9], v[14:15], v[24:25], v[6:7] neg_lo:[0,0,1] neg_hi:[0,0,1]
	v_pk_fma_f32 v[6:7], v[14:15], v[24:25], v[6:7] op_sel_hi:[1,0,1]
	s_nop 0
	v_mov_b32_e32 v6, v27
	v_mov_b32_e32 v9, v7
	v_pk_mul_f32 v[6:7], v[16:17], v[6:7] op_sel:[1,0] op_sel_hi:[0,0]
	v_pk_add_f32 v[2:3], v[2:3], v[8:9]
	v_pk_fma_f32 v[8:9], v[16:17], v[26:27], v[6:7] neg_lo:[0,0,1] neg_hi:[0,0,1]
	v_pk_fma_f32 v[6:7], v[16:17], v[26:27], v[6:7] op_sel_hi:[1,0,1]
	s_nop 0
	v_mov_b32_e32 v9, v7
	s_waitcnt vmcnt(1) lgkmcnt(0)
	v_pk_mul_f32 v[6:7], v[0:1], v[60:61] op_sel:[1,1] op_sel_hi:[0,1]
	v_pk_add_f32 v[2:3], v[2:3], v[8:9]
	v_pk_fma_f32 v[8:9], v[0:1], v[60:61], v[6:7] neg_lo:[0,0,1] neg_hi:[0,0,1]
	v_pk_fma_f32 v[0:1], v[0:1], v[60:61], v[6:7] op_sel_hi:[1,0,1]
	s_nop 0
	v_mov_b32_e32 v9, v1
	v_pk_add_f32 v[0:1], v[2:3], v[8:9]
	s_waitcnt vmcnt(0)
	v_pk_add_f32 v[0:1], v[4:5], v[0:1] neg_lo:[0,1] neg_hi:[0,1]
	scratch_store_dwordx2 off, v[0:1], off
	s_cbranch_vccz .LBB127_524
; %bb.398:
	global_load_dword v0, v192, s[8:9] offset:248
	s_waitcnt vmcnt(0)
	v_readfirstlane_b32 s0, v0
	s_add_i32 s0, s0, -1
	s_cmp_lg_u32 s0, 62
	s_cbranch_scc0 .LBB127_400
; %bb.399:
	s_lshl_b32 s0, s0, 3
	s_nop 0
	scratch_load_dwordx2 v[0:1], off, s0
	scratch_load_dwordx2 v[2:3], off, off offset:496
	s_waitcnt vmcnt(1)
	scratch_store_dwordx2 off, v[0:1], off offset:496
	s_waitcnt vmcnt(1)
	scratch_store_dwordx2 off, v[2:3], s0
.LBB127_400:
	v_mov_b32_e32 v0, 0
	global_load_dword v1, v0, s[8:9] offset:244
	s_waitcnt vmcnt(0)
	v_readfirstlane_b32 s0, v1
	s_add_i32 s0, s0, -1
	s_cmp_eq_u32 s0, 61
	s_cbranch_scc1 .LBB127_402
; %bb.401:
	s_lshl_b32 s0, s0, 3
	s_nop 0
	scratch_load_dwordx2 v[2:3], off, s0
	scratch_load_dwordx2 v[4:5], off, off offset:488
	s_waitcnt vmcnt(1)
	scratch_store_dwordx2 off, v[2:3], off offset:488
	s_waitcnt vmcnt(1)
	scratch_store_dwordx2 off, v[4:5], s0
.LBB127_402:
	global_load_dword v0, v0, s[8:9] offset:240
	s_waitcnt vmcnt(0)
	v_readfirstlane_b32 s0, v0
	s_add_i32 s0, s0, -1
	s_cmp_eq_u32 s0, 60
	s_cbranch_scc1 .LBB127_404
; %bb.403:
	s_lshl_b32 s0, s0, 3
	s_nop 0
	scratch_load_dwordx2 v[0:1], off, s0
	scratch_load_dwordx2 v[2:3], off, off offset:480
	s_waitcnt vmcnt(1)
	scratch_store_dwordx2 off, v[0:1], off offset:480
	s_waitcnt vmcnt(1)
	scratch_store_dwordx2 off, v[2:3], s0
.LBB127_404:
	v_mov_b32_e32 v0, 0
	global_load_dword v1, v0, s[8:9] offset:236
	s_waitcnt vmcnt(0)
	v_readfirstlane_b32 s0, v1
	s_add_i32 s0, s0, -1
	s_cmp_eq_u32 s0, 59
	s_cbranch_scc1 .LBB127_406
; %bb.405:
	s_lshl_b32 s0, s0, 3
	s_nop 0
	scratch_load_dwordx2 v[2:3], off, s0
	scratch_load_dwordx2 v[4:5], off, off offset:472
	s_waitcnt vmcnt(1)
	scratch_store_dwordx2 off, v[2:3], off offset:472
	s_waitcnt vmcnt(1)
	scratch_store_dwordx2 off, v[4:5], s0
.LBB127_406:
	global_load_dword v0, v0, s[8:9] offset:232
	s_waitcnt vmcnt(0)
	v_readfirstlane_b32 s0, v0
	s_add_i32 s0, s0, -1
	s_cmp_eq_u32 s0, 58
	s_cbranch_scc1 .LBB127_408
; %bb.407:
	s_lshl_b32 s0, s0, 3
	s_nop 0
	scratch_load_dwordx2 v[0:1], off, s0
	scratch_load_dwordx2 v[2:3], off, off offset:464
	s_waitcnt vmcnt(1)
	scratch_store_dwordx2 off, v[0:1], off offset:464
	s_waitcnt vmcnt(1)
	scratch_store_dwordx2 off, v[2:3], s0
.LBB127_408:
	;; [unrolled: 33-line block ×30, first 2 shown]
	v_mov_b32_e32 v0, 0
	global_load_dword v1, v0, s[8:9] offset:4
	s_waitcnt vmcnt(0)
	v_readfirstlane_b32 s0, v1
	s_add_i32 s0, s0, -1
	s_cmp_eq_u32 s0, 1
	s_cbranch_scc1 .LBB127_522
; %bb.521:
	s_lshl_b32 s0, s0, 3
	s_nop 0
	scratch_load_dwordx2 v[2:3], off, s0
	scratch_load_dwordx2 v[4:5], off, off offset:8
	s_waitcnt vmcnt(1)
	scratch_store_dwordx2 off, v[2:3], off offset:8
	s_waitcnt vmcnt(1)
	scratch_store_dwordx2 off, v[4:5], s0
.LBB127_522:
	global_load_dword v2, v0, s[8:9]
	s_nop 0
	scratch_load_dwordx2 v[0:1], off, off
	s_waitcnt vmcnt(1)
	v_readfirstlane_b32 s0, v2
	s_add_i32 s0, s0, -1
	s_cmp_eq_u32 s0, 0
	s_cbranch_scc1 .LBB127_524
; %bb.523:
	s_lshl_b32 s0, s0, 3
	s_nop 0
	scratch_load_dwordx2 v[2:3], off, s0
	s_waitcnt vmcnt(0)
	scratch_store_dwordx2 off, v[2:3], off
	scratch_store_dwordx2 off, v[0:1], s0
	scratch_load_dwordx2 v[0:1], off, off
.LBB127_524:
	s_waitcnt vmcnt(0)
	flat_store_dwordx2 v[156:157], v[0:1]
	scratch_load_dwordx2 v[0:1], off, off offset:8
	v_accvgpr_read_b32 v3, a1
	v_accvgpr_read_b32 v2, a0
	s_waitcnt vmcnt(0)
	flat_store_dwordx2 v[2:3], v[0:1]
	scratch_load_dwordx2 v[0:1], off, off offset:16
	v_accvgpr_read_b32 v2, a2
	v_accvgpr_read_b32 v3, a3
	;; [unrolled: 5-line block ×58, first 2 shown]
	s_waitcnt vmcnt(0)
	flat_store_dwordx2 v[254:255], v[0:1]
	scratch_load_dwordx2 v[0:1], off, off offset:472
	s_waitcnt vmcnt(0)
	flat_store_dwordx2 v[2:3], v[0:1]
	scratch_load_dwordx2 v[0:1], off, off offset:480
	;; [unrolled: 3-line block ×5, first 2 shown]
	s_waitcnt vmcnt(0)
	flat_store_dwordx2 v[184:185], v[0:1]
	s_endpgm
	.section	.rodata,"a",@progbits
	.p2align	6, 0x0
	.amdhsa_kernel _ZN9rocsolver6v33100L18getri_kernel_smallILi64E19rocblas_complex_numIfEPKPS3_EEvT1_iilPiilS8_bb
		.amdhsa_group_segment_fixed_size 1028
		.amdhsa_private_segment_fixed_size 528
		.amdhsa_kernarg_size 60
		.amdhsa_user_sgpr_count 2
		.amdhsa_user_sgpr_dispatch_ptr 0
		.amdhsa_user_sgpr_queue_ptr 0
		.amdhsa_user_sgpr_kernarg_segment_ptr 1
		.amdhsa_user_sgpr_dispatch_id 0
		.amdhsa_user_sgpr_kernarg_preload_length 0
		.amdhsa_user_sgpr_kernarg_preload_offset 0
		.amdhsa_user_sgpr_private_segment_size 0
		.amdhsa_uses_dynamic_stack 0
		.amdhsa_enable_private_segment 1
		.amdhsa_system_sgpr_workgroup_id_x 1
		.amdhsa_system_sgpr_workgroup_id_y 0
		.amdhsa_system_sgpr_workgroup_id_z 0
		.amdhsa_system_sgpr_workgroup_info 0
		.amdhsa_system_vgpr_workitem_id 0
		.amdhsa_next_free_vgpr 372
		.amdhsa_next_free_sgpr 17
		.amdhsa_accum_offset 256
		.amdhsa_reserve_vcc 1
		.amdhsa_float_round_mode_32 0
		.amdhsa_float_round_mode_16_64 0
		.amdhsa_float_denorm_mode_32 3
		.amdhsa_float_denorm_mode_16_64 3
		.amdhsa_dx10_clamp 1
		.amdhsa_ieee_mode 1
		.amdhsa_fp16_overflow 0
		.amdhsa_tg_split 0
		.amdhsa_exception_fp_ieee_invalid_op 0
		.amdhsa_exception_fp_denorm_src 0
		.amdhsa_exception_fp_ieee_div_zero 0
		.amdhsa_exception_fp_ieee_overflow 0
		.amdhsa_exception_fp_ieee_underflow 0
		.amdhsa_exception_fp_ieee_inexact 0
		.amdhsa_exception_int_div_zero 0
	.end_amdhsa_kernel
	.section	.text._ZN9rocsolver6v33100L18getri_kernel_smallILi64E19rocblas_complex_numIfEPKPS3_EEvT1_iilPiilS8_bb,"axG",@progbits,_ZN9rocsolver6v33100L18getri_kernel_smallILi64E19rocblas_complex_numIfEPKPS3_EEvT1_iilPiilS8_bb,comdat
.Lfunc_end127:
	.size	_ZN9rocsolver6v33100L18getri_kernel_smallILi64E19rocblas_complex_numIfEPKPS3_EEvT1_iilPiilS8_bb, .Lfunc_end127-_ZN9rocsolver6v33100L18getri_kernel_smallILi64E19rocblas_complex_numIfEPKPS3_EEvT1_iilPiilS8_bb
                                        ; -- End function
	.set _ZN9rocsolver6v33100L18getri_kernel_smallILi64E19rocblas_complex_numIfEPKPS3_EEvT1_iilPiilS8_bb.num_vgpr, 256
	.set _ZN9rocsolver6v33100L18getri_kernel_smallILi64E19rocblas_complex_numIfEPKPS3_EEvT1_iilPiilS8_bb.num_agpr, 116
	.set _ZN9rocsolver6v33100L18getri_kernel_smallILi64E19rocblas_complex_numIfEPKPS3_EEvT1_iilPiilS8_bb.numbered_sgpr, 17
	.set _ZN9rocsolver6v33100L18getri_kernel_smallILi64E19rocblas_complex_numIfEPKPS3_EEvT1_iilPiilS8_bb.num_named_barrier, 0
	.set _ZN9rocsolver6v33100L18getri_kernel_smallILi64E19rocblas_complex_numIfEPKPS3_EEvT1_iilPiilS8_bb.private_seg_size, 528
	.set _ZN9rocsolver6v33100L18getri_kernel_smallILi64E19rocblas_complex_numIfEPKPS3_EEvT1_iilPiilS8_bb.uses_vcc, 1
	.set _ZN9rocsolver6v33100L18getri_kernel_smallILi64E19rocblas_complex_numIfEPKPS3_EEvT1_iilPiilS8_bb.uses_flat_scratch, 0
	.set _ZN9rocsolver6v33100L18getri_kernel_smallILi64E19rocblas_complex_numIfEPKPS3_EEvT1_iilPiilS8_bb.has_dyn_sized_stack, 0
	.set _ZN9rocsolver6v33100L18getri_kernel_smallILi64E19rocblas_complex_numIfEPKPS3_EEvT1_iilPiilS8_bb.has_recursion, 0
	.set _ZN9rocsolver6v33100L18getri_kernel_smallILi64E19rocblas_complex_numIfEPKPS3_EEvT1_iilPiilS8_bb.has_indirect_call, 0
	.section	.AMDGPU.csdata,"",@progbits
; Kernel info:
; codeLenInByte = 112568
; TotalNumSgprs: 23
; NumVgprs: 256
; NumAgprs: 116
; TotalNumVgprs: 372
; ScratchSize: 528
; MemoryBound: 0
; FloatMode: 240
; IeeeMode: 1
; LDSByteSize: 1028 bytes/workgroup (compile time only)
; SGPRBlocks: 2
; VGPRBlocks: 46
; NumSGPRsForWavesPerEU: 23
; NumVGPRsForWavesPerEU: 372
; AccumOffset: 256
; Occupancy: 1
; WaveLimiterHint : 1
; COMPUTE_PGM_RSRC2:SCRATCH_EN: 1
; COMPUTE_PGM_RSRC2:USER_SGPR: 2
; COMPUTE_PGM_RSRC2:TRAP_HANDLER: 0
; COMPUTE_PGM_RSRC2:TGID_X_EN: 1
; COMPUTE_PGM_RSRC2:TGID_Y_EN: 0
; COMPUTE_PGM_RSRC2:TGID_Z_EN: 0
; COMPUTE_PGM_RSRC2:TIDIG_COMP_CNT: 0
; COMPUTE_PGM_RSRC3_GFX90A:ACCUM_OFFSET: 63
; COMPUTE_PGM_RSRC3_GFX90A:TG_SPLIT: 0
	.section	.AMDGPU.gpr_maximums,"",@progbits
	.set amdgpu.max_num_vgpr, 0
	.set amdgpu.max_num_agpr, 0
	.set amdgpu.max_num_sgpr, 0
	.section	.AMDGPU.csdata,"",@progbits
	.type	__hip_cuid_1fe97a747698d18c,@object ; @__hip_cuid_1fe97a747698d18c
	.section	.bss,"aw",@nobits
	.globl	__hip_cuid_1fe97a747698d18c
__hip_cuid_1fe97a747698d18c:
	.byte	0                               ; 0x0
	.size	__hip_cuid_1fe97a747698d18c, 1

	.ident	"AMD clang version 22.0.0git (https://github.com/RadeonOpenCompute/llvm-project roc-7.2.4 26084 f58b06dce1f9c15707c5f808fd002e18c2accf7e)"
	.section	".note.GNU-stack","",@progbits
	.addrsig
	.addrsig_sym __hip_cuid_1fe97a747698d18c
	.amdgpu_metadata
---
amdhsa.kernels:
  - .agpr_count:     0
    .args:
      - .address_space:  global
        .offset:         0
        .size:           8
        .value_kind:     global_buffer
      - .offset:         8
        .size:           4
        .value_kind:     by_value
      - .offset:         12
        .size:           4
        .value_kind:     by_value
      - .offset:         16
        .size:           8
        .value_kind:     by_value
      - .address_space:  global
        .offset:         24
        .size:           8
        .value_kind:     global_buffer
      - .offset:         32
        .size:           4
        .value_kind:     by_value
      - .offset:         40
        .size:           8
        .value_kind:     by_value
      - .address_space:  global
        .offset:         48
        .size:           8
        .value_kind:     global_buffer
      - .offset:         56
        .size:           1
        .value_kind:     by_value
      - .offset:         57
        .size:           1
        .value_kind:     by_value
    .group_segment_fixed_size: 4
    .kernarg_segment_align: 8
    .kernarg_segment_size: 60
    .language:       OpenCL C
    .language_version:
      - 2
      - 0
    .max_flat_workgroup_size: 64
    .name:           _ZN9rocsolver6v33100L18getri_kernel_smallILi1E19rocblas_complex_numIfEPS3_EEvT1_iilPiilS6_bb
    .private_segment_fixed_size: 0
    .sgpr_count:     20
    .sgpr_spill_count: 0
    .symbol:         _ZN9rocsolver6v33100L18getri_kernel_smallILi1E19rocblas_complex_numIfEPS3_EEvT1_iilPiilS6_bb.kd
    .uniform_work_group_size: 1
    .uses_dynamic_stack: false
    .vgpr_count:     7
    .vgpr_spill_count: 0
    .wavefront_size: 64
  - .agpr_count:     0
    .args:
      - .address_space:  global
        .offset:         0
        .size:           8
        .value_kind:     global_buffer
      - .offset:         8
        .size:           4
        .value_kind:     by_value
      - .offset:         12
        .size:           4
        .value_kind:     by_value
      - .offset:         16
        .size:           8
        .value_kind:     by_value
      - .address_space:  global
        .offset:         24
        .size:           8
        .value_kind:     global_buffer
      - .offset:         32
        .size:           4
        .value_kind:     by_value
      - .offset:         40
        .size:           8
        .value_kind:     by_value
      - .address_space:  global
        .offset:         48
        .size:           8
        .value_kind:     global_buffer
      - .offset:         56
        .size:           1
        .value_kind:     by_value
      - .offset:         57
        .size:           1
        .value_kind:     by_value
    .group_segment_fixed_size: 36
    .kernarg_segment_align: 8
    .kernarg_segment_size: 60
    .language:       OpenCL C
    .language_version:
      - 2
      - 0
    .max_flat_workgroup_size: 64
    .name:           _ZN9rocsolver6v33100L18getri_kernel_smallILi2E19rocblas_complex_numIfEPS3_EEvT1_iilPiilS6_bb
    .private_segment_fixed_size: 32
    .sgpr_count:     26
    .sgpr_spill_count: 0
    .symbol:         _ZN9rocsolver6v33100L18getri_kernel_smallILi2E19rocblas_complex_numIfEPS3_EEvT1_iilPiilS6_bb.kd
    .uniform_work_group_size: 1
    .uses_dynamic_stack: false
    .vgpr_count:     16
    .vgpr_spill_count: 0
    .wavefront_size: 64
  - .agpr_count:     0
    .args:
      - .address_space:  global
        .offset:         0
        .size:           8
        .value_kind:     global_buffer
      - .offset:         8
        .size:           4
        .value_kind:     by_value
      - .offset:         12
        .size:           4
        .value_kind:     by_value
      - .offset:         16
        .size:           8
        .value_kind:     by_value
      - .address_space:  global
        .offset:         24
        .size:           8
        .value_kind:     global_buffer
      - .offset:         32
        .size:           4
        .value_kind:     by_value
      - .offset:         40
        .size:           8
        .value_kind:     by_value
      - .address_space:  global
        .offset:         48
        .size:           8
        .value_kind:     global_buffer
      - .offset:         56
        .size:           1
        .value_kind:     by_value
      - .offset:         57
        .size:           1
        .value_kind:     by_value
    .group_segment_fixed_size: 56
    .kernarg_segment_align: 8
    .kernarg_segment_size: 60
    .language:       OpenCL C
    .language_version:
      - 2
      - 0
    .max_flat_workgroup_size: 64
    .name:           _ZN9rocsolver6v33100L18getri_kernel_smallILi3E19rocblas_complex_numIfEPS3_EEvT1_iilPiilS6_bb
    .private_segment_fixed_size: 32
    .sgpr_count:     26
    .sgpr_spill_count: 0
    .symbol:         _ZN9rocsolver6v33100L18getri_kernel_smallILi3E19rocblas_complex_numIfEPS3_EEvT1_iilPiilS6_bb.kd
    .uniform_work_group_size: 1
    .uses_dynamic_stack: false
    .vgpr_count:     22
    .vgpr_spill_count: 0
    .wavefront_size: 64
  - .agpr_count:     0
    .args:
      - .address_space:  global
        .offset:         0
        .size:           8
        .value_kind:     global_buffer
      - .offset:         8
        .size:           4
        .value_kind:     by_value
      - .offset:         12
        .size:           4
        .value_kind:     by_value
      - .offset:         16
        .size:           8
        .value_kind:     by_value
      - .address_space:  global
        .offset:         24
        .size:           8
        .value_kind:     global_buffer
      - .offset:         32
        .size:           4
        .value_kind:     by_value
      - .offset:         40
        .size:           8
        .value_kind:     by_value
      - .address_space:  global
        .offset:         48
        .size:           8
        .value_kind:     global_buffer
      - .offset:         56
        .size:           1
        .value_kind:     by_value
      - .offset:         57
        .size:           1
        .value_kind:     by_value
    .group_segment_fixed_size: 68
    .kernarg_segment_align: 8
    .kernarg_segment_size: 60
    .language:       OpenCL C
    .language_version:
      - 2
      - 0
    .max_flat_workgroup_size: 64
    .name:           _ZN9rocsolver6v33100L18getri_kernel_smallILi4E19rocblas_complex_numIfEPS3_EEvT1_iilPiilS6_bb
    .private_segment_fixed_size: 48
    .sgpr_count:     26
    .sgpr_spill_count: 0
    .symbol:         _ZN9rocsolver6v33100L18getri_kernel_smallILi4E19rocblas_complex_numIfEPS3_EEvT1_iilPiilS6_bb.kd
    .uniform_work_group_size: 1
    .uses_dynamic_stack: false
    .vgpr_count:     32
    .vgpr_spill_count: 0
    .wavefront_size: 64
  - .agpr_count:     0
    .args:
      - .address_space:  global
        .offset:         0
        .size:           8
        .value_kind:     global_buffer
      - .offset:         8
        .size:           4
        .value_kind:     by_value
      - .offset:         12
        .size:           4
        .value_kind:     by_value
      - .offset:         16
        .size:           8
        .value_kind:     by_value
      - .address_space:  global
        .offset:         24
        .size:           8
        .value_kind:     global_buffer
      - .offset:         32
        .size:           4
        .value_kind:     by_value
      - .offset:         40
        .size:           8
        .value_kind:     by_value
      - .address_space:  global
        .offset:         48
        .size:           8
        .value_kind:     global_buffer
      - .offset:         56
        .size:           1
        .value_kind:     by_value
      - .offset:         57
        .size:           1
        .value_kind:     by_value
    .group_segment_fixed_size: 88
    .kernarg_segment_align: 8
    .kernarg_segment_size: 60
    .language:       OpenCL C
    .language_version:
      - 2
      - 0
    .max_flat_workgroup_size: 64
    .name:           _ZN9rocsolver6v33100L18getri_kernel_smallILi5E19rocblas_complex_numIfEPS3_EEvT1_iilPiilS6_bb
    .private_segment_fixed_size: 48
    .sgpr_count:     26
    .sgpr_spill_count: 0
    .symbol:         _ZN9rocsolver6v33100L18getri_kernel_smallILi5E19rocblas_complex_numIfEPS3_EEvT1_iilPiilS6_bb.kd
    .uniform_work_group_size: 1
    .uses_dynamic_stack: false
    .vgpr_count:     38
    .vgpr_spill_count: 0
    .wavefront_size: 64
  - .agpr_count:     0
    .args:
      - .address_space:  global
        .offset:         0
        .size:           8
        .value_kind:     global_buffer
      - .offset:         8
        .size:           4
        .value_kind:     by_value
      - .offset:         12
        .size:           4
        .value_kind:     by_value
      - .offset:         16
        .size:           8
        .value_kind:     by_value
      - .address_space:  global
        .offset:         24
        .size:           8
        .value_kind:     global_buffer
      - .offset:         32
        .size:           4
        .value_kind:     by_value
      - .offset:         40
        .size:           8
        .value_kind:     by_value
      - .address_space:  global
        .offset:         48
        .size:           8
        .value_kind:     global_buffer
      - .offset:         56
        .size:           1
        .value_kind:     by_value
      - .offset:         57
        .size:           1
        .value_kind:     by_value
    .group_segment_fixed_size: 100
    .kernarg_segment_align: 8
    .kernarg_segment_size: 60
    .language:       OpenCL C
    .language_version:
      - 2
      - 0
    .max_flat_workgroup_size: 64
    .name:           _ZN9rocsolver6v33100L18getri_kernel_smallILi6E19rocblas_complex_numIfEPS3_EEvT1_iilPiilS6_bb
    .private_segment_fixed_size: 64
    .sgpr_count:     26
    .sgpr_spill_count: 0
    .symbol:         _ZN9rocsolver6v33100L18getri_kernel_smallILi6E19rocblas_complex_numIfEPS3_EEvT1_iilPiilS6_bb.kd
    .uniform_work_group_size: 1
    .uses_dynamic_stack: false
    .vgpr_count:     48
    .vgpr_spill_count: 0
    .wavefront_size: 64
  - .agpr_count:     0
    .args:
      - .address_space:  global
        .offset:         0
        .size:           8
        .value_kind:     global_buffer
      - .offset:         8
        .size:           4
        .value_kind:     by_value
      - .offset:         12
        .size:           4
        .value_kind:     by_value
      - .offset:         16
        .size:           8
        .value_kind:     by_value
      - .address_space:  global
        .offset:         24
        .size:           8
        .value_kind:     global_buffer
      - .offset:         32
        .size:           4
        .value_kind:     by_value
      - .offset:         40
        .size:           8
        .value_kind:     by_value
      - .address_space:  global
        .offset:         48
        .size:           8
        .value_kind:     global_buffer
      - .offset:         56
        .size:           1
        .value_kind:     by_value
      - .offset:         57
        .size:           1
        .value_kind:     by_value
    .group_segment_fixed_size: 120
    .kernarg_segment_align: 8
    .kernarg_segment_size: 60
    .language:       OpenCL C
    .language_version:
      - 2
      - 0
    .max_flat_workgroup_size: 64
    .name:           _ZN9rocsolver6v33100L18getri_kernel_smallILi7E19rocblas_complex_numIfEPS3_EEvT1_iilPiilS6_bb
    .private_segment_fixed_size: 64
    .sgpr_count:     26
    .sgpr_spill_count: 0
    .symbol:         _ZN9rocsolver6v33100L18getri_kernel_smallILi7E19rocblas_complex_numIfEPS3_EEvT1_iilPiilS6_bb.kd
    .uniform_work_group_size: 1
    .uses_dynamic_stack: false
    .vgpr_count:     54
    .vgpr_spill_count: 0
    .wavefront_size: 64
  - .agpr_count:     0
    .args:
      - .address_space:  global
        .offset:         0
        .size:           8
        .value_kind:     global_buffer
      - .offset:         8
        .size:           4
        .value_kind:     by_value
      - .offset:         12
        .size:           4
        .value_kind:     by_value
      - .offset:         16
        .size:           8
        .value_kind:     by_value
      - .address_space:  global
        .offset:         24
        .size:           8
        .value_kind:     global_buffer
      - .offset:         32
        .size:           4
        .value_kind:     by_value
      - .offset:         40
        .size:           8
        .value_kind:     by_value
      - .address_space:  global
        .offset:         48
        .size:           8
        .value_kind:     global_buffer
      - .offset:         56
        .size:           1
        .value_kind:     by_value
      - .offset:         57
        .size:           1
        .value_kind:     by_value
    .group_segment_fixed_size: 132
    .kernarg_segment_align: 8
    .kernarg_segment_size: 60
    .language:       OpenCL C
    .language_version:
      - 2
      - 0
    .max_flat_workgroup_size: 64
    .name:           _ZN9rocsolver6v33100L18getri_kernel_smallILi8E19rocblas_complex_numIfEPS3_EEvT1_iilPiilS6_bb
    .private_segment_fixed_size: 80
    .sgpr_count:     26
    .sgpr_spill_count: 0
    .symbol:         _ZN9rocsolver6v33100L18getri_kernel_smallILi8E19rocblas_complex_numIfEPS3_EEvT1_iilPiilS6_bb.kd
    .uniform_work_group_size: 1
    .uses_dynamic_stack: false
    .vgpr_count:     64
    .vgpr_spill_count: 0
    .wavefront_size: 64
  - .agpr_count:     0
    .args:
      - .address_space:  global
        .offset:         0
        .size:           8
        .value_kind:     global_buffer
      - .offset:         8
        .size:           4
        .value_kind:     by_value
      - .offset:         12
        .size:           4
        .value_kind:     by_value
      - .offset:         16
        .size:           8
        .value_kind:     by_value
      - .address_space:  global
        .offset:         24
        .size:           8
        .value_kind:     global_buffer
      - .offset:         32
        .size:           4
        .value_kind:     by_value
      - .offset:         40
        .size:           8
        .value_kind:     by_value
      - .address_space:  global
        .offset:         48
        .size:           8
        .value_kind:     global_buffer
      - .offset:         56
        .size:           1
        .value_kind:     by_value
      - .offset:         57
        .size:           1
        .value_kind:     by_value
    .group_segment_fixed_size: 152
    .kernarg_segment_align: 8
    .kernarg_segment_size: 60
    .language:       OpenCL C
    .language_version:
      - 2
      - 0
    .max_flat_workgroup_size: 64
    .name:           _ZN9rocsolver6v33100L18getri_kernel_smallILi9E19rocblas_complex_numIfEPS3_EEvT1_iilPiilS6_bb
    .private_segment_fixed_size: 80
    .sgpr_count:     26
    .sgpr_spill_count: 0
    .symbol:         _ZN9rocsolver6v33100L18getri_kernel_smallILi9E19rocblas_complex_numIfEPS3_EEvT1_iilPiilS6_bb.kd
    .uniform_work_group_size: 1
    .uses_dynamic_stack: false
    .vgpr_count:     60
    .vgpr_spill_count: 0
    .wavefront_size: 64
  - .agpr_count:     0
    .args:
      - .address_space:  global
        .offset:         0
        .size:           8
        .value_kind:     global_buffer
      - .offset:         8
        .size:           4
        .value_kind:     by_value
      - .offset:         12
        .size:           4
        .value_kind:     by_value
      - .offset:         16
        .size:           8
        .value_kind:     by_value
      - .address_space:  global
        .offset:         24
        .size:           8
        .value_kind:     global_buffer
      - .offset:         32
        .size:           4
        .value_kind:     by_value
      - .offset:         40
        .size:           8
        .value_kind:     by_value
      - .address_space:  global
        .offset:         48
        .size:           8
        .value_kind:     global_buffer
      - .offset:         56
        .size:           1
        .value_kind:     by_value
      - .offset:         57
        .size:           1
        .value_kind:     by_value
    .group_segment_fixed_size: 164
    .kernarg_segment_align: 8
    .kernarg_segment_size: 60
    .language:       OpenCL C
    .language_version:
      - 2
      - 0
    .max_flat_workgroup_size: 64
    .name:           _ZN9rocsolver6v33100L18getri_kernel_smallILi10E19rocblas_complex_numIfEPS3_EEvT1_iilPiilS6_bb
    .private_segment_fixed_size: 96
    .sgpr_count:     26
    .sgpr_spill_count: 0
    .symbol:         _ZN9rocsolver6v33100L18getri_kernel_smallILi10E19rocblas_complex_numIfEPS3_EEvT1_iilPiilS6_bb.kd
    .uniform_work_group_size: 1
    .uses_dynamic_stack: false
    .vgpr_count:     78
    .vgpr_spill_count: 0
    .wavefront_size: 64
  - .agpr_count:     0
    .args:
      - .address_space:  global
        .offset:         0
        .size:           8
        .value_kind:     global_buffer
      - .offset:         8
        .size:           4
        .value_kind:     by_value
      - .offset:         12
        .size:           4
        .value_kind:     by_value
      - .offset:         16
        .size:           8
        .value_kind:     by_value
      - .address_space:  global
        .offset:         24
        .size:           8
        .value_kind:     global_buffer
      - .offset:         32
        .size:           4
        .value_kind:     by_value
      - .offset:         40
        .size:           8
        .value_kind:     by_value
      - .address_space:  global
        .offset:         48
        .size:           8
        .value_kind:     global_buffer
      - .offset:         56
        .size:           1
        .value_kind:     by_value
      - .offset:         57
        .size:           1
        .value_kind:     by_value
    .group_segment_fixed_size: 184
    .kernarg_segment_align: 8
    .kernarg_segment_size: 60
    .language:       OpenCL C
    .language_version:
      - 2
      - 0
    .max_flat_workgroup_size: 64
    .name:           _ZN9rocsolver6v33100L18getri_kernel_smallILi11E19rocblas_complex_numIfEPS3_EEvT1_iilPiilS6_bb
    .private_segment_fixed_size: 96
    .sgpr_count:     26
    .sgpr_spill_count: 0
    .symbol:         _ZN9rocsolver6v33100L18getri_kernel_smallILi11E19rocblas_complex_numIfEPS3_EEvT1_iilPiilS6_bb.kd
    .uniform_work_group_size: 1
    .uses_dynamic_stack: false
    .vgpr_count:     84
    .vgpr_spill_count: 0
    .wavefront_size: 64
  - .agpr_count:     0
    .args:
      - .address_space:  global
        .offset:         0
        .size:           8
        .value_kind:     global_buffer
      - .offset:         8
        .size:           4
        .value_kind:     by_value
      - .offset:         12
        .size:           4
        .value_kind:     by_value
      - .offset:         16
        .size:           8
        .value_kind:     by_value
      - .address_space:  global
        .offset:         24
        .size:           8
        .value_kind:     global_buffer
      - .offset:         32
        .size:           4
        .value_kind:     by_value
      - .offset:         40
        .size:           8
        .value_kind:     by_value
      - .address_space:  global
        .offset:         48
        .size:           8
        .value_kind:     global_buffer
      - .offset:         56
        .size:           1
        .value_kind:     by_value
      - .offset:         57
        .size:           1
        .value_kind:     by_value
    .group_segment_fixed_size: 196
    .kernarg_segment_align: 8
    .kernarg_segment_size: 60
    .language:       OpenCL C
    .language_version:
      - 2
      - 0
    .max_flat_workgroup_size: 64
    .name:           _ZN9rocsolver6v33100L18getri_kernel_smallILi12E19rocblas_complex_numIfEPS3_EEvT1_iilPiilS6_bb
    .private_segment_fixed_size: 112
    .sgpr_count:     26
    .sgpr_spill_count: 0
    .symbol:         _ZN9rocsolver6v33100L18getri_kernel_smallILi12E19rocblas_complex_numIfEPS3_EEvT1_iilPiilS6_bb.kd
    .uniform_work_group_size: 1
    .uses_dynamic_stack: false
    .vgpr_count:     92
    .vgpr_spill_count: 0
    .wavefront_size: 64
  - .agpr_count:     0
    .args:
      - .address_space:  global
        .offset:         0
        .size:           8
        .value_kind:     global_buffer
      - .offset:         8
        .size:           4
        .value_kind:     by_value
      - .offset:         12
        .size:           4
        .value_kind:     by_value
      - .offset:         16
        .size:           8
        .value_kind:     by_value
      - .address_space:  global
        .offset:         24
        .size:           8
        .value_kind:     global_buffer
      - .offset:         32
        .size:           4
        .value_kind:     by_value
      - .offset:         40
        .size:           8
        .value_kind:     by_value
      - .address_space:  global
        .offset:         48
        .size:           8
        .value_kind:     global_buffer
      - .offset:         56
        .size:           1
        .value_kind:     by_value
      - .offset:         57
        .size:           1
        .value_kind:     by_value
    .group_segment_fixed_size: 216
    .kernarg_segment_align: 8
    .kernarg_segment_size: 60
    .language:       OpenCL C
    .language_version:
      - 2
      - 0
    .max_flat_workgroup_size: 64
    .name:           _ZN9rocsolver6v33100L18getri_kernel_smallILi13E19rocblas_complex_numIfEPS3_EEvT1_iilPiilS6_bb
    .private_segment_fixed_size: 112
    .sgpr_count:     26
    .sgpr_spill_count: 0
    .symbol:         _ZN9rocsolver6v33100L18getri_kernel_smallILi13E19rocblas_complex_numIfEPS3_EEvT1_iilPiilS6_bb.kd
    .uniform_work_group_size: 1
    .uses_dynamic_stack: false
    .vgpr_count:     96
    .vgpr_spill_count: 0
    .wavefront_size: 64
  - .agpr_count:     0
    .args:
      - .address_space:  global
        .offset:         0
        .size:           8
        .value_kind:     global_buffer
      - .offset:         8
        .size:           4
        .value_kind:     by_value
      - .offset:         12
        .size:           4
        .value_kind:     by_value
      - .offset:         16
        .size:           8
        .value_kind:     by_value
      - .address_space:  global
        .offset:         24
        .size:           8
        .value_kind:     global_buffer
      - .offset:         32
        .size:           4
        .value_kind:     by_value
      - .offset:         40
        .size:           8
        .value_kind:     by_value
      - .address_space:  global
        .offset:         48
        .size:           8
        .value_kind:     global_buffer
      - .offset:         56
        .size:           1
        .value_kind:     by_value
      - .offset:         57
        .size:           1
        .value_kind:     by_value
    .group_segment_fixed_size: 228
    .kernarg_segment_align: 8
    .kernarg_segment_size: 60
    .language:       OpenCL C
    .language_version:
      - 2
      - 0
    .max_flat_workgroup_size: 64
    .name:           _ZN9rocsolver6v33100L18getri_kernel_smallILi14E19rocblas_complex_numIfEPS3_EEvT1_iilPiilS6_bb
    .private_segment_fixed_size: 128
    .sgpr_count:     26
    .sgpr_spill_count: 0
    .symbol:         _ZN9rocsolver6v33100L18getri_kernel_smallILi14E19rocblas_complex_numIfEPS3_EEvT1_iilPiilS6_bb.kd
    .uniform_work_group_size: 1
    .uses_dynamic_stack: false
    .vgpr_count:     104
    .vgpr_spill_count: 0
    .wavefront_size: 64
  - .agpr_count:     0
    .args:
      - .address_space:  global
        .offset:         0
        .size:           8
        .value_kind:     global_buffer
      - .offset:         8
        .size:           4
        .value_kind:     by_value
      - .offset:         12
        .size:           4
        .value_kind:     by_value
      - .offset:         16
        .size:           8
        .value_kind:     by_value
      - .address_space:  global
        .offset:         24
        .size:           8
        .value_kind:     global_buffer
      - .offset:         32
        .size:           4
        .value_kind:     by_value
      - .offset:         40
        .size:           8
        .value_kind:     by_value
      - .address_space:  global
        .offset:         48
        .size:           8
        .value_kind:     global_buffer
      - .offset:         56
        .size:           1
        .value_kind:     by_value
      - .offset:         57
        .size:           1
        .value_kind:     by_value
    .group_segment_fixed_size: 248
    .kernarg_segment_align: 8
    .kernarg_segment_size: 60
    .language:       OpenCL C
    .language_version:
      - 2
      - 0
    .max_flat_workgroup_size: 64
    .name:           _ZN9rocsolver6v33100L18getri_kernel_smallILi15E19rocblas_complex_numIfEPS3_EEvT1_iilPiilS6_bb
    .private_segment_fixed_size: 128
    .sgpr_count:     26
    .sgpr_spill_count: 0
    .symbol:         _ZN9rocsolver6v33100L18getri_kernel_smallILi15E19rocblas_complex_numIfEPS3_EEvT1_iilPiilS6_bb.kd
    .uniform_work_group_size: 1
    .uses_dynamic_stack: false
    .vgpr_count:     108
    .vgpr_spill_count: 0
    .wavefront_size: 64
  - .agpr_count:     0
    .args:
      - .address_space:  global
        .offset:         0
        .size:           8
        .value_kind:     global_buffer
      - .offset:         8
        .size:           4
        .value_kind:     by_value
      - .offset:         12
        .size:           4
        .value_kind:     by_value
      - .offset:         16
        .size:           8
        .value_kind:     by_value
      - .address_space:  global
        .offset:         24
        .size:           8
        .value_kind:     global_buffer
      - .offset:         32
        .size:           4
        .value_kind:     by_value
      - .offset:         40
        .size:           8
        .value_kind:     by_value
      - .address_space:  global
        .offset:         48
        .size:           8
        .value_kind:     global_buffer
      - .offset:         56
        .size:           1
        .value_kind:     by_value
      - .offset:         57
        .size:           1
        .value_kind:     by_value
    .group_segment_fixed_size: 260
    .kernarg_segment_align: 8
    .kernarg_segment_size: 60
    .language:       OpenCL C
    .language_version:
      - 2
      - 0
    .max_flat_workgroup_size: 64
    .name:           _ZN9rocsolver6v33100L18getri_kernel_smallILi16E19rocblas_complex_numIfEPS3_EEvT1_iilPiilS6_bb
    .private_segment_fixed_size: 144
    .sgpr_count:     26
    .sgpr_spill_count: 0
    .symbol:         _ZN9rocsolver6v33100L18getri_kernel_smallILi16E19rocblas_complex_numIfEPS3_EEvT1_iilPiilS6_bb.kd
    .uniform_work_group_size: 1
    .uses_dynamic_stack: false
    .vgpr_count:     114
    .vgpr_spill_count: 0
    .wavefront_size: 64
  - .agpr_count:     0
    .args:
      - .address_space:  global
        .offset:         0
        .size:           8
        .value_kind:     global_buffer
      - .offset:         8
        .size:           4
        .value_kind:     by_value
      - .offset:         12
        .size:           4
        .value_kind:     by_value
      - .offset:         16
        .size:           8
        .value_kind:     by_value
      - .address_space:  global
        .offset:         24
        .size:           8
        .value_kind:     global_buffer
      - .offset:         32
        .size:           4
        .value_kind:     by_value
      - .offset:         40
        .size:           8
        .value_kind:     by_value
      - .address_space:  global
        .offset:         48
        .size:           8
        .value_kind:     global_buffer
      - .offset:         56
        .size:           1
        .value_kind:     by_value
      - .offset:         57
        .size:           1
        .value_kind:     by_value
    .group_segment_fixed_size: 280
    .kernarg_segment_align: 8
    .kernarg_segment_size: 60
    .language:       OpenCL C
    .language_version:
      - 2
      - 0
    .max_flat_workgroup_size: 64
    .name:           _ZN9rocsolver6v33100L18getri_kernel_smallILi17E19rocblas_complex_numIfEPS3_EEvT1_iilPiilS6_bb
    .private_segment_fixed_size: 144
    .sgpr_count:     26
    .sgpr_spill_count: 0
    .symbol:         _ZN9rocsolver6v33100L18getri_kernel_smallILi17E19rocblas_complex_numIfEPS3_EEvT1_iilPiilS6_bb.kd
    .uniform_work_group_size: 1
    .uses_dynamic_stack: false
    .vgpr_count:     119
    .vgpr_spill_count: 0
    .wavefront_size: 64
  - .agpr_count:     0
    .args:
      - .address_space:  global
        .offset:         0
        .size:           8
        .value_kind:     global_buffer
      - .offset:         8
        .size:           4
        .value_kind:     by_value
      - .offset:         12
        .size:           4
        .value_kind:     by_value
      - .offset:         16
        .size:           8
        .value_kind:     by_value
      - .address_space:  global
        .offset:         24
        .size:           8
        .value_kind:     global_buffer
      - .offset:         32
        .size:           4
        .value_kind:     by_value
      - .offset:         40
        .size:           8
        .value_kind:     by_value
      - .address_space:  global
        .offset:         48
        .size:           8
        .value_kind:     global_buffer
      - .offset:         56
        .size:           1
        .value_kind:     by_value
      - .offset:         57
        .size:           1
        .value_kind:     by_value
    .group_segment_fixed_size: 292
    .kernarg_segment_align: 8
    .kernarg_segment_size: 60
    .language:       OpenCL C
    .language_version:
      - 2
      - 0
    .max_flat_workgroup_size: 64
    .name:           _ZN9rocsolver6v33100L18getri_kernel_smallILi18E19rocblas_complex_numIfEPS3_EEvT1_iilPiilS6_bb
    .private_segment_fixed_size: 160
    .sgpr_count:     26
    .sgpr_spill_count: 0
    .symbol:         _ZN9rocsolver6v33100L18getri_kernel_smallILi18E19rocblas_complex_numIfEPS3_EEvT1_iilPiilS6_bb.kd
    .uniform_work_group_size: 1
    .uses_dynamic_stack: false
    .vgpr_count:     124
    .vgpr_spill_count: 0
    .wavefront_size: 64
  - .agpr_count:     0
    .args:
      - .address_space:  global
        .offset:         0
        .size:           8
        .value_kind:     global_buffer
      - .offset:         8
        .size:           4
        .value_kind:     by_value
      - .offset:         12
        .size:           4
        .value_kind:     by_value
      - .offset:         16
        .size:           8
        .value_kind:     by_value
      - .address_space:  global
        .offset:         24
        .size:           8
        .value_kind:     global_buffer
      - .offset:         32
        .size:           4
        .value_kind:     by_value
      - .offset:         40
        .size:           8
        .value_kind:     by_value
      - .address_space:  global
        .offset:         48
        .size:           8
        .value_kind:     global_buffer
      - .offset:         56
        .size:           1
        .value_kind:     by_value
      - .offset:         57
        .size:           1
        .value_kind:     by_value
    .group_segment_fixed_size: 312
    .kernarg_segment_align: 8
    .kernarg_segment_size: 60
    .language:       OpenCL C
    .language_version:
      - 2
      - 0
    .max_flat_workgroup_size: 64
    .name:           _ZN9rocsolver6v33100L18getri_kernel_smallILi19E19rocblas_complex_numIfEPS3_EEvT1_iilPiilS6_bb
    .private_segment_fixed_size: 160
    .sgpr_count:     26
    .sgpr_spill_count: 0
    .symbol:         _ZN9rocsolver6v33100L18getri_kernel_smallILi19E19rocblas_complex_numIfEPS3_EEvT1_iilPiilS6_bb.kd
    .uniform_work_group_size: 1
    .uses_dynamic_stack: false
    .vgpr_count:     129
    .vgpr_spill_count: 0
    .wavefront_size: 64
  - .agpr_count:     0
    .args:
      - .address_space:  global
        .offset:         0
        .size:           8
        .value_kind:     global_buffer
      - .offset:         8
        .size:           4
        .value_kind:     by_value
      - .offset:         12
        .size:           4
        .value_kind:     by_value
      - .offset:         16
        .size:           8
        .value_kind:     by_value
      - .address_space:  global
        .offset:         24
        .size:           8
        .value_kind:     global_buffer
      - .offset:         32
        .size:           4
        .value_kind:     by_value
      - .offset:         40
        .size:           8
        .value_kind:     by_value
      - .address_space:  global
        .offset:         48
        .size:           8
        .value_kind:     global_buffer
      - .offset:         56
        .size:           1
        .value_kind:     by_value
      - .offset:         57
        .size:           1
        .value_kind:     by_value
    .group_segment_fixed_size: 324
    .kernarg_segment_align: 8
    .kernarg_segment_size: 60
    .language:       OpenCL C
    .language_version:
      - 2
      - 0
    .max_flat_workgroup_size: 64
    .name:           _ZN9rocsolver6v33100L18getri_kernel_smallILi20E19rocblas_complex_numIfEPS3_EEvT1_iilPiilS6_bb
    .private_segment_fixed_size: 176
    .sgpr_count:     26
    .sgpr_spill_count: 0
    .symbol:         _ZN9rocsolver6v33100L18getri_kernel_smallILi20E19rocblas_complex_numIfEPS3_EEvT1_iilPiilS6_bb.kd
    .uniform_work_group_size: 1
    .uses_dynamic_stack: false
    .vgpr_count:     130
    .vgpr_spill_count: 0
    .wavefront_size: 64
  - .agpr_count:     0
    .args:
      - .address_space:  global
        .offset:         0
        .size:           8
        .value_kind:     global_buffer
      - .offset:         8
        .size:           4
        .value_kind:     by_value
      - .offset:         12
        .size:           4
        .value_kind:     by_value
      - .offset:         16
        .size:           8
        .value_kind:     by_value
      - .address_space:  global
        .offset:         24
        .size:           8
        .value_kind:     global_buffer
      - .offset:         32
        .size:           4
        .value_kind:     by_value
      - .offset:         40
        .size:           8
        .value_kind:     by_value
      - .address_space:  global
        .offset:         48
        .size:           8
        .value_kind:     global_buffer
      - .offset:         56
        .size:           1
        .value_kind:     by_value
      - .offset:         57
        .size:           1
        .value_kind:     by_value
    .group_segment_fixed_size: 344
    .kernarg_segment_align: 8
    .kernarg_segment_size: 60
    .language:       OpenCL C
    .language_version:
      - 2
      - 0
    .max_flat_workgroup_size: 64
    .name:           _ZN9rocsolver6v33100L18getri_kernel_smallILi21E19rocblas_complex_numIfEPS3_EEvT1_iilPiilS6_bb
    .private_segment_fixed_size: 176
    .sgpr_count:     26
    .sgpr_spill_count: 0
    .symbol:         _ZN9rocsolver6v33100L18getri_kernel_smallILi21E19rocblas_complex_numIfEPS3_EEvT1_iilPiilS6_bb.kd
    .uniform_work_group_size: 1
    .uses_dynamic_stack: false
    .vgpr_count:     129
    .vgpr_spill_count: 0
    .wavefront_size: 64
  - .agpr_count:     0
    .args:
      - .address_space:  global
        .offset:         0
        .size:           8
        .value_kind:     global_buffer
      - .offset:         8
        .size:           4
        .value_kind:     by_value
      - .offset:         12
        .size:           4
        .value_kind:     by_value
      - .offset:         16
        .size:           8
        .value_kind:     by_value
      - .address_space:  global
        .offset:         24
        .size:           8
        .value_kind:     global_buffer
      - .offset:         32
        .size:           4
        .value_kind:     by_value
      - .offset:         40
        .size:           8
        .value_kind:     by_value
      - .address_space:  global
        .offset:         48
        .size:           8
        .value_kind:     global_buffer
      - .offset:         56
        .size:           1
        .value_kind:     by_value
      - .offset:         57
        .size:           1
        .value_kind:     by_value
    .group_segment_fixed_size: 356
    .kernarg_segment_align: 8
    .kernarg_segment_size: 60
    .language:       OpenCL C
    .language_version:
      - 2
      - 0
    .max_flat_workgroup_size: 64
    .name:           _ZN9rocsolver6v33100L18getri_kernel_smallILi22E19rocblas_complex_numIfEPS3_EEvT1_iilPiilS6_bb
    .private_segment_fixed_size: 192
    .sgpr_count:     26
    .sgpr_spill_count: 0
    .symbol:         _ZN9rocsolver6v33100L18getri_kernel_smallILi22E19rocblas_complex_numIfEPS3_EEvT1_iilPiilS6_bb.kd
    .uniform_work_group_size: 1
    .uses_dynamic_stack: false
    .vgpr_count:     128
    .vgpr_spill_count: 0
    .wavefront_size: 64
  - .agpr_count:     0
    .args:
      - .address_space:  global
        .offset:         0
        .size:           8
        .value_kind:     global_buffer
      - .offset:         8
        .size:           4
        .value_kind:     by_value
      - .offset:         12
        .size:           4
        .value_kind:     by_value
      - .offset:         16
        .size:           8
        .value_kind:     by_value
      - .address_space:  global
        .offset:         24
        .size:           8
        .value_kind:     global_buffer
      - .offset:         32
        .size:           4
        .value_kind:     by_value
      - .offset:         40
        .size:           8
        .value_kind:     by_value
      - .address_space:  global
        .offset:         48
        .size:           8
        .value_kind:     global_buffer
      - .offset:         56
        .size:           1
        .value_kind:     by_value
      - .offset:         57
        .size:           1
        .value_kind:     by_value
    .group_segment_fixed_size: 376
    .kernarg_segment_align: 8
    .kernarg_segment_size: 60
    .language:       OpenCL C
    .language_version:
      - 2
      - 0
    .max_flat_workgroup_size: 64
    .name:           _ZN9rocsolver6v33100L18getri_kernel_smallILi23E19rocblas_complex_numIfEPS3_EEvT1_iilPiilS6_bb
    .private_segment_fixed_size: 192
    .sgpr_count:     26
    .sgpr_spill_count: 0
    .symbol:         _ZN9rocsolver6v33100L18getri_kernel_smallILi23E19rocblas_complex_numIfEPS3_EEvT1_iilPiilS6_bb.kd
    .uniform_work_group_size: 1
    .uses_dynamic_stack: false
    .vgpr_count:     130
    .vgpr_spill_count: 0
    .wavefront_size: 64
  - .agpr_count:     0
    .args:
      - .address_space:  global
        .offset:         0
        .size:           8
        .value_kind:     global_buffer
      - .offset:         8
        .size:           4
        .value_kind:     by_value
      - .offset:         12
        .size:           4
        .value_kind:     by_value
      - .offset:         16
        .size:           8
        .value_kind:     by_value
      - .address_space:  global
        .offset:         24
        .size:           8
        .value_kind:     global_buffer
      - .offset:         32
        .size:           4
        .value_kind:     by_value
      - .offset:         40
        .size:           8
        .value_kind:     by_value
      - .address_space:  global
        .offset:         48
        .size:           8
        .value_kind:     global_buffer
      - .offset:         56
        .size:           1
        .value_kind:     by_value
      - .offset:         57
        .size:           1
        .value_kind:     by_value
    .group_segment_fixed_size: 388
    .kernarg_segment_align: 8
    .kernarg_segment_size: 60
    .language:       OpenCL C
    .language_version:
      - 2
      - 0
    .max_flat_workgroup_size: 64
    .name:           _ZN9rocsolver6v33100L18getri_kernel_smallILi24E19rocblas_complex_numIfEPS3_EEvT1_iilPiilS6_bb
    .private_segment_fixed_size: 208
    .sgpr_count:     26
    .sgpr_spill_count: 0
    .symbol:         _ZN9rocsolver6v33100L18getri_kernel_smallILi24E19rocblas_complex_numIfEPS3_EEvT1_iilPiilS6_bb.kd
    .uniform_work_group_size: 1
    .uses_dynamic_stack: false
    .vgpr_count:     144
    .vgpr_spill_count: 0
    .wavefront_size: 64
  - .agpr_count:     0
    .args:
      - .address_space:  global
        .offset:         0
        .size:           8
        .value_kind:     global_buffer
      - .offset:         8
        .size:           4
        .value_kind:     by_value
      - .offset:         12
        .size:           4
        .value_kind:     by_value
      - .offset:         16
        .size:           8
        .value_kind:     by_value
      - .address_space:  global
        .offset:         24
        .size:           8
        .value_kind:     global_buffer
      - .offset:         32
        .size:           4
        .value_kind:     by_value
      - .offset:         40
        .size:           8
        .value_kind:     by_value
      - .address_space:  global
        .offset:         48
        .size:           8
        .value_kind:     global_buffer
      - .offset:         56
        .size:           1
        .value_kind:     by_value
      - .offset:         57
        .size:           1
        .value_kind:     by_value
    .group_segment_fixed_size: 408
    .kernarg_segment_align: 8
    .kernarg_segment_size: 60
    .language:       OpenCL C
    .language_version:
      - 2
      - 0
    .max_flat_workgroup_size: 64
    .name:           _ZN9rocsolver6v33100L18getri_kernel_smallILi25E19rocblas_complex_numIfEPS3_EEvT1_iilPiilS6_bb
    .private_segment_fixed_size: 208
    .sgpr_count:     26
    .sgpr_spill_count: 0
    .symbol:         _ZN9rocsolver6v33100L18getri_kernel_smallILi25E19rocblas_complex_numIfEPS3_EEvT1_iilPiilS6_bb.kd
    .uniform_work_group_size: 1
    .uses_dynamic_stack: false
    .vgpr_count:     149
    .vgpr_spill_count: 0
    .wavefront_size: 64
  - .agpr_count:     0
    .args:
      - .address_space:  global
        .offset:         0
        .size:           8
        .value_kind:     global_buffer
      - .offset:         8
        .size:           4
        .value_kind:     by_value
      - .offset:         12
        .size:           4
        .value_kind:     by_value
      - .offset:         16
        .size:           8
        .value_kind:     by_value
      - .address_space:  global
        .offset:         24
        .size:           8
        .value_kind:     global_buffer
      - .offset:         32
        .size:           4
        .value_kind:     by_value
      - .offset:         40
        .size:           8
        .value_kind:     by_value
      - .address_space:  global
        .offset:         48
        .size:           8
        .value_kind:     global_buffer
      - .offset:         56
        .size:           1
        .value_kind:     by_value
      - .offset:         57
        .size:           1
        .value_kind:     by_value
    .group_segment_fixed_size: 420
    .kernarg_segment_align: 8
    .kernarg_segment_size: 60
    .language:       OpenCL C
    .language_version:
      - 2
      - 0
    .max_flat_workgroup_size: 64
    .name:           _ZN9rocsolver6v33100L18getri_kernel_smallILi26E19rocblas_complex_numIfEPS3_EEvT1_iilPiilS6_bb
    .private_segment_fixed_size: 224
    .sgpr_count:     26
    .sgpr_spill_count: 0
    .symbol:         _ZN9rocsolver6v33100L18getri_kernel_smallILi26E19rocblas_complex_numIfEPS3_EEvT1_iilPiilS6_bb.kd
    .uniform_work_group_size: 1
    .uses_dynamic_stack: false
    .vgpr_count:     162
    .vgpr_spill_count: 0
    .wavefront_size: 64
  - .agpr_count:     0
    .args:
      - .address_space:  global
        .offset:         0
        .size:           8
        .value_kind:     global_buffer
      - .offset:         8
        .size:           4
        .value_kind:     by_value
      - .offset:         12
        .size:           4
        .value_kind:     by_value
      - .offset:         16
        .size:           8
        .value_kind:     by_value
      - .address_space:  global
        .offset:         24
        .size:           8
        .value_kind:     global_buffer
      - .offset:         32
        .size:           4
        .value_kind:     by_value
      - .offset:         40
        .size:           8
        .value_kind:     by_value
      - .address_space:  global
        .offset:         48
        .size:           8
        .value_kind:     global_buffer
      - .offset:         56
        .size:           1
        .value_kind:     by_value
      - .offset:         57
        .size:           1
        .value_kind:     by_value
    .group_segment_fixed_size: 440
    .kernarg_segment_align: 8
    .kernarg_segment_size: 60
    .language:       OpenCL C
    .language_version:
      - 2
      - 0
    .max_flat_workgroup_size: 64
    .name:           _ZN9rocsolver6v33100L18getri_kernel_smallILi27E19rocblas_complex_numIfEPS3_EEvT1_iilPiilS6_bb
    .private_segment_fixed_size: 224
    .sgpr_count:     26
    .sgpr_spill_count: 0
    .symbol:         _ZN9rocsolver6v33100L18getri_kernel_smallILi27E19rocblas_complex_numIfEPS3_EEvT1_iilPiilS6_bb.kd
    .uniform_work_group_size: 1
    .uses_dynamic_stack: false
    .vgpr_count:     167
    .vgpr_spill_count: 0
    .wavefront_size: 64
  - .agpr_count:     0
    .args:
      - .address_space:  global
        .offset:         0
        .size:           8
        .value_kind:     global_buffer
      - .offset:         8
        .size:           4
        .value_kind:     by_value
      - .offset:         12
        .size:           4
        .value_kind:     by_value
      - .offset:         16
        .size:           8
        .value_kind:     by_value
      - .address_space:  global
        .offset:         24
        .size:           8
        .value_kind:     global_buffer
      - .offset:         32
        .size:           4
        .value_kind:     by_value
      - .offset:         40
        .size:           8
        .value_kind:     by_value
      - .address_space:  global
        .offset:         48
        .size:           8
        .value_kind:     global_buffer
      - .offset:         56
        .size:           1
        .value_kind:     by_value
      - .offset:         57
        .size:           1
        .value_kind:     by_value
    .group_segment_fixed_size: 452
    .kernarg_segment_align: 8
    .kernarg_segment_size: 60
    .language:       OpenCL C
    .language_version:
      - 2
      - 0
    .max_flat_workgroup_size: 64
    .name:           _ZN9rocsolver6v33100L18getri_kernel_smallILi28E19rocblas_complex_numIfEPS3_EEvT1_iilPiilS6_bb
    .private_segment_fixed_size: 240
    .sgpr_count:     26
    .sgpr_spill_count: 0
    .symbol:         _ZN9rocsolver6v33100L18getri_kernel_smallILi28E19rocblas_complex_numIfEPS3_EEvT1_iilPiilS6_bb.kd
    .uniform_work_group_size: 1
    .uses_dynamic_stack: false
    .vgpr_count:     158
    .vgpr_spill_count: 0
    .wavefront_size: 64
  - .agpr_count:     0
    .args:
      - .address_space:  global
        .offset:         0
        .size:           8
        .value_kind:     global_buffer
      - .offset:         8
        .size:           4
        .value_kind:     by_value
      - .offset:         12
        .size:           4
        .value_kind:     by_value
      - .offset:         16
        .size:           8
        .value_kind:     by_value
      - .address_space:  global
        .offset:         24
        .size:           8
        .value_kind:     global_buffer
      - .offset:         32
        .size:           4
        .value_kind:     by_value
      - .offset:         40
        .size:           8
        .value_kind:     by_value
      - .address_space:  global
        .offset:         48
        .size:           8
        .value_kind:     global_buffer
      - .offset:         56
        .size:           1
        .value_kind:     by_value
      - .offset:         57
        .size:           1
        .value_kind:     by_value
    .group_segment_fixed_size: 472
    .kernarg_segment_align: 8
    .kernarg_segment_size: 60
    .language:       OpenCL C
    .language_version:
      - 2
      - 0
    .max_flat_workgroup_size: 64
    .name:           _ZN9rocsolver6v33100L18getri_kernel_smallILi29E19rocblas_complex_numIfEPS3_EEvT1_iilPiilS6_bb
    .private_segment_fixed_size: 240
    .sgpr_count:     26
    .sgpr_spill_count: 0
    .symbol:         _ZN9rocsolver6v33100L18getri_kernel_smallILi29E19rocblas_complex_numIfEPS3_EEvT1_iilPiilS6_bb.kd
    .uniform_work_group_size: 1
    .uses_dynamic_stack: false
    .vgpr_count:     164
    .vgpr_spill_count: 0
    .wavefront_size: 64
  - .agpr_count:     0
    .args:
      - .address_space:  global
        .offset:         0
        .size:           8
        .value_kind:     global_buffer
      - .offset:         8
        .size:           4
        .value_kind:     by_value
      - .offset:         12
        .size:           4
        .value_kind:     by_value
      - .offset:         16
        .size:           8
        .value_kind:     by_value
      - .address_space:  global
        .offset:         24
        .size:           8
        .value_kind:     global_buffer
      - .offset:         32
        .size:           4
        .value_kind:     by_value
      - .offset:         40
        .size:           8
        .value_kind:     by_value
      - .address_space:  global
        .offset:         48
        .size:           8
        .value_kind:     global_buffer
      - .offset:         56
        .size:           1
        .value_kind:     by_value
      - .offset:         57
        .size:           1
        .value_kind:     by_value
    .group_segment_fixed_size: 484
    .kernarg_segment_align: 8
    .kernarg_segment_size: 60
    .language:       OpenCL C
    .language_version:
      - 2
      - 0
    .max_flat_workgroup_size: 64
    .name:           _ZN9rocsolver6v33100L18getri_kernel_smallILi30E19rocblas_complex_numIfEPS3_EEvT1_iilPiilS6_bb
    .private_segment_fixed_size: 256
    .sgpr_count:     26
    .sgpr_spill_count: 0
    .symbol:         _ZN9rocsolver6v33100L18getri_kernel_smallILi30E19rocblas_complex_numIfEPS3_EEvT1_iilPiilS6_bb.kd
    .uniform_work_group_size: 1
    .uses_dynamic_stack: false
    .vgpr_count:     170
    .vgpr_spill_count: 0
    .wavefront_size: 64
  - .agpr_count:     0
    .args:
      - .address_space:  global
        .offset:         0
        .size:           8
        .value_kind:     global_buffer
      - .offset:         8
        .size:           4
        .value_kind:     by_value
      - .offset:         12
        .size:           4
        .value_kind:     by_value
      - .offset:         16
        .size:           8
        .value_kind:     by_value
      - .address_space:  global
        .offset:         24
        .size:           8
        .value_kind:     global_buffer
      - .offset:         32
        .size:           4
        .value_kind:     by_value
      - .offset:         40
        .size:           8
        .value_kind:     by_value
      - .address_space:  global
        .offset:         48
        .size:           8
        .value_kind:     global_buffer
      - .offset:         56
        .size:           1
        .value_kind:     by_value
      - .offset:         57
        .size:           1
        .value_kind:     by_value
    .group_segment_fixed_size: 504
    .kernarg_segment_align: 8
    .kernarg_segment_size: 60
    .language:       OpenCL C
    .language_version:
      - 2
      - 0
    .max_flat_workgroup_size: 64
    .name:           _ZN9rocsolver6v33100L18getri_kernel_smallILi31E19rocblas_complex_numIfEPS3_EEvT1_iilPiilS6_bb
    .private_segment_fixed_size: 256
    .sgpr_count:     26
    .sgpr_spill_count: 0
    .symbol:         _ZN9rocsolver6v33100L18getri_kernel_smallILi31E19rocblas_complex_numIfEPS3_EEvT1_iilPiilS6_bb.kd
    .uniform_work_group_size: 1
    .uses_dynamic_stack: false
    .vgpr_count:     195
    .vgpr_spill_count: 0
    .wavefront_size: 64
  - .agpr_count:     0
    .args:
      - .address_space:  global
        .offset:         0
        .size:           8
        .value_kind:     global_buffer
      - .offset:         8
        .size:           4
        .value_kind:     by_value
      - .offset:         12
        .size:           4
        .value_kind:     by_value
      - .offset:         16
        .size:           8
        .value_kind:     by_value
      - .address_space:  global
        .offset:         24
        .size:           8
        .value_kind:     global_buffer
      - .offset:         32
        .size:           4
        .value_kind:     by_value
      - .offset:         40
        .size:           8
        .value_kind:     by_value
      - .address_space:  global
        .offset:         48
        .size:           8
        .value_kind:     global_buffer
      - .offset:         56
        .size:           1
        .value_kind:     by_value
      - .offset:         57
        .size:           1
        .value_kind:     by_value
    .group_segment_fixed_size: 516
    .kernarg_segment_align: 8
    .kernarg_segment_size: 60
    .language:       OpenCL C
    .language_version:
      - 2
      - 0
    .max_flat_workgroup_size: 64
    .name:           _ZN9rocsolver6v33100L18getri_kernel_smallILi32E19rocblas_complex_numIfEPS3_EEvT1_iilPiilS6_bb
    .private_segment_fixed_size: 272
    .sgpr_count:     26
    .sgpr_spill_count: 0
    .symbol:         _ZN9rocsolver6v33100L18getri_kernel_smallILi32E19rocblas_complex_numIfEPS3_EEvT1_iilPiilS6_bb.kd
    .uniform_work_group_size: 1
    .uses_dynamic_stack: false
    .vgpr_count:     200
    .vgpr_spill_count: 0
    .wavefront_size: 64
  - .agpr_count:     0
    .args:
      - .address_space:  global
        .offset:         0
        .size:           8
        .value_kind:     global_buffer
      - .offset:         8
        .size:           4
        .value_kind:     by_value
      - .offset:         12
        .size:           4
        .value_kind:     by_value
      - .offset:         16
        .size:           8
        .value_kind:     by_value
      - .address_space:  global
        .offset:         24
        .size:           8
        .value_kind:     global_buffer
      - .offset:         32
        .size:           4
        .value_kind:     by_value
      - .offset:         40
        .size:           8
        .value_kind:     by_value
      - .address_space:  global
        .offset:         48
        .size:           8
        .value_kind:     global_buffer
      - .offset:         56
        .size:           1
        .value_kind:     by_value
      - .offset:         57
        .size:           1
        .value_kind:     by_value
    .group_segment_fixed_size: 536
    .kernarg_segment_align: 8
    .kernarg_segment_size: 60
    .language:       OpenCL C
    .language_version:
      - 2
      - 0
    .max_flat_workgroup_size: 64
    .name:           _ZN9rocsolver6v33100L18getri_kernel_smallILi33E19rocblas_complex_numIfEPS3_EEvT1_iilPiilS6_bb
    .private_segment_fixed_size: 272
    .sgpr_count:     26
    .sgpr_spill_count: 0
    .symbol:         _ZN9rocsolver6v33100L18getri_kernel_smallILi33E19rocblas_complex_numIfEPS3_EEvT1_iilPiilS6_bb.kd
    .uniform_work_group_size: 1
    .uses_dynamic_stack: false
    .vgpr_count:     205
    .vgpr_spill_count: 0
    .wavefront_size: 64
  - .agpr_count:     0
    .args:
      - .address_space:  global
        .offset:         0
        .size:           8
        .value_kind:     global_buffer
      - .offset:         8
        .size:           4
        .value_kind:     by_value
      - .offset:         12
        .size:           4
        .value_kind:     by_value
      - .offset:         16
        .size:           8
        .value_kind:     by_value
      - .address_space:  global
        .offset:         24
        .size:           8
        .value_kind:     global_buffer
      - .offset:         32
        .size:           4
        .value_kind:     by_value
      - .offset:         40
        .size:           8
        .value_kind:     by_value
      - .address_space:  global
        .offset:         48
        .size:           8
        .value_kind:     global_buffer
      - .offset:         56
        .size:           1
        .value_kind:     by_value
      - .offset:         57
        .size:           1
        .value_kind:     by_value
    .group_segment_fixed_size: 548
    .kernarg_segment_align: 8
    .kernarg_segment_size: 60
    .language:       OpenCL C
    .language_version:
      - 2
      - 0
    .max_flat_workgroup_size: 64
    .name:           _ZN9rocsolver6v33100L18getri_kernel_smallILi34E19rocblas_complex_numIfEPS3_EEvT1_iilPiilS6_bb
    .private_segment_fixed_size: 288
    .sgpr_count:     26
    .sgpr_spill_count: 0
    .symbol:         _ZN9rocsolver6v33100L18getri_kernel_smallILi34E19rocblas_complex_numIfEPS3_EEvT1_iilPiilS6_bb.kd
    .uniform_work_group_size: 1
    .uses_dynamic_stack: false
    .vgpr_count:     209
    .vgpr_spill_count: 0
    .wavefront_size: 64
  - .agpr_count:     0
    .args:
      - .address_space:  global
        .offset:         0
        .size:           8
        .value_kind:     global_buffer
      - .offset:         8
        .size:           4
        .value_kind:     by_value
      - .offset:         12
        .size:           4
        .value_kind:     by_value
      - .offset:         16
        .size:           8
        .value_kind:     by_value
      - .address_space:  global
        .offset:         24
        .size:           8
        .value_kind:     global_buffer
      - .offset:         32
        .size:           4
        .value_kind:     by_value
      - .offset:         40
        .size:           8
        .value_kind:     by_value
      - .address_space:  global
        .offset:         48
        .size:           8
        .value_kind:     global_buffer
      - .offset:         56
        .size:           1
        .value_kind:     by_value
      - .offset:         57
        .size:           1
        .value_kind:     by_value
    .group_segment_fixed_size: 568
    .kernarg_segment_align: 8
    .kernarg_segment_size: 60
    .language:       OpenCL C
    .language_version:
      - 2
      - 0
    .max_flat_workgroup_size: 64
    .name:           _ZN9rocsolver6v33100L18getri_kernel_smallILi35E19rocblas_complex_numIfEPS3_EEvT1_iilPiilS6_bb
    .private_segment_fixed_size: 288
    .sgpr_count:     26
    .sgpr_spill_count: 0
    .symbol:         _ZN9rocsolver6v33100L18getri_kernel_smallILi35E19rocblas_complex_numIfEPS3_EEvT1_iilPiilS6_bb.kd
    .uniform_work_group_size: 1
    .uses_dynamic_stack: false
    .vgpr_count:     211
    .vgpr_spill_count: 0
    .wavefront_size: 64
  - .agpr_count:     0
    .args:
      - .address_space:  global
        .offset:         0
        .size:           8
        .value_kind:     global_buffer
      - .offset:         8
        .size:           4
        .value_kind:     by_value
      - .offset:         12
        .size:           4
        .value_kind:     by_value
      - .offset:         16
        .size:           8
        .value_kind:     by_value
      - .address_space:  global
        .offset:         24
        .size:           8
        .value_kind:     global_buffer
      - .offset:         32
        .size:           4
        .value_kind:     by_value
      - .offset:         40
        .size:           8
        .value_kind:     by_value
      - .address_space:  global
        .offset:         48
        .size:           8
        .value_kind:     global_buffer
      - .offset:         56
        .size:           1
        .value_kind:     by_value
      - .offset:         57
        .size:           1
        .value_kind:     by_value
    .group_segment_fixed_size: 580
    .kernarg_segment_align: 8
    .kernarg_segment_size: 60
    .language:       OpenCL C
    .language_version:
      - 2
      - 0
    .max_flat_workgroup_size: 64
    .name:           _ZN9rocsolver6v33100L18getri_kernel_smallILi36E19rocblas_complex_numIfEPS3_EEvT1_iilPiilS6_bb
    .private_segment_fixed_size: 304
    .sgpr_count:     26
    .sgpr_spill_count: 0
    .symbol:         _ZN9rocsolver6v33100L18getri_kernel_smallILi36E19rocblas_complex_numIfEPS3_EEvT1_iilPiilS6_bb.kd
    .uniform_work_group_size: 1
    .uses_dynamic_stack: false
    .vgpr_count:     213
    .vgpr_spill_count: 0
    .wavefront_size: 64
  - .agpr_count:     0
    .args:
      - .address_space:  global
        .offset:         0
        .size:           8
        .value_kind:     global_buffer
      - .offset:         8
        .size:           4
        .value_kind:     by_value
      - .offset:         12
        .size:           4
        .value_kind:     by_value
      - .offset:         16
        .size:           8
        .value_kind:     by_value
      - .address_space:  global
        .offset:         24
        .size:           8
        .value_kind:     global_buffer
      - .offset:         32
        .size:           4
        .value_kind:     by_value
      - .offset:         40
        .size:           8
        .value_kind:     by_value
      - .address_space:  global
        .offset:         48
        .size:           8
        .value_kind:     global_buffer
      - .offset:         56
        .size:           1
        .value_kind:     by_value
      - .offset:         57
        .size:           1
        .value_kind:     by_value
    .group_segment_fixed_size: 600
    .kernarg_segment_align: 8
    .kernarg_segment_size: 60
    .language:       OpenCL C
    .language_version:
      - 2
      - 0
    .max_flat_workgroup_size: 64
    .name:           _ZN9rocsolver6v33100L18getri_kernel_smallILi37E19rocblas_complex_numIfEPS3_EEvT1_iilPiilS6_bb
    .private_segment_fixed_size: 304
    .sgpr_count:     26
    .sgpr_spill_count: 0
    .symbol:         _ZN9rocsolver6v33100L18getri_kernel_smallILi37E19rocblas_complex_numIfEPS3_EEvT1_iilPiilS6_bb.kd
    .uniform_work_group_size: 1
    .uses_dynamic_stack: false
    .vgpr_count:     216
    .vgpr_spill_count: 0
    .wavefront_size: 64
  - .agpr_count:     0
    .args:
      - .address_space:  global
        .offset:         0
        .size:           8
        .value_kind:     global_buffer
      - .offset:         8
        .size:           4
        .value_kind:     by_value
      - .offset:         12
        .size:           4
        .value_kind:     by_value
      - .offset:         16
        .size:           8
        .value_kind:     by_value
      - .address_space:  global
        .offset:         24
        .size:           8
        .value_kind:     global_buffer
      - .offset:         32
        .size:           4
        .value_kind:     by_value
      - .offset:         40
        .size:           8
        .value_kind:     by_value
      - .address_space:  global
        .offset:         48
        .size:           8
        .value_kind:     global_buffer
      - .offset:         56
        .size:           1
        .value_kind:     by_value
      - .offset:         57
        .size:           1
        .value_kind:     by_value
    .group_segment_fixed_size: 612
    .kernarg_segment_align: 8
    .kernarg_segment_size: 60
    .language:       OpenCL C
    .language_version:
      - 2
      - 0
    .max_flat_workgroup_size: 64
    .name:           _ZN9rocsolver6v33100L18getri_kernel_smallILi38E19rocblas_complex_numIfEPS3_EEvT1_iilPiilS6_bb
    .private_segment_fixed_size: 320
    .sgpr_count:     26
    .sgpr_spill_count: 0
    .symbol:         _ZN9rocsolver6v33100L18getri_kernel_smallILi38E19rocblas_complex_numIfEPS3_EEvT1_iilPiilS6_bb.kd
    .uniform_work_group_size: 1
    .uses_dynamic_stack: false
    .vgpr_count:     224
    .vgpr_spill_count: 0
    .wavefront_size: 64
  - .agpr_count:     0
    .args:
      - .address_space:  global
        .offset:         0
        .size:           8
        .value_kind:     global_buffer
      - .offset:         8
        .size:           4
        .value_kind:     by_value
      - .offset:         12
        .size:           4
        .value_kind:     by_value
      - .offset:         16
        .size:           8
        .value_kind:     by_value
      - .address_space:  global
        .offset:         24
        .size:           8
        .value_kind:     global_buffer
      - .offset:         32
        .size:           4
        .value_kind:     by_value
      - .offset:         40
        .size:           8
        .value_kind:     by_value
      - .address_space:  global
        .offset:         48
        .size:           8
        .value_kind:     global_buffer
      - .offset:         56
        .size:           1
        .value_kind:     by_value
      - .offset:         57
        .size:           1
        .value_kind:     by_value
    .group_segment_fixed_size: 632
    .kernarg_segment_align: 8
    .kernarg_segment_size: 60
    .language:       OpenCL C
    .language_version:
      - 2
      - 0
    .max_flat_workgroup_size: 64
    .name:           _ZN9rocsolver6v33100L18getri_kernel_smallILi39E19rocblas_complex_numIfEPS3_EEvT1_iilPiilS6_bb
    .private_segment_fixed_size: 320
    .sgpr_count:     26
    .sgpr_spill_count: 0
    .symbol:         _ZN9rocsolver6v33100L18getri_kernel_smallILi39E19rocblas_complex_numIfEPS3_EEvT1_iilPiilS6_bb.kd
    .uniform_work_group_size: 1
    .uses_dynamic_stack: false
    .vgpr_count:     228
    .vgpr_spill_count: 0
    .wavefront_size: 64
  - .agpr_count:     0
    .args:
      - .address_space:  global
        .offset:         0
        .size:           8
        .value_kind:     global_buffer
      - .offset:         8
        .size:           4
        .value_kind:     by_value
      - .offset:         12
        .size:           4
        .value_kind:     by_value
      - .offset:         16
        .size:           8
        .value_kind:     by_value
      - .address_space:  global
        .offset:         24
        .size:           8
        .value_kind:     global_buffer
      - .offset:         32
        .size:           4
        .value_kind:     by_value
      - .offset:         40
        .size:           8
        .value_kind:     by_value
      - .address_space:  global
        .offset:         48
        .size:           8
        .value_kind:     global_buffer
      - .offset:         56
        .size:           1
        .value_kind:     by_value
      - .offset:         57
        .size:           1
        .value_kind:     by_value
    .group_segment_fixed_size: 644
    .kernarg_segment_align: 8
    .kernarg_segment_size: 60
    .language:       OpenCL C
    .language_version:
      - 2
      - 0
    .max_flat_workgroup_size: 64
    .name:           _ZN9rocsolver6v33100L18getri_kernel_smallILi40E19rocblas_complex_numIfEPS3_EEvT1_iilPiilS6_bb
    .private_segment_fixed_size: 336
    .sgpr_count:     26
    .sgpr_spill_count: 0
    .symbol:         _ZN9rocsolver6v33100L18getri_kernel_smallILi40E19rocblas_complex_numIfEPS3_EEvT1_iilPiilS6_bb.kd
    .uniform_work_group_size: 1
    .uses_dynamic_stack: false
    .vgpr_count:     232
    .vgpr_spill_count: 0
    .wavefront_size: 64
  - .agpr_count:     0
    .args:
      - .address_space:  global
        .offset:         0
        .size:           8
        .value_kind:     global_buffer
      - .offset:         8
        .size:           4
        .value_kind:     by_value
      - .offset:         12
        .size:           4
        .value_kind:     by_value
      - .offset:         16
        .size:           8
        .value_kind:     by_value
      - .address_space:  global
        .offset:         24
        .size:           8
        .value_kind:     global_buffer
      - .offset:         32
        .size:           4
        .value_kind:     by_value
      - .offset:         40
        .size:           8
        .value_kind:     by_value
      - .address_space:  global
        .offset:         48
        .size:           8
        .value_kind:     global_buffer
      - .offset:         56
        .size:           1
        .value_kind:     by_value
      - .offset:         57
        .size:           1
        .value_kind:     by_value
    .group_segment_fixed_size: 664
    .kernarg_segment_align: 8
    .kernarg_segment_size: 60
    .language:       OpenCL C
    .language_version:
      - 2
      - 0
    .max_flat_workgroup_size: 64
    .name:           _ZN9rocsolver6v33100L18getri_kernel_smallILi41E19rocblas_complex_numIfEPS3_EEvT1_iilPiilS6_bb
    .private_segment_fixed_size: 336
    .sgpr_count:     26
    .sgpr_spill_count: 0
    .symbol:         _ZN9rocsolver6v33100L18getri_kernel_smallILi41E19rocblas_complex_numIfEPS3_EEvT1_iilPiilS6_bb.kd
    .uniform_work_group_size: 1
    .uses_dynamic_stack: false
    .vgpr_count:     236
    .vgpr_spill_count: 0
    .wavefront_size: 64
  - .agpr_count:     0
    .args:
      - .address_space:  global
        .offset:         0
        .size:           8
        .value_kind:     global_buffer
      - .offset:         8
        .size:           4
        .value_kind:     by_value
      - .offset:         12
        .size:           4
        .value_kind:     by_value
      - .offset:         16
        .size:           8
        .value_kind:     by_value
      - .address_space:  global
        .offset:         24
        .size:           8
        .value_kind:     global_buffer
      - .offset:         32
        .size:           4
        .value_kind:     by_value
      - .offset:         40
        .size:           8
        .value_kind:     by_value
      - .address_space:  global
        .offset:         48
        .size:           8
        .value_kind:     global_buffer
      - .offset:         56
        .size:           1
        .value_kind:     by_value
      - .offset:         57
        .size:           1
        .value_kind:     by_value
    .group_segment_fixed_size: 676
    .kernarg_segment_align: 8
    .kernarg_segment_size: 60
    .language:       OpenCL C
    .language_version:
      - 2
      - 0
    .max_flat_workgroup_size: 64
    .name:           _ZN9rocsolver6v33100L18getri_kernel_smallILi42E19rocblas_complex_numIfEPS3_EEvT1_iilPiilS6_bb
    .private_segment_fixed_size: 352
    .sgpr_count:     26
    .sgpr_spill_count: 0
    .symbol:         _ZN9rocsolver6v33100L18getri_kernel_smallILi42E19rocblas_complex_numIfEPS3_EEvT1_iilPiilS6_bb.kd
    .uniform_work_group_size: 1
    .uses_dynamic_stack: false
    .vgpr_count:     248
    .vgpr_spill_count: 0
    .wavefront_size: 64
  - .agpr_count:     0
    .args:
      - .address_space:  global
        .offset:         0
        .size:           8
        .value_kind:     global_buffer
      - .offset:         8
        .size:           4
        .value_kind:     by_value
      - .offset:         12
        .size:           4
        .value_kind:     by_value
      - .offset:         16
        .size:           8
        .value_kind:     by_value
      - .address_space:  global
        .offset:         24
        .size:           8
        .value_kind:     global_buffer
      - .offset:         32
        .size:           4
        .value_kind:     by_value
      - .offset:         40
        .size:           8
        .value_kind:     by_value
      - .address_space:  global
        .offset:         48
        .size:           8
        .value_kind:     global_buffer
      - .offset:         56
        .size:           1
        .value_kind:     by_value
      - .offset:         57
        .size:           1
        .value_kind:     by_value
    .group_segment_fixed_size: 696
    .kernarg_segment_align: 8
    .kernarg_segment_size: 60
    .language:       OpenCL C
    .language_version:
      - 2
      - 0
    .max_flat_workgroup_size: 64
    .name:           _ZN9rocsolver6v33100L18getri_kernel_smallILi43E19rocblas_complex_numIfEPS3_EEvT1_iilPiilS6_bb
    .private_segment_fixed_size: 352
    .sgpr_count:     26
    .sgpr_spill_count: 0
    .symbol:         _ZN9rocsolver6v33100L18getri_kernel_smallILi43E19rocblas_complex_numIfEPS3_EEvT1_iilPiilS6_bb.kd
    .uniform_work_group_size: 1
    .uses_dynamic_stack: false
    .vgpr_count:     252
    .vgpr_spill_count: 0
    .wavefront_size: 64
  - .agpr_count:     0
    .args:
      - .address_space:  global
        .offset:         0
        .size:           8
        .value_kind:     global_buffer
      - .offset:         8
        .size:           4
        .value_kind:     by_value
      - .offset:         12
        .size:           4
        .value_kind:     by_value
      - .offset:         16
        .size:           8
        .value_kind:     by_value
      - .address_space:  global
        .offset:         24
        .size:           8
        .value_kind:     global_buffer
      - .offset:         32
        .size:           4
        .value_kind:     by_value
      - .offset:         40
        .size:           8
        .value_kind:     by_value
      - .address_space:  global
        .offset:         48
        .size:           8
        .value_kind:     global_buffer
      - .offset:         56
        .size:           1
        .value_kind:     by_value
      - .offset:         57
        .size:           1
        .value_kind:     by_value
    .group_segment_fixed_size: 708
    .kernarg_segment_align: 8
    .kernarg_segment_size: 60
    .language:       OpenCL C
    .language_version:
      - 2
      - 0
    .max_flat_workgroup_size: 64
    .name:           _ZN9rocsolver6v33100L18getri_kernel_smallILi44E19rocblas_complex_numIfEPS3_EEvT1_iilPiilS6_bb
    .private_segment_fixed_size: 368
    .sgpr_count:     26
    .sgpr_spill_count: 0
    .symbol:         _ZN9rocsolver6v33100L18getri_kernel_smallILi44E19rocblas_complex_numIfEPS3_EEvT1_iilPiilS6_bb.kd
    .uniform_work_group_size: 1
    .uses_dynamic_stack: false
    .vgpr_count:     256
    .vgpr_spill_count: 0
    .wavefront_size: 64
  - .agpr_count:     2
    .args:
      - .address_space:  global
        .offset:         0
        .size:           8
        .value_kind:     global_buffer
      - .offset:         8
        .size:           4
        .value_kind:     by_value
      - .offset:         12
        .size:           4
        .value_kind:     by_value
      - .offset:         16
        .size:           8
        .value_kind:     by_value
      - .address_space:  global
        .offset:         24
        .size:           8
        .value_kind:     global_buffer
      - .offset:         32
        .size:           4
        .value_kind:     by_value
      - .offset:         40
        .size:           8
        .value_kind:     by_value
      - .address_space:  global
        .offset:         48
        .size:           8
        .value_kind:     global_buffer
      - .offset:         56
        .size:           1
        .value_kind:     by_value
      - .offset:         57
        .size:           1
        .value_kind:     by_value
    .group_segment_fixed_size: 728
    .kernarg_segment_align: 8
    .kernarg_segment_size: 60
    .language:       OpenCL C
    .language_version:
      - 2
      - 0
    .max_flat_workgroup_size: 64
    .name:           _ZN9rocsolver6v33100L18getri_kernel_smallILi45E19rocblas_complex_numIfEPS3_EEvT1_iilPiilS6_bb
    .private_segment_fixed_size: 368
    .sgpr_count:     26
    .sgpr_spill_count: 0
    .symbol:         _ZN9rocsolver6v33100L18getri_kernel_smallILi45E19rocblas_complex_numIfEPS3_EEvT1_iilPiilS6_bb.kd
    .uniform_work_group_size: 1
    .uses_dynamic_stack: false
    .vgpr_count:     258
    .vgpr_spill_count: 0
    .wavefront_size: 64
  - .agpr_count:     10
    .args:
      - .address_space:  global
        .offset:         0
        .size:           8
        .value_kind:     global_buffer
      - .offset:         8
        .size:           4
        .value_kind:     by_value
      - .offset:         12
        .size:           4
        .value_kind:     by_value
      - .offset:         16
        .size:           8
        .value_kind:     by_value
      - .address_space:  global
        .offset:         24
        .size:           8
        .value_kind:     global_buffer
      - .offset:         32
        .size:           4
        .value_kind:     by_value
      - .offset:         40
        .size:           8
        .value_kind:     by_value
      - .address_space:  global
        .offset:         48
        .size:           8
        .value_kind:     global_buffer
      - .offset:         56
        .size:           1
        .value_kind:     by_value
      - .offset:         57
        .size:           1
        .value_kind:     by_value
    .group_segment_fixed_size: 740
    .kernarg_segment_align: 8
    .kernarg_segment_size: 60
    .language:       OpenCL C
    .language_version:
      - 2
      - 0
    .max_flat_workgroup_size: 64
    .name:           _ZN9rocsolver6v33100L18getri_kernel_smallILi46E19rocblas_complex_numIfEPS3_EEvT1_iilPiilS6_bb
    .private_segment_fixed_size: 384
    .sgpr_count:     26
    .sgpr_spill_count: 0
    .symbol:         _ZN9rocsolver6v33100L18getri_kernel_smallILi46E19rocblas_complex_numIfEPS3_EEvT1_iilPiilS6_bb.kd
    .uniform_work_group_size: 1
    .uses_dynamic_stack: false
    .vgpr_count:     266
    .vgpr_spill_count: 0
    .wavefront_size: 64
  - .agpr_count:     14
    .args:
      - .address_space:  global
        .offset:         0
        .size:           8
        .value_kind:     global_buffer
      - .offset:         8
        .size:           4
        .value_kind:     by_value
      - .offset:         12
        .size:           4
        .value_kind:     by_value
      - .offset:         16
        .size:           8
        .value_kind:     by_value
      - .address_space:  global
        .offset:         24
        .size:           8
        .value_kind:     global_buffer
      - .offset:         32
        .size:           4
        .value_kind:     by_value
      - .offset:         40
        .size:           8
        .value_kind:     by_value
      - .address_space:  global
        .offset:         48
        .size:           8
        .value_kind:     global_buffer
      - .offset:         56
        .size:           1
        .value_kind:     by_value
      - .offset:         57
        .size:           1
        .value_kind:     by_value
    .group_segment_fixed_size: 760
    .kernarg_segment_align: 8
    .kernarg_segment_size: 60
    .language:       OpenCL C
    .language_version:
      - 2
      - 0
    .max_flat_workgroup_size: 64
    .name:           _ZN9rocsolver6v33100L18getri_kernel_smallILi47E19rocblas_complex_numIfEPS3_EEvT1_iilPiilS6_bb
    .private_segment_fixed_size: 384
    .sgpr_count:     26
    .sgpr_spill_count: 0
    .symbol:         _ZN9rocsolver6v33100L18getri_kernel_smallILi47E19rocblas_complex_numIfEPS3_EEvT1_iilPiilS6_bb.kd
    .uniform_work_group_size: 1
    .uses_dynamic_stack: false
    .vgpr_count:     270
    .vgpr_spill_count: 0
    .wavefront_size: 64
  - .agpr_count:     22
    .args:
      - .address_space:  global
        .offset:         0
        .size:           8
        .value_kind:     global_buffer
      - .offset:         8
        .size:           4
        .value_kind:     by_value
      - .offset:         12
        .size:           4
        .value_kind:     by_value
      - .offset:         16
        .size:           8
        .value_kind:     by_value
      - .address_space:  global
        .offset:         24
        .size:           8
        .value_kind:     global_buffer
      - .offset:         32
        .size:           4
        .value_kind:     by_value
      - .offset:         40
        .size:           8
        .value_kind:     by_value
      - .address_space:  global
        .offset:         48
        .size:           8
        .value_kind:     global_buffer
      - .offset:         56
        .size:           1
        .value_kind:     by_value
      - .offset:         57
        .size:           1
        .value_kind:     by_value
    .group_segment_fixed_size: 772
    .kernarg_segment_align: 8
    .kernarg_segment_size: 60
    .language:       OpenCL C
    .language_version:
      - 2
      - 0
    .max_flat_workgroup_size: 64
    .name:           _ZN9rocsolver6v33100L18getri_kernel_smallILi48E19rocblas_complex_numIfEPS3_EEvT1_iilPiilS6_bb
    .private_segment_fixed_size: 400
    .sgpr_count:     26
    .sgpr_spill_count: 0
    .symbol:         _ZN9rocsolver6v33100L18getri_kernel_smallILi48E19rocblas_complex_numIfEPS3_EEvT1_iilPiilS6_bb.kd
    .uniform_work_group_size: 1
    .uses_dynamic_stack: false
    .vgpr_count:     278
    .vgpr_spill_count: 0
    .wavefront_size: 64
  - .agpr_count:     26
    .args:
      - .address_space:  global
        .offset:         0
        .size:           8
        .value_kind:     global_buffer
      - .offset:         8
        .size:           4
        .value_kind:     by_value
      - .offset:         12
        .size:           4
        .value_kind:     by_value
      - .offset:         16
        .size:           8
        .value_kind:     by_value
      - .address_space:  global
        .offset:         24
        .size:           8
        .value_kind:     global_buffer
      - .offset:         32
        .size:           4
        .value_kind:     by_value
      - .offset:         40
        .size:           8
        .value_kind:     by_value
      - .address_space:  global
        .offset:         48
        .size:           8
        .value_kind:     global_buffer
      - .offset:         56
        .size:           1
        .value_kind:     by_value
      - .offset:         57
        .size:           1
        .value_kind:     by_value
    .group_segment_fixed_size: 792
    .kernarg_segment_align: 8
    .kernarg_segment_size: 60
    .language:       OpenCL C
    .language_version:
      - 2
      - 0
    .max_flat_workgroup_size: 64
    .name:           _ZN9rocsolver6v33100L18getri_kernel_smallILi49E19rocblas_complex_numIfEPS3_EEvT1_iilPiilS6_bb
    .private_segment_fixed_size: 400
    .sgpr_count:     26
    .sgpr_spill_count: 0
    .symbol:         _ZN9rocsolver6v33100L18getri_kernel_smallILi49E19rocblas_complex_numIfEPS3_EEvT1_iilPiilS6_bb.kd
    .uniform_work_group_size: 1
    .uses_dynamic_stack: false
    .vgpr_count:     282
    .vgpr_spill_count: 0
    .wavefront_size: 64
  - .agpr_count:     34
    .args:
      - .address_space:  global
        .offset:         0
        .size:           8
        .value_kind:     global_buffer
      - .offset:         8
        .size:           4
        .value_kind:     by_value
      - .offset:         12
        .size:           4
        .value_kind:     by_value
      - .offset:         16
        .size:           8
        .value_kind:     by_value
      - .address_space:  global
        .offset:         24
        .size:           8
        .value_kind:     global_buffer
      - .offset:         32
        .size:           4
        .value_kind:     by_value
      - .offset:         40
        .size:           8
        .value_kind:     by_value
      - .address_space:  global
        .offset:         48
        .size:           8
        .value_kind:     global_buffer
      - .offset:         56
        .size:           1
        .value_kind:     by_value
      - .offset:         57
        .size:           1
        .value_kind:     by_value
    .group_segment_fixed_size: 804
    .kernarg_segment_align: 8
    .kernarg_segment_size: 60
    .language:       OpenCL C
    .language_version:
      - 2
      - 0
    .max_flat_workgroup_size: 64
    .name:           _ZN9rocsolver6v33100L18getri_kernel_smallILi50E19rocblas_complex_numIfEPS3_EEvT1_iilPiilS6_bb
    .private_segment_fixed_size: 416
    .sgpr_count:     26
    .sgpr_spill_count: 0
    .symbol:         _ZN9rocsolver6v33100L18getri_kernel_smallILi50E19rocblas_complex_numIfEPS3_EEvT1_iilPiilS6_bb.kd
    .uniform_work_group_size: 1
    .uses_dynamic_stack: false
    .vgpr_count:     290
    .vgpr_spill_count: 0
    .wavefront_size: 64
  - .agpr_count:     38
    .args:
      - .address_space:  global
        .offset:         0
        .size:           8
        .value_kind:     global_buffer
      - .offset:         8
        .size:           4
        .value_kind:     by_value
      - .offset:         12
        .size:           4
        .value_kind:     by_value
      - .offset:         16
        .size:           8
        .value_kind:     by_value
      - .address_space:  global
        .offset:         24
        .size:           8
        .value_kind:     global_buffer
      - .offset:         32
        .size:           4
        .value_kind:     by_value
      - .offset:         40
        .size:           8
        .value_kind:     by_value
      - .address_space:  global
        .offset:         48
        .size:           8
        .value_kind:     global_buffer
      - .offset:         56
        .size:           1
        .value_kind:     by_value
      - .offset:         57
        .size:           1
        .value_kind:     by_value
    .group_segment_fixed_size: 824
    .kernarg_segment_align: 8
    .kernarg_segment_size: 60
    .language:       OpenCL C
    .language_version:
      - 2
      - 0
    .max_flat_workgroup_size: 64
    .name:           _ZN9rocsolver6v33100L18getri_kernel_smallILi51E19rocblas_complex_numIfEPS3_EEvT1_iilPiilS6_bb
    .private_segment_fixed_size: 416
    .sgpr_count:     26
    .sgpr_spill_count: 0
    .symbol:         _ZN9rocsolver6v33100L18getri_kernel_smallILi51E19rocblas_complex_numIfEPS3_EEvT1_iilPiilS6_bb.kd
    .uniform_work_group_size: 1
    .uses_dynamic_stack: false
    .vgpr_count:     294
    .vgpr_spill_count: 0
    .wavefront_size: 64
  - .agpr_count:     46
    .args:
      - .address_space:  global
        .offset:         0
        .size:           8
        .value_kind:     global_buffer
      - .offset:         8
        .size:           4
        .value_kind:     by_value
      - .offset:         12
        .size:           4
        .value_kind:     by_value
      - .offset:         16
        .size:           8
        .value_kind:     by_value
      - .address_space:  global
        .offset:         24
        .size:           8
        .value_kind:     global_buffer
      - .offset:         32
        .size:           4
        .value_kind:     by_value
      - .offset:         40
        .size:           8
        .value_kind:     by_value
      - .address_space:  global
        .offset:         48
        .size:           8
        .value_kind:     global_buffer
      - .offset:         56
        .size:           1
        .value_kind:     by_value
      - .offset:         57
        .size:           1
        .value_kind:     by_value
    .group_segment_fixed_size: 836
    .kernarg_segment_align: 8
    .kernarg_segment_size: 60
    .language:       OpenCL C
    .language_version:
      - 2
      - 0
    .max_flat_workgroup_size: 64
    .name:           _ZN9rocsolver6v33100L18getri_kernel_smallILi52E19rocblas_complex_numIfEPS3_EEvT1_iilPiilS6_bb
    .private_segment_fixed_size: 432
    .sgpr_count:     26
    .sgpr_spill_count: 0
    .symbol:         _ZN9rocsolver6v33100L18getri_kernel_smallILi52E19rocblas_complex_numIfEPS3_EEvT1_iilPiilS6_bb.kd
    .uniform_work_group_size: 1
    .uses_dynamic_stack: false
    .vgpr_count:     302
    .vgpr_spill_count: 0
    .wavefront_size: 64
  - .agpr_count:     50
    .args:
      - .address_space:  global
        .offset:         0
        .size:           8
        .value_kind:     global_buffer
      - .offset:         8
        .size:           4
        .value_kind:     by_value
      - .offset:         12
        .size:           4
        .value_kind:     by_value
      - .offset:         16
        .size:           8
        .value_kind:     by_value
      - .address_space:  global
        .offset:         24
        .size:           8
        .value_kind:     global_buffer
      - .offset:         32
        .size:           4
        .value_kind:     by_value
      - .offset:         40
        .size:           8
        .value_kind:     by_value
      - .address_space:  global
        .offset:         48
        .size:           8
        .value_kind:     global_buffer
      - .offset:         56
        .size:           1
        .value_kind:     by_value
      - .offset:         57
        .size:           1
        .value_kind:     by_value
    .group_segment_fixed_size: 856
    .kernarg_segment_align: 8
    .kernarg_segment_size: 60
    .language:       OpenCL C
    .language_version:
      - 2
      - 0
    .max_flat_workgroup_size: 64
    .name:           _ZN9rocsolver6v33100L18getri_kernel_smallILi53E19rocblas_complex_numIfEPS3_EEvT1_iilPiilS6_bb
    .private_segment_fixed_size: 432
    .sgpr_count:     26
    .sgpr_spill_count: 0
    .symbol:         _ZN9rocsolver6v33100L18getri_kernel_smallILi53E19rocblas_complex_numIfEPS3_EEvT1_iilPiilS6_bb.kd
    .uniform_work_group_size: 1
    .uses_dynamic_stack: false
    .vgpr_count:     306
    .vgpr_spill_count: 0
    .wavefront_size: 64
  - .agpr_count:     58
    .args:
      - .address_space:  global
        .offset:         0
        .size:           8
        .value_kind:     global_buffer
      - .offset:         8
        .size:           4
        .value_kind:     by_value
      - .offset:         12
        .size:           4
        .value_kind:     by_value
      - .offset:         16
        .size:           8
        .value_kind:     by_value
      - .address_space:  global
        .offset:         24
        .size:           8
        .value_kind:     global_buffer
      - .offset:         32
        .size:           4
        .value_kind:     by_value
      - .offset:         40
        .size:           8
        .value_kind:     by_value
      - .address_space:  global
        .offset:         48
        .size:           8
        .value_kind:     global_buffer
      - .offset:         56
        .size:           1
        .value_kind:     by_value
      - .offset:         57
        .size:           1
        .value_kind:     by_value
    .group_segment_fixed_size: 868
    .kernarg_segment_align: 8
    .kernarg_segment_size: 60
    .language:       OpenCL C
    .language_version:
      - 2
      - 0
    .max_flat_workgroup_size: 64
    .name:           _ZN9rocsolver6v33100L18getri_kernel_smallILi54E19rocblas_complex_numIfEPS3_EEvT1_iilPiilS6_bb
    .private_segment_fixed_size: 448
    .sgpr_count:     26
    .sgpr_spill_count: 0
    .symbol:         _ZN9rocsolver6v33100L18getri_kernel_smallILi54E19rocblas_complex_numIfEPS3_EEvT1_iilPiilS6_bb.kd
    .uniform_work_group_size: 1
    .uses_dynamic_stack: false
    .vgpr_count:     314
    .vgpr_spill_count: 0
    .wavefront_size: 64
  - .agpr_count:     62
    .args:
      - .address_space:  global
        .offset:         0
        .size:           8
        .value_kind:     global_buffer
      - .offset:         8
        .size:           4
        .value_kind:     by_value
      - .offset:         12
        .size:           4
        .value_kind:     by_value
      - .offset:         16
        .size:           8
        .value_kind:     by_value
      - .address_space:  global
        .offset:         24
        .size:           8
        .value_kind:     global_buffer
      - .offset:         32
        .size:           4
        .value_kind:     by_value
      - .offset:         40
        .size:           8
        .value_kind:     by_value
      - .address_space:  global
        .offset:         48
        .size:           8
        .value_kind:     global_buffer
      - .offset:         56
        .size:           1
        .value_kind:     by_value
      - .offset:         57
        .size:           1
        .value_kind:     by_value
    .group_segment_fixed_size: 888
    .kernarg_segment_align: 8
    .kernarg_segment_size: 60
    .language:       OpenCL C
    .language_version:
      - 2
      - 0
    .max_flat_workgroup_size: 64
    .name:           _ZN9rocsolver6v33100L18getri_kernel_smallILi55E19rocblas_complex_numIfEPS3_EEvT1_iilPiilS6_bb
    .private_segment_fixed_size: 448
    .sgpr_count:     26
    .sgpr_spill_count: 0
    .symbol:         _ZN9rocsolver6v33100L18getri_kernel_smallILi55E19rocblas_complex_numIfEPS3_EEvT1_iilPiilS6_bb.kd
    .uniform_work_group_size: 1
    .uses_dynamic_stack: false
    .vgpr_count:     318
    .vgpr_spill_count: 0
    .wavefront_size: 64
  - .agpr_count:     70
    .args:
      - .address_space:  global
        .offset:         0
        .size:           8
        .value_kind:     global_buffer
      - .offset:         8
        .size:           4
        .value_kind:     by_value
      - .offset:         12
        .size:           4
        .value_kind:     by_value
      - .offset:         16
        .size:           8
        .value_kind:     by_value
      - .address_space:  global
        .offset:         24
        .size:           8
        .value_kind:     global_buffer
      - .offset:         32
        .size:           4
        .value_kind:     by_value
      - .offset:         40
        .size:           8
        .value_kind:     by_value
      - .address_space:  global
        .offset:         48
        .size:           8
        .value_kind:     global_buffer
      - .offset:         56
        .size:           1
        .value_kind:     by_value
      - .offset:         57
        .size:           1
        .value_kind:     by_value
    .group_segment_fixed_size: 900
    .kernarg_segment_align: 8
    .kernarg_segment_size: 60
    .language:       OpenCL C
    .language_version:
      - 2
      - 0
    .max_flat_workgroup_size: 64
    .name:           _ZN9rocsolver6v33100L18getri_kernel_smallILi56E19rocblas_complex_numIfEPS3_EEvT1_iilPiilS6_bb
    .private_segment_fixed_size: 464
    .sgpr_count:     26
    .sgpr_spill_count: 0
    .symbol:         _ZN9rocsolver6v33100L18getri_kernel_smallILi56E19rocblas_complex_numIfEPS3_EEvT1_iilPiilS6_bb.kd
    .uniform_work_group_size: 1
    .uses_dynamic_stack: false
    .vgpr_count:     326
    .vgpr_spill_count: 0
    .wavefront_size: 64
  - .agpr_count:     74
    .args:
      - .address_space:  global
        .offset:         0
        .size:           8
        .value_kind:     global_buffer
      - .offset:         8
        .size:           4
        .value_kind:     by_value
      - .offset:         12
        .size:           4
        .value_kind:     by_value
      - .offset:         16
        .size:           8
        .value_kind:     by_value
      - .address_space:  global
        .offset:         24
        .size:           8
        .value_kind:     global_buffer
      - .offset:         32
        .size:           4
        .value_kind:     by_value
      - .offset:         40
        .size:           8
        .value_kind:     by_value
      - .address_space:  global
        .offset:         48
        .size:           8
        .value_kind:     global_buffer
      - .offset:         56
        .size:           1
        .value_kind:     by_value
      - .offset:         57
        .size:           1
        .value_kind:     by_value
    .group_segment_fixed_size: 920
    .kernarg_segment_align: 8
    .kernarg_segment_size: 60
    .language:       OpenCL C
    .language_version:
      - 2
      - 0
    .max_flat_workgroup_size: 64
    .name:           _ZN9rocsolver6v33100L18getri_kernel_smallILi57E19rocblas_complex_numIfEPS3_EEvT1_iilPiilS6_bb
    .private_segment_fixed_size: 464
    .sgpr_count:     26
    .sgpr_spill_count: 0
    .symbol:         _ZN9rocsolver6v33100L18getri_kernel_smallILi57E19rocblas_complex_numIfEPS3_EEvT1_iilPiilS6_bb.kd
    .uniform_work_group_size: 1
    .uses_dynamic_stack: false
    .vgpr_count:     330
    .vgpr_spill_count: 0
    .wavefront_size: 64
  - .agpr_count:     82
    .args:
      - .address_space:  global
        .offset:         0
        .size:           8
        .value_kind:     global_buffer
      - .offset:         8
        .size:           4
        .value_kind:     by_value
      - .offset:         12
        .size:           4
        .value_kind:     by_value
      - .offset:         16
        .size:           8
        .value_kind:     by_value
      - .address_space:  global
        .offset:         24
        .size:           8
        .value_kind:     global_buffer
      - .offset:         32
        .size:           4
        .value_kind:     by_value
      - .offset:         40
        .size:           8
        .value_kind:     by_value
      - .address_space:  global
        .offset:         48
        .size:           8
        .value_kind:     global_buffer
      - .offset:         56
        .size:           1
        .value_kind:     by_value
      - .offset:         57
        .size:           1
        .value_kind:     by_value
    .group_segment_fixed_size: 932
    .kernarg_segment_align: 8
    .kernarg_segment_size: 60
    .language:       OpenCL C
    .language_version:
      - 2
      - 0
    .max_flat_workgroup_size: 64
    .name:           _ZN9rocsolver6v33100L18getri_kernel_smallILi58E19rocblas_complex_numIfEPS3_EEvT1_iilPiilS6_bb
    .private_segment_fixed_size: 480
    .sgpr_count:     26
    .sgpr_spill_count: 0
    .symbol:         _ZN9rocsolver6v33100L18getri_kernel_smallILi58E19rocblas_complex_numIfEPS3_EEvT1_iilPiilS6_bb.kd
    .uniform_work_group_size: 1
    .uses_dynamic_stack: false
    .vgpr_count:     338
    .vgpr_spill_count: 0
    .wavefront_size: 64
  - .agpr_count:     86
    .args:
      - .address_space:  global
        .offset:         0
        .size:           8
        .value_kind:     global_buffer
      - .offset:         8
        .size:           4
        .value_kind:     by_value
      - .offset:         12
        .size:           4
        .value_kind:     by_value
      - .offset:         16
        .size:           8
        .value_kind:     by_value
      - .address_space:  global
        .offset:         24
        .size:           8
        .value_kind:     global_buffer
      - .offset:         32
        .size:           4
        .value_kind:     by_value
      - .offset:         40
        .size:           8
        .value_kind:     by_value
      - .address_space:  global
        .offset:         48
        .size:           8
        .value_kind:     global_buffer
      - .offset:         56
        .size:           1
        .value_kind:     by_value
      - .offset:         57
        .size:           1
        .value_kind:     by_value
    .group_segment_fixed_size: 952
    .kernarg_segment_align: 8
    .kernarg_segment_size: 60
    .language:       OpenCL C
    .language_version:
      - 2
      - 0
    .max_flat_workgroup_size: 64
    .name:           _ZN9rocsolver6v33100L18getri_kernel_smallILi59E19rocblas_complex_numIfEPS3_EEvT1_iilPiilS6_bb
    .private_segment_fixed_size: 480
    .sgpr_count:     26
    .sgpr_spill_count: 0
    .symbol:         _ZN9rocsolver6v33100L18getri_kernel_smallILi59E19rocblas_complex_numIfEPS3_EEvT1_iilPiilS6_bb.kd
    .uniform_work_group_size: 1
    .uses_dynamic_stack: false
    .vgpr_count:     342
    .vgpr_spill_count: 0
    .wavefront_size: 64
  - .agpr_count:     94
    .args:
      - .address_space:  global
        .offset:         0
        .size:           8
        .value_kind:     global_buffer
      - .offset:         8
        .size:           4
        .value_kind:     by_value
      - .offset:         12
        .size:           4
        .value_kind:     by_value
      - .offset:         16
        .size:           8
        .value_kind:     by_value
      - .address_space:  global
        .offset:         24
        .size:           8
        .value_kind:     global_buffer
      - .offset:         32
        .size:           4
        .value_kind:     by_value
      - .offset:         40
        .size:           8
        .value_kind:     by_value
      - .address_space:  global
        .offset:         48
        .size:           8
        .value_kind:     global_buffer
      - .offset:         56
        .size:           1
        .value_kind:     by_value
      - .offset:         57
        .size:           1
        .value_kind:     by_value
    .group_segment_fixed_size: 964
    .kernarg_segment_align: 8
    .kernarg_segment_size: 60
    .language:       OpenCL C
    .language_version:
      - 2
      - 0
    .max_flat_workgroup_size: 64
    .name:           _ZN9rocsolver6v33100L18getri_kernel_smallILi60E19rocblas_complex_numIfEPS3_EEvT1_iilPiilS6_bb
    .private_segment_fixed_size: 496
    .sgpr_count:     26
    .sgpr_spill_count: 0
    .symbol:         _ZN9rocsolver6v33100L18getri_kernel_smallILi60E19rocblas_complex_numIfEPS3_EEvT1_iilPiilS6_bb.kd
    .uniform_work_group_size: 1
    .uses_dynamic_stack: false
    .vgpr_count:     350
    .vgpr_spill_count: 0
    .wavefront_size: 64
  - .agpr_count:     98
    .args:
      - .address_space:  global
        .offset:         0
        .size:           8
        .value_kind:     global_buffer
      - .offset:         8
        .size:           4
        .value_kind:     by_value
      - .offset:         12
        .size:           4
        .value_kind:     by_value
      - .offset:         16
        .size:           8
        .value_kind:     by_value
      - .address_space:  global
        .offset:         24
        .size:           8
        .value_kind:     global_buffer
      - .offset:         32
        .size:           4
        .value_kind:     by_value
      - .offset:         40
        .size:           8
        .value_kind:     by_value
      - .address_space:  global
        .offset:         48
        .size:           8
        .value_kind:     global_buffer
      - .offset:         56
        .size:           1
        .value_kind:     by_value
      - .offset:         57
        .size:           1
        .value_kind:     by_value
    .group_segment_fixed_size: 984
    .kernarg_segment_align: 8
    .kernarg_segment_size: 60
    .language:       OpenCL C
    .language_version:
      - 2
      - 0
    .max_flat_workgroup_size: 64
    .name:           _ZN9rocsolver6v33100L18getri_kernel_smallILi61E19rocblas_complex_numIfEPS3_EEvT1_iilPiilS6_bb
    .private_segment_fixed_size: 496
    .sgpr_count:     26
    .sgpr_spill_count: 0
    .symbol:         _ZN9rocsolver6v33100L18getri_kernel_smallILi61E19rocblas_complex_numIfEPS3_EEvT1_iilPiilS6_bb.kd
    .uniform_work_group_size: 1
    .uses_dynamic_stack: false
    .vgpr_count:     354
    .vgpr_spill_count: 0
    .wavefront_size: 64
  - .agpr_count:     106
    .args:
      - .address_space:  global
        .offset:         0
        .size:           8
        .value_kind:     global_buffer
      - .offset:         8
        .size:           4
        .value_kind:     by_value
      - .offset:         12
        .size:           4
        .value_kind:     by_value
      - .offset:         16
        .size:           8
        .value_kind:     by_value
      - .address_space:  global
        .offset:         24
        .size:           8
        .value_kind:     global_buffer
      - .offset:         32
        .size:           4
        .value_kind:     by_value
      - .offset:         40
        .size:           8
        .value_kind:     by_value
      - .address_space:  global
        .offset:         48
        .size:           8
        .value_kind:     global_buffer
      - .offset:         56
        .size:           1
        .value_kind:     by_value
      - .offset:         57
        .size:           1
        .value_kind:     by_value
    .group_segment_fixed_size: 996
    .kernarg_segment_align: 8
    .kernarg_segment_size: 60
    .language:       OpenCL C
    .language_version:
      - 2
      - 0
    .max_flat_workgroup_size: 64
    .name:           _ZN9rocsolver6v33100L18getri_kernel_smallILi62E19rocblas_complex_numIfEPS3_EEvT1_iilPiilS6_bb
    .private_segment_fixed_size: 512
    .sgpr_count:     26
    .sgpr_spill_count: 0
    .symbol:         _ZN9rocsolver6v33100L18getri_kernel_smallILi62E19rocblas_complex_numIfEPS3_EEvT1_iilPiilS6_bb.kd
    .uniform_work_group_size: 1
    .uses_dynamic_stack: false
    .vgpr_count:     362
    .vgpr_spill_count: 0
    .wavefront_size: 64
  - .agpr_count:     110
    .args:
      - .address_space:  global
        .offset:         0
        .size:           8
        .value_kind:     global_buffer
      - .offset:         8
        .size:           4
        .value_kind:     by_value
      - .offset:         12
        .size:           4
        .value_kind:     by_value
      - .offset:         16
        .size:           8
        .value_kind:     by_value
      - .address_space:  global
        .offset:         24
        .size:           8
        .value_kind:     global_buffer
      - .offset:         32
        .size:           4
        .value_kind:     by_value
      - .offset:         40
        .size:           8
        .value_kind:     by_value
      - .address_space:  global
        .offset:         48
        .size:           8
        .value_kind:     global_buffer
      - .offset:         56
        .size:           1
        .value_kind:     by_value
      - .offset:         57
        .size:           1
        .value_kind:     by_value
    .group_segment_fixed_size: 1016
    .kernarg_segment_align: 8
    .kernarg_segment_size: 60
    .language:       OpenCL C
    .language_version:
      - 2
      - 0
    .max_flat_workgroup_size: 64
    .name:           _ZN9rocsolver6v33100L18getri_kernel_smallILi63E19rocblas_complex_numIfEPS3_EEvT1_iilPiilS6_bb
    .private_segment_fixed_size: 512
    .sgpr_count:     26
    .sgpr_spill_count: 0
    .symbol:         _ZN9rocsolver6v33100L18getri_kernel_smallILi63E19rocblas_complex_numIfEPS3_EEvT1_iilPiilS6_bb.kd
    .uniform_work_group_size: 1
    .uses_dynamic_stack: false
    .vgpr_count:     366
    .vgpr_spill_count: 0
    .wavefront_size: 64
  - .agpr_count:     116
    .args:
      - .address_space:  global
        .offset:         0
        .size:           8
        .value_kind:     global_buffer
      - .offset:         8
        .size:           4
        .value_kind:     by_value
      - .offset:         12
        .size:           4
        .value_kind:     by_value
      - .offset:         16
        .size:           8
        .value_kind:     by_value
      - .address_space:  global
        .offset:         24
        .size:           8
        .value_kind:     global_buffer
      - .offset:         32
        .size:           4
        .value_kind:     by_value
      - .offset:         40
        .size:           8
        .value_kind:     by_value
      - .address_space:  global
        .offset:         48
        .size:           8
        .value_kind:     global_buffer
      - .offset:         56
        .size:           1
        .value_kind:     by_value
      - .offset:         57
        .size:           1
        .value_kind:     by_value
    .group_segment_fixed_size: 1028
    .kernarg_segment_align: 8
    .kernarg_segment_size: 60
    .language:       OpenCL C
    .language_version:
      - 2
      - 0
    .max_flat_workgroup_size: 64
    .name:           _ZN9rocsolver6v33100L18getri_kernel_smallILi64E19rocblas_complex_numIfEPS3_EEvT1_iilPiilS6_bb
    .private_segment_fixed_size: 528
    .sgpr_count:     26
    .sgpr_spill_count: 0
    .symbol:         _ZN9rocsolver6v33100L18getri_kernel_smallILi64E19rocblas_complex_numIfEPS3_EEvT1_iilPiilS6_bb.kd
    .uniform_work_group_size: 1
    .uses_dynamic_stack: false
    .vgpr_count:     372
    .vgpr_spill_count: 0
    .wavefront_size: 64
  - .agpr_count:     0
    .args:
      - .address_space:  global
        .offset:         0
        .size:           8
        .value_kind:     global_buffer
      - .offset:         8
        .size:           4
        .value_kind:     by_value
      - .offset:         12
        .size:           4
        .value_kind:     by_value
      - .offset:         16
        .size:           8
        .value_kind:     by_value
      - .address_space:  global
        .offset:         24
        .size:           8
        .value_kind:     global_buffer
      - .offset:         32
        .size:           4
        .value_kind:     by_value
      - .offset:         40
        .size:           8
        .value_kind:     by_value
      - .address_space:  global
        .offset:         48
        .size:           8
        .value_kind:     global_buffer
      - .offset:         56
        .size:           1
        .value_kind:     by_value
      - .offset:         57
        .size:           1
        .value_kind:     by_value
    .group_segment_fixed_size: 4
    .kernarg_segment_align: 8
    .kernarg_segment_size: 60
    .language:       OpenCL C
    .language_version:
      - 2
      - 0
    .max_flat_workgroup_size: 64
    .name:           _ZN9rocsolver6v33100L18getri_kernel_smallILi1E19rocblas_complex_numIfEPKPS3_EEvT1_iilPiilS8_bb
    .private_segment_fixed_size: 0
    .sgpr_count:     20
    .sgpr_spill_count: 0
    .symbol:         _ZN9rocsolver6v33100L18getri_kernel_smallILi1E19rocblas_complex_numIfEPKPS3_EEvT1_iilPiilS8_bb.kd
    .uniform_work_group_size: 1
    .uses_dynamic_stack: false
    .vgpr_count:     7
    .vgpr_spill_count: 0
    .wavefront_size: 64
  - .agpr_count:     0
    .args:
      - .address_space:  global
        .offset:         0
        .size:           8
        .value_kind:     global_buffer
      - .offset:         8
        .size:           4
        .value_kind:     by_value
      - .offset:         12
        .size:           4
        .value_kind:     by_value
      - .offset:         16
        .size:           8
        .value_kind:     by_value
      - .address_space:  global
        .offset:         24
        .size:           8
        .value_kind:     global_buffer
      - .offset:         32
        .size:           4
        .value_kind:     by_value
      - .offset:         40
        .size:           8
        .value_kind:     by_value
      - .address_space:  global
        .offset:         48
        .size:           8
        .value_kind:     global_buffer
      - .offset:         56
        .size:           1
        .value_kind:     by_value
      - .offset:         57
        .size:           1
        .value_kind:     by_value
    .group_segment_fixed_size: 36
    .kernarg_segment_align: 8
    .kernarg_segment_size: 60
    .language:       OpenCL C
    .language_version:
      - 2
      - 0
    .max_flat_workgroup_size: 64
    .name:           _ZN9rocsolver6v33100L18getri_kernel_smallILi2E19rocblas_complex_numIfEPKPS3_EEvT1_iilPiilS8_bb
    .private_segment_fixed_size: 32
    .sgpr_count:     23
    .sgpr_spill_count: 0
    .symbol:         _ZN9rocsolver6v33100L18getri_kernel_smallILi2E19rocblas_complex_numIfEPKPS3_EEvT1_iilPiilS8_bb.kd
    .uniform_work_group_size: 1
    .uses_dynamic_stack: false
    .vgpr_count:     16
    .vgpr_spill_count: 0
    .wavefront_size: 64
  - .agpr_count:     0
    .args:
      - .address_space:  global
        .offset:         0
        .size:           8
        .value_kind:     global_buffer
      - .offset:         8
        .size:           4
        .value_kind:     by_value
      - .offset:         12
        .size:           4
        .value_kind:     by_value
      - .offset:         16
        .size:           8
        .value_kind:     by_value
      - .address_space:  global
        .offset:         24
        .size:           8
        .value_kind:     global_buffer
      - .offset:         32
        .size:           4
        .value_kind:     by_value
      - .offset:         40
        .size:           8
        .value_kind:     by_value
      - .address_space:  global
        .offset:         48
        .size:           8
        .value_kind:     global_buffer
      - .offset:         56
        .size:           1
        .value_kind:     by_value
      - .offset:         57
        .size:           1
        .value_kind:     by_value
    .group_segment_fixed_size: 56
    .kernarg_segment_align: 8
    .kernarg_segment_size: 60
    .language:       OpenCL C
    .language_version:
      - 2
      - 0
    .max_flat_workgroup_size: 64
    .name:           _ZN9rocsolver6v33100L18getri_kernel_smallILi3E19rocblas_complex_numIfEPKPS3_EEvT1_iilPiilS8_bb
    .private_segment_fixed_size: 32
    .sgpr_count:     23
    .sgpr_spill_count: 0
    .symbol:         _ZN9rocsolver6v33100L18getri_kernel_smallILi3E19rocblas_complex_numIfEPKPS3_EEvT1_iilPiilS8_bb.kd
    .uniform_work_group_size: 1
    .uses_dynamic_stack: false
    .vgpr_count:     22
    .vgpr_spill_count: 0
    .wavefront_size: 64
  - .agpr_count:     0
    .args:
      - .address_space:  global
        .offset:         0
        .size:           8
        .value_kind:     global_buffer
      - .offset:         8
        .size:           4
        .value_kind:     by_value
      - .offset:         12
        .size:           4
        .value_kind:     by_value
      - .offset:         16
        .size:           8
        .value_kind:     by_value
      - .address_space:  global
        .offset:         24
        .size:           8
        .value_kind:     global_buffer
      - .offset:         32
        .size:           4
        .value_kind:     by_value
      - .offset:         40
        .size:           8
        .value_kind:     by_value
      - .address_space:  global
        .offset:         48
        .size:           8
        .value_kind:     global_buffer
      - .offset:         56
        .size:           1
        .value_kind:     by_value
      - .offset:         57
        .size:           1
        .value_kind:     by_value
    .group_segment_fixed_size: 68
    .kernarg_segment_align: 8
    .kernarg_segment_size: 60
    .language:       OpenCL C
    .language_version:
      - 2
      - 0
    .max_flat_workgroup_size: 64
    .name:           _ZN9rocsolver6v33100L18getri_kernel_smallILi4E19rocblas_complex_numIfEPKPS3_EEvT1_iilPiilS8_bb
    .private_segment_fixed_size: 48
    .sgpr_count:     23
    .sgpr_spill_count: 0
    .symbol:         _ZN9rocsolver6v33100L18getri_kernel_smallILi4E19rocblas_complex_numIfEPKPS3_EEvT1_iilPiilS8_bb.kd
    .uniform_work_group_size: 1
    .uses_dynamic_stack: false
    .vgpr_count:     32
    .vgpr_spill_count: 0
    .wavefront_size: 64
  - .agpr_count:     0
    .args:
      - .address_space:  global
        .offset:         0
        .size:           8
        .value_kind:     global_buffer
      - .offset:         8
        .size:           4
        .value_kind:     by_value
      - .offset:         12
        .size:           4
        .value_kind:     by_value
      - .offset:         16
        .size:           8
        .value_kind:     by_value
      - .address_space:  global
        .offset:         24
        .size:           8
        .value_kind:     global_buffer
      - .offset:         32
        .size:           4
        .value_kind:     by_value
      - .offset:         40
        .size:           8
        .value_kind:     by_value
      - .address_space:  global
        .offset:         48
        .size:           8
        .value_kind:     global_buffer
      - .offset:         56
        .size:           1
        .value_kind:     by_value
      - .offset:         57
        .size:           1
        .value_kind:     by_value
    .group_segment_fixed_size: 88
    .kernarg_segment_align: 8
    .kernarg_segment_size: 60
    .language:       OpenCL C
    .language_version:
      - 2
      - 0
    .max_flat_workgroup_size: 64
    .name:           _ZN9rocsolver6v33100L18getri_kernel_smallILi5E19rocblas_complex_numIfEPKPS3_EEvT1_iilPiilS8_bb
    .private_segment_fixed_size: 48
    .sgpr_count:     23
    .sgpr_spill_count: 0
    .symbol:         _ZN9rocsolver6v33100L18getri_kernel_smallILi5E19rocblas_complex_numIfEPKPS3_EEvT1_iilPiilS8_bb.kd
    .uniform_work_group_size: 1
    .uses_dynamic_stack: false
    .vgpr_count:     38
    .vgpr_spill_count: 0
    .wavefront_size: 64
  - .agpr_count:     0
    .args:
      - .address_space:  global
        .offset:         0
        .size:           8
        .value_kind:     global_buffer
      - .offset:         8
        .size:           4
        .value_kind:     by_value
      - .offset:         12
        .size:           4
        .value_kind:     by_value
      - .offset:         16
        .size:           8
        .value_kind:     by_value
      - .address_space:  global
        .offset:         24
        .size:           8
        .value_kind:     global_buffer
      - .offset:         32
        .size:           4
        .value_kind:     by_value
      - .offset:         40
        .size:           8
        .value_kind:     by_value
      - .address_space:  global
        .offset:         48
        .size:           8
        .value_kind:     global_buffer
      - .offset:         56
        .size:           1
        .value_kind:     by_value
      - .offset:         57
        .size:           1
        .value_kind:     by_value
    .group_segment_fixed_size: 100
    .kernarg_segment_align: 8
    .kernarg_segment_size: 60
    .language:       OpenCL C
    .language_version:
      - 2
      - 0
    .max_flat_workgroup_size: 64
    .name:           _ZN9rocsolver6v33100L18getri_kernel_smallILi6E19rocblas_complex_numIfEPKPS3_EEvT1_iilPiilS8_bb
    .private_segment_fixed_size: 64
    .sgpr_count:     23
    .sgpr_spill_count: 0
    .symbol:         _ZN9rocsolver6v33100L18getri_kernel_smallILi6E19rocblas_complex_numIfEPKPS3_EEvT1_iilPiilS8_bb.kd
    .uniform_work_group_size: 1
    .uses_dynamic_stack: false
    .vgpr_count:     48
    .vgpr_spill_count: 0
    .wavefront_size: 64
  - .agpr_count:     0
    .args:
      - .address_space:  global
        .offset:         0
        .size:           8
        .value_kind:     global_buffer
      - .offset:         8
        .size:           4
        .value_kind:     by_value
      - .offset:         12
        .size:           4
        .value_kind:     by_value
      - .offset:         16
        .size:           8
        .value_kind:     by_value
      - .address_space:  global
        .offset:         24
        .size:           8
        .value_kind:     global_buffer
      - .offset:         32
        .size:           4
        .value_kind:     by_value
      - .offset:         40
        .size:           8
        .value_kind:     by_value
      - .address_space:  global
        .offset:         48
        .size:           8
        .value_kind:     global_buffer
      - .offset:         56
        .size:           1
        .value_kind:     by_value
      - .offset:         57
        .size:           1
        .value_kind:     by_value
    .group_segment_fixed_size: 120
    .kernarg_segment_align: 8
    .kernarg_segment_size: 60
    .language:       OpenCL C
    .language_version:
      - 2
      - 0
    .max_flat_workgroup_size: 64
    .name:           _ZN9rocsolver6v33100L18getri_kernel_smallILi7E19rocblas_complex_numIfEPKPS3_EEvT1_iilPiilS8_bb
    .private_segment_fixed_size: 64
    .sgpr_count:     23
    .sgpr_spill_count: 0
    .symbol:         _ZN9rocsolver6v33100L18getri_kernel_smallILi7E19rocblas_complex_numIfEPKPS3_EEvT1_iilPiilS8_bb.kd
    .uniform_work_group_size: 1
    .uses_dynamic_stack: false
    .vgpr_count:     54
    .vgpr_spill_count: 0
    .wavefront_size: 64
  - .agpr_count:     0
    .args:
      - .address_space:  global
        .offset:         0
        .size:           8
        .value_kind:     global_buffer
      - .offset:         8
        .size:           4
        .value_kind:     by_value
      - .offset:         12
        .size:           4
        .value_kind:     by_value
      - .offset:         16
        .size:           8
        .value_kind:     by_value
      - .address_space:  global
        .offset:         24
        .size:           8
        .value_kind:     global_buffer
      - .offset:         32
        .size:           4
        .value_kind:     by_value
      - .offset:         40
        .size:           8
        .value_kind:     by_value
      - .address_space:  global
        .offset:         48
        .size:           8
        .value_kind:     global_buffer
      - .offset:         56
        .size:           1
        .value_kind:     by_value
      - .offset:         57
        .size:           1
        .value_kind:     by_value
    .group_segment_fixed_size: 132
    .kernarg_segment_align: 8
    .kernarg_segment_size: 60
    .language:       OpenCL C
    .language_version:
      - 2
      - 0
    .max_flat_workgroup_size: 64
    .name:           _ZN9rocsolver6v33100L18getri_kernel_smallILi8E19rocblas_complex_numIfEPKPS3_EEvT1_iilPiilS8_bb
    .private_segment_fixed_size: 80
    .sgpr_count:     23
    .sgpr_spill_count: 0
    .symbol:         _ZN9rocsolver6v33100L18getri_kernel_smallILi8E19rocblas_complex_numIfEPKPS3_EEvT1_iilPiilS8_bb.kd
    .uniform_work_group_size: 1
    .uses_dynamic_stack: false
    .vgpr_count:     64
    .vgpr_spill_count: 0
    .wavefront_size: 64
  - .agpr_count:     0
    .args:
      - .address_space:  global
        .offset:         0
        .size:           8
        .value_kind:     global_buffer
      - .offset:         8
        .size:           4
        .value_kind:     by_value
      - .offset:         12
        .size:           4
        .value_kind:     by_value
      - .offset:         16
        .size:           8
        .value_kind:     by_value
      - .address_space:  global
        .offset:         24
        .size:           8
        .value_kind:     global_buffer
      - .offset:         32
        .size:           4
        .value_kind:     by_value
      - .offset:         40
        .size:           8
        .value_kind:     by_value
      - .address_space:  global
        .offset:         48
        .size:           8
        .value_kind:     global_buffer
      - .offset:         56
        .size:           1
        .value_kind:     by_value
      - .offset:         57
        .size:           1
        .value_kind:     by_value
    .group_segment_fixed_size: 152
    .kernarg_segment_align: 8
    .kernarg_segment_size: 60
    .language:       OpenCL C
    .language_version:
      - 2
      - 0
    .max_flat_workgroup_size: 64
    .name:           _ZN9rocsolver6v33100L18getri_kernel_smallILi9E19rocblas_complex_numIfEPKPS3_EEvT1_iilPiilS8_bb
    .private_segment_fixed_size: 80
    .sgpr_count:     23
    .sgpr_spill_count: 0
    .symbol:         _ZN9rocsolver6v33100L18getri_kernel_smallILi9E19rocblas_complex_numIfEPKPS3_EEvT1_iilPiilS8_bb.kd
    .uniform_work_group_size: 1
    .uses_dynamic_stack: false
    .vgpr_count:     70
    .vgpr_spill_count: 0
    .wavefront_size: 64
  - .agpr_count:     0
    .args:
      - .address_space:  global
        .offset:         0
        .size:           8
        .value_kind:     global_buffer
      - .offset:         8
        .size:           4
        .value_kind:     by_value
      - .offset:         12
        .size:           4
        .value_kind:     by_value
      - .offset:         16
        .size:           8
        .value_kind:     by_value
      - .address_space:  global
        .offset:         24
        .size:           8
        .value_kind:     global_buffer
      - .offset:         32
        .size:           4
        .value_kind:     by_value
      - .offset:         40
        .size:           8
        .value_kind:     by_value
      - .address_space:  global
        .offset:         48
        .size:           8
        .value_kind:     global_buffer
      - .offset:         56
        .size:           1
        .value_kind:     by_value
      - .offset:         57
        .size:           1
        .value_kind:     by_value
    .group_segment_fixed_size: 164
    .kernarg_segment_align: 8
    .kernarg_segment_size: 60
    .language:       OpenCL C
    .language_version:
      - 2
      - 0
    .max_flat_workgroup_size: 64
    .name:           _ZN9rocsolver6v33100L18getri_kernel_smallILi10E19rocblas_complex_numIfEPKPS3_EEvT1_iilPiilS8_bb
    .private_segment_fixed_size: 96
    .sgpr_count:     23
    .sgpr_spill_count: 0
    .symbol:         _ZN9rocsolver6v33100L18getri_kernel_smallILi10E19rocblas_complex_numIfEPKPS3_EEvT1_iilPiilS8_bb.kd
    .uniform_work_group_size: 1
    .uses_dynamic_stack: false
    .vgpr_count:     78
    .vgpr_spill_count: 0
    .wavefront_size: 64
  - .agpr_count:     0
    .args:
      - .address_space:  global
        .offset:         0
        .size:           8
        .value_kind:     global_buffer
      - .offset:         8
        .size:           4
        .value_kind:     by_value
      - .offset:         12
        .size:           4
        .value_kind:     by_value
      - .offset:         16
        .size:           8
        .value_kind:     by_value
      - .address_space:  global
        .offset:         24
        .size:           8
        .value_kind:     global_buffer
      - .offset:         32
        .size:           4
        .value_kind:     by_value
      - .offset:         40
        .size:           8
        .value_kind:     by_value
      - .address_space:  global
        .offset:         48
        .size:           8
        .value_kind:     global_buffer
      - .offset:         56
        .size:           1
        .value_kind:     by_value
      - .offset:         57
        .size:           1
        .value_kind:     by_value
    .group_segment_fixed_size: 184
    .kernarg_segment_align: 8
    .kernarg_segment_size: 60
    .language:       OpenCL C
    .language_version:
      - 2
      - 0
    .max_flat_workgroup_size: 64
    .name:           _ZN9rocsolver6v33100L18getri_kernel_smallILi11E19rocblas_complex_numIfEPKPS3_EEvT1_iilPiilS8_bb
    .private_segment_fixed_size: 96
    .sgpr_count:     23
    .sgpr_spill_count: 0
    .symbol:         _ZN9rocsolver6v33100L18getri_kernel_smallILi11E19rocblas_complex_numIfEPKPS3_EEvT1_iilPiilS8_bb.kd
    .uniform_work_group_size: 1
    .uses_dynamic_stack: false
    .vgpr_count:     84
    .vgpr_spill_count: 0
    .wavefront_size: 64
  - .agpr_count:     0
    .args:
      - .address_space:  global
        .offset:         0
        .size:           8
        .value_kind:     global_buffer
      - .offset:         8
        .size:           4
        .value_kind:     by_value
      - .offset:         12
        .size:           4
        .value_kind:     by_value
      - .offset:         16
        .size:           8
        .value_kind:     by_value
      - .address_space:  global
        .offset:         24
        .size:           8
        .value_kind:     global_buffer
      - .offset:         32
        .size:           4
        .value_kind:     by_value
      - .offset:         40
        .size:           8
        .value_kind:     by_value
      - .address_space:  global
        .offset:         48
        .size:           8
        .value_kind:     global_buffer
      - .offset:         56
        .size:           1
        .value_kind:     by_value
      - .offset:         57
        .size:           1
        .value_kind:     by_value
    .group_segment_fixed_size: 196
    .kernarg_segment_align: 8
    .kernarg_segment_size: 60
    .language:       OpenCL C
    .language_version:
      - 2
      - 0
    .max_flat_workgroup_size: 64
    .name:           _ZN9rocsolver6v33100L18getri_kernel_smallILi12E19rocblas_complex_numIfEPKPS3_EEvT1_iilPiilS8_bb
    .private_segment_fixed_size: 112
    .sgpr_count:     23
    .sgpr_spill_count: 0
    .symbol:         _ZN9rocsolver6v33100L18getri_kernel_smallILi12E19rocblas_complex_numIfEPKPS3_EEvT1_iilPiilS8_bb.kd
    .uniform_work_group_size: 1
    .uses_dynamic_stack: false
    .vgpr_count:     92
    .vgpr_spill_count: 0
    .wavefront_size: 64
  - .agpr_count:     0
    .args:
      - .address_space:  global
        .offset:         0
        .size:           8
        .value_kind:     global_buffer
      - .offset:         8
        .size:           4
        .value_kind:     by_value
      - .offset:         12
        .size:           4
        .value_kind:     by_value
      - .offset:         16
        .size:           8
        .value_kind:     by_value
      - .address_space:  global
        .offset:         24
        .size:           8
        .value_kind:     global_buffer
      - .offset:         32
        .size:           4
        .value_kind:     by_value
      - .offset:         40
        .size:           8
        .value_kind:     by_value
      - .address_space:  global
        .offset:         48
        .size:           8
        .value_kind:     global_buffer
      - .offset:         56
        .size:           1
        .value_kind:     by_value
      - .offset:         57
        .size:           1
        .value_kind:     by_value
    .group_segment_fixed_size: 216
    .kernarg_segment_align: 8
    .kernarg_segment_size: 60
    .language:       OpenCL C
    .language_version:
      - 2
      - 0
    .max_flat_workgroup_size: 64
    .name:           _ZN9rocsolver6v33100L18getri_kernel_smallILi13E19rocblas_complex_numIfEPKPS3_EEvT1_iilPiilS8_bb
    .private_segment_fixed_size: 112
    .sgpr_count:     23
    .sgpr_spill_count: 0
    .symbol:         _ZN9rocsolver6v33100L18getri_kernel_smallILi13E19rocblas_complex_numIfEPKPS3_EEvT1_iilPiilS8_bb.kd
    .uniform_work_group_size: 1
    .uses_dynamic_stack: false
    .vgpr_count:     96
    .vgpr_spill_count: 0
    .wavefront_size: 64
  - .agpr_count:     0
    .args:
      - .address_space:  global
        .offset:         0
        .size:           8
        .value_kind:     global_buffer
      - .offset:         8
        .size:           4
        .value_kind:     by_value
      - .offset:         12
        .size:           4
        .value_kind:     by_value
      - .offset:         16
        .size:           8
        .value_kind:     by_value
      - .address_space:  global
        .offset:         24
        .size:           8
        .value_kind:     global_buffer
      - .offset:         32
        .size:           4
        .value_kind:     by_value
      - .offset:         40
        .size:           8
        .value_kind:     by_value
      - .address_space:  global
        .offset:         48
        .size:           8
        .value_kind:     global_buffer
      - .offset:         56
        .size:           1
        .value_kind:     by_value
      - .offset:         57
        .size:           1
        .value_kind:     by_value
    .group_segment_fixed_size: 228
    .kernarg_segment_align: 8
    .kernarg_segment_size: 60
    .language:       OpenCL C
    .language_version:
      - 2
      - 0
    .max_flat_workgroup_size: 64
    .name:           _ZN9rocsolver6v33100L18getri_kernel_smallILi14E19rocblas_complex_numIfEPKPS3_EEvT1_iilPiilS8_bb
    .private_segment_fixed_size: 128
    .sgpr_count:     23
    .sgpr_spill_count: 0
    .symbol:         _ZN9rocsolver6v33100L18getri_kernel_smallILi14E19rocblas_complex_numIfEPKPS3_EEvT1_iilPiilS8_bb.kd
    .uniform_work_group_size: 1
    .uses_dynamic_stack: false
    .vgpr_count:     104
    .vgpr_spill_count: 0
    .wavefront_size: 64
  - .agpr_count:     0
    .args:
      - .address_space:  global
        .offset:         0
        .size:           8
        .value_kind:     global_buffer
      - .offset:         8
        .size:           4
        .value_kind:     by_value
      - .offset:         12
        .size:           4
        .value_kind:     by_value
      - .offset:         16
        .size:           8
        .value_kind:     by_value
      - .address_space:  global
        .offset:         24
        .size:           8
        .value_kind:     global_buffer
      - .offset:         32
        .size:           4
        .value_kind:     by_value
      - .offset:         40
        .size:           8
        .value_kind:     by_value
      - .address_space:  global
        .offset:         48
        .size:           8
        .value_kind:     global_buffer
      - .offset:         56
        .size:           1
        .value_kind:     by_value
      - .offset:         57
        .size:           1
        .value_kind:     by_value
    .group_segment_fixed_size: 248
    .kernarg_segment_align: 8
    .kernarg_segment_size: 60
    .language:       OpenCL C
    .language_version:
      - 2
      - 0
    .max_flat_workgroup_size: 64
    .name:           _ZN9rocsolver6v33100L18getri_kernel_smallILi15E19rocblas_complex_numIfEPKPS3_EEvT1_iilPiilS8_bb
    .private_segment_fixed_size: 128
    .sgpr_count:     23
    .sgpr_spill_count: 0
    .symbol:         _ZN9rocsolver6v33100L18getri_kernel_smallILi15E19rocblas_complex_numIfEPKPS3_EEvT1_iilPiilS8_bb.kd
    .uniform_work_group_size: 1
    .uses_dynamic_stack: false
    .vgpr_count:     108
    .vgpr_spill_count: 0
    .wavefront_size: 64
  - .agpr_count:     0
    .args:
      - .address_space:  global
        .offset:         0
        .size:           8
        .value_kind:     global_buffer
      - .offset:         8
        .size:           4
        .value_kind:     by_value
      - .offset:         12
        .size:           4
        .value_kind:     by_value
      - .offset:         16
        .size:           8
        .value_kind:     by_value
      - .address_space:  global
        .offset:         24
        .size:           8
        .value_kind:     global_buffer
      - .offset:         32
        .size:           4
        .value_kind:     by_value
      - .offset:         40
        .size:           8
        .value_kind:     by_value
      - .address_space:  global
        .offset:         48
        .size:           8
        .value_kind:     global_buffer
      - .offset:         56
        .size:           1
        .value_kind:     by_value
      - .offset:         57
        .size:           1
        .value_kind:     by_value
    .group_segment_fixed_size: 260
    .kernarg_segment_align: 8
    .kernarg_segment_size: 60
    .language:       OpenCL C
    .language_version:
      - 2
      - 0
    .max_flat_workgroup_size: 64
    .name:           _ZN9rocsolver6v33100L18getri_kernel_smallILi16E19rocblas_complex_numIfEPKPS3_EEvT1_iilPiilS8_bb
    .private_segment_fixed_size: 144
    .sgpr_count:     23
    .sgpr_spill_count: 0
    .symbol:         _ZN9rocsolver6v33100L18getri_kernel_smallILi16E19rocblas_complex_numIfEPKPS3_EEvT1_iilPiilS8_bb.kd
    .uniform_work_group_size: 1
    .uses_dynamic_stack: false
    .vgpr_count:     114
    .vgpr_spill_count: 0
    .wavefront_size: 64
  - .agpr_count:     0
    .args:
      - .address_space:  global
        .offset:         0
        .size:           8
        .value_kind:     global_buffer
      - .offset:         8
        .size:           4
        .value_kind:     by_value
      - .offset:         12
        .size:           4
        .value_kind:     by_value
      - .offset:         16
        .size:           8
        .value_kind:     by_value
      - .address_space:  global
        .offset:         24
        .size:           8
        .value_kind:     global_buffer
      - .offset:         32
        .size:           4
        .value_kind:     by_value
      - .offset:         40
        .size:           8
        .value_kind:     by_value
      - .address_space:  global
        .offset:         48
        .size:           8
        .value_kind:     global_buffer
      - .offset:         56
        .size:           1
        .value_kind:     by_value
      - .offset:         57
        .size:           1
        .value_kind:     by_value
    .group_segment_fixed_size: 280
    .kernarg_segment_align: 8
    .kernarg_segment_size: 60
    .language:       OpenCL C
    .language_version:
      - 2
      - 0
    .max_flat_workgroup_size: 64
    .name:           _ZN9rocsolver6v33100L18getri_kernel_smallILi17E19rocblas_complex_numIfEPKPS3_EEvT1_iilPiilS8_bb
    .private_segment_fixed_size: 144
    .sgpr_count:     23
    .sgpr_spill_count: 0
    .symbol:         _ZN9rocsolver6v33100L18getri_kernel_smallILi17E19rocblas_complex_numIfEPKPS3_EEvT1_iilPiilS8_bb.kd
    .uniform_work_group_size: 1
    .uses_dynamic_stack: false
    .vgpr_count:     119
    .vgpr_spill_count: 0
    .wavefront_size: 64
  - .agpr_count:     0
    .args:
      - .address_space:  global
        .offset:         0
        .size:           8
        .value_kind:     global_buffer
      - .offset:         8
        .size:           4
        .value_kind:     by_value
      - .offset:         12
        .size:           4
        .value_kind:     by_value
      - .offset:         16
        .size:           8
        .value_kind:     by_value
      - .address_space:  global
        .offset:         24
        .size:           8
        .value_kind:     global_buffer
      - .offset:         32
        .size:           4
        .value_kind:     by_value
      - .offset:         40
        .size:           8
        .value_kind:     by_value
      - .address_space:  global
        .offset:         48
        .size:           8
        .value_kind:     global_buffer
      - .offset:         56
        .size:           1
        .value_kind:     by_value
      - .offset:         57
        .size:           1
        .value_kind:     by_value
    .group_segment_fixed_size: 292
    .kernarg_segment_align: 8
    .kernarg_segment_size: 60
    .language:       OpenCL C
    .language_version:
      - 2
      - 0
    .max_flat_workgroup_size: 64
    .name:           _ZN9rocsolver6v33100L18getri_kernel_smallILi18E19rocblas_complex_numIfEPKPS3_EEvT1_iilPiilS8_bb
    .private_segment_fixed_size: 160
    .sgpr_count:     23
    .sgpr_spill_count: 0
    .symbol:         _ZN9rocsolver6v33100L18getri_kernel_smallILi18E19rocblas_complex_numIfEPKPS3_EEvT1_iilPiilS8_bb.kd
    .uniform_work_group_size: 1
    .uses_dynamic_stack: false
    .vgpr_count:     124
    .vgpr_spill_count: 0
    .wavefront_size: 64
  - .agpr_count:     0
    .args:
      - .address_space:  global
        .offset:         0
        .size:           8
        .value_kind:     global_buffer
      - .offset:         8
        .size:           4
        .value_kind:     by_value
      - .offset:         12
        .size:           4
        .value_kind:     by_value
      - .offset:         16
        .size:           8
        .value_kind:     by_value
      - .address_space:  global
        .offset:         24
        .size:           8
        .value_kind:     global_buffer
      - .offset:         32
        .size:           4
        .value_kind:     by_value
      - .offset:         40
        .size:           8
        .value_kind:     by_value
      - .address_space:  global
        .offset:         48
        .size:           8
        .value_kind:     global_buffer
      - .offset:         56
        .size:           1
        .value_kind:     by_value
      - .offset:         57
        .size:           1
        .value_kind:     by_value
    .group_segment_fixed_size: 312
    .kernarg_segment_align: 8
    .kernarg_segment_size: 60
    .language:       OpenCL C
    .language_version:
      - 2
      - 0
    .max_flat_workgroup_size: 64
    .name:           _ZN9rocsolver6v33100L18getri_kernel_smallILi19E19rocblas_complex_numIfEPKPS3_EEvT1_iilPiilS8_bb
    .private_segment_fixed_size: 160
    .sgpr_count:     23
    .sgpr_spill_count: 0
    .symbol:         _ZN9rocsolver6v33100L18getri_kernel_smallILi19E19rocblas_complex_numIfEPKPS3_EEvT1_iilPiilS8_bb.kd
    .uniform_work_group_size: 1
    .uses_dynamic_stack: false
    .vgpr_count:     129
    .vgpr_spill_count: 0
    .wavefront_size: 64
  - .agpr_count:     0
    .args:
      - .address_space:  global
        .offset:         0
        .size:           8
        .value_kind:     global_buffer
      - .offset:         8
        .size:           4
        .value_kind:     by_value
      - .offset:         12
        .size:           4
        .value_kind:     by_value
      - .offset:         16
        .size:           8
        .value_kind:     by_value
      - .address_space:  global
        .offset:         24
        .size:           8
        .value_kind:     global_buffer
      - .offset:         32
        .size:           4
        .value_kind:     by_value
      - .offset:         40
        .size:           8
        .value_kind:     by_value
      - .address_space:  global
        .offset:         48
        .size:           8
        .value_kind:     global_buffer
      - .offset:         56
        .size:           1
        .value_kind:     by_value
      - .offset:         57
        .size:           1
        .value_kind:     by_value
    .group_segment_fixed_size: 324
    .kernarg_segment_align: 8
    .kernarg_segment_size: 60
    .language:       OpenCL C
    .language_version:
      - 2
      - 0
    .max_flat_workgroup_size: 64
    .name:           _ZN9rocsolver6v33100L18getri_kernel_smallILi20E19rocblas_complex_numIfEPKPS3_EEvT1_iilPiilS8_bb
    .private_segment_fixed_size: 176
    .sgpr_count:     23
    .sgpr_spill_count: 0
    .symbol:         _ZN9rocsolver6v33100L18getri_kernel_smallILi20E19rocblas_complex_numIfEPKPS3_EEvT1_iilPiilS8_bb.kd
    .uniform_work_group_size: 1
    .uses_dynamic_stack: false
    .vgpr_count:     130
    .vgpr_spill_count: 0
    .wavefront_size: 64
  - .agpr_count:     0
    .args:
      - .address_space:  global
        .offset:         0
        .size:           8
        .value_kind:     global_buffer
      - .offset:         8
        .size:           4
        .value_kind:     by_value
      - .offset:         12
        .size:           4
        .value_kind:     by_value
      - .offset:         16
        .size:           8
        .value_kind:     by_value
      - .address_space:  global
        .offset:         24
        .size:           8
        .value_kind:     global_buffer
      - .offset:         32
        .size:           4
        .value_kind:     by_value
      - .offset:         40
        .size:           8
        .value_kind:     by_value
      - .address_space:  global
        .offset:         48
        .size:           8
        .value_kind:     global_buffer
      - .offset:         56
        .size:           1
        .value_kind:     by_value
      - .offset:         57
        .size:           1
        .value_kind:     by_value
    .group_segment_fixed_size: 344
    .kernarg_segment_align: 8
    .kernarg_segment_size: 60
    .language:       OpenCL C
    .language_version:
      - 2
      - 0
    .max_flat_workgroup_size: 64
    .name:           _ZN9rocsolver6v33100L18getri_kernel_smallILi21E19rocblas_complex_numIfEPKPS3_EEvT1_iilPiilS8_bb
    .private_segment_fixed_size: 176
    .sgpr_count:     23
    .sgpr_spill_count: 0
    .symbol:         _ZN9rocsolver6v33100L18getri_kernel_smallILi21E19rocblas_complex_numIfEPKPS3_EEvT1_iilPiilS8_bb.kd
    .uniform_work_group_size: 1
    .uses_dynamic_stack: false
    .vgpr_count:     129
    .vgpr_spill_count: 0
    .wavefront_size: 64
  - .agpr_count:     0
    .args:
      - .address_space:  global
        .offset:         0
        .size:           8
        .value_kind:     global_buffer
      - .offset:         8
        .size:           4
        .value_kind:     by_value
      - .offset:         12
        .size:           4
        .value_kind:     by_value
      - .offset:         16
        .size:           8
        .value_kind:     by_value
      - .address_space:  global
        .offset:         24
        .size:           8
        .value_kind:     global_buffer
      - .offset:         32
        .size:           4
        .value_kind:     by_value
      - .offset:         40
        .size:           8
        .value_kind:     by_value
      - .address_space:  global
        .offset:         48
        .size:           8
        .value_kind:     global_buffer
      - .offset:         56
        .size:           1
        .value_kind:     by_value
      - .offset:         57
        .size:           1
        .value_kind:     by_value
    .group_segment_fixed_size: 356
    .kernarg_segment_align: 8
    .kernarg_segment_size: 60
    .language:       OpenCL C
    .language_version:
      - 2
      - 0
    .max_flat_workgroup_size: 64
    .name:           _ZN9rocsolver6v33100L18getri_kernel_smallILi22E19rocblas_complex_numIfEPKPS3_EEvT1_iilPiilS8_bb
    .private_segment_fixed_size: 192
    .sgpr_count:     23
    .sgpr_spill_count: 0
    .symbol:         _ZN9rocsolver6v33100L18getri_kernel_smallILi22E19rocblas_complex_numIfEPKPS3_EEvT1_iilPiilS8_bb.kd
    .uniform_work_group_size: 1
    .uses_dynamic_stack: false
    .vgpr_count:     128
    .vgpr_spill_count: 0
    .wavefront_size: 64
  - .agpr_count:     0
    .args:
      - .address_space:  global
        .offset:         0
        .size:           8
        .value_kind:     global_buffer
      - .offset:         8
        .size:           4
        .value_kind:     by_value
      - .offset:         12
        .size:           4
        .value_kind:     by_value
      - .offset:         16
        .size:           8
        .value_kind:     by_value
      - .address_space:  global
        .offset:         24
        .size:           8
        .value_kind:     global_buffer
      - .offset:         32
        .size:           4
        .value_kind:     by_value
      - .offset:         40
        .size:           8
        .value_kind:     by_value
      - .address_space:  global
        .offset:         48
        .size:           8
        .value_kind:     global_buffer
      - .offset:         56
        .size:           1
        .value_kind:     by_value
      - .offset:         57
        .size:           1
        .value_kind:     by_value
    .group_segment_fixed_size: 376
    .kernarg_segment_align: 8
    .kernarg_segment_size: 60
    .language:       OpenCL C
    .language_version:
      - 2
      - 0
    .max_flat_workgroup_size: 64
    .name:           _ZN9rocsolver6v33100L18getri_kernel_smallILi23E19rocblas_complex_numIfEPKPS3_EEvT1_iilPiilS8_bb
    .private_segment_fixed_size: 192
    .sgpr_count:     23
    .sgpr_spill_count: 0
    .symbol:         _ZN9rocsolver6v33100L18getri_kernel_smallILi23E19rocblas_complex_numIfEPKPS3_EEvT1_iilPiilS8_bb.kd
    .uniform_work_group_size: 1
    .uses_dynamic_stack: false
    .vgpr_count:     130
    .vgpr_spill_count: 0
    .wavefront_size: 64
  - .agpr_count:     0
    .args:
      - .address_space:  global
        .offset:         0
        .size:           8
        .value_kind:     global_buffer
      - .offset:         8
        .size:           4
        .value_kind:     by_value
      - .offset:         12
        .size:           4
        .value_kind:     by_value
      - .offset:         16
        .size:           8
        .value_kind:     by_value
      - .address_space:  global
        .offset:         24
        .size:           8
        .value_kind:     global_buffer
      - .offset:         32
        .size:           4
        .value_kind:     by_value
      - .offset:         40
        .size:           8
        .value_kind:     by_value
      - .address_space:  global
        .offset:         48
        .size:           8
        .value_kind:     global_buffer
      - .offset:         56
        .size:           1
        .value_kind:     by_value
      - .offset:         57
        .size:           1
        .value_kind:     by_value
    .group_segment_fixed_size: 388
    .kernarg_segment_align: 8
    .kernarg_segment_size: 60
    .language:       OpenCL C
    .language_version:
      - 2
      - 0
    .max_flat_workgroup_size: 64
    .name:           _ZN9rocsolver6v33100L18getri_kernel_smallILi24E19rocblas_complex_numIfEPKPS3_EEvT1_iilPiilS8_bb
    .private_segment_fixed_size: 208
    .sgpr_count:     23
    .sgpr_spill_count: 0
    .symbol:         _ZN9rocsolver6v33100L18getri_kernel_smallILi24E19rocblas_complex_numIfEPKPS3_EEvT1_iilPiilS8_bb.kd
    .uniform_work_group_size: 1
    .uses_dynamic_stack: false
    .vgpr_count:     144
    .vgpr_spill_count: 0
    .wavefront_size: 64
  - .agpr_count:     0
    .args:
      - .address_space:  global
        .offset:         0
        .size:           8
        .value_kind:     global_buffer
      - .offset:         8
        .size:           4
        .value_kind:     by_value
      - .offset:         12
        .size:           4
        .value_kind:     by_value
      - .offset:         16
        .size:           8
        .value_kind:     by_value
      - .address_space:  global
        .offset:         24
        .size:           8
        .value_kind:     global_buffer
      - .offset:         32
        .size:           4
        .value_kind:     by_value
      - .offset:         40
        .size:           8
        .value_kind:     by_value
      - .address_space:  global
        .offset:         48
        .size:           8
        .value_kind:     global_buffer
      - .offset:         56
        .size:           1
        .value_kind:     by_value
      - .offset:         57
        .size:           1
        .value_kind:     by_value
    .group_segment_fixed_size: 408
    .kernarg_segment_align: 8
    .kernarg_segment_size: 60
    .language:       OpenCL C
    .language_version:
      - 2
      - 0
    .max_flat_workgroup_size: 64
    .name:           _ZN9rocsolver6v33100L18getri_kernel_smallILi25E19rocblas_complex_numIfEPKPS3_EEvT1_iilPiilS8_bb
    .private_segment_fixed_size: 208
    .sgpr_count:     23
    .sgpr_spill_count: 0
    .symbol:         _ZN9rocsolver6v33100L18getri_kernel_smallILi25E19rocblas_complex_numIfEPKPS3_EEvT1_iilPiilS8_bb.kd
    .uniform_work_group_size: 1
    .uses_dynamic_stack: false
    .vgpr_count:     149
    .vgpr_spill_count: 0
    .wavefront_size: 64
  - .agpr_count:     0
    .args:
      - .address_space:  global
        .offset:         0
        .size:           8
        .value_kind:     global_buffer
      - .offset:         8
        .size:           4
        .value_kind:     by_value
      - .offset:         12
        .size:           4
        .value_kind:     by_value
      - .offset:         16
        .size:           8
        .value_kind:     by_value
      - .address_space:  global
        .offset:         24
        .size:           8
        .value_kind:     global_buffer
      - .offset:         32
        .size:           4
        .value_kind:     by_value
      - .offset:         40
        .size:           8
        .value_kind:     by_value
      - .address_space:  global
        .offset:         48
        .size:           8
        .value_kind:     global_buffer
      - .offset:         56
        .size:           1
        .value_kind:     by_value
      - .offset:         57
        .size:           1
        .value_kind:     by_value
    .group_segment_fixed_size: 420
    .kernarg_segment_align: 8
    .kernarg_segment_size: 60
    .language:       OpenCL C
    .language_version:
      - 2
      - 0
    .max_flat_workgroup_size: 64
    .name:           _ZN9rocsolver6v33100L18getri_kernel_smallILi26E19rocblas_complex_numIfEPKPS3_EEvT1_iilPiilS8_bb
    .private_segment_fixed_size: 224
    .sgpr_count:     23
    .sgpr_spill_count: 0
    .symbol:         _ZN9rocsolver6v33100L18getri_kernel_smallILi26E19rocblas_complex_numIfEPKPS3_EEvT1_iilPiilS8_bb.kd
    .uniform_work_group_size: 1
    .uses_dynamic_stack: false
    .vgpr_count:     162
    .vgpr_spill_count: 0
    .wavefront_size: 64
  - .agpr_count:     0
    .args:
      - .address_space:  global
        .offset:         0
        .size:           8
        .value_kind:     global_buffer
      - .offset:         8
        .size:           4
        .value_kind:     by_value
      - .offset:         12
        .size:           4
        .value_kind:     by_value
      - .offset:         16
        .size:           8
        .value_kind:     by_value
      - .address_space:  global
        .offset:         24
        .size:           8
        .value_kind:     global_buffer
      - .offset:         32
        .size:           4
        .value_kind:     by_value
      - .offset:         40
        .size:           8
        .value_kind:     by_value
      - .address_space:  global
        .offset:         48
        .size:           8
        .value_kind:     global_buffer
      - .offset:         56
        .size:           1
        .value_kind:     by_value
      - .offset:         57
        .size:           1
        .value_kind:     by_value
    .group_segment_fixed_size: 440
    .kernarg_segment_align: 8
    .kernarg_segment_size: 60
    .language:       OpenCL C
    .language_version:
      - 2
      - 0
    .max_flat_workgroup_size: 64
    .name:           _ZN9rocsolver6v33100L18getri_kernel_smallILi27E19rocblas_complex_numIfEPKPS3_EEvT1_iilPiilS8_bb
    .private_segment_fixed_size: 224
    .sgpr_count:     23
    .sgpr_spill_count: 0
    .symbol:         _ZN9rocsolver6v33100L18getri_kernel_smallILi27E19rocblas_complex_numIfEPKPS3_EEvT1_iilPiilS8_bb.kd
    .uniform_work_group_size: 1
    .uses_dynamic_stack: false
    .vgpr_count:     167
    .vgpr_spill_count: 0
    .wavefront_size: 64
  - .agpr_count:     0
    .args:
      - .address_space:  global
        .offset:         0
        .size:           8
        .value_kind:     global_buffer
      - .offset:         8
        .size:           4
        .value_kind:     by_value
      - .offset:         12
        .size:           4
        .value_kind:     by_value
      - .offset:         16
        .size:           8
        .value_kind:     by_value
      - .address_space:  global
        .offset:         24
        .size:           8
        .value_kind:     global_buffer
      - .offset:         32
        .size:           4
        .value_kind:     by_value
      - .offset:         40
        .size:           8
        .value_kind:     by_value
      - .address_space:  global
        .offset:         48
        .size:           8
        .value_kind:     global_buffer
      - .offset:         56
        .size:           1
        .value_kind:     by_value
      - .offset:         57
        .size:           1
        .value_kind:     by_value
    .group_segment_fixed_size: 452
    .kernarg_segment_align: 8
    .kernarg_segment_size: 60
    .language:       OpenCL C
    .language_version:
      - 2
      - 0
    .max_flat_workgroup_size: 64
    .name:           _ZN9rocsolver6v33100L18getri_kernel_smallILi28E19rocblas_complex_numIfEPKPS3_EEvT1_iilPiilS8_bb
    .private_segment_fixed_size: 240
    .sgpr_count:     23
    .sgpr_spill_count: 0
    .symbol:         _ZN9rocsolver6v33100L18getri_kernel_smallILi28E19rocblas_complex_numIfEPKPS3_EEvT1_iilPiilS8_bb.kd
    .uniform_work_group_size: 1
    .uses_dynamic_stack: false
    .vgpr_count:     158
    .vgpr_spill_count: 0
    .wavefront_size: 64
  - .agpr_count:     0
    .args:
      - .address_space:  global
        .offset:         0
        .size:           8
        .value_kind:     global_buffer
      - .offset:         8
        .size:           4
        .value_kind:     by_value
      - .offset:         12
        .size:           4
        .value_kind:     by_value
      - .offset:         16
        .size:           8
        .value_kind:     by_value
      - .address_space:  global
        .offset:         24
        .size:           8
        .value_kind:     global_buffer
      - .offset:         32
        .size:           4
        .value_kind:     by_value
      - .offset:         40
        .size:           8
        .value_kind:     by_value
      - .address_space:  global
        .offset:         48
        .size:           8
        .value_kind:     global_buffer
      - .offset:         56
        .size:           1
        .value_kind:     by_value
      - .offset:         57
        .size:           1
        .value_kind:     by_value
    .group_segment_fixed_size: 472
    .kernarg_segment_align: 8
    .kernarg_segment_size: 60
    .language:       OpenCL C
    .language_version:
      - 2
      - 0
    .max_flat_workgroup_size: 64
    .name:           _ZN9rocsolver6v33100L18getri_kernel_smallILi29E19rocblas_complex_numIfEPKPS3_EEvT1_iilPiilS8_bb
    .private_segment_fixed_size: 240
    .sgpr_count:     23
    .sgpr_spill_count: 0
    .symbol:         _ZN9rocsolver6v33100L18getri_kernel_smallILi29E19rocblas_complex_numIfEPKPS3_EEvT1_iilPiilS8_bb.kd
    .uniform_work_group_size: 1
    .uses_dynamic_stack: false
    .vgpr_count:     164
    .vgpr_spill_count: 0
    .wavefront_size: 64
  - .agpr_count:     0
    .args:
      - .address_space:  global
        .offset:         0
        .size:           8
        .value_kind:     global_buffer
      - .offset:         8
        .size:           4
        .value_kind:     by_value
      - .offset:         12
        .size:           4
        .value_kind:     by_value
      - .offset:         16
        .size:           8
        .value_kind:     by_value
      - .address_space:  global
        .offset:         24
        .size:           8
        .value_kind:     global_buffer
      - .offset:         32
        .size:           4
        .value_kind:     by_value
      - .offset:         40
        .size:           8
        .value_kind:     by_value
      - .address_space:  global
        .offset:         48
        .size:           8
        .value_kind:     global_buffer
      - .offset:         56
        .size:           1
        .value_kind:     by_value
      - .offset:         57
        .size:           1
        .value_kind:     by_value
    .group_segment_fixed_size: 484
    .kernarg_segment_align: 8
    .kernarg_segment_size: 60
    .language:       OpenCL C
    .language_version:
      - 2
      - 0
    .max_flat_workgroup_size: 64
    .name:           _ZN9rocsolver6v33100L18getri_kernel_smallILi30E19rocblas_complex_numIfEPKPS3_EEvT1_iilPiilS8_bb
    .private_segment_fixed_size: 256
    .sgpr_count:     23
    .sgpr_spill_count: 0
    .symbol:         _ZN9rocsolver6v33100L18getri_kernel_smallILi30E19rocblas_complex_numIfEPKPS3_EEvT1_iilPiilS8_bb.kd
    .uniform_work_group_size: 1
    .uses_dynamic_stack: false
    .vgpr_count:     170
    .vgpr_spill_count: 0
    .wavefront_size: 64
  - .agpr_count:     0
    .args:
      - .address_space:  global
        .offset:         0
        .size:           8
        .value_kind:     global_buffer
      - .offset:         8
        .size:           4
        .value_kind:     by_value
      - .offset:         12
        .size:           4
        .value_kind:     by_value
      - .offset:         16
        .size:           8
        .value_kind:     by_value
      - .address_space:  global
        .offset:         24
        .size:           8
        .value_kind:     global_buffer
      - .offset:         32
        .size:           4
        .value_kind:     by_value
      - .offset:         40
        .size:           8
        .value_kind:     by_value
      - .address_space:  global
        .offset:         48
        .size:           8
        .value_kind:     global_buffer
      - .offset:         56
        .size:           1
        .value_kind:     by_value
      - .offset:         57
        .size:           1
        .value_kind:     by_value
    .group_segment_fixed_size: 504
    .kernarg_segment_align: 8
    .kernarg_segment_size: 60
    .language:       OpenCL C
    .language_version:
      - 2
      - 0
    .max_flat_workgroup_size: 64
    .name:           _ZN9rocsolver6v33100L18getri_kernel_smallILi31E19rocblas_complex_numIfEPKPS3_EEvT1_iilPiilS8_bb
    .private_segment_fixed_size: 256
    .sgpr_count:     23
    .sgpr_spill_count: 0
    .symbol:         _ZN9rocsolver6v33100L18getri_kernel_smallILi31E19rocblas_complex_numIfEPKPS3_EEvT1_iilPiilS8_bb.kd
    .uniform_work_group_size: 1
    .uses_dynamic_stack: false
    .vgpr_count:     195
    .vgpr_spill_count: 0
    .wavefront_size: 64
  - .agpr_count:     0
    .args:
      - .address_space:  global
        .offset:         0
        .size:           8
        .value_kind:     global_buffer
      - .offset:         8
        .size:           4
        .value_kind:     by_value
      - .offset:         12
        .size:           4
        .value_kind:     by_value
      - .offset:         16
        .size:           8
        .value_kind:     by_value
      - .address_space:  global
        .offset:         24
        .size:           8
        .value_kind:     global_buffer
      - .offset:         32
        .size:           4
        .value_kind:     by_value
      - .offset:         40
        .size:           8
        .value_kind:     by_value
      - .address_space:  global
        .offset:         48
        .size:           8
        .value_kind:     global_buffer
      - .offset:         56
        .size:           1
        .value_kind:     by_value
      - .offset:         57
        .size:           1
        .value_kind:     by_value
    .group_segment_fixed_size: 516
    .kernarg_segment_align: 8
    .kernarg_segment_size: 60
    .language:       OpenCL C
    .language_version:
      - 2
      - 0
    .max_flat_workgroup_size: 64
    .name:           _ZN9rocsolver6v33100L18getri_kernel_smallILi32E19rocblas_complex_numIfEPKPS3_EEvT1_iilPiilS8_bb
    .private_segment_fixed_size: 272
    .sgpr_count:     23
    .sgpr_spill_count: 0
    .symbol:         _ZN9rocsolver6v33100L18getri_kernel_smallILi32E19rocblas_complex_numIfEPKPS3_EEvT1_iilPiilS8_bb.kd
    .uniform_work_group_size: 1
    .uses_dynamic_stack: false
    .vgpr_count:     200
    .vgpr_spill_count: 0
    .wavefront_size: 64
  - .agpr_count:     0
    .args:
      - .address_space:  global
        .offset:         0
        .size:           8
        .value_kind:     global_buffer
      - .offset:         8
        .size:           4
        .value_kind:     by_value
      - .offset:         12
        .size:           4
        .value_kind:     by_value
      - .offset:         16
        .size:           8
        .value_kind:     by_value
      - .address_space:  global
        .offset:         24
        .size:           8
        .value_kind:     global_buffer
      - .offset:         32
        .size:           4
        .value_kind:     by_value
      - .offset:         40
        .size:           8
        .value_kind:     by_value
      - .address_space:  global
        .offset:         48
        .size:           8
        .value_kind:     global_buffer
      - .offset:         56
        .size:           1
        .value_kind:     by_value
      - .offset:         57
        .size:           1
        .value_kind:     by_value
    .group_segment_fixed_size: 536
    .kernarg_segment_align: 8
    .kernarg_segment_size: 60
    .language:       OpenCL C
    .language_version:
      - 2
      - 0
    .max_flat_workgroup_size: 64
    .name:           _ZN9rocsolver6v33100L18getri_kernel_smallILi33E19rocblas_complex_numIfEPKPS3_EEvT1_iilPiilS8_bb
    .private_segment_fixed_size: 272
    .sgpr_count:     23
    .sgpr_spill_count: 0
    .symbol:         _ZN9rocsolver6v33100L18getri_kernel_smallILi33E19rocblas_complex_numIfEPKPS3_EEvT1_iilPiilS8_bb.kd
    .uniform_work_group_size: 1
    .uses_dynamic_stack: false
    .vgpr_count:     205
    .vgpr_spill_count: 0
    .wavefront_size: 64
  - .agpr_count:     0
    .args:
      - .address_space:  global
        .offset:         0
        .size:           8
        .value_kind:     global_buffer
      - .offset:         8
        .size:           4
        .value_kind:     by_value
      - .offset:         12
        .size:           4
        .value_kind:     by_value
      - .offset:         16
        .size:           8
        .value_kind:     by_value
      - .address_space:  global
        .offset:         24
        .size:           8
        .value_kind:     global_buffer
      - .offset:         32
        .size:           4
        .value_kind:     by_value
      - .offset:         40
        .size:           8
        .value_kind:     by_value
      - .address_space:  global
        .offset:         48
        .size:           8
        .value_kind:     global_buffer
      - .offset:         56
        .size:           1
        .value_kind:     by_value
      - .offset:         57
        .size:           1
        .value_kind:     by_value
    .group_segment_fixed_size: 548
    .kernarg_segment_align: 8
    .kernarg_segment_size: 60
    .language:       OpenCL C
    .language_version:
      - 2
      - 0
    .max_flat_workgroup_size: 64
    .name:           _ZN9rocsolver6v33100L18getri_kernel_smallILi34E19rocblas_complex_numIfEPKPS3_EEvT1_iilPiilS8_bb
    .private_segment_fixed_size: 288
    .sgpr_count:     23
    .sgpr_spill_count: 0
    .symbol:         _ZN9rocsolver6v33100L18getri_kernel_smallILi34E19rocblas_complex_numIfEPKPS3_EEvT1_iilPiilS8_bb.kd
    .uniform_work_group_size: 1
    .uses_dynamic_stack: false
    .vgpr_count:     209
    .vgpr_spill_count: 0
    .wavefront_size: 64
  - .agpr_count:     0
    .args:
      - .address_space:  global
        .offset:         0
        .size:           8
        .value_kind:     global_buffer
      - .offset:         8
        .size:           4
        .value_kind:     by_value
      - .offset:         12
        .size:           4
        .value_kind:     by_value
      - .offset:         16
        .size:           8
        .value_kind:     by_value
      - .address_space:  global
        .offset:         24
        .size:           8
        .value_kind:     global_buffer
      - .offset:         32
        .size:           4
        .value_kind:     by_value
      - .offset:         40
        .size:           8
        .value_kind:     by_value
      - .address_space:  global
        .offset:         48
        .size:           8
        .value_kind:     global_buffer
      - .offset:         56
        .size:           1
        .value_kind:     by_value
      - .offset:         57
        .size:           1
        .value_kind:     by_value
    .group_segment_fixed_size: 568
    .kernarg_segment_align: 8
    .kernarg_segment_size: 60
    .language:       OpenCL C
    .language_version:
      - 2
      - 0
    .max_flat_workgroup_size: 64
    .name:           _ZN9rocsolver6v33100L18getri_kernel_smallILi35E19rocblas_complex_numIfEPKPS3_EEvT1_iilPiilS8_bb
    .private_segment_fixed_size: 288
    .sgpr_count:     23
    .sgpr_spill_count: 0
    .symbol:         _ZN9rocsolver6v33100L18getri_kernel_smallILi35E19rocblas_complex_numIfEPKPS3_EEvT1_iilPiilS8_bb.kd
    .uniform_work_group_size: 1
    .uses_dynamic_stack: false
    .vgpr_count:     211
    .vgpr_spill_count: 0
    .wavefront_size: 64
  - .agpr_count:     0
    .args:
      - .address_space:  global
        .offset:         0
        .size:           8
        .value_kind:     global_buffer
      - .offset:         8
        .size:           4
        .value_kind:     by_value
      - .offset:         12
        .size:           4
        .value_kind:     by_value
      - .offset:         16
        .size:           8
        .value_kind:     by_value
      - .address_space:  global
        .offset:         24
        .size:           8
        .value_kind:     global_buffer
      - .offset:         32
        .size:           4
        .value_kind:     by_value
      - .offset:         40
        .size:           8
        .value_kind:     by_value
      - .address_space:  global
        .offset:         48
        .size:           8
        .value_kind:     global_buffer
      - .offset:         56
        .size:           1
        .value_kind:     by_value
      - .offset:         57
        .size:           1
        .value_kind:     by_value
    .group_segment_fixed_size: 580
    .kernarg_segment_align: 8
    .kernarg_segment_size: 60
    .language:       OpenCL C
    .language_version:
      - 2
      - 0
    .max_flat_workgroup_size: 64
    .name:           _ZN9rocsolver6v33100L18getri_kernel_smallILi36E19rocblas_complex_numIfEPKPS3_EEvT1_iilPiilS8_bb
    .private_segment_fixed_size: 304
    .sgpr_count:     23
    .sgpr_spill_count: 0
    .symbol:         _ZN9rocsolver6v33100L18getri_kernel_smallILi36E19rocblas_complex_numIfEPKPS3_EEvT1_iilPiilS8_bb.kd
    .uniform_work_group_size: 1
    .uses_dynamic_stack: false
    .vgpr_count:     213
    .vgpr_spill_count: 0
    .wavefront_size: 64
  - .agpr_count:     0
    .args:
      - .address_space:  global
        .offset:         0
        .size:           8
        .value_kind:     global_buffer
      - .offset:         8
        .size:           4
        .value_kind:     by_value
      - .offset:         12
        .size:           4
        .value_kind:     by_value
      - .offset:         16
        .size:           8
        .value_kind:     by_value
      - .address_space:  global
        .offset:         24
        .size:           8
        .value_kind:     global_buffer
      - .offset:         32
        .size:           4
        .value_kind:     by_value
      - .offset:         40
        .size:           8
        .value_kind:     by_value
      - .address_space:  global
        .offset:         48
        .size:           8
        .value_kind:     global_buffer
      - .offset:         56
        .size:           1
        .value_kind:     by_value
      - .offset:         57
        .size:           1
        .value_kind:     by_value
    .group_segment_fixed_size: 600
    .kernarg_segment_align: 8
    .kernarg_segment_size: 60
    .language:       OpenCL C
    .language_version:
      - 2
      - 0
    .max_flat_workgroup_size: 64
    .name:           _ZN9rocsolver6v33100L18getri_kernel_smallILi37E19rocblas_complex_numIfEPKPS3_EEvT1_iilPiilS8_bb
    .private_segment_fixed_size: 304
    .sgpr_count:     23
    .sgpr_spill_count: 0
    .symbol:         _ZN9rocsolver6v33100L18getri_kernel_smallILi37E19rocblas_complex_numIfEPKPS3_EEvT1_iilPiilS8_bb.kd
    .uniform_work_group_size: 1
    .uses_dynamic_stack: false
    .vgpr_count:     216
    .vgpr_spill_count: 0
    .wavefront_size: 64
  - .agpr_count:     0
    .args:
      - .address_space:  global
        .offset:         0
        .size:           8
        .value_kind:     global_buffer
      - .offset:         8
        .size:           4
        .value_kind:     by_value
      - .offset:         12
        .size:           4
        .value_kind:     by_value
      - .offset:         16
        .size:           8
        .value_kind:     by_value
      - .address_space:  global
        .offset:         24
        .size:           8
        .value_kind:     global_buffer
      - .offset:         32
        .size:           4
        .value_kind:     by_value
      - .offset:         40
        .size:           8
        .value_kind:     by_value
      - .address_space:  global
        .offset:         48
        .size:           8
        .value_kind:     global_buffer
      - .offset:         56
        .size:           1
        .value_kind:     by_value
      - .offset:         57
        .size:           1
        .value_kind:     by_value
    .group_segment_fixed_size: 612
    .kernarg_segment_align: 8
    .kernarg_segment_size: 60
    .language:       OpenCL C
    .language_version:
      - 2
      - 0
    .max_flat_workgroup_size: 64
    .name:           _ZN9rocsolver6v33100L18getri_kernel_smallILi38E19rocblas_complex_numIfEPKPS3_EEvT1_iilPiilS8_bb
    .private_segment_fixed_size: 320
    .sgpr_count:     23
    .sgpr_spill_count: 0
    .symbol:         _ZN9rocsolver6v33100L18getri_kernel_smallILi38E19rocblas_complex_numIfEPKPS3_EEvT1_iilPiilS8_bb.kd
    .uniform_work_group_size: 1
    .uses_dynamic_stack: false
    .vgpr_count:     224
    .vgpr_spill_count: 0
    .wavefront_size: 64
  - .agpr_count:     0
    .args:
      - .address_space:  global
        .offset:         0
        .size:           8
        .value_kind:     global_buffer
      - .offset:         8
        .size:           4
        .value_kind:     by_value
      - .offset:         12
        .size:           4
        .value_kind:     by_value
      - .offset:         16
        .size:           8
        .value_kind:     by_value
      - .address_space:  global
        .offset:         24
        .size:           8
        .value_kind:     global_buffer
      - .offset:         32
        .size:           4
        .value_kind:     by_value
      - .offset:         40
        .size:           8
        .value_kind:     by_value
      - .address_space:  global
        .offset:         48
        .size:           8
        .value_kind:     global_buffer
      - .offset:         56
        .size:           1
        .value_kind:     by_value
      - .offset:         57
        .size:           1
        .value_kind:     by_value
    .group_segment_fixed_size: 632
    .kernarg_segment_align: 8
    .kernarg_segment_size: 60
    .language:       OpenCL C
    .language_version:
      - 2
      - 0
    .max_flat_workgroup_size: 64
    .name:           _ZN9rocsolver6v33100L18getri_kernel_smallILi39E19rocblas_complex_numIfEPKPS3_EEvT1_iilPiilS8_bb
    .private_segment_fixed_size: 320
    .sgpr_count:     23
    .sgpr_spill_count: 0
    .symbol:         _ZN9rocsolver6v33100L18getri_kernel_smallILi39E19rocblas_complex_numIfEPKPS3_EEvT1_iilPiilS8_bb.kd
    .uniform_work_group_size: 1
    .uses_dynamic_stack: false
    .vgpr_count:     228
    .vgpr_spill_count: 0
    .wavefront_size: 64
  - .agpr_count:     0
    .args:
      - .address_space:  global
        .offset:         0
        .size:           8
        .value_kind:     global_buffer
      - .offset:         8
        .size:           4
        .value_kind:     by_value
      - .offset:         12
        .size:           4
        .value_kind:     by_value
      - .offset:         16
        .size:           8
        .value_kind:     by_value
      - .address_space:  global
        .offset:         24
        .size:           8
        .value_kind:     global_buffer
      - .offset:         32
        .size:           4
        .value_kind:     by_value
      - .offset:         40
        .size:           8
        .value_kind:     by_value
      - .address_space:  global
        .offset:         48
        .size:           8
        .value_kind:     global_buffer
      - .offset:         56
        .size:           1
        .value_kind:     by_value
      - .offset:         57
        .size:           1
        .value_kind:     by_value
    .group_segment_fixed_size: 644
    .kernarg_segment_align: 8
    .kernarg_segment_size: 60
    .language:       OpenCL C
    .language_version:
      - 2
      - 0
    .max_flat_workgroup_size: 64
    .name:           _ZN9rocsolver6v33100L18getri_kernel_smallILi40E19rocblas_complex_numIfEPKPS3_EEvT1_iilPiilS8_bb
    .private_segment_fixed_size: 336
    .sgpr_count:     23
    .sgpr_spill_count: 0
    .symbol:         _ZN9rocsolver6v33100L18getri_kernel_smallILi40E19rocblas_complex_numIfEPKPS3_EEvT1_iilPiilS8_bb.kd
    .uniform_work_group_size: 1
    .uses_dynamic_stack: false
    .vgpr_count:     232
    .vgpr_spill_count: 0
    .wavefront_size: 64
  - .agpr_count:     0
    .args:
      - .address_space:  global
        .offset:         0
        .size:           8
        .value_kind:     global_buffer
      - .offset:         8
        .size:           4
        .value_kind:     by_value
      - .offset:         12
        .size:           4
        .value_kind:     by_value
      - .offset:         16
        .size:           8
        .value_kind:     by_value
      - .address_space:  global
        .offset:         24
        .size:           8
        .value_kind:     global_buffer
      - .offset:         32
        .size:           4
        .value_kind:     by_value
      - .offset:         40
        .size:           8
        .value_kind:     by_value
      - .address_space:  global
        .offset:         48
        .size:           8
        .value_kind:     global_buffer
      - .offset:         56
        .size:           1
        .value_kind:     by_value
      - .offset:         57
        .size:           1
        .value_kind:     by_value
    .group_segment_fixed_size: 664
    .kernarg_segment_align: 8
    .kernarg_segment_size: 60
    .language:       OpenCL C
    .language_version:
      - 2
      - 0
    .max_flat_workgroup_size: 64
    .name:           _ZN9rocsolver6v33100L18getri_kernel_smallILi41E19rocblas_complex_numIfEPKPS3_EEvT1_iilPiilS8_bb
    .private_segment_fixed_size: 336
    .sgpr_count:     23
    .sgpr_spill_count: 0
    .symbol:         _ZN9rocsolver6v33100L18getri_kernel_smallILi41E19rocblas_complex_numIfEPKPS3_EEvT1_iilPiilS8_bb.kd
    .uniform_work_group_size: 1
    .uses_dynamic_stack: false
    .vgpr_count:     236
    .vgpr_spill_count: 0
    .wavefront_size: 64
  - .agpr_count:     0
    .args:
      - .address_space:  global
        .offset:         0
        .size:           8
        .value_kind:     global_buffer
      - .offset:         8
        .size:           4
        .value_kind:     by_value
      - .offset:         12
        .size:           4
        .value_kind:     by_value
      - .offset:         16
        .size:           8
        .value_kind:     by_value
      - .address_space:  global
        .offset:         24
        .size:           8
        .value_kind:     global_buffer
      - .offset:         32
        .size:           4
        .value_kind:     by_value
      - .offset:         40
        .size:           8
        .value_kind:     by_value
      - .address_space:  global
        .offset:         48
        .size:           8
        .value_kind:     global_buffer
      - .offset:         56
        .size:           1
        .value_kind:     by_value
      - .offset:         57
        .size:           1
        .value_kind:     by_value
    .group_segment_fixed_size: 676
    .kernarg_segment_align: 8
    .kernarg_segment_size: 60
    .language:       OpenCL C
    .language_version:
      - 2
      - 0
    .max_flat_workgroup_size: 64
    .name:           _ZN9rocsolver6v33100L18getri_kernel_smallILi42E19rocblas_complex_numIfEPKPS3_EEvT1_iilPiilS8_bb
    .private_segment_fixed_size: 352
    .sgpr_count:     23
    .sgpr_spill_count: 0
    .symbol:         _ZN9rocsolver6v33100L18getri_kernel_smallILi42E19rocblas_complex_numIfEPKPS3_EEvT1_iilPiilS8_bb.kd
    .uniform_work_group_size: 1
    .uses_dynamic_stack: false
    .vgpr_count:     248
    .vgpr_spill_count: 0
    .wavefront_size: 64
  - .agpr_count:     0
    .args:
      - .address_space:  global
        .offset:         0
        .size:           8
        .value_kind:     global_buffer
      - .offset:         8
        .size:           4
        .value_kind:     by_value
      - .offset:         12
        .size:           4
        .value_kind:     by_value
      - .offset:         16
        .size:           8
        .value_kind:     by_value
      - .address_space:  global
        .offset:         24
        .size:           8
        .value_kind:     global_buffer
      - .offset:         32
        .size:           4
        .value_kind:     by_value
      - .offset:         40
        .size:           8
        .value_kind:     by_value
      - .address_space:  global
        .offset:         48
        .size:           8
        .value_kind:     global_buffer
      - .offset:         56
        .size:           1
        .value_kind:     by_value
      - .offset:         57
        .size:           1
        .value_kind:     by_value
    .group_segment_fixed_size: 696
    .kernarg_segment_align: 8
    .kernarg_segment_size: 60
    .language:       OpenCL C
    .language_version:
      - 2
      - 0
    .max_flat_workgroup_size: 64
    .name:           _ZN9rocsolver6v33100L18getri_kernel_smallILi43E19rocblas_complex_numIfEPKPS3_EEvT1_iilPiilS8_bb
    .private_segment_fixed_size: 352
    .sgpr_count:     23
    .sgpr_spill_count: 0
    .symbol:         _ZN9rocsolver6v33100L18getri_kernel_smallILi43E19rocblas_complex_numIfEPKPS3_EEvT1_iilPiilS8_bb.kd
    .uniform_work_group_size: 1
    .uses_dynamic_stack: false
    .vgpr_count:     252
    .vgpr_spill_count: 0
    .wavefront_size: 64
  - .agpr_count:     0
    .args:
      - .address_space:  global
        .offset:         0
        .size:           8
        .value_kind:     global_buffer
      - .offset:         8
        .size:           4
        .value_kind:     by_value
      - .offset:         12
        .size:           4
        .value_kind:     by_value
      - .offset:         16
        .size:           8
        .value_kind:     by_value
      - .address_space:  global
        .offset:         24
        .size:           8
        .value_kind:     global_buffer
      - .offset:         32
        .size:           4
        .value_kind:     by_value
      - .offset:         40
        .size:           8
        .value_kind:     by_value
      - .address_space:  global
        .offset:         48
        .size:           8
        .value_kind:     global_buffer
      - .offset:         56
        .size:           1
        .value_kind:     by_value
      - .offset:         57
        .size:           1
        .value_kind:     by_value
    .group_segment_fixed_size: 708
    .kernarg_segment_align: 8
    .kernarg_segment_size: 60
    .language:       OpenCL C
    .language_version:
      - 2
      - 0
    .max_flat_workgroup_size: 64
    .name:           _ZN9rocsolver6v33100L18getri_kernel_smallILi44E19rocblas_complex_numIfEPKPS3_EEvT1_iilPiilS8_bb
    .private_segment_fixed_size: 368
    .sgpr_count:     23
    .sgpr_spill_count: 0
    .symbol:         _ZN9rocsolver6v33100L18getri_kernel_smallILi44E19rocblas_complex_numIfEPKPS3_EEvT1_iilPiilS8_bb.kd
    .uniform_work_group_size: 1
    .uses_dynamic_stack: false
    .vgpr_count:     256
    .vgpr_spill_count: 0
    .wavefront_size: 64
  - .agpr_count:     4
    .args:
      - .address_space:  global
        .offset:         0
        .size:           8
        .value_kind:     global_buffer
      - .offset:         8
        .size:           4
        .value_kind:     by_value
      - .offset:         12
        .size:           4
        .value_kind:     by_value
      - .offset:         16
        .size:           8
        .value_kind:     by_value
      - .address_space:  global
        .offset:         24
        .size:           8
        .value_kind:     global_buffer
      - .offset:         32
        .size:           4
        .value_kind:     by_value
      - .offset:         40
        .size:           8
        .value_kind:     by_value
      - .address_space:  global
        .offset:         48
        .size:           8
        .value_kind:     global_buffer
      - .offset:         56
        .size:           1
        .value_kind:     by_value
      - .offset:         57
        .size:           1
        .value_kind:     by_value
    .group_segment_fixed_size: 728
    .kernarg_segment_align: 8
    .kernarg_segment_size: 60
    .language:       OpenCL C
    .language_version:
      - 2
      - 0
    .max_flat_workgroup_size: 64
    .name:           _ZN9rocsolver6v33100L18getri_kernel_smallILi45E19rocblas_complex_numIfEPKPS3_EEvT1_iilPiilS8_bb
    .private_segment_fixed_size: 368
    .sgpr_count:     23
    .sgpr_spill_count: 0
    .symbol:         _ZN9rocsolver6v33100L18getri_kernel_smallILi45E19rocblas_complex_numIfEPKPS3_EEvT1_iilPiilS8_bb.kd
    .uniform_work_group_size: 1
    .uses_dynamic_stack: false
    .vgpr_count:     260
    .vgpr_spill_count: 0
    .wavefront_size: 64
  - .agpr_count:     10
    .args:
      - .address_space:  global
        .offset:         0
        .size:           8
        .value_kind:     global_buffer
      - .offset:         8
        .size:           4
        .value_kind:     by_value
      - .offset:         12
        .size:           4
        .value_kind:     by_value
      - .offset:         16
        .size:           8
        .value_kind:     by_value
      - .address_space:  global
        .offset:         24
        .size:           8
        .value_kind:     global_buffer
      - .offset:         32
        .size:           4
        .value_kind:     by_value
      - .offset:         40
        .size:           8
        .value_kind:     by_value
      - .address_space:  global
        .offset:         48
        .size:           8
        .value_kind:     global_buffer
      - .offset:         56
        .size:           1
        .value_kind:     by_value
      - .offset:         57
        .size:           1
        .value_kind:     by_value
    .group_segment_fixed_size: 740
    .kernarg_segment_align: 8
    .kernarg_segment_size: 60
    .language:       OpenCL C
    .language_version:
      - 2
      - 0
    .max_flat_workgroup_size: 64
    .name:           _ZN9rocsolver6v33100L18getri_kernel_smallILi46E19rocblas_complex_numIfEPKPS3_EEvT1_iilPiilS8_bb
    .private_segment_fixed_size: 384
    .sgpr_count:     23
    .sgpr_spill_count: 0
    .symbol:         _ZN9rocsolver6v33100L18getri_kernel_smallILi46E19rocblas_complex_numIfEPKPS3_EEvT1_iilPiilS8_bb.kd
    .uniform_work_group_size: 1
    .uses_dynamic_stack: false
    .vgpr_count:     266
    .vgpr_spill_count: 0
    .wavefront_size: 64
  - .agpr_count:     14
    .args:
      - .address_space:  global
        .offset:         0
        .size:           8
        .value_kind:     global_buffer
      - .offset:         8
        .size:           4
        .value_kind:     by_value
      - .offset:         12
        .size:           4
        .value_kind:     by_value
      - .offset:         16
        .size:           8
        .value_kind:     by_value
      - .address_space:  global
        .offset:         24
        .size:           8
        .value_kind:     global_buffer
      - .offset:         32
        .size:           4
        .value_kind:     by_value
      - .offset:         40
        .size:           8
        .value_kind:     by_value
      - .address_space:  global
        .offset:         48
        .size:           8
        .value_kind:     global_buffer
      - .offset:         56
        .size:           1
        .value_kind:     by_value
      - .offset:         57
        .size:           1
        .value_kind:     by_value
    .group_segment_fixed_size: 760
    .kernarg_segment_align: 8
    .kernarg_segment_size: 60
    .language:       OpenCL C
    .language_version:
      - 2
      - 0
    .max_flat_workgroup_size: 64
    .name:           _ZN9rocsolver6v33100L18getri_kernel_smallILi47E19rocblas_complex_numIfEPKPS3_EEvT1_iilPiilS8_bb
    .private_segment_fixed_size: 384
    .sgpr_count:     23
    .sgpr_spill_count: 0
    .symbol:         _ZN9rocsolver6v33100L18getri_kernel_smallILi47E19rocblas_complex_numIfEPKPS3_EEvT1_iilPiilS8_bb.kd
    .uniform_work_group_size: 1
    .uses_dynamic_stack: false
    .vgpr_count:     270
    .vgpr_spill_count: 0
    .wavefront_size: 64
  - .agpr_count:     22
    .args:
      - .address_space:  global
        .offset:         0
        .size:           8
        .value_kind:     global_buffer
      - .offset:         8
        .size:           4
        .value_kind:     by_value
      - .offset:         12
        .size:           4
        .value_kind:     by_value
      - .offset:         16
        .size:           8
        .value_kind:     by_value
      - .address_space:  global
        .offset:         24
        .size:           8
        .value_kind:     global_buffer
      - .offset:         32
        .size:           4
        .value_kind:     by_value
      - .offset:         40
        .size:           8
        .value_kind:     by_value
      - .address_space:  global
        .offset:         48
        .size:           8
        .value_kind:     global_buffer
      - .offset:         56
        .size:           1
        .value_kind:     by_value
      - .offset:         57
        .size:           1
        .value_kind:     by_value
    .group_segment_fixed_size: 772
    .kernarg_segment_align: 8
    .kernarg_segment_size: 60
    .language:       OpenCL C
    .language_version:
      - 2
      - 0
    .max_flat_workgroup_size: 64
    .name:           _ZN9rocsolver6v33100L18getri_kernel_smallILi48E19rocblas_complex_numIfEPKPS3_EEvT1_iilPiilS8_bb
    .private_segment_fixed_size: 400
    .sgpr_count:     23
    .sgpr_spill_count: 0
    .symbol:         _ZN9rocsolver6v33100L18getri_kernel_smallILi48E19rocblas_complex_numIfEPKPS3_EEvT1_iilPiilS8_bb.kd
    .uniform_work_group_size: 1
    .uses_dynamic_stack: false
    .vgpr_count:     278
    .vgpr_spill_count: 0
    .wavefront_size: 64
  - .agpr_count:     26
    .args:
      - .address_space:  global
        .offset:         0
        .size:           8
        .value_kind:     global_buffer
      - .offset:         8
        .size:           4
        .value_kind:     by_value
      - .offset:         12
        .size:           4
        .value_kind:     by_value
      - .offset:         16
        .size:           8
        .value_kind:     by_value
      - .address_space:  global
        .offset:         24
        .size:           8
        .value_kind:     global_buffer
      - .offset:         32
        .size:           4
        .value_kind:     by_value
      - .offset:         40
        .size:           8
        .value_kind:     by_value
      - .address_space:  global
        .offset:         48
        .size:           8
        .value_kind:     global_buffer
      - .offset:         56
        .size:           1
        .value_kind:     by_value
      - .offset:         57
        .size:           1
        .value_kind:     by_value
    .group_segment_fixed_size: 792
    .kernarg_segment_align: 8
    .kernarg_segment_size: 60
    .language:       OpenCL C
    .language_version:
      - 2
      - 0
    .max_flat_workgroup_size: 64
    .name:           _ZN9rocsolver6v33100L18getri_kernel_smallILi49E19rocblas_complex_numIfEPKPS3_EEvT1_iilPiilS8_bb
    .private_segment_fixed_size: 400
    .sgpr_count:     23
    .sgpr_spill_count: 0
    .symbol:         _ZN9rocsolver6v33100L18getri_kernel_smallILi49E19rocblas_complex_numIfEPKPS3_EEvT1_iilPiilS8_bb.kd
    .uniform_work_group_size: 1
    .uses_dynamic_stack: false
    .vgpr_count:     282
    .vgpr_spill_count: 0
    .wavefront_size: 64
  - .agpr_count:     34
    .args:
      - .address_space:  global
        .offset:         0
        .size:           8
        .value_kind:     global_buffer
      - .offset:         8
        .size:           4
        .value_kind:     by_value
      - .offset:         12
        .size:           4
        .value_kind:     by_value
      - .offset:         16
        .size:           8
        .value_kind:     by_value
      - .address_space:  global
        .offset:         24
        .size:           8
        .value_kind:     global_buffer
      - .offset:         32
        .size:           4
        .value_kind:     by_value
      - .offset:         40
        .size:           8
        .value_kind:     by_value
      - .address_space:  global
        .offset:         48
        .size:           8
        .value_kind:     global_buffer
      - .offset:         56
        .size:           1
        .value_kind:     by_value
      - .offset:         57
        .size:           1
        .value_kind:     by_value
    .group_segment_fixed_size: 804
    .kernarg_segment_align: 8
    .kernarg_segment_size: 60
    .language:       OpenCL C
    .language_version:
      - 2
      - 0
    .max_flat_workgroup_size: 64
    .name:           _ZN9rocsolver6v33100L18getri_kernel_smallILi50E19rocblas_complex_numIfEPKPS3_EEvT1_iilPiilS8_bb
    .private_segment_fixed_size: 416
    .sgpr_count:     23
    .sgpr_spill_count: 0
    .symbol:         _ZN9rocsolver6v33100L18getri_kernel_smallILi50E19rocblas_complex_numIfEPKPS3_EEvT1_iilPiilS8_bb.kd
    .uniform_work_group_size: 1
    .uses_dynamic_stack: false
    .vgpr_count:     290
    .vgpr_spill_count: 0
    .wavefront_size: 64
  - .agpr_count:     38
    .args:
      - .address_space:  global
        .offset:         0
        .size:           8
        .value_kind:     global_buffer
      - .offset:         8
        .size:           4
        .value_kind:     by_value
      - .offset:         12
        .size:           4
        .value_kind:     by_value
      - .offset:         16
        .size:           8
        .value_kind:     by_value
      - .address_space:  global
        .offset:         24
        .size:           8
        .value_kind:     global_buffer
      - .offset:         32
        .size:           4
        .value_kind:     by_value
      - .offset:         40
        .size:           8
        .value_kind:     by_value
      - .address_space:  global
        .offset:         48
        .size:           8
        .value_kind:     global_buffer
      - .offset:         56
        .size:           1
        .value_kind:     by_value
      - .offset:         57
        .size:           1
        .value_kind:     by_value
    .group_segment_fixed_size: 824
    .kernarg_segment_align: 8
    .kernarg_segment_size: 60
    .language:       OpenCL C
    .language_version:
      - 2
      - 0
    .max_flat_workgroup_size: 64
    .name:           _ZN9rocsolver6v33100L18getri_kernel_smallILi51E19rocblas_complex_numIfEPKPS3_EEvT1_iilPiilS8_bb
    .private_segment_fixed_size: 416
    .sgpr_count:     23
    .sgpr_spill_count: 0
    .symbol:         _ZN9rocsolver6v33100L18getri_kernel_smallILi51E19rocblas_complex_numIfEPKPS3_EEvT1_iilPiilS8_bb.kd
    .uniform_work_group_size: 1
    .uses_dynamic_stack: false
    .vgpr_count:     294
    .vgpr_spill_count: 0
    .wavefront_size: 64
  - .agpr_count:     46
    .args:
      - .address_space:  global
        .offset:         0
        .size:           8
        .value_kind:     global_buffer
      - .offset:         8
        .size:           4
        .value_kind:     by_value
      - .offset:         12
        .size:           4
        .value_kind:     by_value
      - .offset:         16
        .size:           8
        .value_kind:     by_value
      - .address_space:  global
        .offset:         24
        .size:           8
        .value_kind:     global_buffer
      - .offset:         32
        .size:           4
        .value_kind:     by_value
      - .offset:         40
        .size:           8
        .value_kind:     by_value
      - .address_space:  global
        .offset:         48
        .size:           8
        .value_kind:     global_buffer
      - .offset:         56
        .size:           1
        .value_kind:     by_value
      - .offset:         57
        .size:           1
        .value_kind:     by_value
    .group_segment_fixed_size: 836
    .kernarg_segment_align: 8
    .kernarg_segment_size: 60
    .language:       OpenCL C
    .language_version:
      - 2
      - 0
    .max_flat_workgroup_size: 64
    .name:           _ZN9rocsolver6v33100L18getri_kernel_smallILi52E19rocblas_complex_numIfEPKPS3_EEvT1_iilPiilS8_bb
    .private_segment_fixed_size: 432
    .sgpr_count:     23
    .sgpr_spill_count: 0
    .symbol:         _ZN9rocsolver6v33100L18getri_kernel_smallILi52E19rocblas_complex_numIfEPKPS3_EEvT1_iilPiilS8_bb.kd
    .uniform_work_group_size: 1
    .uses_dynamic_stack: false
    .vgpr_count:     302
    .vgpr_spill_count: 0
    .wavefront_size: 64
  - .agpr_count:     50
    .args:
      - .address_space:  global
        .offset:         0
        .size:           8
        .value_kind:     global_buffer
      - .offset:         8
        .size:           4
        .value_kind:     by_value
      - .offset:         12
        .size:           4
        .value_kind:     by_value
      - .offset:         16
        .size:           8
        .value_kind:     by_value
      - .address_space:  global
        .offset:         24
        .size:           8
        .value_kind:     global_buffer
      - .offset:         32
        .size:           4
        .value_kind:     by_value
      - .offset:         40
        .size:           8
        .value_kind:     by_value
      - .address_space:  global
        .offset:         48
        .size:           8
        .value_kind:     global_buffer
      - .offset:         56
        .size:           1
        .value_kind:     by_value
      - .offset:         57
        .size:           1
        .value_kind:     by_value
    .group_segment_fixed_size: 856
    .kernarg_segment_align: 8
    .kernarg_segment_size: 60
    .language:       OpenCL C
    .language_version:
      - 2
      - 0
    .max_flat_workgroup_size: 64
    .name:           _ZN9rocsolver6v33100L18getri_kernel_smallILi53E19rocblas_complex_numIfEPKPS3_EEvT1_iilPiilS8_bb
    .private_segment_fixed_size: 432
    .sgpr_count:     23
    .sgpr_spill_count: 0
    .symbol:         _ZN9rocsolver6v33100L18getri_kernel_smallILi53E19rocblas_complex_numIfEPKPS3_EEvT1_iilPiilS8_bb.kd
    .uniform_work_group_size: 1
    .uses_dynamic_stack: false
    .vgpr_count:     306
    .vgpr_spill_count: 0
    .wavefront_size: 64
  - .agpr_count:     58
    .args:
      - .address_space:  global
        .offset:         0
        .size:           8
        .value_kind:     global_buffer
      - .offset:         8
        .size:           4
        .value_kind:     by_value
      - .offset:         12
        .size:           4
        .value_kind:     by_value
      - .offset:         16
        .size:           8
        .value_kind:     by_value
      - .address_space:  global
        .offset:         24
        .size:           8
        .value_kind:     global_buffer
      - .offset:         32
        .size:           4
        .value_kind:     by_value
      - .offset:         40
        .size:           8
        .value_kind:     by_value
      - .address_space:  global
        .offset:         48
        .size:           8
        .value_kind:     global_buffer
      - .offset:         56
        .size:           1
        .value_kind:     by_value
      - .offset:         57
        .size:           1
        .value_kind:     by_value
    .group_segment_fixed_size: 868
    .kernarg_segment_align: 8
    .kernarg_segment_size: 60
    .language:       OpenCL C
    .language_version:
      - 2
      - 0
    .max_flat_workgroup_size: 64
    .name:           _ZN9rocsolver6v33100L18getri_kernel_smallILi54E19rocblas_complex_numIfEPKPS3_EEvT1_iilPiilS8_bb
    .private_segment_fixed_size: 448
    .sgpr_count:     23
    .sgpr_spill_count: 0
    .symbol:         _ZN9rocsolver6v33100L18getri_kernel_smallILi54E19rocblas_complex_numIfEPKPS3_EEvT1_iilPiilS8_bb.kd
    .uniform_work_group_size: 1
    .uses_dynamic_stack: false
    .vgpr_count:     314
    .vgpr_spill_count: 0
    .wavefront_size: 64
  - .agpr_count:     62
    .args:
      - .address_space:  global
        .offset:         0
        .size:           8
        .value_kind:     global_buffer
      - .offset:         8
        .size:           4
        .value_kind:     by_value
      - .offset:         12
        .size:           4
        .value_kind:     by_value
      - .offset:         16
        .size:           8
        .value_kind:     by_value
      - .address_space:  global
        .offset:         24
        .size:           8
        .value_kind:     global_buffer
      - .offset:         32
        .size:           4
        .value_kind:     by_value
      - .offset:         40
        .size:           8
        .value_kind:     by_value
      - .address_space:  global
        .offset:         48
        .size:           8
        .value_kind:     global_buffer
      - .offset:         56
        .size:           1
        .value_kind:     by_value
      - .offset:         57
        .size:           1
        .value_kind:     by_value
    .group_segment_fixed_size: 888
    .kernarg_segment_align: 8
    .kernarg_segment_size: 60
    .language:       OpenCL C
    .language_version:
      - 2
      - 0
    .max_flat_workgroup_size: 64
    .name:           _ZN9rocsolver6v33100L18getri_kernel_smallILi55E19rocblas_complex_numIfEPKPS3_EEvT1_iilPiilS8_bb
    .private_segment_fixed_size: 448
    .sgpr_count:     23
    .sgpr_spill_count: 0
    .symbol:         _ZN9rocsolver6v33100L18getri_kernel_smallILi55E19rocblas_complex_numIfEPKPS3_EEvT1_iilPiilS8_bb.kd
    .uniform_work_group_size: 1
    .uses_dynamic_stack: false
    .vgpr_count:     318
    .vgpr_spill_count: 0
    .wavefront_size: 64
  - .agpr_count:     70
    .args:
      - .address_space:  global
        .offset:         0
        .size:           8
        .value_kind:     global_buffer
      - .offset:         8
        .size:           4
        .value_kind:     by_value
      - .offset:         12
        .size:           4
        .value_kind:     by_value
      - .offset:         16
        .size:           8
        .value_kind:     by_value
      - .address_space:  global
        .offset:         24
        .size:           8
        .value_kind:     global_buffer
      - .offset:         32
        .size:           4
        .value_kind:     by_value
      - .offset:         40
        .size:           8
        .value_kind:     by_value
      - .address_space:  global
        .offset:         48
        .size:           8
        .value_kind:     global_buffer
      - .offset:         56
        .size:           1
        .value_kind:     by_value
      - .offset:         57
        .size:           1
        .value_kind:     by_value
    .group_segment_fixed_size: 900
    .kernarg_segment_align: 8
    .kernarg_segment_size: 60
    .language:       OpenCL C
    .language_version:
      - 2
      - 0
    .max_flat_workgroup_size: 64
    .name:           _ZN9rocsolver6v33100L18getri_kernel_smallILi56E19rocblas_complex_numIfEPKPS3_EEvT1_iilPiilS8_bb
    .private_segment_fixed_size: 464
    .sgpr_count:     23
    .sgpr_spill_count: 0
    .symbol:         _ZN9rocsolver6v33100L18getri_kernel_smallILi56E19rocblas_complex_numIfEPKPS3_EEvT1_iilPiilS8_bb.kd
    .uniform_work_group_size: 1
    .uses_dynamic_stack: false
    .vgpr_count:     326
    .vgpr_spill_count: 0
    .wavefront_size: 64
  - .agpr_count:     74
    .args:
      - .address_space:  global
        .offset:         0
        .size:           8
        .value_kind:     global_buffer
      - .offset:         8
        .size:           4
        .value_kind:     by_value
      - .offset:         12
        .size:           4
        .value_kind:     by_value
      - .offset:         16
        .size:           8
        .value_kind:     by_value
      - .address_space:  global
        .offset:         24
        .size:           8
        .value_kind:     global_buffer
      - .offset:         32
        .size:           4
        .value_kind:     by_value
      - .offset:         40
        .size:           8
        .value_kind:     by_value
      - .address_space:  global
        .offset:         48
        .size:           8
        .value_kind:     global_buffer
      - .offset:         56
        .size:           1
        .value_kind:     by_value
      - .offset:         57
        .size:           1
        .value_kind:     by_value
    .group_segment_fixed_size: 920
    .kernarg_segment_align: 8
    .kernarg_segment_size: 60
    .language:       OpenCL C
    .language_version:
      - 2
      - 0
    .max_flat_workgroup_size: 64
    .name:           _ZN9rocsolver6v33100L18getri_kernel_smallILi57E19rocblas_complex_numIfEPKPS3_EEvT1_iilPiilS8_bb
    .private_segment_fixed_size: 464
    .sgpr_count:     23
    .sgpr_spill_count: 0
    .symbol:         _ZN9rocsolver6v33100L18getri_kernel_smallILi57E19rocblas_complex_numIfEPKPS3_EEvT1_iilPiilS8_bb.kd
    .uniform_work_group_size: 1
    .uses_dynamic_stack: false
    .vgpr_count:     330
    .vgpr_spill_count: 0
    .wavefront_size: 64
  - .agpr_count:     82
    .args:
      - .address_space:  global
        .offset:         0
        .size:           8
        .value_kind:     global_buffer
      - .offset:         8
        .size:           4
        .value_kind:     by_value
      - .offset:         12
        .size:           4
        .value_kind:     by_value
      - .offset:         16
        .size:           8
        .value_kind:     by_value
      - .address_space:  global
        .offset:         24
        .size:           8
        .value_kind:     global_buffer
      - .offset:         32
        .size:           4
        .value_kind:     by_value
      - .offset:         40
        .size:           8
        .value_kind:     by_value
      - .address_space:  global
        .offset:         48
        .size:           8
        .value_kind:     global_buffer
      - .offset:         56
        .size:           1
        .value_kind:     by_value
      - .offset:         57
        .size:           1
        .value_kind:     by_value
    .group_segment_fixed_size: 932
    .kernarg_segment_align: 8
    .kernarg_segment_size: 60
    .language:       OpenCL C
    .language_version:
      - 2
      - 0
    .max_flat_workgroup_size: 64
    .name:           _ZN9rocsolver6v33100L18getri_kernel_smallILi58E19rocblas_complex_numIfEPKPS3_EEvT1_iilPiilS8_bb
    .private_segment_fixed_size: 480
    .sgpr_count:     23
    .sgpr_spill_count: 0
    .symbol:         _ZN9rocsolver6v33100L18getri_kernel_smallILi58E19rocblas_complex_numIfEPKPS3_EEvT1_iilPiilS8_bb.kd
    .uniform_work_group_size: 1
    .uses_dynamic_stack: false
    .vgpr_count:     338
    .vgpr_spill_count: 0
    .wavefront_size: 64
  - .agpr_count:     86
    .args:
      - .address_space:  global
        .offset:         0
        .size:           8
        .value_kind:     global_buffer
      - .offset:         8
        .size:           4
        .value_kind:     by_value
      - .offset:         12
        .size:           4
        .value_kind:     by_value
      - .offset:         16
        .size:           8
        .value_kind:     by_value
      - .address_space:  global
        .offset:         24
        .size:           8
        .value_kind:     global_buffer
      - .offset:         32
        .size:           4
        .value_kind:     by_value
      - .offset:         40
        .size:           8
        .value_kind:     by_value
      - .address_space:  global
        .offset:         48
        .size:           8
        .value_kind:     global_buffer
      - .offset:         56
        .size:           1
        .value_kind:     by_value
      - .offset:         57
        .size:           1
        .value_kind:     by_value
    .group_segment_fixed_size: 952
    .kernarg_segment_align: 8
    .kernarg_segment_size: 60
    .language:       OpenCL C
    .language_version:
      - 2
      - 0
    .max_flat_workgroup_size: 64
    .name:           _ZN9rocsolver6v33100L18getri_kernel_smallILi59E19rocblas_complex_numIfEPKPS3_EEvT1_iilPiilS8_bb
    .private_segment_fixed_size: 480
    .sgpr_count:     23
    .sgpr_spill_count: 0
    .symbol:         _ZN9rocsolver6v33100L18getri_kernel_smallILi59E19rocblas_complex_numIfEPKPS3_EEvT1_iilPiilS8_bb.kd
    .uniform_work_group_size: 1
    .uses_dynamic_stack: false
    .vgpr_count:     342
    .vgpr_spill_count: 0
    .wavefront_size: 64
  - .agpr_count:     94
    .args:
      - .address_space:  global
        .offset:         0
        .size:           8
        .value_kind:     global_buffer
      - .offset:         8
        .size:           4
        .value_kind:     by_value
      - .offset:         12
        .size:           4
        .value_kind:     by_value
      - .offset:         16
        .size:           8
        .value_kind:     by_value
      - .address_space:  global
        .offset:         24
        .size:           8
        .value_kind:     global_buffer
      - .offset:         32
        .size:           4
        .value_kind:     by_value
      - .offset:         40
        .size:           8
        .value_kind:     by_value
      - .address_space:  global
        .offset:         48
        .size:           8
        .value_kind:     global_buffer
      - .offset:         56
        .size:           1
        .value_kind:     by_value
      - .offset:         57
        .size:           1
        .value_kind:     by_value
    .group_segment_fixed_size: 964
    .kernarg_segment_align: 8
    .kernarg_segment_size: 60
    .language:       OpenCL C
    .language_version:
      - 2
      - 0
    .max_flat_workgroup_size: 64
    .name:           _ZN9rocsolver6v33100L18getri_kernel_smallILi60E19rocblas_complex_numIfEPKPS3_EEvT1_iilPiilS8_bb
    .private_segment_fixed_size: 496
    .sgpr_count:     23
    .sgpr_spill_count: 0
    .symbol:         _ZN9rocsolver6v33100L18getri_kernel_smallILi60E19rocblas_complex_numIfEPKPS3_EEvT1_iilPiilS8_bb.kd
    .uniform_work_group_size: 1
    .uses_dynamic_stack: false
    .vgpr_count:     350
    .vgpr_spill_count: 0
    .wavefront_size: 64
  - .agpr_count:     98
    .args:
      - .address_space:  global
        .offset:         0
        .size:           8
        .value_kind:     global_buffer
      - .offset:         8
        .size:           4
        .value_kind:     by_value
      - .offset:         12
        .size:           4
        .value_kind:     by_value
      - .offset:         16
        .size:           8
        .value_kind:     by_value
      - .address_space:  global
        .offset:         24
        .size:           8
        .value_kind:     global_buffer
      - .offset:         32
        .size:           4
        .value_kind:     by_value
      - .offset:         40
        .size:           8
        .value_kind:     by_value
      - .address_space:  global
        .offset:         48
        .size:           8
        .value_kind:     global_buffer
      - .offset:         56
        .size:           1
        .value_kind:     by_value
      - .offset:         57
        .size:           1
        .value_kind:     by_value
    .group_segment_fixed_size: 984
    .kernarg_segment_align: 8
    .kernarg_segment_size: 60
    .language:       OpenCL C
    .language_version:
      - 2
      - 0
    .max_flat_workgroup_size: 64
    .name:           _ZN9rocsolver6v33100L18getri_kernel_smallILi61E19rocblas_complex_numIfEPKPS3_EEvT1_iilPiilS8_bb
    .private_segment_fixed_size: 496
    .sgpr_count:     23
    .sgpr_spill_count: 0
    .symbol:         _ZN9rocsolver6v33100L18getri_kernel_smallILi61E19rocblas_complex_numIfEPKPS3_EEvT1_iilPiilS8_bb.kd
    .uniform_work_group_size: 1
    .uses_dynamic_stack: false
    .vgpr_count:     354
    .vgpr_spill_count: 0
    .wavefront_size: 64
  - .agpr_count:     106
    .args:
      - .address_space:  global
        .offset:         0
        .size:           8
        .value_kind:     global_buffer
      - .offset:         8
        .size:           4
        .value_kind:     by_value
      - .offset:         12
        .size:           4
        .value_kind:     by_value
      - .offset:         16
        .size:           8
        .value_kind:     by_value
      - .address_space:  global
        .offset:         24
        .size:           8
        .value_kind:     global_buffer
      - .offset:         32
        .size:           4
        .value_kind:     by_value
      - .offset:         40
        .size:           8
        .value_kind:     by_value
      - .address_space:  global
        .offset:         48
        .size:           8
        .value_kind:     global_buffer
      - .offset:         56
        .size:           1
        .value_kind:     by_value
      - .offset:         57
        .size:           1
        .value_kind:     by_value
    .group_segment_fixed_size: 996
    .kernarg_segment_align: 8
    .kernarg_segment_size: 60
    .language:       OpenCL C
    .language_version:
      - 2
      - 0
    .max_flat_workgroup_size: 64
    .name:           _ZN9rocsolver6v33100L18getri_kernel_smallILi62E19rocblas_complex_numIfEPKPS3_EEvT1_iilPiilS8_bb
    .private_segment_fixed_size: 512
    .sgpr_count:     23
    .sgpr_spill_count: 0
    .symbol:         _ZN9rocsolver6v33100L18getri_kernel_smallILi62E19rocblas_complex_numIfEPKPS3_EEvT1_iilPiilS8_bb.kd
    .uniform_work_group_size: 1
    .uses_dynamic_stack: false
    .vgpr_count:     362
    .vgpr_spill_count: 0
    .wavefront_size: 64
  - .agpr_count:     110
    .args:
      - .address_space:  global
        .offset:         0
        .size:           8
        .value_kind:     global_buffer
      - .offset:         8
        .size:           4
        .value_kind:     by_value
      - .offset:         12
        .size:           4
        .value_kind:     by_value
      - .offset:         16
        .size:           8
        .value_kind:     by_value
      - .address_space:  global
        .offset:         24
        .size:           8
        .value_kind:     global_buffer
      - .offset:         32
        .size:           4
        .value_kind:     by_value
      - .offset:         40
        .size:           8
        .value_kind:     by_value
      - .address_space:  global
        .offset:         48
        .size:           8
        .value_kind:     global_buffer
      - .offset:         56
        .size:           1
        .value_kind:     by_value
      - .offset:         57
        .size:           1
        .value_kind:     by_value
    .group_segment_fixed_size: 1016
    .kernarg_segment_align: 8
    .kernarg_segment_size: 60
    .language:       OpenCL C
    .language_version:
      - 2
      - 0
    .max_flat_workgroup_size: 64
    .name:           _ZN9rocsolver6v33100L18getri_kernel_smallILi63E19rocblas_complex_numIfEPKPS3_EEvT1_iilPiilS8_bb
    .private_segment_fixed_size: 512
    .sgpr_count:     23
    .sgpr_spill_count: 0
    .symbol:         _ZN9rocsolver6v33100L18getri_kernel_smallILi63E19rocblas_complex_numIfEPKPS3_EEvT1_iilPiilS8_bb.kd
    .uniform_work_group_size: 1
    .uses_dynamic_stack: false
    .vgpr_count:     366
    .vgpr_spill_count: 0
    .wavefront_size: 64
  - .agpr_count:     116
    .args:
      - .address_space:  global
        .offset:         0
        .size:           8
        .value_kind:     global_buffer
      - .offset:         8
        .size:           4
        .value_kind:     by_value
      - .offset:         12
        .size:           4
        .value_kind:     by_value
      - .offset:         16
        .size:           8
        .value_kind:     by_value
      - .address_space:  global
        .offset:         24
        .size:           8
        .value_kind:     global_buffer
      - .offset:         32
        .size:           4
        .value_kind:     by_value
      - .offset:         40
        .size:           8
        .value_kind:     by_value
      - .address_space:  global
        .offset:         48
        .size:           8
        .value_kind:     global_buffer
      - .offset:         56
        .size:           1
        .value_kind:     by_value
      - .offset:         57
        .size:           1
        .value_kind:     by_value
    .group_segment_fixed_size: 1028
    .kernarg_segment_align: 8
    .kernarg_segment_size: 60
    .language:       OpenCL C
    .language_version:
      - 2
      - 0
    .max_flat_workgroup_size: 64
    .name:           _ZN9rocsolver6v33100L18getri_kernel_smallILi64E19rocblas_complex_numIfEPKPS3_EEvT1_iilPiilS8_bb
    .private_segment_fixed_size: 528
    .sgpr_count:     23
    .sgpr_spill_count: 0
    .symbol:         _ZN9rocsolver6v33100L18getri_kernel_smallILi64E19rocblas_complex_numIfEPKPS3_EEvT1_iilPiilS8_bb.kd
    .uniform_work_group_size: 1
    .uses_dynamic_stack: false
    .vgpr_count:     372
    .vgpr_spill_count: 0
    .wavefront_size: 64
amdhsa.target:   amdgcn-amd-amdhsa--gfx950
amdhsa.version:
  - 1
  - 2
...

	.end_amdgpu_metadata
